;; amdgpu-corpus repo=pytorch/pytorch kind=compiled arch=gfx1100 opt=O3
	.text
	.amdgcn_target "amdgcn-amd-amdhsa--gfx1100"
	.amdhsa_code_object_version 6
	.section	.text._ZN2at6native12_GLOBAL__N_114gatherKthValueIhiLi1EEEvNS_4cuda6detail10TensorInfoIKT_T0_EES8_S8_S8_S8_NS5_IS6_S8_EENS5_IlS8_EE,"axG",@progbits,_ZN2at6native12_GLOBAL__N_114gatherKthValueIhiLi1EEEvNS_4cuda6detail10TensorInfoIKT_T0_EES8_S8_S8_S8_NS5_IS6_S8_EENS5_IlS8_EE,comdat
	.globl	_ZN2at6native12_GLOBAL__N_114gatherKthValueIhiLi1EEEvNS_4cuda6detail10TensorInfoIKT_T0_EES8_S8_S8_S8_NS5_IS6_S8_EENS5_IlS8_EE ; -- Begin function _ZN2at6native12_GLOBAL__N_114gatherKthValueIhiLi1EEEvNS_4cuda6detail10TensorInfoIKT_T0_EES8_S8_S8_S8_NS5_IS6_S8_EENS5_IlS8_EE
	.p2align	8
	.type	_ZN2at6native12_GLOBAL__N_114gatherKthValueIhiLi1EEEvNS_4cuda6detail10TensorInfoIKT_T0_EES8_S8_S8_S8_NS5_IS6_S8_EENS5_IlS8_EE,@function
_ZN2at6native12_GLOBAL__N_114gatherKthValueIhiLi1EEEvNS_4cuda6detail10TensorInfoIKT_T0_EES8_S8_S8_S8_NS5_IS6_S8_EENS5_IlS8_EE: ; @_ZN2at6native12_GLOBAL__N_114gatherKthValueIhiLi1EEEvNS_4cuda6detail10TensorInfoIKT_T0_EES8_S8_S8_S8_NS5_IS6_S8_EENS5_IlS8_EE
; %bb.0:
	s_clause 0x1
	s_load_b64 s[6:7], s[0:1], 0x298
	s_load_b128 s[36:39], s[0:1], 0xd8
	s_add_u32 s4, s0, 0x298
	s_addc_u32 s5, s1, 0
	s_waitcnt lgkmcnt(0)
	s_mul_i32 s2, s7, s15
	s_delay_alu instid0(SALU_CYCLE_1) | instskip(NEXT) | instid1(SALU_CYCLE_1)
	s_add_i32 s2, s2, s14
	s_mul_i32 s29, s2, s6
	s_delay_alu instid0(SALU_CYCLE_1) | instskip(NEXT) | instid1(SALU_CYCLE_1)
	s_add_i32 s29, s29, s13
	s_cmp_ge_i32 s29, s38
	s_cbranch_scc1 .LBB0_255
; %bb.1:
	s_clause 0x3
	s_load_b64 s[30:31], s[0:1], 0x1c0
	s_load_b64 s[34:35], s[0:1], 0xe8
	s_load_b32 s3, s[0:1], 0x6c
	s_load_b64 s[8:9], s[0:1], 0x0
	v_cmp_eq_u32_e64 s2, 0, v0
	s_mov_b32 s45, 0
	s_delay_alu instid0(VALU_DEP_1)
	s_and_saveexec_b32 s7, s2
	s_cbranch_execz .LBB0_3
; %bb.2:
	v_dual_mov_b32 v1, 0 :: v_dual_mov_b32 v2, s36
	s_delay_alu instid0(VALU_DEP_1)
	v_mov_b32_e32 v3, v1
	ds_store_b96 v1, v[1:3] offset:4096
.LBB0_3:
	s_or_b32 exec_lo, exec_lo, s7
	s_waitcnt lgkmcnt(0)
	s_barrier
	buffer_gl0_inv
	s_load_b32 s7, s[4:5], 0xc
	s_mul_i32 s3, s3, s29
	v_mbcnt_lo_u32_b32 v12, -1, 0
	s_ashr_i32 s10, s3, 31
	s_add_u32 s40, s8, s3
	s_addc_u32 s41, s9, s10
	v_cmp_gt_u32_e32 vcc_lo, 32, v0
	v_cmp_gt_i32_e64 s3, 4, v12
	s_clause 0x1
	s_load_b32 s33, s[0:1], 0x22c
	s_load_b32 s38, s[0:1], 0x154
	v_mul_lo_u32 v11, v0, s39
	s_mov_b32 s10, s39
	v_cmp_gt_u32_e64 s0, 2, v0
	s_and_b32 s47, vcc_lo, s3
	v_lshl_or_b32 v20, v12, 2, 0xc00
	v_mov_b32_e32 v22, 0
	s_mov_b32 s57, 6
	s_mov_b32 s67, 0
	v_lshlrev_b32_e32 v18, 2, v11
	s_mov_b32 s69, 0
	s_mov_b32 s70, 0
	s_waitcnt lgkmcnt(0)
	s_and_b32 s44, s7, 0xffff
	s_bfe_u32 s1, s7, 0xb0005
	s_lshl_b32 s46, s44, 2
	s_add_i32 s48, s44, -1
	v_cvt_f32_u32_e32 v1, s46
	s_add_i32 s60, s48, s36
	s_cmpk_gt_i32 s36, 0xc00
	v_cvt_f32_u32_e32 v2, s44
	s_cselect_b32 s49, -1, 0
	v_rcp_iflag_f32_e32 v1, v1
	s_cmp_gt_u32 s44, 31
	s_mul_i32 s51, s39, s44
	s_cselect_b32 s50, -1, 0
	s_cmp_lt_u32 s13, s6
	v_rcp_iflag_f32_e32 v2, v2
	s_cselect_b32 s3, 12, 18
	v_lshlrev_b32_e32 v13, 2, v0
	s_add_u32 s42, s4, s3
	s_addc_u32 s43, s5, 0
	s_waitcnt_depctr 0xfff
	v_mul_f32_e32 v1, 0x4f7ffffe, v1
	s_add_i32 s3, s1, -1
	s_bfe_u32 s52, s44, 0x30005
	s_cmp_gt_u32 s3, 6
                                        ; implicit-def: $sgpr62
                                        ; implicit-def: $sgpr64
                                        ; implicit-def: $sgpr63
                                        ; implicit-def: $sgpr66
                                        ; implicit-def: $sgpr68
                                        ; implicit-def: $sgpr65
	v_mov_b32_e32 v21, 0
	v_cvt_u32_f32_e32 v1, v1
	s_cselect_b32 s53, -1, 0
	s_and_b32 s54, s1, 0x7f8
	s_cmp_lg_u32 s52, 0
	v_mul_f32_e32 v2, 0x4f7ffffe, v2
	v_readfirstlane_b32 s4, v1
	s_cselect_b32 s55, -1, 0
	s_sub_i32 s3, 0, s46
	v_lshrrev_b32_e32 v1, 3, v0
	v_cvt_u32_f32_e32 v2, v2
	s_mul_i32 s5, s3, s4
	v_cmp_gt_u32_e64 s1, s36, v0
	s_mul_hi_u32 s5, s4, s5
	v_and_b32_e32 v14, 0x7c, v1
	s_add_i32 s56, s4, s5
	v_cmp_gt_i32_e64 s3, s36, v0
	s_mul_hi_u32 s4, s36, s56
	s_delay_alu instid0(SALU_CYCLE_1) | instskip(NEXT) | instid1(SALU_CYCLE_1)
	s_mul_i32 s4, s4, s46
	s_sub_i32 s5, s36, s4
	v_cmp_eq_u32_e64 s4, 0, v12
	s_sub_i32 s6, s5, s46
	s_cmp_ge_u32 s5, s46
	s_cselect_b32 s5, s6, s5
	v_readfirstlane_b32 s6, v2
	s_sub_i32 s7, s5, s46
	s_cmp_ge_u32 s5, s46
	v_lshlrev_b64 v[1:2], v12, -1
	s_cselect_b32 s9, s7, s5
	s_sub_i32 s5, 0, s44
	s_sub_i32 s59, s36, s9
	s_mul_i32 s5, s5, s6
	v_add_co_u32 v5, s7, s40, v11
	s_mul_hi_u32 s5, s6, s5
	v_add_nc_u32_e32 v16, s59, v0
	v_add_co_ci_u32_e64 v6, null, s41, 0, s7
	s_abs_i32 s7, s60
	s_add_i32 s58, s6, s5
	s_delay_alu instid0(VALU_DEP_2)
	v_mul_lo_u32 v2, v16, s39
	s_mul_hi_u32 s5, s7, s58
	s_ashr_i32 s8, s60, 31
	s_mul_i32 s5, s5, s44
	v_not_b32_e32 v15, v1
	s_sub_i32 s5, s7, s5
	v_add3_u32 v1, s44, s36, v0
	s_sub_i32 s6, s5, s44
	s_cmp_ge_u32 s5, s44
	v_ashrrev_i32_e32 v3, 31, v2
	s_cselect_b32 s6, s6, s5
	v_add_co_u32 v7, vcc_lo, s40, v2
	s_sub_i32 s7, s6, s44
	s_cmp_ge_u32 s6, s44
	v_add_co_ci_u32_e32 v8, vcc_lo, s41, v3, vcc_lo
	s_cselect_b32 s7, s7, s6
	v_or_b32_e32 v2, 2, v13
	v_or_b32_e32 v3, 3, v13
	v_subrev_nc_u32_e32 v1, s9, v1
	s_xor_b32 s11, s7, s8
	v_cmp_gt_i32_e64 s5, s59, v13
	s_sub_i32 s8, s8, s11
	v_mad_u64_u32 v[9:10], null, s39, v13, s[10:11]
	v_mul_lo_u32 v10, s39, v2
	v_mul_lo_u32 v17, s39, v3
	v_mul_lo_u32 v19, s39, v1
	s_add_i32 s60, s60, s8
	v_cmp_gt_u32_e64 s6, s36, v16
	v_cmp_gt_i32_e64 s7, s36, v16
	v_cmp_gt_i32_e64 s8, s60, v0
	s_lshl_b32 s61, s51, 2
	s_branch .LBB0_8
.LBB0_4:                                ;   in Loop: Header=BB0_8 Depth=1
	s_xor_b32 s67, s67, 1
	s_add_i32 s13, s57, -2
	s_cmp_eq_u32 s57, 0
	s_mov_b32 s9, 0
	s_cselect_b32 s12, -1, 0
	s_mov_b32 s57, s13
.LBB0_5:                                ;   in Loop: Header=BB0_8 Depth=1
	s_and_not1_b32 s13, s15, exec_lo
	s_and_b32 s9, s9, exec_lo
	s_and_not1_b32 s16, s16, exec_lo
	s_or_b32 s15, s13, s9
	s_and_not1_b32 s14, s14, exec_lo
	s_or_not1_b32 s13, s12, exec_lo
	s_mov_b32 s37, s22
.LBB0_6:                                ;   in Loop: Header=BB0_8 Depth=1
	s_or_b32 exec_lo, exec_lo, s10
	s_delay_alu instid0(SALU_CYCLE_1)
	s_and_not1_b32 s9, s65, exec_lo
	s_and_b32 s10, s15, exec_lo
	s_and_not1_b32 s12, s66, exec_lo
	s_or_b32 s65, s9, s10
	s_and_not1_b32 s9, s68, exec_lo
	s_and_b32 s10, s16, exec_lo
	s_and_b32 s14, s14, exec_lo
	s_or_b32 s68, s9, s10
	s_or_b32 s66, s12, s14
	s_or_not1_b32 s14, s13, exec_lo
.LBB0_7:                                ;   in Loop: Header=BB0_8 Depth=1
	s_or_b32 exec_lo, exec_lo, s11
	s_delay_alu instid0(SALU_CYCLE_1)
	s_and_b32 s9, exec_lo, s14
	v_mov_b32_e32 v1, s69
	s_or_b32 s45, s9, s45
	s_and_not1_b32 s9, s63, exec_lo
	s_and_b32 s10, s65, exec_lo
	s_and_not1_b32 s11, s62, exec_lo
	s_or_b32 s63, s9, s10
	s_and_not1_b32 s9, s64, exec_lo
	s_and_b32 s10, s68, exec_lo
	s_and_b32 s12, s66, exec_lo
	s_or_b32 s64, s9, s10
	s_or_b32 s62, s11, s12
	s_and_not1_b32 exec_lo, exec_lo, s45
	s_cbranch_execz .LBB0_231
.LBB0_8:                                ; =>This Loop Header: Depth=1
                                        ;     Child Loop BB0_13 Depth 2
                                        ;     Child Loop BB0_32 Depth 2
	;; [unrolled: 1-line block ×16, first 2 shown]
	ds_load_b64 v[1:2], v21 offset:4096
	s_waitcnt lgkmcnt(0)
	v_readfirstlane_b32 s71, v1
	s_delay_alu instid0(VALU_DEP_1)
	s_cmp_gt_i32 s71, 0
	s_cbranch_scc1 .LBB0_39
; %bb.9:                                ;   in Loop: Header=BB0_8 Depth=1
	s_and_b32 vcc_lo, exec_lo, s49
	s_cbranch_vccz .LBB0_21
; %bb.10:                               ;   in Loop: Header=BB0_8 Depth=1
	v_cmp_gt_i32_e32 vcc_lo, 0xc01, v2
	s_mov_b32 s10, 0
	s_mov_b32 s9, 0
	s_cbranch_vccz .LBB0_26
; %bb.11:                               ;   in Loop: Header=BB0_8 Depth=1
	global_load_u16 v1, v21, s[42:43]
	global_load_u8 v23, v[5:6], off
	v_mov_b32_e32 v4, v0
	s_mov_b32 s11, 0
	s_waitcnt vmcnt(1)
	v_add_nc_u32_e32 v2, v0, v1
	v_mul_lo_u32 v3, s39, v1
	s_delay_alu instid0(VALU_DEP_2)
	v_mul_lo_u32 v2, s39, v2
	s_branch .LBB0_13
.LBB0_12:                               ;   in Loop: Header=BB0_13 Depth=2
	s_or_b32 exec_lo, exec_lo, s9
	v_cmp_le_i32_e32 vcc_lo, s36, v4
	v_dual_mov_b32 v23, v24 :: v_dual_add_nc_u32 v2, v2, v3
	s_or_b32 s11, vcc_lo, s11
	s_delay_alu instid0(SALU_CYCLE_1)
	s_and_not1_b32 exec_lo, exec_lo, s11
	s_cbranch_execz .LBB0_22
.LBB0_13:                               ;   Parent Loop BB0_8 Depth=1
                                        ; =>  This Inner Loop Header: Depth=2
	s_waitcnt lgkmcnt(0)
	v_dual_mov_b32 v25, 0 :: v_dual_add_nc_u32 v4, v4, v1
	v_mov_b32_e32 v24, 0
	s_mov_b32 s9, exec_lo
	s_delay_alu instid0(VALU_DEP_2)
	v_cmpx_gt_u32_e64 s36, v4
	s_cbranch_execz .LBB0_15
; %bb.14:                               ;   in Loop: Header=BB0_13 Depth=2
	global_load_u8 v24, v2, s[40:41]
.LBB0_15:                               ;   in Loop: Header=BB0_13 Depth=2
	s_or_b32 exec_lo, exec_lo, s9
	s_waitcnt vmcnt(0)
	v_and_b32_e32 v26, s70, v23
	s_delay_alu instid0(VALU_DEP_1) | instskip(NEXT) | instid1(VALU_DEP_1)
	v_and_b32_e32 v26, 0xff, v26
	v_cmp_eq_u32_e32 vcc_lo, s69, v26
	s_cmp_lg_u32 vcc_lo, 0
	s_cselect_b32 s9, -1, 0
	s_delay_alu instid0(SALU_CYCLE_1) | instskip(NEXT) | instid1(SALU_CYCLE_1)
	s_and_b32 s9, s4, s9
	s_and_saveexec_b32 s12, s9
	s_cbranch_execz .LBB0_19
; %bb.16:                               ;   in Loop: Header=BB0_13 Depth=2
	s_mov_b32 s15, exec_lo
	s_bcnt1_i32_b32 s13, vcc_lo
	v_mbcnt_lo_u32_b32 v25, s15, 0
	s_mov_b32 s14, exec_lo
                                        ; implicit-def: $vgpr26
	s_delay_alu instid0(VALU_DEP_1)
	v_cmpx_eq_u32_e32 0, v25
	s_cbranch_execz .LBB0_18
; %bb.17:                               ;   in Loop: Header=BB0_13 Depth=2
	s_bcnt1_i32_b32 s9, s15
	s_delay_alu instid0(SALU_CYCLE_1) | instskip(NEXT) | instid1(SALU_CYCLE_1)
	s_mul_i32 s9, s13, s9
	v_mov_b32_e32 v26, s9
	ds_add_rtn_u32 v26, v21, v26 offset:4104
.LBB0_18:                               ;   in Loop: Header=BB0_13 Depth=2
	s_or_b32 exec_lo, exec_lo, s14
	s_waitcnt lgkmcnt(0)
	v_readfirstlane_b32 s9, v26
	s_delay_alu instid0(VALU_DEP_1)
	v_mad_u32_u24 v25, s13, v25, s9
.LBB0_19:                               ;   in Loop: Header=BB0_13 Depth=2
	s_or_b32 exec_lo, exec_lo, s12
	ds_bpermute_b32 v25, v21, v25
	s_and_saveexec_b32 s9, vcc_lo
	s_cbranch_execz .LBB0_12
; %bb.20:                               ;   in Loop: Header=BB0_13 Depth=2
	v_and_b32_e32 v26, vcc_lo, v15
	s_waitcnt lgkmcnt(0)
	s_delay_alu instid0(VALU_DEP_1)
	v_bcnt_u32_b32 v25, v26, v25
	ds_store_b8 v25, v23
	s_branch .LBB0_12
.LBB0_21:                               ;   in Loop: Header=BB0_8 Depth=1
	s_mov_b32 s10, -1
	s_mov_b32 s9, 0
	s_branch .LBB0_25
.LBB0_22:                               ;   in Loop: Header=BB0_8 Depth=1
	s_or_b32 exec_lo, exec_lo, s11
	s_waitcnt lgkmcnt(0)
	s_barrier
	buffer_gl0_inv
	s_and_saveexec_b32 s9, s2
	s_cbranch_execz .LBB0_24
; %bb.23:                               ;   in Loop: Header=BB0_8 Depth=1
	ds_load_b32 v1, v21 offset:4104
	s_waitcnt lgkmcnt(0)
	ds_store_b32 v21, v1 offset:4096
.LBB0_24:                               ;   in Loop: Header=BB0_8 Depth=1
	s_or_b32 exec_lo, exec_lo, s9
	s_waitcnt lgkmcnt(0)
	s_mov_b32 s9, -1
	s_barrier
.LBB0_25:                               ;   in Loop: Header=BB0_8 Depth=1
                                        ; implicit-def: $sgpr71
.LBB0_26:                               ;   in Loop: Header=BB0_8 Depth=1
	s_and_b32 vcc_lo, exec_lo, s10
	s_cbranch_vccz .LBB0_37
; %bb.27:                               ;   in Loop: Header=BB0_8 Depth=1
	v_mov_b32_e32 v1, 0
	s_and_saveexec_b32 s9, s1
	s_cbranch_execz .LBB0_29
; %bb.28:                               ;   in Loop: Header=BB0_8 Depth=1
	global_load_u8 v1, v[5:6], off
.LBB0_29:                               ;   in Loop: Header=BB0_8 Depth=1
	s_or_b32 exec_lo, exec_lo, s9
	s_and_saveexec_b32 s9, s3
	s_cbranch_execz .LBB0_34
; %bb.30:                               ;   in Loop: Header=BB0_8 Depth=1
	global_load_u16 v2, v21, s[42:43]
	v_mov_b32_e32 v23, v0
	s_mov_b32 s10, 0
	s_waitcnt vmcnt(0)
	v_add_nc_u32_e32 v3, v0, v2
	v_mul_lo_u32 v4, s39, v2
	s_delay_alu instid0(VALU_DEP_2)
	v_mul_lo_u32 v3, s39, v3
	s_branch .LBB0_32
	.p2align	6
.LBB0_31:                               ;   in Loop: Header=BB0_32 Depth=2
	s_or_b32 exec_lo, exec_lo, s11
	v_cmp_le_i32_e32 vcc_lo, s36, v24
	ds_store_b8 v23, v1
	v_add_nc_u32_e32 v3, v3, v4
	s_waitcnt vmcnt(0)
	v_mov_b32_e32 v1, v25
	v_mov_b32_e32 v23, v24
	s_or_b32 s10, vcc_lo, s10
	s_delay_alu instid0(SALU_CYCLE_1)
	s_and_not1_b32 exec_lo, exec_lo, s10
	s_cbranch_execz .LBB0_34
.LBB0_32:                               ;   Parent Loop BB0_8 Depth=1
                                        ; =>  This Inner Loop Header: Depth=2
	s_delay_alu instid0(VALU_DEP_1) | instskip(SKIP_1) | instid1(VALU_DEP_1)
	v_dual_mov_b32 v25, 0 :: v_dual_add_nc_u32 v24, v23, v2
	s_mov_b32 s11, exec_lo
	v_cmpx_gt_u32_e64 s36, v24
	s_cbranch_execz .LBB0_31
; %bb.33:                               ;   in Loop: Header=BB0_32 Depth=2
	global_load_u8 v25, v3, s[40:41]
	s_branch .LBB0_31
.LBB0_34:                               ;   in Loop: Header=BB0_8 Depth=1
	s_or_b32 exec_lo, exec_lo, s9
	s_waitcnt vmcnt(0) lgkmcnt(0)
	s_barrier
	buffer_gl0_inv
	s_and_saveexec_b32 s9, s2
	s_cbranch_execz .LBB0_36
; %bb.35:                               ;   in Loop: Header=BB0_8 Depth=1
	v_mov_b32_e32 v1, s36
	ds_store_b32 v21, v1 offset:4096
.LBB0_36:                               ;   in Loop: Header=BB0_8 Depth=1
	s_or_b32 exec_lo, exec_lo, s9
	s_mov_b32 s9, -1
	s_waitcnt lgkmcnt(0)
	s_barrier
                                        ; implicit-def: $sgpr71
.LBB0_37:                               ;   in Loop: Header=BB0_8 Depth=1
	s_and_b32 vcc_lo, exec_lo, s9
	s_cbranch_vccz .LBB0_39
; %bb.38:                               ;   in Loop: Header=BB0_8 Depth=1
	buffer_gl0_inv
	ds_load_b32 v1, v21 offset:4096
	s_waitcnt lgkmcnt(0)
	v_readfirstlane_b32 s71, v1
.LBB0_39:                               ;   in Loop: Header=BB0_8 Depth=1
	s_delay_alu instid0(VALU_DEP_1)
	s_cmp_lt_i32 s71, 1
	s_cbranch_scc0 .LBB0_43
; %bb.40:                               ;   in Loop: Header=BB0_8 Depth=1
	v_dual_mov_b32 v1, 0 :: v_dual_mov_b32 v2, 0
	v_dual_mov_b32 v3, 0 :: v_dual_mov_b32 v4, 0
	s_mov_b32 s73, 0
	s_and_saveexec_b32 s72, s5
	s_cbranch_execnz .LBB0_44
; %bb.41:                               ;   in Loop: Header=BB0_8 Depth=1
	s_or_b32 exec_lo, exec_lo, s72
	v_mov_b32_e32 v25, 0
	s_and_saveexec_b32 s9, s6
	s_cbranch_execnz .LBB0_47
.LBB0_42:                               ;   in Loop: Header=BB0_8 Depth=1
	s_or_b32 exec_lo, exec_lo, s9
	s_and_saveexec_b32 s13, s7
	s_cbranch_execnz .LBB0_48
	s_branch .LBB0_53
.LBB0_43:                               ;   in Loop: Header=BB0_8 Depth=1
                                        ; implicit-def: $vgpr4
	s_cbranch_execnz .LBB0_54
	s_branch .LBB0_63
.LBB0_44:                               ;   in Loop: Header=BB0_8 Depth=1
	v_mov_b32_e32 v23, v13
	s_and_b32 s74, s57, 0xfe
	s_mov_b32 s75, 0
	s_mov_b32 s76, 0
	;; [unrolled: 1-line block ×5, first 2 shown]
.LBB0_45:                               ;   Parent Loop BB0_8 Depth=1
                                        ; =>  This Inner Loop Header: Depth=2
	v_add_nc_u32_e32 v2, s75, v18
	v_add_nc_u32_e32 v1, s75, v9
	;; [unrolled: 1-line block ×5, first 2 shown]
	v_ashrrev_i32_e32 v25, 31, v2
	v_ashrrev_i32_e32 v28, 31, v1
	;; [unrolled: 1-line block ×4, first 2 shown]
	v_add_co_u32 v26, s11, s40, v2
	v_add_co_u32 v1, vcc_lo, s40, v1
	v_add_co_u32 v3, s9, s40, v3
	v_add_co_ci_u32_e64 v27, s11, s41, v25, s11
	v_add_co_u32 v24, s10, s40, v4
	v_add_co_ci_u32_e32 v2, vcc_lo, s41, v28, vcc_lo
	v_add_co_ci_u32_e64 v4, vcc_lo, s41, v29, s9
	v_add_co_ci_u32_e64 v25, vcc_lo, s41, v30, s10
	s_clause 0x3
	global_load_u8 v26, v[26:27], off
	global_load_u8 v1, v[1:2], off
	;; [unrolled: 1-line block ×4, first 2 shown]
	v_cmp_le_i32_e32 vcc_lo, s59, v23
	s_add_i32 s75, s75, s61
	s_waitcnt vmcnt(3)
	v_and_b32_e32 v4, s70, v26
	v_bfe_u32 v26, v26, s74, 2
	s_waitcnt vmcnt(2)
	v_and_b32_e32 v24, s70, v1
	v_bfe_u32 v1, v1, s74, 2
	s_waitcnt vmcnt(1)
	v_and_b32_e32 v25, s70, v2
	v_bfe_u32 v2, v2, s74, 2
	v_cmp_eq_u32_e64 s9, s69, v4
	v_cmp_eq_u32_e64 s13, 0, v26
	s_waitcnt vmcnt(0)
	v_and_b32_e32 v27, s70, v3
	v_bfe_u32 v3, v3, s74, 2
	v_cmp_eq_u32_e64 s10, s69, v24
	v_cmp_eq_u32_e64 s14, 0, v1
	;; [unrolled: 1-line block ×4, first 2 shown]
	s_and_b32 s13, s9, s13
	v_cmp_eq_u32_e64 s12, s69, v27
	v_cmp_eq_u32_e64 s16, 0, v3
	;; [unrolled: 1-line block ×5, first 2 shown]
	v_cndmask_b32_e64 v1, 0, 1, s13
	s_and_b32 s13, s10, s14
	v_cmp_eq_u32_e64 s17, 1, v26
	v_cmp_eq_u32_e64 s19, 1, v2
	;; [unrolled: 1-line block ×4, first 2 shown]
	v_cndmask_b32_e64 v2, 0, 1, s13
	s_and_b32 s13, s11, s15
	v_cmp_eq_u32_e64 s20, 1, v3
	v_cmp_eq_u32_e64 s24, 2, v3
	;; [unrolled: 1-line block ×3, first 2 shown]
	v_cndmask_b32_e64 v3, 0, 1, s13
	s_and_b32 s13, s12, s16
	v_cmp_eq_u32_e64 s21, 2, v26
	v_cndmask_b32_e64 v4, 0, 1, s13
	s_and_b32 s13, s9, s17
	v_cmp_eq_u32_e64 s25, 3, v26
	v_cndmask_b32_e64 v24, 0, 1, s13
	s_and_b32 s13, s10, s18
	s_delay_alu instid0(SALU_CYCLE_1) | instskip(SKIP_1) | instid1(SALU_CYCLE_1)
	v_cndmask_b32_e64 v25, 0, 1, s13
	s_and_b32 s13, s11, s19
	v_cndmask_b32_e64 v26, 0, 1, s13
	s_and_b32 s13, s12, s20
	s_delay_alu instid0(VALU_DEP_2)
	v_cmp_ne_u32_e64 s14, 0, v25
	v_cndmask_b32_e64 v27, 0, 1, s13
	s_and_b32 s13, s9, s21
	s_and_b32 s9, s9, s25
	v_cndmask_b32_e64 v28, 0, 1, s13
	s_and_b32 s13, s10, s22
	v_cndmask_b32_e64 v32, 0, 1, s9
	;; [unrolled: 2-line block ×7, first 2 shown]
	v_cndmask_b32_e64 v35, 0, 1, s9
	v_cmp_ne_u32_e64 s9, 0, v1
	v_cmp_ne_u32_e64 s13, 0, v24
	v_cmp_ne_u32_e64 s17, 0, v28
	v_cmp_ne_u32_e64 s21, 0, v32
	v_cmp_ne_u32_e64 s10, 0, v2
	v_cmp_ne_u32_e64 s18, 0, v29
	v_cmp_ne_u32_e64 s22, 0, v33
	v_cmp_ne_u32_e64 s11, 0, v3
	v_cmp_ne_u32_e64 s15, 0, v26
	v_cmp_ne_u32_e64 s19, 0, v30
	v_cmp_ne_u32_e64 s23, 0, v34
	s_bcnt1_i32_b32 s9, s9
	s_bcnt1_i32_b32 s13, s13
	;; [unrolled: 1-line block ×4, first 2 shown]
	v_cmp_ne_u32_e64 s12, 0, v4
	v_cmp_ne_u32_e64 s16, 0, v27
	;; [unrolled: 1-line block ×4, first 2 shown]
	s_bcnt1_i32_b32 s10, s10
	s_bcnt1_i32_b32 s14, s14
	s_bcnt1_i32_b32 s18, s18
	s_bcnt1_i32_b32 s22, s22
	s_add_i32 s9, s9, s79
	s_add_i32 s13, s13, s78
	s_add_i32 s17, s17, s77
	s_add_i32 s21, s21, s76
	s_bcnt1_i32_b32 s11, s11
	s_bcnt1_i32_b32 s15, s15
	s_bcnt1_i32_b32 s19, s19
	s_bcnt1_i32_b32 s23, s23
	s_add_i32 s9, s9, s10
	s_add_i32 s10, s13, s14
	s_add_i32 s13, s17, s18
	s_add_i32 s14, s21, s22
	;; [unrolled: 8-line block ×3, first 2 shown]
	s_add_i32 s79, s9, s12
	s_add_i32 s78, s10, s16
	;; [unrolled: 1-line block ×4, first 2 shown]
	v_mov_b32_e32 v3, s77
	v_dual_mov_b32 v1, s79 :: v_dual_mov_b32 v2, s78
	v_mov_b32_e32 v4, s76
	s_or_b32 s73, vcc_lo, s73
	s_delay_alu instid0(SALU_CYCLE_1)
	s_and_not1_b32 exec_lo, exec_lo, s73
	s_cbranch_execnz .LBB0_45
; %bb.46:                               ;   in Loop: Header=BB0_8 Depth=1
	s_or_b32 exec_lo, exec_lo, s73
	s_delay_alu instid0(SALU_CYCLE_1)
	s_or_b32 exec_lo, exec_lo, s72
	v_mov_b32_e32 v25, 0
	s_and_saveexec_b32 s9, s6
	s_cbranch_execz .LBB0_42
.LBB0_47:                               ;   in Loop: Header=BB0_8 Depth=1
	global_load_u8 v25, v[7:8], off
	s_or_b32 exec_lo, exec_lo, s9
	s_and_saveexec_b32 s13, s7
	s_cbranch_execz .LBB0_53
.LBB0_48:                               ;   in Loop: Header=BB0_8 Depth=1
	v_dual_mov_b32 v23, v19 :: v_dual_mov_b32 v24, v16
	s_and_b32 s15, s57, 0xfe
	s_mov_b32 s14, 0
	s_branch .LBB0_50
.LBB0_49:                               ;   in Loop: Header=BB0_50 Depth=2
	s_or_b32 exec_lo, exec_lo, s9
	s_waitcnt vmcnt(0)
	v_and_b32_e32 v25, 0xff, v25
	v_add_nc_u32_e32 v23, s51, v23
	s_delay_alu instid0(VALU_DEP_2) | instskip(SKIP_1) | instid1(VALU_DEP_2)
	v_and_b32_e32 v27, s70, v25
	v_bfe_u32 v25, v25, s15, 2
	v_cmp_eq_u32_e32 vcc_lo, s69, v27
	s_delay_alu instid0(VALU_DEP_2) | instskip(SKIP_3) | instid1(VALU_DEP_4)
	v_cmp_eq_u32_e64 s9, 0, v25
	v_cmp_eq_u32_e64 s10, 1, v25
	;; [unrolled: 1-line block ×4, first 2 shown]
	s_and_b32 s9, vcc_lo, s9
	s_delay_alu instid0(SALU_CYCLE_1) | instskip(SKIP_1) | instid1(SALU_CYCLE_1)
	v_cndmask_b32_e64 v25, 0, 1, s9
	s_and_b32 s9, vcc_lo, s10
	v_cndmask_b32_e64 v27, 0, 1, s9
	s_and_b32 s9, vcc_lo, s11
	s_delay_alu instid0(SALU_CYCLE_1)
	v_cndmask_b32_e64 v28, 0, 1, s9
	s_and_b32 s9, vcc_lo, s12
	v_cmp_ne_u32_e32 vcc_lo, 0, v25
	v_cndmask_b32_e64 v29, 0, 1, s9
	v_cmp_ne_u32_e64 s9, 0, v27
	v_cmp_ne_u32_e64 s10, 0, v28
	v_cmp_le_i32_e64 s12, s36, v24
	s_bcnt1_i32_b32 s16, vcc_lo
	v_cmp_ne_u32_e64 s11, 0, v29
	s_bcnt1_i32_b32 s9, s9
	s_bcnt1_i32_b32 s10, s10
	v_add_nc_u32_e32 v1, s16, v1
	v_dual_mov_b32 v25, v26 :: v_dual_add_nc_u32 v2, s9, v2
	s_bcnt1_i32_b32 s11, s11
	v_add_nc_u32_e32 v3, s10, v3
	v_add_nc_u32_e32 v4, s11, v4
	s_or_b32 s14, s12, s14
	s_delay_alu instid0(SALU_CYCLE_1)
	s_and_not1_b32 exec_lo, exec_lo, s14
	s_cbranch_execz .LBB0_52
.LBB0_50:                               ;   Parent Loop BB0_8 Depth=1
                                        ; =>  This Inner Loop Header: Depth=2
	s_delay_alu instid0(VALU_DEP_1) | instskip(SKIP_2) | instid1(VALU_DEP_2)
	v_add_nc_u32_e32 v24, s44, v24
	v_mov_b32_e32 v26, 0
	s_mov_b32 s9, exec_lo
	v_cmpx_gt_u32_e64 s36, v24
	s_cbranch_execz .LBB0_49
; %bb.51:                               ;   in Loop: Header=BB0_50 Depth=2
	v_ashrrev_i32_e32 v27, 31, v23
	v_add_co_u32 v26, vcc_lo, s40, v23
	s_delay_alu instid0(VALU_DEP_2)
	v_add_co_ci_u32_e32 v27, vcc_lo, s41, v27, vcc_lo
	global_load_u8 v26, v[26:27], off
	s_branch .LBB0_49
.LBB0_52:                               ;   in Loop: Header=BB0_8 Depth=1
	s_or_b32 exec_lo, exec_lo, s14
.LBB0_53:                               ;   in Loop: Header=BB0_8 Depth=1
	s_delay_alu instid0(SALU_CYCLE_1)
	s_or_b32 exec_lo, exec_lo, s13
	s_branch .LBB0_63
.LBB0_54:                               ;   in Loop: Header=BB0_8 Depth=1
	s_mul_hi_u32 s9, s71, s56
	v_dual_mov_b32 v1, 0 :: v_dual_mov_b32 v2, 0
	s_mul_i32 s9, s9, s46
	v_dual_mov_b32 v3, 0 :: v_dual_mov_b32 v4, 0
	s_sub_i32 s9, s71, s9
	s_mov_b32 s74, 0
	s_sub_i32 s10, s9, s46
	s_cmp_ge_u32 s9, s46
	s_mov_b32 s73, exec_lo
	s_cselect_b32 s9, s10, s9
	s_delay_alu instid0(SALU_CYCLE_1) | instskip(SKIP_2) | instid1(SALU_CYCLE_1)
	s_sub_i32 s10, s9, s46
	s_cmp_ge_u32 s9, s46
	s_cselect_b32 s9, s10, s9
	s_sub_i32 s72, s71, s9
	s_delay_alu instid0(SALU_CYCLE_1)
	v_cmpx_gt_u32_e64 s72, v13
	s_cbranch_execz .LBB0_58
; %bb.55:                               ;   in Loop: Header=BB0_8 Depth=1
	v_mov_b32_e32 v23, v13
	s_and_b32 s75, s57, 0xfe
	s_mov_b32 s76, 0
	s_mov_b32 s77, 0
	;; [unrolled: 1-line block ×4, first 2 shown]
.LBB0_56:                               ;   Parent Loop BB0_8 Depth=1
                                        ; =>  This Inner Loop Header: Depth=2
	ds_load_b32 v1, v23
	s_waitcnt lgkmcnt(0)
	v_and_b32_e32 v2, 0xff, v1
	v_bfe_u32 v3, v1, 8, 8
	v_bfe_u32 v4, v1, 16, 8
	v_lshrrev_b32_e32 v1, 24, v1
	s_delay_alu instid0(VALU_DEP_4)
	v_and_b32_e32 v24, s70, v2
	v_bfe_u32 v2, v2, s75, 2
	s_waitcnt vmcnt(0)
	v_and_b32_e32 v25, s70, v3
	v_bfe_u32 v3, v3, s75, 2
	v_and_b32_e32 v26, s70, v4
	v_bfe_u32 v4, v4, s75, 2
	v_cmp_eq_u32_e64 s9, s69, v24
	v_cmp_eq_u32_e64 s13, 0, v2
	v_and_b32_e32 v27, s70, v1
	v_bfe_u32 v1, v1, s75, 2
	v_cmp_eq_u32_e64 s10, s69, v25
	v_cmp_eq_u32_e64 s14, 0, v3
	;; [unrolled: 1-line block ×4, first 2 shown]
	s_and_b32 s13, s9, s13
	v_cmp_eq_u32_e64 s12, s69, v27
	v_cmp_eq_u32_e64 s16, 0, v1
	;; [unrolled: 1-line block ×5, first 2 shown]
	v_cndmask_b32_e64 v1, 0, 1, s13
	s_and_b32 s13, s10, s14
	v_cmp_eq_u32_e64 s17, 1, v2
	v_cmp_eq_u32_e64 s21, 2, v2
	v_cmp_eq_u32_e64 s25, 3, v2
	v_cndmask_b32_e64 v2, 0, 1, s13
	s_and_b32 s13, s11, s15
	v_cmp_eq_u32_e64 s18, 1, v3
	v_cmp_eq_u32_e64 s22, 2, v3
	v_cmp_eq_u32_e64 s26, 3, v3
	;; [unrolled: 5-line block ×3, first 2 shown]
	v_cndmask_b32_e64 v4, 0, 1, s13
	s_and_b32 s13, s9, s17
	s_delay_alu instid0(SALU_CYCLE_1) | instskip(SKIP_1) | instid1(SALU_CYCLE_1)
	v_cndmask_b32_e64 v24, 0, 1, s13
	s_and_b32 s13, s10, s18
	v_cndmask_b32_e64 v25, 0, 1, s13
	s_and_b32 s13, s11, s19
	s_delay_alu instid0(SALU_CYCLE_1) | instskip(SKIP_1) | instid1(VALU_DEP_2)
	v_cndmask_b32_e64 v26, 0, 1, s13
	s_and_b32 s13, s12, s20
	v_cmp_ne_u32_e64 s14, 0, v25
	v_cndmask_b32_e64 v27, 0, 1, s13
	s_and_b32 s13, s9, s21
	s_and_b32 s9, s9, s25
	v_cndmask_b32_e64 v28, 0, 1, s13
	s_and_b32 s13, s10, s22
	v_cndmask_b32_e64 v32, 0, 1, s9
	;; [unrolled: 2-line block ×7, first 2 shown]
	v_cndmask_b32_e64 v35, 0, 1, s9
	v_cmp_ne_u32_e64 s9, 0, v1
	v_cmp_ne_u32_e64 s13, 0, v24
	;; [unrolled: 1-line block ×6, first 2 shown]
	s_bcnt1_i32_b32 s9, s9
	s_bcnt1_i32_b32 s13, s13
	v_cmp_ne_u32_e64 s16, 0, v27
	v_cmp_ne_u32_e64 s18, 0, v29
	;; [unrolled: 1-line block ×3, first 2 shown]
	s_bcnt1_i32_b32 s10, s10
	s_bcnt1_i32_b32 s14, s14
	s_add_i32 s9, s9, s79
	s_add_i32 s13, s13, s78
	v_cmp_ne_u32_e64 s11, 0, v3
	v_cmp_ne_u32_e64 s19, 0, v30
	;; [unrolled: 1-line block ×3, first 2 shown]
	s_bcnt1_i32_b32 s15, s15
	s_add_i32 s9, s9, s10
	s_add_i32 s10, s13, s14
	s_bcnt1_i32_b32 s17, s17
	s_bcnt1_i32_b32 s21, s21
	v_cmp_ne_u32_e64 s12, 0, v4
	v_cmp_ne_u32_e64 s20, 0, v31
	;; [unrolled: 1-line block ×3, first 2 shown]
	s_bcnt1_i32_b32 s16, s16
	s_add_i32 s10, s10, s15
	s_bcnt1_i32_b32 s18, s18
	s_bcnt1_i32_b32 s22, s22
	s_add_i32 s17, s17, s77
	s_add_i32 s21, s21, s76
	;; [unrolled: 1-line block ×3, first 2 shown]
	s_delay_alu instid0(SALU_CYCLE_1)
	v_dual_mov_b32 v2, s78 :: v_dual_add_nc_u32 v23, s46, v23
	s_bcnt1_i32_b32 s11, s11
	s_bcnt1_i32_b32 s19, s19
	;; [unrolled: 1-line block ×3, first 2 shown]
	s_add_i32 s13, s17, s18
	s_add_i32 s14, s21, s22
	s_bcnt1_i32_b32 s12, s12
	s_bcnt1_i32_b32 s20, s20
	;; [unrolled: 1-line block ×3, first 2 shown]
	s_add_i32 s9, s9, s11
	s_add_i32 s11, s13, s19
	;; [unrolled: 1-line block ×3, first 2 shown]
	v_cmp_le_i32_e32 vcc_lo, s72, v23
	s_add_i32 s79, s9, s12
	s_add_i32 s77, s11, s20
	;; [unrolled: 1-line block ×3, first 2 shown]
	v_mov_b32_e32 v1, s79
	v_dual_mov_b32 v3, s77 :: v_dual_mov_b32 v4, s76
	s_or_b32 s74, vcc_lo, s74
	s_delay_alu instid0(SALU_CYCLE_1)
	s_and_not1_b32 exec_lo, exec_lo, s74
	s_cbranch_execnz .LBB0_56
; %bb.57:                               ;   in Loop: Header=BB0_8 Depth=1
	s_or_b32 exec_lo, exec_lo, s74
.LBB0_58:                               ;   in Loop: Header=BB0_8 Depth=1
	s_delay_alu instid0(SALU_CYCLE_1) | instskip(SKIP_2) | instid1(VALU_DEP_1)
	s_or_b32 exec_lo, exec_lo, s73
	v_add_nc_u32_e32 v23, s72, v0
	s_mov_b32 s14, exec_lo
	v_cmpx_gt_i32_e64 s71, v23
	s_cbranch_execz .LBB0_62
; %bb.59:                               ;   in Loop: Header=BB0_8 Depth=1
	s_and_b32 s16, s57, 0xfe
	s_mov_b32 s15, 0
	s_set_inst_prefetch_distance 0x1
	.p2align	6
.LBB0_60:                               ;   Parent Loop BB0_8 Depth=1
                                        ; =>  This Inner Loop Header: Depth=2
	ds_load_u8 v24, v23
	v_add_nc_u32_e32 v23, s44, v23
	s_delay_alu instid0(VALU_DEP_1) | instskip(SKIP_3) | instid1(VALU_DEP_2)
	v_cmp_le_i32_e32 vcc_lo, s71, v23
	s_waitcnt vmcnt(0) lgkmcnt(0)
	v_and_b32_e32 v25, s70, v24
	v_bfe_u32 v24, v24, s16, 2
	v_cmp_eq_u32_e64 s9, s69, v25
	s_delay_alu instid0(VALU_DEP_2) | instskip(SKIP_3) | instid1(VALU_DEP_4)
	v_cmp_eq_u32_e64 s10, 0, v24
	v_cmp_eq_u32_e64 s11, 1, v24
	;; [unrolled: 1-line block ×4, first 2 shown]
	s_and_b32 s10, s9, s10
	s_delay_alu instid0(SALU_CYCLE_1) | instskip(SKIP_1) | instid1(SALU_CYCLE_1)
	v_cndmask_b32_e64 v24, 0, 1, s10
	s_and_b32 s10, s9, s11
	v_cndmask_b32_e64 v25, 0, 1, s10
	s_and_b32 s10, s9, s12
	s_and_b32 s9, s9, s13
	v_cndmask_b32_e64 v26, 0, 1, s10
	v_cndmask_b32_e64 v27, 0, 1, s9
	v_cmp_ne_u32_e64 s9, 0, v24
	v_cmp_ne_u32_e64 s10, 0, v25
	s_delay_alu instid0(VALU_DEP_4) | instskip(NEXT) | instid1(VALU_DEP_4)
	v_cmp_ne_u32_e64 s11, 0, v26
	v_cmp_ne_u32_e64 s12, 0, v27
	s_delay_alu instid0(VALU_DEP_4) | instskip(NEXT) | instid1(VALU_DEP_3)
	s_bcnt1_i32_b32 s9, s9
	s_bcnt1_i32_b32 s10, s10
	v_add_nc_u32_e32 v1, s9, v1
	s_bcnt1_i32_b32 s11, s11
	s_bcnt1_i32_b32 s12, s12
	v_add_nc_u32_e32 v2, s10, v2
	v_add_nc_u32_e32 v3, s11, v3
	;; [unrolled: 1-line block ×3, first 2 shown]
	s_or_b32 s15, vcc_lo, s15
	s_delay_alu instid0(SALU_CYCLE_1)
	s_and_not1_b32 exec_lo, exec_lo, s15
	s_cbranch_execnz .LBB0_60
; %bb.61:                               ;   in Loop: Header=BB0_8 Depth=1
	s_set_inst_prefetch_distance 0x2
	s_or_b32 exec_lo, exec_lo, s15
.LBB0_62:                               ;   in Loop: Header=BB0_8 Depth=1
	s_delay_alu instid0(SALU_CYCLE_1)
	s_or_b32 exec_lo, exec_lo, s14
.LBB0_63:                               ;   in Loop: Header=BB0_8 Depth=1
	s_lshl_b32 s9, s67, 7
	s_and_saveexec_b32 s10, s4
	s_cbranch_execz .LBB0_65
; %bb.64:                               ;   in Loop: Header=BB0_8 Depth=1
	v_or_b32_e32 v23, s9, v14
	s_delay_alu instid0(VALU_DEP_1)
	v_lshlrev_b32_e32 v23, 2, v23
	ds_store_b128 v23, v[1:4] offset:3072
.LBB0_65:                               ;   in Loop: Header=BB0_8 Depth=1
	s_or_b32 exec_lo, exec_lo, s10
	s_waitcnt vmcnt(0) lgkmcnt(0)
	s_barrier
	buffer_gl0_inv
	s_and_saveexec_b32 s10, s47
	s_cbranch_execz .LBB0_75
; %bb.66:                               ;   in Loop: Header=BB0_8 Depth=1
	v_mov_b32_e32 v1, 0
	s_and_not1_b32 vcc_lo, exec_lo, s50
	s_cbranch_vccnz .LBB0_74
; %bb.67:                               ;   in Loop: Header=BB0_8 Depth=1
	v_mov_b32_e32 v1, 0
	s_and_not1_b32 vcc_lo, exec_lo, s53
	s_mov_b32 s11, 0
	s_cbranch_vccnz .LBB0_71
; %bb.68:                               ;   in Loop: Header=BB0_8 Depth=1
	v_lshl_add_u32 v2, s67, 9, v20
	v_mov_b32_e32 v1, 0
	.p2align	6
.LBB0_69:                               ;   Parent Loop BB0_8 Depth=1
                                        ; =>  This Inner Loop Header: Depth=2
	ds_load_2addr_b32 v[3:4], v2 offset1:4
	ds_load_2addr_b32 v[23:24], v2 offset0:8 offset1:12
	ds_load_2addr_b32 v[25:26], v2 offset0:16 offset1:20
	;; [unrolled: 1-line block ×3, first 2 shown]
	v_add_nc_u32_e32 v2, 0x80, v2
	s_add_i32 s11, s11, 8
	s_delay_alu instid0(SALU_CYCLE_1) | instskip(SKIP_3) | instid1(VALU_DEP_1)
	s_cmp_eq_u32 s54, s11
	s_waitcnt lgkmcnt(3)
	v_add3_u32 v1, v3, v1, v4
	s_waitcnt lgkmcnt(2)
	v_add3_u32 v1, v23, v1, v24
	s_waitcnt lgkmcnt(1)
	s_delay_alu instid0(VALU_DEP_1) | instskip(SKIP_1) | instid1(VALU_DEP_1)
	v_add3_u32 v1, v25, v1, v26
	s_waitcnt lgkmcnt(0)
	v_add3_u32 v1, v27, v1, v28
	s_cbranch_scc0 .LBB0_69
; %bb.70:                               ;   in Loop: Header=BB0_8 Depth=1
	s_mov_b32 s11, s54
.LBB0_71:                               ;   in Loop: Header=BB0_8 Depth=1
	s_and_not1_b32 vcc_lo, exec_lo, s55
	s_cbranch_vccnz .LBB0_74
; %bb.72:                               ;   in Loop: Header=BB0_8 Depth=1
	s_lshl_b32 s12, s67, 9
	s_lshl_b32 s11, s11, 4
	s_delay_alu instid0(SALU_CYCLE_1)
	v_add3_u32 v2, s12, s11, v20
	s_mov_b32 s11, s52
.LBB0_73:                               ;   Parent Loop BB0_8 Depth=1
                                        ; =>  This Inner Loop Header: Depth=2
	ds_load_b32 v3, v2
	v_add_nc_u32_e32 v2, 16, v2
	s_add_i32 s11, s11, -1
	s_delay_alu instid0(SALU_CYCLE_1)
	s_cmp_lg_u32 s11, 0
	s_waitcnt lgkmcnt(0)
	v_add_nc_u32_e32 v1, v3, v1
	s_cbranch_scc1 .LBB0_73
.LBB0_74:                               ;   in Loop: Header=BB0_8 Depth=1
	v_add_lshl_u32 v2, s9, v12, 2
	ds_store_b32 v2, v1 offset:3072
.LBB0_75:                               ;   in Loop: Header=BB0_8 Depth=1
	s_or_b32 exec_lo, exec_lo, s10
	s_lshl_b32 s9, s9, 2
	s_waitcnt lgkmcnt(0)
	v_mov_b32_e32 v1, s9
	s_barrier
	buffer_gl0_inv
	s_and_b32 s18, s57, 0xfe
	s_mov_b32 s14, -1
	ds_load_b128 v[1:4], v1 offset:3072
	s_lshl_b32 s12, 3, s18
	s_delay_alu instid0(SALU_CYCLE_1) | instskip(SKIP_4) | instid1(VALU_DEP_3)
	s_not_b32 s19, s12
	s_waitcnt lgkmcnt(0)
	v_readfirstlane_b32 s13, v1
	v_readfirstlane_b32 s21, v2
	;; [unrolled: 1-line block ×3, first 2 shown]
	s_cmp_eq_u32 s13, 1
	s_cselect_b32 s9, -1, 0
	s_cmp_eq_u32 s37, 1
	s_cselect_b32 s10, -1, 0
	s_delay_alu instid0(SALU_CYCLE_1)
	s_and_b32 s15, s9, s10
	v_readfirstlane_b32 s10, v4
	s_and_b32 vcc_lo, exec_lo, s15
	s_cbranch_vccz .LBB0_86
; %bb.76:                               ;   in Loop: Header=BB0_8 Depth=1
	ds_load_b32 v1, v21 offset:4096
	s_waitcnt lgkmcnt(0)
	s_barrier
	buffer_gl0_inv
	v_readfirstlane_b32 s11, v1
	s_and_saveexec_b32 s9, s0
	s_cbranch_execz .LBB0_78
; %bb.77:                               ;   in Loop: Header=BB0_8 Depth=1
	ds_store_b8 v0, v21 offset:3072
.LBB0_78:                               ;   in Loop: Header=BB0_8 Depth=1
	s_or_b32 exec_lo, exec_lo, s9
	s_and_b32 s69, s69, s19
	s_or_b32 s70, s70, s12
	s_cmp_lt_i32 s11, 1
	s_waitcnt lgkmcnt(0)
	s_barrier
	buffer_gl0_inv
	s_cbranch_scc0 .LBB0_87
; %bb.79:                               ;   in Loop: Header=BB0_8 Depth=1
	s_mov_b32 s9, 0
                                        ; implicit-def: $vgpr22
	s_and_saveexec_b32 s16, s8
	s_cbranch_execz .LBB0_89
; %bb.80:                               ;   in Loop: Header=BB0_8 Depth=1
	v_dual_mov_b32 v1, v11 :: v_dual_mov_b32 v2, v0
	s_mov_b32 s20, 0
                                        ; implicit-def: $sgpr22
	s_set_inst_prefetch_distance 0x1
	s_branch .LBB0_82
	.p2align	6
.LBB0_81:                               ;   in Loop: Header=BB0_82 Depth=2
	s_or_b32 exec_lo, exec_lo, s9
	s_waitcnt lgkmcnt(0)
	s_barrier
	buffer_gl0_inv
	ds_load_u16 v3, v21 offset:3072
	v_add_nc_u32_e32 v2, s44, v2
	v_add_nc_u32_e32 v1, s51, v1
	s_waitcnt lgkmcnt(0)
	s_barrier
	buffer_gl0_inv
	v_cmp_le_i32_e32 vcc_lo, s60, v2
	v_and_b32_e32 v4, 0xff, v3
	s_delay_alu instid0(VALU_DEP_1) | instskip(NEXT) | instid1(VALU_DEP_1)
	v_cmp_ne_u16_e64 s9, 0, v4
	s_or_b32 s23, vcc_lo, s9
	s_delay_alu instid0(SALU_CYCLE_1) | instskip(NEXT) | instid1(SALU_CYCLE_1)
	s_and_b32 s23, exec_lo, s23
	s_or_b32 s20, s23, s20
	s_and_not1_b32 s22, s22, exec_lo
	s_and_b32 s9, s9, exec_lo
	s_delay_alu instid0(SALU_CYCLE_1)
	s_or_b32 s22, s22, s9
	s_and_not1_b32 exec_lo, exec_lo, s20
	s_cbranch_execz .LBB0_88
.LBB0_82:                               ;   Parent Loop BB0_8 Depth=1
                                        ; =>  This Inner Loop Header: Depth=2
	s_delay_alu instid0(VALU_DEP_1)
	v_cmp_gt_i32_e32 vcc_lo, s36, v2
	v_mov_b32_e32 v3, 0
	s_and_saveexec_b32 s23, vcc_lo
	s_cbranch_execz .LBB0_84
; %bb.83:                               ;   in Loop: Header=BB0_82 Depth=2
	v_ashrrev_i32_e32 v4, 31, v1
	v_add_co_u32 v3, s9, s40, v1
	s_delay_alu instid0(VALU_DEP_1)
	v_add_co_ci_u32_e64 v4, s9, s41, v4, s9
	global_load_u8 v3, v[3:4], off
.LBB0_84:                               ;   in Loop: Header=BB0_82 Depth=2
	s_or_b32 exec_lo, exec_lo, s23
	s_waitcnt vmcnt(0)
	v_and_b32_e32 v4, s70, v3
	s_delay_alu instid0(VALU_DEP_1) | instskip(NEXT) | instid1(VALU_DEP_1)
	v_and_b32_e32 v4, 0xff, v4
	v_cmp_eq_u32_e64 s9, s69, v4
	s_delay_alu instid0(VALU_DEP_1) | instskip(NEXT) | instid1(SALU_CYCLE_1)
	s_and_b32 s23, vcc_lo, s9
	s_and_saveexec_b32 s9, s23
	s_cbranch_execz .LBB0_81
; %bb.85:                               ;   in Loop: Header=BB0_82 Depth=2
	v_lshlrev_b16 v3, 8, v3
	s_delay_alu instid0(VALU_DEP_1)
	v_or_b32_e32 v3, 1, v3
	ds_store_b16 v21, v3 offset:3072
	s_branch .LBB0_81
.LBB0_86:                               ;   in Loop: Header=BB0_8 Depth=1
	s_mov_b32 s9, -1
                                        ; implicit-def: $sgpr16
                                        ; implicit-def: $sgpr22
                                        ; implicit-def: $sgpr20
	s_branch .LBB0_99
.LBB0_87:                               ;   in Loop: Header=BB0_8 Depth=1
	s_mov_b32 s16, -1
	s_mov_b32 s9, 0
                                        ; implicit-def: $sgpr20
                                        ; implicit-def: $vgpr22
	s_mov_b32 s22, s16
	s_cbranch_execnz .LBB0_90
	s_branch .LBB0_99
.LBB0_88:                               ;   in Loop: Header=BB0_8 Depth=1
	s_set_inst_prefetch_distance 0x2
	s_or_b32 exec_lo, exec_lo, s20
	v_lshrrev_b16 v22, 8, v3
	s_and_b32 s9, s22, exec_lo
.LBB0_89:                               ;   in Loop: Header=BB0_8 Depth=1
	s_or_b32 exec_lo, exec_lo, s16
	s_mov_b32 s20, -1
	s_mov_b32 s16, 0
	s_delay_alu instid0(SALU_CYCLE_1)
	s_mov_b32 s22, s16
	s_branch .LBB0_99
.LBB0_90:                               ;   in Loop: Header=BB0_8 Depth=1
	s_add_i32 s20, s11, s48
                                        ; implicit-def: $vgpr22
	s_delay_alu instid0(SALU_CYCLE_1) | instskip(NEXT) | instid1(SALU_CYCLE_1)
	s_abs_i32 s9, s20
	s_mul_hi_u32 s16, s9, s58
	s_delay_alu instid0(SALU_CYCLE_1) | instskip(NEXT) | instid1(SALU_CYCLE_1)
	s_mul_i32 s16, s16, s44
	s_sub_i32 s9, s9, s16
	s_ashr_i32 s16, s20, 31
	s_sub_i32 s22, s9, s44
	s_cmp_ge_u32 s9, s44
	s_cselect_b32 s9, s22, s9
	s_delay_alu instid0(SALU_CYCLE_1) | instskip(SKIP_2) | instid1(SALU_CYCLE_1)
	s_sub_i32 s22, s9, s44
	s_cmp_ge_u32 s9, s44
	s_cselect_b32 s9, s22, s9
	s_xor_b32 s9, s9, s16
	s_delay_alu instid0(SALU_CYCLE_1)
	s_sub_i32 s9, s16, s9
	s_mov_b32 s16, exec_lo
	s_add_i32 s20, s20, s9
	s_mov_b32 s9, 0
	v_cmpx_gt_i32_e64 s20, v0
	s_cbranch_execz .LBB0_98
; %bb.91:                               ;   in Loop: Header=BB0_8 Depth=1
	v_mov_b32_e32 v1, v0
	s_mov_b32 s22, 0
                                        ; implicit-def: $sgpr23
	s_set_inst_prefetch_distance 0x1
	s_branch .LBB0_93
	.p2align	6
.LBB0_92:                               ;   in Loop: Header=BB0_93 Depth=2
	s_or_b32 exec_lo, exec_lo, s9
	s_waitcnt lgkmcnt(0)
	s_barrier
	buffer_gl0_inv
	ds_load_u16 v2, v21 offset:3072
	v_add_nc_u32_e32 v1, s44, v1
	s_waitcnt lgkmcnt(0)
	s_barrier
	buffer_gl0_inv
	v_cmp_le_i32_e32 vcc_lo, s20, v1
	v_and_b32_e32 v3, 0xff, v2
	s_delay_alu instid0(VALU_DEP_1) | instskip(NEXT) | instid1(VALU_DEP_1)
	v_cmp_ne_u16_e64 s9, 0, v3
	s_or_b32 s24, vcc_lo, s9
	s_delay_alu instid0(SALU_CYCLE_1) | instskip(NEXT) | instid1(SALU_CYCLE_1)
	s_and_b32 s24, exec_lo, s24
	s_or_b32 s22, s24, s22
	s_and_not1_b32 s23, s23, exec_lo
	s_and_b32 s9, s9, exec_lo
	s_delay_alu instid0(SALU_CYCLE_1)
	s_or_b32 s23, s23, s9
	s_and_not1_b32 exec_lo, exec_lo, s22
	s_cbranch_execz .LBB0_97
.LBB0_93:                               ;   Parent Loop BB0_8 Depth=1
                                        ; =>  This Inner Loop Header: Depth=2
	s_delay_alu instid0(VALU_DEP_1)
	v_cmp_gt_i32_e32 vcc_lo, s11, v1
	v_mov_b32_e32 v2, 0
	s_and_saveexec_b32 s9, vcc_lo
	s_cbranch_execz .LBB0_95
; %bb.94:                               ;   in Loop: Header=BB0_93 Depth=2
	ds_load_u8 v2, v1
.LBB0_95:                               ;   in Loop: Header=BB0_93 Depth=2
	s_or_b32 exec_lo, exec_lo, s9
	s_waitcnt lgkmcnt(0)
	v_and_b32_e32 v3, s70, v2
	s_delay_alu instid0(VALU_DEP_1) | instskip(NEXT) | instid1(VALU_DEP_1)
	v_and_b32_e32 v3, 0xff, v3
	v_cmp_eq_u32_e64 s9, s69, v3
	s_delay_alu instid0(VALU_DEP_1) | instskip(NEXT) | instid1(SALU_CYCLE_1)
	s_and_b32 s24, vcc_lo, s9
	s_and_saveexec_b32 s9, s24
	s_cbranch_execz .LBB0_92
; %bb.96:                               ;   in Loop: Header=BB0_93 Depth=2
	v_lshlrev_b16 v2, 8, v2
	s_delay_alu instid0(VALU_DEP_1)
	v_or_b32_e32 v2, 1, v2
	ds_store_b16 v21, v2 offset:3072
	s_branch .LBB0_92
.LBB0_97:                               ;   in Loop: Header=BB0_8 Depth=1
	s_set_inst_prefetch_distance 0x2
	s_or_b32 exec_lo, exec_lo, s22
	v_lshrrev_b16 v22, 8, v2
	s_and_b32 s9, s23, exec_lo
.LBB0_98:                               ;   in Loop: Header=BB0_8 Depth=1
	s_or_b32 exec_lo, exec_lo, s16
	s_mov_b32 s22, -1
	s_mov_b32 s16, 0
	s_mov_b32 s20, 0
.LBB0_99:                               ;   in Loop: Header=BB0_8 Depth=1
	s_and_not1_b32 s11, s65, exec_lo
	s_and_b32 s16, s16, exec_lo
	s_and_b32 s20, s20, exec_lo
	s_or_b32 s65, s11, s16
	s_and_not1_b32 s11, s68, exec_lo
	s_and_b32 s16, s22, exec_lo
	s_and_not1_b32 s22, s66, exec_lo
	s_or_b32 s68, s11, s16
	s_or_b32 s66, s22, s20
	s_and_saveexec_b32 s11, s9
	s_cbranch_execz .LBB0_7
; %bb.100:                              ;   in Loop: Header=BB0_8 Depth=1
	s_xor_b32 s9, s15, -1
	s_mov_b32 s14, 0
	s_and_not1_b32 vcc_lo, exec_lo, s9
	s_mov_b32 s22, 1
	s_cbranch_vccnz .LBB0_111
; %bb.101:                              ;   in Loop: Header=BB0_8 Depth=1
	s_cmp_gt_i32 s37, s13
	s_mov_b32 s14, -1
                                        ; implicit-def: $sgpr9
                                        ; implicit-def: $sgpr15
                                        ; implicit-def: $sgpr16
	s_cbranch_scc1 .LBB0_107
; %bb.102:                              ;   in Loop: Header=BB0_8 Depth=1
	ds_load_b32 v1, v21 offset:4096
	s_waitcnt lgkmcnt(0)
	v_cmp_ne_u32_e32 vcc_lo, 0, v1
	s_cbranch_vccnz .LBB0_106
; %bb.103:                              ;   in Loop: Header=BB0_8 Depth=1
	s_and_saveexec_b32 s9, s2
	s_cbranch_execz .LBB0_105
; %bb.104:                              ;   in Loop: Header=BB0_8 Depth=1
	v_mov_b32_e32 v1, s13
	ds_store_b32 v21, v1 offset:4100
.LBB0_105:                              ;   in Loop: Header=BB0_8 Depth=1
	s_or_b32 exec_lo, exec_lo, s9
	s_waitcnt lgkmcnt(0)
	s_barrier
	buffer_gl0_inv
.LBB0_106:                              ;   in Loop: Header=BB0_8 Depth=1
	s_and_b32 s15, s69, s19
	s_or_b32 s16, s70, s12
	s_mov_b32 s14, 0
	s_mov_b32 s9, 8
.LBB0_107:                              ;   in Loop: Header=BB0_8 Depth=1
	s_and_not1_b32 vcc_lo, exec_lo, s14
	s_cbranch_vccnz .LBB0_109
; %bb.108:                              ;   in Loop: Header=BB0_8 Depth=1
	s_sub_i32 s37, s37, s13
	s_mov_b32 s14, -1
	s_mov_b32 s9, 0
	s_mov_b32 s15, s69
	s_mov_b32 s16, s70
.LBB0_109:                              ;   in Loop: Header=BB0_8 Depth=1
	s_delay_alu instid0(SALU_CYCLE_1)
	s_mov_b32 s70, s16
	s_mov_b32 s69, s15
	;; [unrolled: 1-line block ×3, first 2 shown]
	s_and_b32 vcc_lo, exec_lo, s14
	s_mov_b32 s13, -1
	s_cbranch_vccnz .LBB0_112
.LBB0_110:                              ;   in Loop: Header=BB0_8 Depth=1
	s_mov_b32 s25, -1
                                        ; implicit-def: $sgpr14
                                        ; implicit-def: $sgpr16
                                        ; implicit-def: $sgpr15
	s_delay_alu instid0(SALU_CYCLE_1) | instskip(NEXT) | instid1(SALU_CYCLE_1)
	s_and_saveexec_b32 s10, s25
	s_xor_b32 s10, exec_lo, s10
	s_cbranch_execz .LBB0_6
	s_branch .LBB0_229
.LBB0_111:                              ;   in Loop: Header=BB0_8 Depth=1
	s_mov_b32 s9, 1
	s_and_b32 vcc_lo, exec_lo, s14
	s_mov_b32 s13, -1
	s_cbranch_vccz .LBB0_110
.LBB0_112:                              ;   in Loop: Header=BB0_8 Depth=1
	s_cmp_eq_u32 s21, 1
	s_mov_b32 s24, -1
	s_cselect_b32 s9, -1, 0
	s_cmp_eq_u32 s22, 1
	s_cselect_b32 s14, -1, 0
	s_delay_alu instid0(SALU_CYCLE_1) | instskip(NEXT) | instid1(SALU_CYCLE_1)
	s_and_b32 s23, s9, s14
	s_and_b32 vcc_lo, exec_lo, s23
	s_cbranch_vccz .LBB0_123
; %bb.113:                              ;   in Loop: Header=BB0_8 Depth=1
	ds_load_b32 v1, v21 offset:4096
	s_waitcnt lgkmcnt(0)
	s_barrier
	buffer_gl0_inv
	v_readfirstlane_b32 s20, v1
	s_and_saveexec_b32 s9, s0
	s_cbranch_execz .LBB0_115
; %bb.114:                              ;   in Loop: Header=BB0_8 Depth=1
	ds_store_b8 v0, v21 offset:3072
.LBB0_115:                              ;   in Loop: Header=BB0_8 Depth=1
	s_or_b32 exec_lo, exec_lo, s9
	s_lshl_b32 s9, 1, s18
	s_and_b32 s14, s69, s19
	s_or_b32 s70, s70, s12
	s_or_b32 s69, s14, s9
	s_cmp_gt_i32 s20, 0
	s_waitcnt lgkmcnt(0)
	s_barrier
	buffer_gl0_inv
	s_cbranch_scc1 .LBB0_124
; %bb.116:                              ;   in Loop: Header=BB0_8 Depth=1
	s_mov_b32 s24, 0
                                        ; implicit-def: $vgpr22
	s_and_saveexec_b32 s14, s8
	s_cbranch_execz .LBB0_126
; %bb.117:                              ;   in Loop: Header=BB0_8 Depth=1
	v_dual_mov_b32 v1, v11 :: v_dual_mov_b32 v2, v0
	s_mov_b32 s15, 0
                                        ; implicit-def: $sgpr16
	s_set_inst_prefetch_distance 0x1
	s_branch .LBB0_119
	.p2align	6
.LBB0_118:                              ;   in Loop: Header=BB0_119 Depth=2
	s_or_b32 exec_lo, exec_lo, s9
	s_waitcnt lgkmcnt(0)
	s_barrier
	buffer_gl0_inv
	ds_load_u16 v3, v21 offset:3072
	v_add_nc_u32_e32 v2, s44, v2
	v_add_nc_u32_e32 v1, s51, v1
	s_waitcnt lgkmcnt(0)
	s_barrier
	buffer_gl0_inv
	v_cmp_le_i32_e32 vcc_lo, s60, v2
	v_and_b32_e32 v4, 0xff, v3
	s_delay_alu instid0(VALU_DEP_1) | instskip(NEXT) | instid1(VALU_DEP_1)
	v_cmp_ne_u16_e64 s9, 0, v4
	s_or_b32 s24, vcc_lo, s9
	s_delay_alu instid0(SALU_CYCLE_1) | instskip(NEXT) | instid1(SALU_CYCLE_1)
	s_and_b32 s24, exec_lo, s24
	s_or_b32 s15, s24, s15
	s_and_not1_b32 s16, s16, exec_lo
	s_and_b32 s9, s9, exec_lo
	s_delay_alu instid0(SALU_CYCLE_1)
	s_or_b32 s16, s16, s9
	s_and_not1_b32 exec_lo, exec_lo, s15
	s_cbranch_execz .LBB0_125
.LBB0_119:                              ;   Parent Loop BB0_8 Depth=1
                                        ; =>  This Inner Loop Header: Depth=2
	s_delay_alu instid0(VALU_DEP_1)
	v_cmp_gt_i32_e32 vcc_lo, s36, v2
	v_mov_b32_e32 v3, 0
	s_and_saveexec_b32 s24, vcc_lo
	s_cbranch_execz .LBB0_121
; %bb.120:                              ;   in Loop: Header=BB0_119 Depth=2
	v_ashrrev_i32_e32 v4, 31, v1
	v_add_co_u32 v3, s9, s40, v1
	s_delay_alu instid0(VALU_DEP_1)
	v_add_co_ci_u32_e64 v4, s9, s41, v4, s9
	global_load_u8 v3, v[3:4], off
.LBB0_121:                              ;   in Loop: Header=BB0_119 Depth=2
	s_or_b32 exec_lo, exec_lo, s24
	s_waitcnt vmcnt(0)
	v_and_b32_e32 v4, s70, v3
	s_delay_alu instid0(VALU_DEP_1) | instskip(NEXT) | instid1(VALU_DEP_1)
	v_and_b32_e32 v4, 0xff, v4
	v_cmp_eq_u32_e64 s9, s69, v4
	s_delay_alu instid0(VALU_DEP_1) | instskip(NEXT) | instid1(SALU_CYCLE_1)
	s_and_b32 s24, vcc_lo, s9
	s_and_saveexec_b32 s9, s24
	s_cbranch_execz .LBB0_118
; %bb.122:                              ;   in Loop: Header=BB0_119 Depth=2
	v_lshlrev_b16 v3, 8, v3
	s_delay_alu instid0(VALU_DEP_1)
	v_or_b32_e32 v3, 1, v3
	ds_store_b16 v21, v3 offset:3072
	s_branch .LBB0_118
.LBB0_123:                              ;   in Loop: Header=BB0_8 Depth=1
                                        ; implicit-def: $sgpr15
                                        ; implicit-def: $sgpr16
                                        ; implicit-def: $sgpr14
	s_branch .LBB0_136
.LBB0_124:                              ;   in Loop: Header=BB0_8 Depth=1
	s_mov_b32 s15, -1
	s_mov_b32 s24, 0
                                        ; implicit-def: $sgpr14
                                        ; implicit-def: $vgpr22
	s_mov_b32 s16, s15
	s_cbranch_execnz .LBB0_127
	s_branch .LBB0_136
.LBB0_125:                              ;   in Loop: Header=BB0_8 Depth=1
	s_set_inst_prefetch_distance 0x2
	s_or_b32 exec_lo, exec_lo, s15
	v_lshrrev_b16 v22, 8, v3
	s_and_b32 s24, s16, exec_lo
.LBB0_126:                              ;   in Loop: Header=BB0_8 Depth=1
	s_or_b32 exec_lo, exec_lo, s14
	s_mov_b32 s14, -1
	s_mov_b32 s15, 0
	s_delay_alu instid0(SALU_CYCLE_1)
	s_mov_b32 s16, s15
	s_branch .LBB0_136
.LBB0_127:                              ;   in Loop: Header=BB0_8 Depth=1
	s_add_i32 s15, s20, s48
	s_mov_b32 s24, 0
	s_abs_i32 s9, s15
                                        ; implicit-def: $vgpr22
	s_delay_alu instid0(SALU_CYCLE_1) | instskip(NEXT) | instid1(SALU_CYCLE_1)
	s_mul_hi_u32 s14, s9, s58
	s_mul_i32 s14, s14, s44
	s_delay_alu instid0(SALU_CYCLE_1) | instskip(SKIP_4) | instid1(SALU_CYCLE_1)
	s_sub_i32 s9, s9, s14
	s_ashr_i32 s14, s15, 31
	s_sub_i32 s16, s9, s44
	s_cmp_ge_u32 s9, s44
	s_cselect_b32 s9, s16, s9
	s_sub_i32 s16, s9, s44
	s_cmp_ge_u32 s9, s44
	s_cselect_b32 s9, s16, s9
	s_delay_alu instid0(SALU_CYCLE_1) | instskip(NEXT) | instid1(SALU_CYCLE_1)
	s_xor_b32 s9, s9, s14
	s_sub_i32 s9, s14, s9
	s_mov_b32 s14, exec_lo
	s_add_i32 s15, s15, s9
	s_delay_alu instid0(SALU_CYCLE_1)
	v_cmpx_gt_i32_e64 s15, v0
	s_cbranch_execz .LBB0_135
; %bb.128:                              ;   in Loop: Header=BB0_8 Depth=1
	v_mov_b32_e32 v1, v0
	s_mov_b32 s16, 0
                                        ; implicit-def: $sgpr24
	s_set_inst_prefetch_distance 0x1
	s_branch .LBB0_130
	.p2align	6
.LBB0_129:                              ;   in Loop: Header=BB0_130 Depth=2
	s_or_b32 exec_lo, exec_lo, s9
	s_waitcnt lgkmcnt(0)
	s_barrier
	buffer_gl0_inv
	ds_load_u16 v2, v21 offset:3072
	v_add_nc_u32_e32 v1, s44, v1
	s_waitcnt lgkmcnt(0)
	s_barrier
	buffer_gl0_inv
	v_cmp_le_i32_e32 vcc_lo, s15, v1
	v_and_b32_e32 v3, 0xff, v2
	s_delay_alu instid0(VALU_DEP_1) | instskip(NEXT) | instid1(VALU_DEP_1)
	v_cmp_ne_u16_e64 s9, 0, v3
	s_or_b32 s25, vcc_lo, s9
	s_delay_alu instid0(SALU_CYCLE_1) | instskip(NEXT) | instid1(SALU_CYCLE_1)
	s_and_b32 s25, exec_lo, s25
	s_or_b32 s16, s25, s16
	s_and_not1_b32 s24, s24, exec_lo
	s_and_b32 s9, s9, exec_lo
	s_delay_alu instid0(SALU_CYCLE_1)
	s_or_b32 s24, s24, s9
	s_and_not1_b32 exec_lo, exec_lo, s16
	s_cbranch_execz .LBB0_134
.LBB0_130:                              ;   Parent Loop BB0_8 Depth=1
                                        ; =>  This Inner Loop Header: Depth=2
	s_delay_alu instid0(VALU_DEP_1)
	v_cmp_gt_i32_e32 vcc_lo, s20, v1
	v_mov_b32_e32 v2, 0
	s_and_saveexec_b32 s9, vcc_lo
	s_cbranch_execz .LBB0_132
; %bb.131:                              ;   in Loop: Header=BB0_130 Depth=2
	ds_load_u8 v2, v1
.LBB0_132:                              ;   in Loop: Header=BB0_130 Depth=2
	s_or_b32 exec_lo, exec_lo, s9
	s_waitcnt lgkmcnt(0)
	v_and_b32_e32 v3, s70, v2
	s_delay_alu instid0(VALU_DEP_1) | instskip(NEXT) | instid1(VALU_DEP_1)
	v_and_b32_e32 v3, 0xff, v3
	v_cmp_eq_u32_e64 s9, s69, v3
	s_delay_alu instid0(VALU_DEP_1) | instskip(NEXT) | instid1(SALU_CYCLE_1)
	s_and_b32 s25, vcc_lo, s9
	s_and_saveexec_b32 s9, s25
	s_cbranch_execz .LBB0_129
; %bb.133:                              ;   in Loop: Header=BB0_130 Depth=2
	v_lshlrev_b16 v2, 8, v2
	s_delay_alu instid0(VALU_DEP_1)
	v_or_b32_e32 v2, 1, v2
	ds_store_b16 v21, v2 offset:3072
	s_branch .LBB0_129
.LBB0_134:                              ;   in Loop: Header=BB0_8 Depth=1
	s_set_inst_prefetch_distance 0x2
	s_or_b32 exec_lo, exec_lo, s16
	v_lshrrev_b16 v22, 8, v2
	s_and_b32 s24, s24, exec_lo
.LBB0_135:                              ;   in Loop: Header=BB0_8 Depth=1
	s_or_b32 exec_lo, exec_lo, s14
	s_mov_b32 s16, -1
	s_mov_b32 s15, 0
	s_mov_b32 s14, 0
.LBB0_136:                              ;   in Loop: Header=BB0_8 Depth=1
	s_mov_b32 s25, 0
                                        ; implicit-def: $sgpr9
	s_and_saveexec_b32 s20, s24
	s_cbranch_execz .LBB0_228
; %bb.137:                              ;   in Loop: Header=BB0_8 Depth=1
	s_xor_b32 s9, s23, -1
	s_mov_b32 s23, 0
	s_and_not1_b32 vcc_lo, exec_lo, s9
	s_mov_b32 s26, 1
	s_cbranch_vccnz .LBB0_148
; %bb.138:                              ;   in Loop: Header=BB0_8 Depth=1
	s_cmp_gt_i32 s22, s21
	s_mov_b32 s23, -1
                                        ; implicit-def: $sgpr9
                                        ; implicit-def: $sgpr24
                                        ; implicit-def: $sgpr25
	s_cbranch_scc1 .LBB0_144
; %bb.139:                              ;   in Loop: Header=BB0_8 Depth=1
	ds_load_b32 v1, v21 offset:4096
	s_waitcnt lgkmcnt(0)
	v_cmp_ne_u32_e32 vcc_lo, 0, v1
	s_cbranch_vccnz .LBB0_143
; %bb.140:                              ;   in Loop: Header=BB0_8 Depth=1
	s_and_saveexec_b32 s9, s2
	s_cbranch_execz .LBB0_142
; %bb.141:                              ;   in Loop: Header=BB0_8 Depth=1
	v_mov_b32_e32 v1, s21
	ds_store_b32 v21, v1 offset:4100
.LBB0_142:                              ;   in Loop: Header=BB0_8 Depth=1
	s_or_b32 exec_lo, exec_lo, s9
	s_waitcnt lgkmcnt(0)
	s_barrier
	buffer_gl0_inv
.LBB0_143:                              ;   in Loop: Header=BB0_8 Depth=1
	s_lshl_b32 s9, 1, s18
	s_and_b32 s23, s69, s19
	s_or_b32 s25, s70, s12
	s_or_b32 s24, s23, s9
	s_mov_b32 s23, 0
	s_mov_b32 s9, 8
.LBB0_144:                              ;   in Loop: Header=BB0_8 Depth=1
	s_and_not1_b32 vcc_lo, exec_lo, s23
	s_cbranch_vccnz .LBB0_146
; %bb.145:                              ;   in Loop: Header=BB0_8 Depth=1
	s_sub_i32 s22, s22, s21
	s_mov_b32 s23, -1
	s_mov_b32 s9, 0
	s_mov_b32 s24, s69
	;; [unrolled: 1-line block ×3, first 2 shown]
.LBB0_146:                              ;   in Loop: Header=BB0_8 Depth=1
	s_delay_alu instid0(SALU_CYCLE_1)
	s_mov_b32 s70, s25
	s_mov_b32 s69, s24
	;; [unrolled: 1-line block ×3, first 2 shown]
	s_and_not1_b32 vcc_lo, exec_lo, s23
	s_mov_b32 s28, -1
	s_cbranch_vccz .LBB0_149
.LBB0_147:                              ;   in Loop: Header=BB0_8 Depth=1
                                        ; implicit-def: $sgpr22
                                        ; implicit-def: $sgpr23
                                        ; implicit-def: $sgpr21
	s_branch .LBB0_227
.LBB0_148:                              ;   in Loop: Header=BB0_8 Depth=1
	s_mov_b32 s9, 1
	s_and_not1_b32 vcc_lo, exec_lo, s23
	s_mov_b32 s28, -1
	s_cbranch_vccnz .LBB0_147
.LBB0_149:                              ;   in Loop: Header=BB0_8 Depth=1
	s_cmp_eq_u32 s17, 1
	s_mov_b32 s27, -1
	s_cselect_b32 s9, -1, 0
	s_cmp_eq_u32 s26, 1
	s_cselect_b32 s21, -1, 0
	s_delay_alu instid0(SALU_CYCLE_1) | instskip(NEXT) | instid1(SALU_CYCLE_1)
	s_and_b32 s25, s9, s21
	s_and_b32 vcc_lo, exec_lo, s25
	s_cbranch_vccz .LBB0_160
; %bb.150:                              ;   in Loop: Header=BB0_8 Depth=1
	ds_load_b32 v1, v21 offset:4096
	s_waitcnt lgkmcnt(0)
	s_barrier
	buffer_gl0_inv
	v_readfirstlane_b32 s24, v1
	s_and_saveexec_b32 s9, s0
	s_cbranch_execz .LBB0_152
; %bb.151:                              ;   in Loop: Header=BB0_8 Depth=1
	ds_store_b8 v0, v21 offset:3072
.LBB0_152:                              ;   in Loop: Header=BB0_8 Depth=1
	s_or_b32 exec_lo, exec_lo, s9
	s_lshl_b32 s9, 2, s18
	s_and_b32 s21, s69, s19
	s_or_b32 s70, s70, s12
	s_or_b32 s69, s21, s9
	s_cmp_gt_i32 s24, 0
	s_waitcnt lgkmcnt(0)
	s_barrier
	buffer_gl0_inv
	s_cbranch_scc1 .LBB0_161
; %bb.153:                              ;   in Loop: Header=BB0_8 Depth=1
	s_mov_b32 s27, 0
                                        ; implicit-def: $vgpr22
	s_and_saveexec_b32 s21, s8
	s_cbranch_execz .LBB0_163
; %bb.154:                              ;   in Loop: Header=BB0_8 Depth=1
	v_dual_mov_b32 v1, v11 :: v_dual_mov_b32 v2, v0
	s_mov_b32 s22, 0
                                        ; implicit-def: $sgpr23
	s_set_inst_prefetch_distance 0x1
	s_branch .LBB0_156
	.p2align	6
.LBB0_155:                              ;   in Loop: Header=BB0_156 Depth=2
	s_or_b32 exec_lo, exec_lo, s9
	s_waitcnt lgkmcnt(0)
	s_barrier
	buffer_gl0_inv
	ds_load_u16 v3, v21 offset:3072
	v_add_nc_u32_e32 v2, s44, v2
	v_add_nc_u32_e32 v1, s51, v1
	s_waitcnt lgkmcnt(0)
	s_barrier
	buffer_gl0_inv
	v_cmp_le_i32_e32 vcc_lo, s60, v2
	v_and_b32_e32 v4, 0xff, v3
	s_delay_alu instid0(VALU_DEP_1) | instskip(NEXT) | instid1(VALU_DEP_1)
	v_cmp_ne_u16_e64 s9, 0, v4
	s_or_b32 s27, vcc_lo, s9
	s_delay_alu instid0(SALU_CYCLE_1) | instskip(NEXT) | instid1(SALU_CYCLE_1)
	s_and_b32 s27, exec_lo, s27
	s_or_b32 s22, s27, s22
	s_and_not1_b32 s23, s23, exec_lo
	s_and_b32 s9, s9, exec_lo
	s_delay_alu instid0(SALU_CYCLE_1)
	s_or_b32 s23, s23, s9
	s_and_not1_b32 exec_lo, exec_lo, s22
	s_cbranch_execz .LBB0_162
.LBB0_156:                              ;   Parent Loop BB0_8 Depth=1
                                        ; =>  This Inner Loop Header: Depth=2
	s_delay_alu instid0(VALU_DEP_1)
	v_cmp_gt_i32_e32 vcc_lo, s36, v2
	v_mov_b32_e32 v3, 0
	s_and_saveexec_b32 s27, vcc_lo
	s_cbranch_execz .LBB0_158
; %bb.157:                              ;   in Loop: Header=BB0_156 Depth=2
	v_ashrrev_i32_e32 v4, 31, v1
	v_add_co_u32 v3, s9, s40, v1
	s_delay_alu instid0(VALU_DEP_1)
	v_add_co_ci_u32_e64 v4, s9, s41, v4, s9
	global_load_u8 v3, v[3:4], off
.LBB0_158:                              ;   in Loop: Header=BB0_156 Depth=2
	s_or_b32 exec_lo, exec_lo, s27
	s_waitcnt vmcnt(0)
	v_and_b32_e32 v4, s70, v3
	s_delay_alu instid0(VALU_DEP_1) | instskip(NEXT) | instid1(VALU_DEP_1)
	v_and_b32_e32 v4, 0xff, v4
	v_cmp_eq_u32_e64 s9, s69, v4
	s_delay_alu instid0(VALU_DEP_1) | instskip(NEXT) | instid1(SALU_CYCLE_1)
	s_and_b32 s27, vcc_lo, s9
	s_and_saveexec_b32 s9, s27
	s_cbranch_execz .LBB0_155
; %bb.159:                              ;   in Loop: Header=BB0_156 Depth=2
	v_lshlrev_b16 v3, 8, v3
	s_delay_alu instid0(VALU_DEP_1)
	v_or_b32_e32 v3, 1, v3
	ds_store_b16 v21, v3 offset:3072
	s_branch .LBB0_155
.LBB0_160:                              ;   in Loop: Header=BB0_8 Depth=1
                                        ; implicit-def: $sgpr21
                                        ; implicit-def: $sgpr23
                                        ; implicit-def: $sgpr22
	s_branch .LBB0_173
.LBB0_161:                              ;   in Loop: Header=BB0_8 Depth=1
	s_mov_b32 s21, -1
	s_mov_b32 s27, 0
                                        ; implicit-def: $sgpr22
                                        ; implicit-def: $vgpr22
	s_mov_b32 s23, s21
	s_cbranch_execnz .LBB0_164
	s_branch .LBB0_173
.LBB0_162:                              ;   in Loop: Header=BB0_8 Depth=1
	s_set_inst_prefetch_distance 0x2
	s_or_b32 exec_lo, exec_lo, s22
	v_lshrrev_b16 v22, 8, v3
	s_and_b32 s27, s23, exec_lo
.LBB0_163:                              ;   in Loop: Header=BB0_8 Depth=1
	s_or_b32 exec_lo, exec_lo, s21
	s_mov_b32 s22, -1
	s_mov_b32 s21, 0
	s_delay_alu instid0(SALU_CYCLE_1)
	s_mov_b32 s23, s21
	s_branch .LBB0_173
.LBB0_164:                              ;   in Loop: Header=BB0_8 Depth=1
	s_add_i32 s22, s24, s48
	s_mov_b32 s27, 0
	s_abs_i32 s9, s22
                                        ; implicit-def: $vgpr22
	s_delay_alu instid0(SALU_CYCLE_1) | instskip(NEXT) | instid1(SALU_CYCLE_1)
	s_mul_hi_u32 s21, s9, s58
	s_mul_i32 s21, s21, s44
	s_delay_alu instid0(SALU_CYCLE_1) | instskip(SKIP_4) | instid1(SALU_CYCLE_1)
	s_sub_i32 s9, s9, s21
	s_ashr_i32 s21, s22, 31
	s_sub_i32 s23, s9, s44
	s_cmp_ge_u32 s9, s44
	s_cselect_b32 s9, s23, s9
	s_sub_i32 s23, s9, s44
	s_cmp_ge_u32 s9, s44
	s_cselect_b32 s9, s23, s9
	s_delay_alu instid0(SALU_CYCLE_1) | instskip(NEXT) | instid1(SALU_CYCLE_1)
	s_xor_b32 s9, s9, s21
	s_sub_i32 s9, s21, s9
	s_mov_b32 s21, exec_lo
	s_add_i32 s22, s22, s9
	s_delay_alu instid0(SALU_CYCLE_1)
	v_cmpx_gt_i32_e64 s22, v0
	s_cbranch_execz .LBB0_172
; %bb.165:                              ;   in Loop: Header=BB0_8 Depth=1
	v_mov_b32_e32 v1, v0
	s_mov_b32 s23, 0
                                        ; implicit-def: $sgpr27
	s_set_inst_prefetch_distance 0x1
	s_branch .LBB0_167
	.p2align	6
.LBB0_166:                              ;   in Loop: Header=BB0_167 Depth=2
	s_or_b32 exec_lo, exec_lo, s9
	s_waitcnt lgkmcnt(0)
	s_barrier
	buffer_gl0_inv
	ds_load_u16 v2, v21 offset:3072
	v_add_nc_u32_e32 v1, s44, v1
	s_waitcnt lgkmcnt(0)
	s_barrier
	buffer_gl0_inv
	v_cmp_le_i32_e32 vcc_lo, s22, v1
	v_and_b32_e32 v3, 0xff, v2
	s_delay_alu instid0(VALU_DEP_1) | instskip(NEXT) | instid1(VALU_DEP_1)
	v_cmp_ne_u16_e64 s9, 0, v3
	s_or_b32 s28, vcc_lo, s9
	s_delay_alu instid0(SALU_CYCLE_1) | instskip(NEXT) | instid1(SALU_CYCLE_1)
	s_and_b32 s28, exec_lo, s28
	s_or_b32 s23, s28, s23
	s_and_not1_b32 s27, s27, exec_lo
	s_and_b32 s9, s9, exec_lo
	s_delay_alu instid0(SALU_CYCLE_1)
	s_or_b32 s27, s27, s9
	s_and_not1_b32 exec_lo, exec_lo, s23
	s_cbranch_execz .LBB0_171
.LBB0_167:                              ;   Parent Loop BB0_8 Depth=1
                                        ; =>  This Inner Loop Header: Depth=2
	s_delay_alu instid0(VALU_DEP_1)
	v_cmp_gt_i32_e32 vcc_lo, s24, v1
	v_mov_b32_e32 v2, 0
	s_and_saveexec_b32 s9, vcc_lo
	s_cbranch_execz .LBB0_169
; %bb.168:                              ;   in Loop: Header=BB0_167 Depth=2
	ds_load_u8 v2, v1
.LBB0_169:                              ;   in Loop: Header=BB0_167 Depth=2
	s_or_b32 exec_lo, exec_lo, s9
	s_waitcnt lgkmcnt(0)
	v_and_b32_e32 v3, s70, v2
	s_delay_alu instid0(VALU_DEP_1) | instskip(NEXT) | instid1(VALU_DEP_1)
	v_and_b32_e32 v3, 0xff, v3
	v_cmp_eq_u32_e64 s9, s69, v3
	s_delay_alu instid0(VALU_DEP_1) | instskip(NEXT) | instid1(SALU_CYCLE_1)
	s_and_b32 s28, vcc_lo, s9
	s_and_saveexec_b32 s9, s28
	s_cbranch_execz .LBB0_166
; %bb.170:                              ;   in Loop: Header=BB0_167 Depth=2
	v_lshlrev_b16 v2, 8, v2
	s_delay_alu instid0(VALU_DEP_1)
	v_or_b32_e32 v2, 1, v2
	ds_store_b16 v21, v2 offset:3072
	s_branch .LBB0_166
.LBB0_171:                              ;   in Loop: Header=BB0_8 Depth=1
	s_set_inst_prefetch_distance 0x2
	s_or_b32 exec_lo, exec_lo, s23
	v_lshrrev_b16 v22, 8, v2
	s_and_b32 s27, s27, exec_lo
.LBB0_172:                              ;   in Loop: Header=BB0_8 Depth=1
	s_or_b32 exec_lo, exec_lo, s21
	s_mov_b32 s23, -1
	s_mov_b32 s21, 0
	s_mov_b32 s22, 0
.LBB0_173:                              ;   in Loop: Header=BB0_8 Depth=1
	s_mov_b32 s28, 0
                                        ; implicit-def: $sgpr9
	s_and_saveexec_b32 s24, s27
	s_cbranch_execz .LBB0_226
; %bb.174:                              ;   in Loop: Header=BB0_8 Depth=1
	s_xor_b32 s9, s25, -1
	s_mov_b32 s27, 0
	s_and_not1_b32 vcc_lo, exec_lo, s9
	s_mov_b32 s25, 1
	s_cbranch_vccnz .LBB0_185
; %bb.175:                              ;   in Loop: Header=BB0_8 Depth=1
	s_cmp_gt_i32 s26, s17
	s_mov_b32 s27, -1
                                        ; implicit-def: $sgpr9
                                        ; implicit-def: $sgpr25
                                        ; implicit-def: $sgpr28
	s_cbranch_scc1 .LBB0_181
; %bb.176:                              ;   in Loop: Header=BB0_8 Depth=1
	ds_load_b32 v1, v21 offset:4096
	s_waitcnt lgkmcnt(0)
	v_cmp_ne_u32_e32 vcc_lo, 0, v1
	s_cbranch_vccnz .LBB0_180
; %bb.177:                              ;   in Loop: Header=BB0_8 Depth=1
	s_and_saveexec_b32 s9, s2
	s_cbranch_execz .LBB0_179
; %bb.178:                              ;   in Loop: Header=BB0_8 Depth=1
	v_mov_b32_e32 v1, s17
	ds_store_b32 v21, v1 offset:4100
.LBB0_179:                              ;   in Loop: Header=BB0_8 Depth=1
	s_or_b32 exec_lo, exec_lo, s9
	s_waitcnt lgkmcnt(0)
	s_barrier
	buffer_gl0_inv
.LBB0_180:                              ;   in Loop: Header=BB0_8 Depth=1
	s_lshl_b32 s9, 2, s18
	s_and_b32 s18, s69, s19
	s_or_b32 s28, s70, s12
	s_or_b32 s25, s18, s9
	s_mov_b32 s27, 0
	s_mov_b32 s9, 8
.LBB0_181:                              ;   in Loop: Header=BB0_8 Depth=1
	s_and_not1_b32 vcc_lo, exec_lo, s27
	s_cbranch_vccnz .LBB0_183
; %bb.182:                              ;   in Loop: Header=BB0_8 Depth=1
	s_sub_i32 s26, s26, s17
	s_mov_b32 s27, -1
	s_mov_b32 s9, 0
	s_mov_b32 s25, s69
	;; [unrolled: 1-line block ×3, first 2 shown]
.LBB0_183:                              ;   in Loop: Header=BB0_8 Depth=1
	s_delay_alu instid0(SALU_CYCLE_1)
	s_mov_b32 s70, s28
	s_mov_b32 s69, s25
	;; [unrolled: 1-line block ×3, first 2 shown]
	s_and_not1_b32 vcc_lo, exec_lo, s27
	s_mov_b32 s37, -1
	s_cbranch_vccz .LBB0_186
.LBB0_184:                              ;   in Loop: Header=BB0_8 Depth=1
                                        ; implicit-def: $sgpr19
                                        ; implicit-def: $sgpr27
                                        ; implicit-def: $sgpr26
	s_branch .LBB0_225
.LBB0_185:                              ;   in Loop: Header=BB0_8 Depth=1
	s_mov_b32 s9, 1
	s_and_not1_b32 vcc_lo, exec_lo, s27
	s_mov_b32 s37, -1
	s_cbranch_vccnz .LBB0_184
.LBB0_186:                              ;   in Loop: Header=BB0_8 Depth=1
	s_cmp_eq_u32 s10, 1
	s_mov_b32 s28, -1
	s_cselect_b32 s9, -1, 0
	s_cmp_eq_u32 s25, 1
	s_cselect_b32 s17, -1, 0
	s_delay_alu instid0(SALU_CYCLE_1) | instskip(NEXT) | instid1(SALU_CYCLE_1)
	s_and_b32 s17, s9, s17
	s_and_b32 vcc_lo, exec_lo, s17
	s_cbranch_vccz .LBB0_197
; %bb.187:                              ;   in Loop: Header=BB0_8 Depth=1
	ds_load_b32 v1, v21 offset:4096
	s_waitcnt lgkmcnt(0)
	s_barrier
	buffer_gl0_inv
	v_readfirstlane_b32 s18, v1
	s_and_saveexec_b32 s9, s0
	s_cbranch_execz .LBB0_189
; %bb.188:                              ;   in Loop: Header=BB0_8 Depth=1
	ds_store_b8 v0, v21 offset:3072
.LBB0_189:                              ;   in Loop: Header=BB0_8 Depth=1
	s_or_b32 exec_lo, exec_lo, s9
	s_or_b32 s69, s69, s12
	s_or_b32 s70, s70, s12
	s_cmp_gt_i32 s18, 0
	s_waitcnt lgkmcnt(0)
	s_barrier
	buffer_gl0_inv
	s_cbranch_scc1 .LBB0_198
; %bb.190:                              ;   in Loop: Header=BB0_8 Depth=1
	s_mov_b32 s28, 0
                                        ; implicit-def: $vgpr22
	s_and_saveexec_b32 s19, s8
	s_cbranch_execz .LBB0_200
; %bb.191:                              ;   in Loop: Header=BB0_8 Depth=1
	v_dual_mov_b32 v1, v11 :: v_dual_mov_b32 v2, v0
	s_mov_b32 s26, 0
                                        ; implicit-def: $sgpr27
	s_set_inst_prefetch_distance 0x1
	s_branch .LBB0_193
	.p2align	6
.LBB0_192:                              ;   in Loop: Header=BB0_193 Depth=2
	s_or_b32 exec_lo, exec_lo, s9
	s_waitcnt lgkmcnt(0)
	s_barrier
	buffer_gl0_inv
	ds_load_u16 v3, v21 offset:3072
	v_add_nc_u32_e32 v2, s44, v2
	v_add_nc_u32_e32 v1, s51, v1
	s_waitcnt lgkmcnt(0)
	s_barrier
	buffer_gl0_inv
	v_cmp_le_i32_e32 vcc_lo, s60, v2
	v_and_b32_e32 v4, 0xff, v3
	s_delay_alu instid0(VALU_DEP_1) | instskip(NEXT) | instid1(VALU_DEP_1)
	v_cmp_ne_u16_e64 s9, 0, v4
	s_or_b32 s28, vcc_lo, s9
	s_delay_alu instid0(SALU_CYCLE_1) | instskip(NEXT) | instid1(SALU_CYCLE_1)
	s_and_b32 s28, exec_lo, s28
	s_or_b32 s26, s28, s26
	s_and_not1_b32 s27, s27, exec_lo
	s_and_b32 s9, s9, exec_lo
	s_delay_alu instid0(SALU_CYCLE_1)
	s_or_b32 s27, s27, s9
	s_and_not1_b32 exec_lo, exec_lo, s26
	s_cbranch_execz .LBB0_199
.LBB0_193:                              ;   Parent Loop BB0_8 Depth=1
                                        ; =>  This Inner Loop Header: Depth=2
	s_delay_alu instid0(VALU_DEP_1)
	v_cmp_gt_i32_e32 vcc_lo, s36, v2
	v_mov_b32_e32 v3, 0
	s_and_saveexec_b32 s28, vcc_lo
	s_cbranch_execz .LBB0_195
; %bb.194:                              ;   in Loop: Header=BB0_193 Depth=2
	v_ashrrev_i32_e32 v4, 31, v1
	v_add_co_u32 v3, s9, s40, v1
	s_delay_alu instid0(VALU_DEP_1)
	v_add_co_ci_u32_e64 v4, s9, s41, v4, s9
	global_load_u8 v3, v[3:4], off
.LBB0_195:                              ;   in Loop: Header=BB0_193 Depth=2
	s_or_b32 exec_lo, exec_lo, s28
	s_waitcnt vmcnt(0)
	v_and_b32_e32 v4, s70, v3
	s_delay_alu instid0(VALU_DEP_1) | instskip(NEXT) | instid1(VALU_DEP_1)
	v_and_b32_e32 v4, 0xff, v4
	v_cmp_eq_u32_e64 s9, s69, v4
	s_delay_alu instid0(VALU_DEP_1) | instskip(NEXT) | instid1(SALU_CYCLE_1)
	s_and_b32 s28, vcc_lo, s9
	s_and_saveexec_b32 s9, s28
	s_cbranch_execz .LBB0_192
; %bb.196:                              ;   in Loop: Header=BB0_193 Depth=2
	v_lshlrev_b16 v3, 8, v3
	s_delay_alu instid0(VALU_DEP_1)
	v_or_b32_e32 v3, 1, v3
	ds_store_b16 v21, v3 offset:3072
	s_branch .LBB0_192
.LBB0_197:                              ;   in Loop: Header=BB0_8 Depth=1
                                        ; implicit-def: $sgpr19
                                        ; implicit-def: $sgpr27
                                        ; implicit-def: $sgpr26
	s_branch .LBB0_210
.LBB0_198:                              ;   in Loop: Header=BB0_8 Depth=1
	s_mov_b32 s19, -1
	s_mov_b32 s28, 0
                                        ; implicit-def: $sgpr26
                                        ; implicit-def: $vgpr22
	s_mov_b32 s27, s19
	s_cbranch_execnz .LBB0_201
	s_branch .LBB0_210
.LBB0_199:                              ;   in Loop: Header=BB0_8 Depth=1
	s_set_inst_prefetch_distance 0x2
	s_or_b32 exec_lo, exec_lo, s26
	v_lshrrev_b16 v22, 8, v3
	s_and_b32 s28, s27, exec_lo
.LBB0_200:                              ;   in Loop: Header=BB0_8 Depth=1
	s_or_b32 exec_lo, exec_lo, s19
	s_mov_b32 s26, -1
	s_mov_b32 s19, 0
	s_delay_alu instid0(SALU_CYCLE_1)
	s_mov_b32 s27, s19
	s_branch .LBB0_210
.LBB0_201:                              ;   in Loop: Header=BB0_8 Depth=1
	s_add_i32 s26, s18, s48
	s_mov_b32 s28, 0
	s_abs_i32 s9, s26
                                        ; implicit-def: $vgpr22
	s_delay_alu instid0(SALU_CYCLE_1) | instskip(NEXT) | instid1(SALU_CYCLE_1)
	s_mul_hi_u32 s19, s9, s58
	s_mul_i32 s19, s19, s44
	s_delay_alu instid0(SALU_CYCLE_1) | instskip(SKIP_4) | instid1(SALU_CYCLE_1)
	s_sub_i32 s9, s9, s19
	s_ashr_i32 s19, s26, 31
	s_sub_i32 s27, s9, s44
	s_cmp_ge_u32 s9, s44
	s_cselect_b32 s9, s27, s9
	s_sub_i32 s27, s9, s44
	s_cmp_ge_u32 s9, s44
	s_cselect_b32 s9, s27, s9
	s_delay_alu instid0(SALU_CYCLE_1) | instskip(NEXT) | instid1(SALU_CYCLE_1)
	s_xor_b32 s9, s9, s19
	s_sub_i32 s9, s19, s9
	s_mov_b32 s19, exec_lo
	s_add_i32 s26, s26, s9
	s_delay_alu instid0(SALU_CYCLE_1)
	v_cmpx_gt_i32_e64 s26, v0
	s_cbranch_execz .LBB0_209
; %bb.202:                              ;   in Loop: Header=BB0_8 Depth=1
	v_mov_b32_e32 v1, v0
	s_mov_b32 s27, 0
                                        ; implicit-def: $sgpr28
	s_set_inst_prefetch_distance 0x1
	s_branch .LBB0_204
	.p2align	6
.LBB0_203:                              ;   in Loop: Header=BB0_204 Depth=2
	s_or_b32 exec_lo, exec_lo, s9
	s_waitcnt lgkmcnt(0)
	s_barrier
	buffer_gl0_inv
	ds_load_u16 v2, v21 offset:3072
	v_add_nc_u32_e32 v1, s44, v1
	s_waitcnt lgkmcnt(0)
	s_barrier
	buffer_gl0_inv
	v_cmp_le_i32_e32 vcc_lo, s26, v1
	v_and_b32_e32 v3, 0xff, v2
	s_delay_alu instid0(VALU_DEP_1) | instskip(NEXT) | instid1(VALU_DEP_1)
	v_cmp_ne_u16_e64 s9, 0, v3
	s_or_b32 s37, vcc_lo, s9
	s_delay_alu instid0(SALU_CYCLE_1) | instskip(NEXT) | instid1(SALU_CYCLE_1)
	s_and_b32 s37, exec_lo, s37
	s_or_b32 s27, s37, s27
	s_and_not1_b32 s28, s28, exec_lo
	s_and_b32 s9, s9, exec_lo
	s_delay_alu instid0(SALU_CYCLE_1)
	s_or_b32 s28, s28, s9
	s_and_not1_b32 exec_lo, exec_lo, s27
	s_cbranch_execz .LBB0_208
.LBB0_204:                              ;   Parent Loop BB0_8 Depth=1
                                        ; =>  This Inner Loop Header: Depth=2
	s_delay_alu instid0(VALU_DEP_1)
	v_cmp_gt_i32_e32 vcc_lo, s18, v1
	v_mov_b32_e32 v2, 0
	s_and_saveexec_b32 s9, vcc_lo
	s_cbranch_execz .LBB0_206
; %bb.205:                              ;   in Loop: Header=BB0_204 Depth=2
	ds_load_u8 v2, v1
.LBB0_206:                              ;   in Loop: Header=BB0_204 Depth=2
	s_or_b32 exec_lo, exec_lo, s9
	s_waitcnt lgkmcnt(0)
	v_and_b32_e32 v3, s70, v2
	s_delay_alu instid0(VALU_DEP_1) | instskip(NEXT) | instid1(VALU_DEP_1)
	v_and_b32_e32 v3, 0xff, v3
	v_cmp_eq_u32_e64 s9, s69, v3
	s_delay_alu instid0(VALU_DEP_1) | instskip(NEXT) | instid1(SALU_CYCLE_1)
	s_and_b32 s37, vcc_lo, s9
	s_and_saveexec_b32 s9, s37
	s_cbranch_execz .LBB0_203
; %bb.207:                              ;   in Loop: Header=BB0_204 Depth=2
	v_lshlrev_b16 v2, 8, v2
	s_delay_alu instid0(VALU_DEP_1)
	v_or_b32_e32 v2, 1, v2
	ds_store_b16 v21, v2 offset:3072
	s_branch .LBB0_203
.LBB0_208:                              ;   in Loop: Header=BB0_8 Depth=1
	s_set_inst_prefetch_distance 0x2
	s_or_b32 exec_lo, exec_lo, s27
	v_lshrrev_b16 v22, 8, v2
	s_and_b32 s28, s28, exec_lo
.LBB0_209:                              ;   in Loop: Header=BB0_8 Depth=1
	s_or_b32 exec_lo, exec_lo, s19
	s_mov_b32 s27, -1
	s_mov_b32 s19, 0
	s_mov_b32 s26, 0
.LBB0_210:                              ;   in Loop: Header=BB0_8 Depth=1
	s_mov_b32 s37, 0
                                        ; implicit-def: $sgpr9
	s_and_saveexec_b32 s18, s28
	s_cbranch_execz .LBB0_224
; %bb.211:                              ;   in Loop: Header=BB0_8 Depth=1
	s_xor_b32 s9, s17, -1
	s_delay_alu instid0(SALU_CYCLE_1)
	s_and_not1_b32 vcc_lo, exec_lo, s9
	s_mov_b32 s9, 1
	s_cbranch_vccnz .LBB0_218
; %bb.212:                              ;   in Loop: Header=BB0_8 Depth=1
	s_cmp_gt_i32 s25, s10
	s_cbranch_scc1 .LBB0_219
; %bb.213:                              ;   in Loop: Header=BB0_8 Depth=1
	ds_load_b32 v1, v21 offset:4096
	s_waitcnt lgkmcnt(0)
	v_cmp_ne_u32_e32 vcc_lo, 0, v1
	s_cbranch_vccnz .LBB0_217
; %bb.214:                              ;   in Loop: Header=BB0_8 Depth=1
	s_and_saveexec_b32 s9, s2
	s_cbranch_execz .LBB0_216
; %bb.215:                              ;   in Loop: Header=BB0_8 Depth=1
	v_mov_b32_e32 v1, s10
	ds_store_b32 v21, v1 offset:4100
.LBB0_216:                              ;   in Loop: Header=BB0_8 Depth=1
	s_or_b32 exec_lo, exec_lo, s9
	s_waitcnt lgkmcnt(0)
	s_barrier
	buffer_gl0_inv
.LBB0_217:                              ;   in Loop: Header=BB0_8 Depth=1
	s_or_b32 s17, s69, s12
	s_or_b32 s12, s70, s12
	s_mov_b32 s28, 0
	s_mov_b32 s9, 8
	s_branch .LBB0_220
.LBB0_218:                              ;   in Loop: Header=BB0_8 Depth=1
	s_mov_b32 s25, 1
	s_branch .LBB0_223
.LBB0_219:                              ;   in Loop: Header=BB0_8 Depth=1
	s_mov_b32 s28, -1
                                        ; implicit-def: $sgpr9
                                        ; implicit-def: $sgpr17
                                        ; implicit-def: $sgpr12
.LBB0_220:                              ;   in Loop: Header=BB0_8 Depth=1
	s_delay_alu instid0(SALU_CYCLE_1)
	s_and_not1_b32 vcc_lo, exec_lo, s28
	s_cbranch_vccnz .LBB0_222
; %bb.221:                              ;   in Loop: Header=BB0_8 Depth=1
	s_sub_i32 s25, s25, s10
	s_mov_b32 s9, 8
	s_mov_b32 s17, s69
	;; [unrolled: 1-line block ×3, first 2 shown]
.LBB0_222:                              ;   in Loop: Header=BB0_8 Depth=1
	s_mov_b32 s69, s17
	s_mov_b32 s70, s12
.LBB0_223:                              ;   in Loop: Header=BB0_8 Depth=1
	s_mov_b32 s37, exec_lo
.LBB0_224:                              ;   in Loop: Header=BB0_8 Depth=1
	s_or_b32 exec_lo, exec_lo, s18
.LBB0_225:                              ;   in Loop: Header=BB0_8 Depth=1
	s_delay_alu instid0(SALU_CYCLE_1)
	s_and_not1_b32 s10, s21, exec_lo
	s_and_b32 s12, s19, exec_lo
	s_and_not1_b32 s17, s22, exec_lo
	s_or_b32 s21, s10, s12
	s_and_not1_b32 s10, s23, exec_lo
	s_and_b32 s12, s27, exec_lo
	s_and_b32 s18, s26, exec_lo
	s_or_b32 s23, s10, s12
	s_or_b32 s22, s17, s18
	s_and_b32 s28, s37, exec_lo
	s_mov_b32 s26, s25
.LBB0_226:                              ;   in Loop: Header=BB0_8 Depth=1
	s_or_b32 exec_lo, exec_lo, s24
.LBB0_227:                              ;   in Loop: Header=BB0_8 Depth=1
	s_delay_alu instid0(SALU_CYCLE_1)
	s_and_not1_b32 s10, s15, exec_lo
	s_and_b32 s12, s21, exec_lo
	s_and_not1_b32 s14, s14, exec_lo
	s_or_b32 s15, s10, s12
	s_and_not1_b32 s10, s16, exec_lo
	s_and_b32 s12, s23, exec_lo
	s_and_b32 s17, s22, exec_lo
	s_or_b32 s16, s10, s12
	s_or_b32 s14, s14, s17
	s_and_b32 s25, s28, exec_lo
	s_mov_b32 s22, s26
.LBB0_228:                              ;   in Loop: Header=BB0_8 Depth=1
	s_or_b32 exec_lo, exec_lo, s20
	s_and_saveexec_b32 s10, s25
	s_delay_alu instid0(SALU_CYCLE_1)
	s_xor_b32 s10, exec_lo, s10
	s_cbranch_execz .LBB0_6
.LBB0_229:                              ;   in Loop: Header=BB0_8 Depth=1
	s_and_b32 s9, s9, -9
	s_delay_alu instid0(SALU_CYCLE_1)
	s_cmp_eq_u32 s9, 0
	s_cbranch_scc1 .LBB0_4
; %bb.230:                              ;   in Loop: Header=BB0_8 Depth=1
	s_mov_b32 s9, -1
	s_mov_b32 s12, -1
                                        ; implicit-def: $sgpr70
                                        ; implicit-def: $sgpr22
                                        ; implicit-def: $sgpr57
                                        ; implicit-def: $sgpr67
	s_branch .LBB0_5
.LBB0_231:
	s_or_b32 exec_lo, exec_lo, s45
	s_xor_b32 s4, s64, -1
	s_xor_b32 s0, s62, -1
	;; [unrolled: 1-line block ×3, first 2 shown]
	s_mov_b32 s1, 0
	s_and_saveexec_b32 s5, s0
	s_delay_alu instid0(SALU_CYCLE_1)
	s_xor_b32 s0, exec_lo, s5
	s_cbranch_execz .LBB0_252
; %bb.232:
	s_and_saveexec_b32 s1, s4
	s_delay_alu instid0(SALU_CYCLE_1)
	s_xor_b32 s1, exec_lo, s1
	s_cbranch_execz .LBB0_250
; %bb.233:
	s_and_saveexec_b32 s4, s3
	s_delay_alu instid0(SALU_CYCLE_1)
	s_xor_b32 s3, exec_lo, s4
; %bb.234:
	v_mov_b32_e32 v22, v1
; %bb.235:
	s_or_b32 exec_lo, exec_lo, s3
	s_and_saveexec_b32 s3, s2
	s_cbranch_execz .LBB0_237
; %bb.236:
	v_dual_mov_b32 v1, 0 :: v_dual_mov_b32 v2, s36
	ds_store_b32 v1, v2 offset:4108
.LBB0_237:
	s_or_b32 exec_lo, exec_lo, s3
	v_mov_b32_e32 v1, 0
	s_waitcnt lgkmcnt(0)
	s_barrier
	buffer_gl0_inv
	s_mov_b32 s3, exec_lo
	ds_load_b32 v1, v1 offset:4108
	s_waitcnt lgkmcnt(0)
	v_min_i32_e32 v1, s36, v1
	s_delay_alu instid0(VALU_DEP_1)
	v_cmpx_lt_i32_e64 v0, v1
	s_cbranch_execz .LBB0_247
; %bb.238:
	v_and_b32_e32 v3, 0xff, v22
	s_mov_b32 s4, 0
                                        ; implicit-def: $sgpr5
                                        ; implicit-def: $sgpr7
                                        ; implicit-def: $sgpr6
	s_set_inst_prefetch_distance 0x1
	s_branch .LBB0_240
	.p2align	6
.LBB0_239:                              ;   in Loop: Header=BB0_240 Depth=1
	s_or_b32 exec_lo, exec_lo, s8
	s_delay_alu instid0(SALU_CYCLE_1) | instskip(NEXT) | instid1(SALU_CYCLE_1)
	s_and_b32 s8, exec_lo, s7
	s_or_b32 s4, s8, s4
	s_and_not1_b32 s5, s5, exec_lo
	s_and_b32 s8, s6, exec_lo
	s_delay_alu instid0(SALU_CYCLE_1)
	s_or_b32 s5, s5, s8
	s_and_not1_b32 exec_lo, exec_lo, s4
	s_cbranch_execz .LBB0_242
.LBB0_240:                              ; =>This Inner Loop Header: Depth=1
	v_ashrrev_i32_e32 v2, 31, v11
	v_add_co_u32 v4, vcc_lo, s40, v11
	s_or_b32 s6, s6, exec_lo
	s_or_b32 s7, s7, exec_lo
	s_delay_alu instid0(VALU_DEP_2)
	v_add_co_ci_u32_e32 v5, vcc_lo, s41, v2, vcc_lo
	v_mov_b32_e32 v2, v0
	s_mov_b32 s8, exec_lo
                                        ; implicit-def: $vgpr0
	global_load_u8 v4, v[4:5], off
	s_waitcnt vmcnt(0)
	v_cmpx_ne_u16_e64 v4, v3
	s_cbranch_execz .LBB0_239
; %bb.241:                              ;   in Loop: Header=BB0_240 Depth=1
	v_add_nc_u32_e32 v0, s44, v2
	s_and_not1_b32 s7, s7, exec_lo
	v_add_nc_u32_e32 v11, s51, v11
	s_and_not1_b32 s6, s6, exec_lo
	s_delay_alu instid0(VALU_DEP_2) | instskip(SKIP_1) | instid1(SALU_CYCLE_1)
	v_cmp_ge_i32_e32 vcc_lo, v0, v1
	s_and_b32 s9, vcc_lo, exec_lo
	s_or_b32 s7, s7, s9
	s_branch .LBB0_239
.LBB0_242:
	s_set_inst_prefetch_distance 0x2
	s_or_b32 exec_lo, exec_lo, s4
	s_and_saveexec_b32 s4, s5
	s_delay_alu instid0(SALU_CYCLE_1)
	s_xor_b32 s4, exec_lo, s4
	s_cbranch_execz .LBB0_247
; %bb.243:
	s_mov_b32 s5, exec_lo
	s_brev_b32 s4, -2
.LBB0_244:                              ; =>This Inner Loop Header: Depth=1
	s_ctz_i32_b32 s6, s5
	s_delay_alu instid0(SALU_CYCLE_1) | instskip(SKIP_1) | instid1(SALU_CYCLE_1)
	v_readlane_b32 s7, v2, s6
	s_lshl_b32 s6, 1, s6
	s_and_not1_b32 s5, s5, s6
	s_delay_alu instid0(VALU_DEP_1)
	s_min_i32 s4, s4, s7
	s_cmp_lg_u32 s5, 0
	s_cbranch_scc1 .LBB0_244
; %bb.245:
	v_mbcnt_lo_u32_b32 v0, exec_lo, 0
	s_mov_b32 s5, exec_lo
	s_delay_alu instid0(VALU_DEP_1)
	v_cmpx_eq_u32_e32 0, v0
	s_xor_b32 s5, exec_lo, s5
	s_cbranch_execz .LBB0_247
; %bb.246:
	v_dual_mov_b32 v0, 0 :: v_dual_mov_b32 v1, s4
	ds_min_i32 v0, v1 offset:4108
.LBB0_247:
	s_or_b32 exec_lo, exec_lo, s3
	s_waitcnt lgkmcnt(0)
	s_barrier
	buffer_gl0_inv
	s_and_saveexec_b32 s3, s2
	s_cbranch_execz .LBB0_249
; %bb.248:
	v_mov_b32_e32 v2, 0
	s_mul_i32 s38, s38, s29
	s_mul_i32 s4, s33, s29
	s_ashr_i32 s2, s38, 31
	s_add_u32 s6, s34, s38
	ds_load_b32 v0, v2 offset:4108
	s_addc_u32 s7, s35, s2
	s_ashr_i32 s5, s4, 31
	s_delay_alu instid0(SALU_CYCLE_1) | instskip(NEXT) | instid1(SALU_CYCLE_1)
	s_lshl_b64 s[4:5], s[4:5], 3
	s_add_u32 s4, s30, s4
	s_addc_u32 s5, s31, s5
	s_waitcnt lgkmcnt(0)
	v_ashrrev_i32_e32 v1, 31, v0
	s_clause 0x1
	global_store_b64 v2, v[0:1], s[4:5]
	global_store_b8 v2, v22, s[6:7]
.LBB0_249:
	s_or_b32 exec_lo, exec_lo, s3
.LBB0_250:
	s_or_saveexec_b32 s1, s1
	s_mov_b32 s2, 0
	s_xor_b32 exec_lo, exec_lo, s1
	s_cbranch_execnz .LBB0_258
.LBB0_251:
	s_or_b32 exec_lo, exec_lo, s1
	s_delay_alu instid0(SALU_CYCLE_1)
	s_and_b32 s1, s2, exec_lo
.LBB0_252:
	s_and_not1_saveexec_b32 s0, s0
	s_cbranch_execnz .LBB0_256
; %bb.253:
	s_or_b32 exec_lo, exec_lo, s0
	s_and_saveexec_b32 s0, s1
.LBB0_254:
	; divergent unreachable
.LBB0_255:
	s_nop 0
	s_sendmsg sendmsg(MSG_DEALLOC_VGPRS)
	s_endpgm
.LBB0_256:
	s_cbranch_execnz .LBB0_260
; %bb.257:
	s_or_b32 s1, s1, exec_lo
	s_or_b32 exec_lo, exec_lo, s0
	s_and_saveexec_b32 s0, s1
	s_cbranch_execnz .LBB0_254
	s_branch .LBB0_255
.LBB0_258:
	s_cbranch_execnz .LBB0_262
; %bb.259:
	s_mov_b32 s2, exec_lo
	s_branch .LBB0_251
.LBB0_260:
	s_trap 2
	s_sendmsg_rtn_b32 s0, sendmsg(MSG_RTN_GET_DOORBELL)
	s_mov_b32 ttmp2, m0
	s_waitcnt lgkmcnt(0)
	s_and_b32 s0, s0, 0x3ff
	s_delay_alu instid0(SALU_CYCLE_1) | instskip(NEXT) | instid1(SALU_CYCLE_1)
	s_bitset1_b32 s0, 10
	s_mov_b32 m0, s0
	s_sendmsg sendmsg(MSG_INTERRUPT)
	s_mov_b32 m0, ttmp2
.LBB0_261:                              ; =>This Inner Loop Header: Depth=1
	s_sethalt 5
	s_branch .LBB0_261
.LBB0_262:
	s_trap 2
	s_sendmsg_rtn_b32 s0, sendmsg(MSG_RTN_GET_DOORBELL)
	s_mov_b32 ttmp2, m0
	s_waitcnt lgkmcnt(0)
	s_and_b32 s0, s0, 0x3ff
	s_delay_alu instid0(SALU_CYCLE_1) | instskip(NEXT) | instid1(SALU_CYCLE_1)
	s_bitset1_b32 s0, 10
	s_mov_b32 m0, s0
	s_sendmsg sendmsg(MSG_INTERRUPT)
	s_mov_b32 m0, ttmp2
.LBB0_263:                              ; =>This Inner Loop Header: Depth=1
	s_sethalt 5
	s_branch .LBB0_263
	.section	.rodata,"a",@progbits
	.p2align	6, 0x0
	.amdhsa_kernel _ZN2at6native12_GLOBAL__N_114gatherKthValueIhiLi1EEEvNS_4cuda6detail10TensorInfoIKT_T0_EES8_S8_S8_S8_NS5_IS6_S8_EENS5_IlS8_EE
		.amdhsa_group_segment_fixed_size 4112
		.amdhsa_private_segment_fixed_size 0
		.amdhsa_kernarg_size 920
		.amdhsa_user_sgpr_count 13
		.amdhsa_user_sgpr_dispatch_ptr 0
		.amdhsa_user_sgpr_queue_ptr 0
		.amdhsa_user_sgpr_kernarg_segment_ptr 1
		.amdhsa_user_sgpr_dispatch_id 0
		.amdhsa_user_sgpr_private_segment_size 0
		.amdhsa_wavefront_size32 1
		.amdhsa_uses_dynamic_stack 0
		.amdhsa_enable_private_segment 0
		.amdhsa_system_sgpr_workgroup_id_x 1
		.amdhsa_system_sgpr_workgroup_id_y 1
		.amdhsa_system_sgpr_workgroup_id_z 1
		.amdhsa_system_sgpr_workgroup_info 0
		.amdhsa_system_vgpr_workitem_id 0
		.amdhsa_next_free_vgpr 36
		.amdhsa_next_free_sgpr 80
		.amdhsa_reserve_vcc 1
		.amdhsa_float_round_mode_32 0
		.amdhsa_float_round_mode_16_64 0
		.amdhsa_float_denorm_mode_32 3
		.amdhsa_float_denorm_mode_16_64 3
		.amdhsa_dx10_clamp 1
		.amdhsa_ieee_mode 1
		.amdhsa_fp16_overflow 0
		.amdhsa_workgroup_processor_mode 1
		.amdhsa_memory_ordered 1
		.amdhsa_forward_progress 0
		.amdhsa_shared_vgpr_count 0
		.amdhsa_exception_fp_ieee_invalid_op 0
		.amdhsa_exception_fp_denorm_src 0
		.amdhsa_exception_fp_ieee_div_zero 0
		.amdhsa_exception_fp_ieee_overflow 0
		.amdhsa_exception_fp_ieee_underflow 0
		.amdhsa_exception_fp_ieee_inexact 0
		.amdhsa_exception_int_div_zero 0
	.end_amdhsa_kernel
	.section	.text._ZN2at6native12_GLOBAL__N_114gatherKthValueIhiLi1EEEvNS_4cuda6detail10TensorInfoIKT_T0_EES8_S8_S8_S8_NS5_IS6_S8_EENS5_IlS8_EE,"axG",@progbits,_ZN2at6native12_GLOBAL__N_114gatherKthValueIhiLi1EEEvNS_4cuda6detail10TensorInfoIKT_T0_EES8_S8_S8_S8_NS5_IS6_S8_EENS5_IlS8_EE,comdat
.Lfunc_end0:
	.size	_ZN2at6native12_GLOBAL__N_114gatherKthValueIhiLi1EEEvNS_4cuda6detail10TensorInfoIKT_T0_EES8_S8_S8_S8_NS5_IS6_S8_EENS5_IlS8_EE, .Lfunc_end0-_ZN2at6native12_GLOBAL__N_114gatherKthValueIhiLi1EEEvNS_4cuda6detail10TensorInfoIKT_T0_EES8_S8_S8_S8_NS5_IS6_S8_EENS5_IlS8_EE
                                        ; -- End function
	.section	.AMDGPU.csdata,"",@progbits
; Kernel info:
; codeLenInByte = 9540
; NumSgprs: 82
; NumVgprs: 36
; ScratchSize: 0
; MemoryBound: 0
; FloatMode: 240
; IeeeMode: 1
; LDSByteSize: 4112 bytes/workgroup (compile time only)
; SGPRBlocks: 10
; VGPRBlocks: 4
; NumSGPRsForWavesPerEU: 82
; NumVGPRsForWavesPerEU: 36
; Occupancy: 16
; WaveLimiterHint : 1
; COMPUTE_PGM_RSRC2:SCRATCH_EN: 0
; COMPUTE_PGM_RSRC2:USER_SGPR: 13
; COMPUTE_PGM_RSRC2:TRAP_HANDLER: 0
; COMPUTE_PGM_RSRC2:TGID_X_EN: 1
; COMPUTE_PGM_RSRC2:TGID_Y_EN: 1
; COMPUTE_PGM_RSRC2:TGID_Z_EN: 1
; COMPUTE_PGM_RSRC2:TIDIG_COMP_CNT: 0
	.section	.text._ZN2at6native12_GLOBAL__N_114gatherKthValueIhiLi2EEEvNS_4cuda6detail10TensorInfoIKT_T0_EES8_S8_S8_S8_NS5_IS6_S8_EENS5_IlS8_EE,"axG",@progbits,_ZN2at6native12_GLOBAL__N_114gatherKthValueIhiLi2EEEvNS_4cuda6detail10TensorInfoIKT_T0_EES8_S8_S8_S8_NS5_IS6_S8_EENS5_IlS8_EE,comdat
	.globl	_ZN2at6native12_GLOBAL__N_114gatherKthValueIhiLi2EEEvNS_4cuda6detail10TensorInfoIKT_T0_EES8_S8_S8_S8_NS5_IS6_S8_EENS5_IlS8_EE ; -- Begin function _ZN2at6native12_GLOBAL__N_114gatherKthValueIhiLi2EEEvNS_4cuda6detail10TensorInfoIKT_T0_EES8_S8_S8_S8_NS5_IS6_S8_EENS5_IlS8_EE
	.p2align	8
	.type	_ZN2at6native12_GLOBAL__N_114gatherKthValueIhiLi2EEEvNS_4cuda6detail10TensorInfoIKT_T0_EES8_S8_S8_S8_NS5_IS6_S8_EENS5_IlS8_EE,@function
_ZN2at6native12_GLOBAL__N_114gatherKthValueIhiLi2EEEvNS_4cuda6detail10TensorInfoIKT_T0_EES8_S8_S8_S8_NS5_IS6_S8_EENS5_IlS8_EE: ; @_ZN2at6native12_GLOBAL__N_114gatherKthValueIhiLi2EEEvNS_4cuda6detail10TensorInfoIKT_T0_EES8_S8_S8_S8_NS5_IS6_S8_EENS5_IlS8_EE
; %bb.0:
	s_clause 0x1
	s_load_b64 s[4:5], s[0:1], 0x298
	s_load_b128 s[36:39], s[0:1], 0xd8
	s_add_u32 s2, s0, 0x298
	s_addc_u32 s3, s1, 0
	s_waitcnt lgkmcnt(0)
	s_mul_i32 s5, s5, s15
	s_delay_alu instid0(SALU_CYCLE_1) | instskip(NEXT) | instid1(SALU_CYCLE_1)
	s_add_i32 s5, s5, s14
	s_mul_i32 s29, s5, s4
	s_delay_alu instid0(SALU_CYCLE_1) | instskip(NEXT) | instid1(SALU_CYCLE_1)
	s_add_i32 s29, s29, s13
	s_cmp_ge_i32 s29, s38
	s_cbranch_scc1 .LBB1_255
; %bb.1:
	s_clause 0x8
	s_load_b32 s5, s[0:1], 0xc
	s_load_b32 s38, s[0:1], 0xf4
	;; [unrolled: 1-line block ×3, first 2 shown]
	s_load_b64 s[42:43], s[0:1], 0x154
	s_load_b64 s[34:35], s[0:1], 0xe8
	;; [unrolled: 1-line block ×6, first 2 shown]
	v_cmp_eq_u32_e64 s0, 0, v0
	s_abs_i32 s49, s29
	s_ashr_i32 s50, s29, 31
	s_mov_b32 s57, 0
	s_waitcnt lgkmcnt(0)
	s_abs_i32 s10, s5
	s_abs_i32 s51, s38
	;; [unrolled: 1-line block ×3, first 2 shown]
	v_cvt_f32_u32_e32 v1, s10
	v_cvt_f32_u32_e32 v2, s51
	;; [unrolled: 1-line block ×3, first 2 shown]
	s_sub_i32 s11, 0, s10
	s_sub_i32 s16, 0, s51
	v_rcp_iflag_f32_e32 v1, v1
	v_rcp_iflag_f32_e32 v2, v2
	;; [unrolled: 1-line block ×3, first 2 shown]
	s_sub_i32 s17, 0, s48
	s_ashr_i32 s1, s5, 31
	s_waitcnt_depctr 0xfff
	v_dual_mul_f32 v1, 0x4f7ffffe, v1 :: v_dual_mul_f32 v2, 0x4f7ffffe, v2
	v_mul_f32_e32 v3, 0x4f7ffffe, v3
	s_delay_alu instid0(VALU_DEP_2) | instskip(NEXT) | instid1(VALU_DEP_3)
	v_cvt_u32_f32_e32 v1, v1
	v_cvt_u32_f32_e32 v2, v2
	s_delay_alu instid0(VALU_DEP_3) | instskip(NEXT) | instid1(VALU_DEP_3)
	v_cvt_u32_f32_e32 v3, v3
	v_readfirstlane_b32 s12, v1
	s_delay_alu instid0(VALU_DEP_3) | instskip(NEXT) | instid1(VALU_DEP_3)
	v_readfirstlane_b32 s14, v2
	v_readfirstlane_b32 s15, v3
	s_delay_alu instid0(VALU_DEP_3) | instskip(NEXT) | instid1(VALU_DEP_2)
	s_mul_i32 s11, s11, s12
	s_mul_i32 s16, s16, s14
	s_delay_alu instid0(VALU_DEP_1)
	s_mul_i32 s17, s17, s15
	s_mul_hi_u32 s11, s12, s11
	s_mul_hi_u32 s16, s14, s16
	;; [unrolled: 1-line block ×3, first 2 shown]
	s_add_i32 s12, s12, s11
	s_add_i32 s14, s14, s16
	;; [unrolled: 1-line block ×3, first 2 shown]
	s_mul_hi_u32 s11, s49, s12
	s_mul_hi_u32 s54, s49, s14
	;; [unrolled: 1-line block ×3, first 2 shown]
	s_and_saveexec_b32 s12, s0
	s_cbranch_execz .LBB1_3
; %bb.2:
	v_dual_mov_b32 v1, 0 :: v_dual_mov_b32 v2, s36
	s_delay_alu instid0(VALU_DEP_1)
	v_mov_b32_e32 v3, v1
	ds_store_b96 v1, v[1:3] offset:4096
.LBB1_3:
	s_or_b32 exec_lo, exec_lo, s12
	s_mul_i32 s12, s11, s10
	s_ashr_i32 s55, s38, 31
	s_sub_i32 s12, s49, s12
	s_ashr_i32 s53, s33, 31
	s_xor_b32 s1, s50, s1
	s_add_i32 s14, s11, 1
	s_sub_i32 s15, s12, s10
	s_cmp_ge_u32 s12, s10
	s_waitcnt lgkmcnt(0)
	s_cselect_b32 s11, s14, s11
	s_cselect_b32 s12, s15, s12
	s_barrier
	buffer_gl0_inv
	s_load_b32 s15, s[2:3], 0xc
	s_add_i32 s14, s11, 1
	s_cmp_ge_u32 s12, s10
	v_mbcnt_lo_u32_b32 v12, -1, 0
	s_cselect_b32 s10, s14, s11
	v_cmp_gt_u32_e32 vcc_lo, 32, v0
	s_xor_b32 s10, s10, s1
	v_mul_lo_u32 v11, v0, s39
	s_sub_i32 s1, s10, s1
	v_dual_mov_b32 v22, 0 :: v_dual_lshlrev_b32 v13, 2, v0
	s_mul_i32 s5, s1, s5
	s_mul_i32 s1, s1, s8
	s_sub_i32 s5, s29, s5
	v_lshrrev_b32_e32 v3, 3, v0
	s_mul_i32 s5, s5, s9
	s_mov_b32 s10, s39
	s_add_i32 s1, s1, s5
	v_mad_u64_u32 v[9:10], null, s39, v13, s[10:11]
	s_ashr_i32 s5, s1, 31
	s_add_u32 s44, s6, s1
	s_addc_u32 s45, s7, s5
	s_waitcnt lgkmcnt(0)
	s_and_b32 s56, s15, 0xffff
	v_cmp_gt_i32_e64 s1, 4, v12
	s_lshl_b32 s58, s56, 2
	s_add_i32 s60, s56, -1
	v_cvt_f32_u32_e32 v1, s58
	s_bfe_u32 s5, s15, 0xb0005
	s_and_b32 s61, vcc_lo, s1
	s_add_i32 s71, s60, s36
	s_cmpk_gt_i32 s36, 0xc00
	v_rcp_iflag_f32_e32 v1, v1
	s_cselect_b32 s62, -1, 0
	s_cmp_gt_u32 s56, 31
	v_dual_mov_b32 v21, 0 :: v_dual_and_b32 v14, 0x7c, v3
	s_cselect_b32 s63, -1, 0
	s_cmp_lt_u32 s13, s4
	v_add_co_u32 v5, s4, s44, v11
	s_cselect_b32 s1, 12, 18
	s_waitcnt_depctr 0xfff
	v_mul_f32_e32 v1, 0x4f7ffffe, v1
	s_add_u32 s46, s2, s1
	s_addc_u32 s47, s3, 0
	s_add_i32 s1, s5, -1
	s_bfe_u32 s64, s56, 0x30005
	v_cvt_u32_f32_e32 v1, v1
	s_cmp_gt_u32 s1, 6
	v_add_co_ci_u32_e64 v6, null, s45, 0, s4
	s_cselect_b32 s65, -1, 0
	s_delay_alu instid0(VALU_DEP_2)
	v_readfirstlane_b32 s2, v1
	v_cvt_f32_u32_e32 v1, s56
	s_and_b32 s66, s5, 0x7f8
	s_cmp_lg_u32 s64, 0
	v_or_b32_e32 v3, 3, v13
	s_cselect_b32 s67, -1, 0
	v_rcp_iflag_f32_e32 v1, v1
	s_sub_i32 s1, 0, s58
	v_lshlrev_b32_e32 v18, 2, v11
	s_mul_i32 s1, s1, s2
	v_mul_lo_u32 v17, s39, v3
	s_mul_hi_u32 s3, s2, s1
	v_cmp_gt_u32_e64 s1, 2, v0
	s_add_i32 s68, s2, s3
	v_cmp_eq_u32_e64 s2, 0, v12
	s_mul_hi_u32 s3, s36, s68
	s_waitcnt_depctr 0xfff
	v_mul_f32_e32 v1, 0x4f7ffffe, v1
	s_mul_i32 s3, s3, s58
	v_lshl_or_b32 v20, v12, 2, 0xc00
	s_sub_i32 s4, s36, s3
	v_cmp_gt_u32_e64 s3, s36, v0
	s_sub_i32 s5, s4, s58
	v_cvt_u32_f32_e32 v1, v1
	s_cmp_ge_u32 s4, s58
	s_mul_i32 s59, s39, s56
	s_cselect_b32 s5, s5, s4
	v_cmp_gt_i32_e64 s4, s36, v0
	s_sub_i32 s6, s5, s58
	v_readfirstlane_b32 s7, v1
	s_cmp_ge_u32 s5, s58
	v_lshlrev_b64 v[1:2], v12, -1
	s_cselect_b32 s9, s6, s5
	s_sub_i32 s5, 0, s56
	s_sub_i32 s70, s36, s9
	s_mul_i32 s5, s5, s7
	v_add_nc_u32_e32 v16, s70, v0
	s_mul_hi_u32 s5, s7, s5
	s_abs_i32 s6, s71
	s_add_i32 s69, s7, s5
	v_not_b32_e32 v15, v1
	s_mul_hi_u32 s5, s6, s69
	v_mul_lo_u32 v1, v16, s39
	s_mul_i32 s5, s5, s56
	s_ashr_i32 s7, s71, 31
	s_sub_i32 s5, s6, s5
	s_mov_b32 s72, 6
	s_sub_i32 s6, s5, s56
	s_cmp_ge_u32 s5, s56
	s_mov_b32 s79, 0
	s_cselect_b32 s6, s6, s5
	v_ashrrev_i32_e32 v2, 31, v1
	v_add_co_u32 v7, vcc_lo, s44, v1
	v_add3_u32 v1, s56, s36, v0
	s_sub_i32 s8, s6, s56
	s_cmp_ge_u32 s6, s56
	v_add_co_ci_u32_e32 v8, vcc_lo, s45, v2, vcc_lo
	s_cselect_b32 s8, s8, s6
	v_or_b32_e32 v2, 2, v13
	v_subrev_nc_u32_e32 v1, s9, v1
	s_xor_b32 s8, s8, s7
	v_cmp_gt_i32_e64 s5, s70, v13
	s_sub_i32 s7, s7, s8
	v_mul_lo_u32 v10, s39, v2
	v_mul_lo_u32 v19, s39, v1
	s_add_i32 s71, s71, s7
	v_cmp_gt_u32_e64 s6, s36, v16
	v_cmp_gt_i32_e64 s7, s36, v16
	v_cmp_gt_i32_e64 s8, s71, v0
	s_lshl_b32 s73, s59, 2
	s_mov_b32 s81, 0
	s_mov_b32 s82, 0
                                        ; implicit-def: $sgpr74
                                        ; implicit-def: $sgpr76
                                        ; implicit-def: $sgpr75
                                        ; implicit-def: $sgpr78
                                        ; implicit-def: $sgpr80
                                        ; implicit-def: $sgpr77
	s_branch .LBB1_8
.LBB1_4:                                ;   in Loop: Header=BB1_8 Depth=1
	s_xor_b32 s79, s79, 1
	s_add_i32 s13, s72, -2
	s_cmp_eq_u32 s72, 0
	s_mov_b32 s9, 0
	s_cselect_b32 s12, -1, 0
	s_mov_b32 s72, s13
.LBB1_5:                                ;   in Loop: Header=BB1_8 Depth=1
	s_and_not1_b32 s13, s15, exec_lo
	s_and_b32 s9, s9, exec_lo
	s_and_not1_b32 s16, s16, exec_lo
	s_or_b32 s15, s13, s9
	s_and_not1_b32 s14, s14, exec_lo
	s_or_not1_b32 s13, s12, exec_lo
	s_mov_b32 s37, s22
.LBB1_6:                                ;   in Loop: Header=BB1_8 Depth=1
	s_or_b32 exec_lo, exec_lo, s10
	s_delay_alu instid0(SALU_CYCLE_1)
	s_and_not1_b32 s9, s77, exec_lo
	s_and_b32 s10, s15, exec_lo
	s_and_not1_b32 s12, s78, exec_lo
	s_or_b32 s77, s9, s10
	s_and_not1_b32 s9, s80, exec_lo
	s_and_b32 s10, s16, exec_lo
	s_and_b32 s14, s14, exec_lo
	s_or_b32 s80, s9, s10
	s_or_b32 s78, s12, s14
	s_or_not1_b32 s14, s13, exec_lo
.LBB1_7:                                ;   in Loop: Header=BB1_8 Depth=1
	s_or_b32 exec_lo, exec_lo, s11
	s_delay_alu instid0(SALU_CYCLE_1)
	s_and_b32 s9, exec_lo, s14
	v_mov_b32_e32 v1, s81
	s_or_b32 s57, s9, s57
	s_and_not1_b32 s9, s75, exec_lo
	s_and_b32 s10, s77, exec_lo
	s_and_not1_b32 s11, s74, exec_lo
	s_or_b32 s75, s9, s10
	s_and_not1_b32 s9, s76, exec_lo
	s_and_b32 s10, s80, exec_lo
	s_and_b32 s12, s78, exec_lo
	s_or_b32 s76, s9, s10
	s_or_b32 s74, s11, s12
	s_and_not1_b32 exec_lo, exec_lo, s57
	s_cbranch_execz .LBB1_231
.LBB1_8:                                ; =>This Loop Header: Depth=1
                                        ;     Child Loop BB1_13 Depth 2
                                        ;     Child Loop BB1_32 Depth 2
	;; [unrolled: 1-line block ×16, first 2 shown]
	ds_load_b64 v[1:2], v21 offset:4096
	s_waitcnt lgkmcnt(0)
	v_readfirstlane_b32 s83, v1
	s_delay_alu instid0(VALU_DEP_1)
	s_cmp_gt_i32 s83, 0
	s_cbranch_scc1 .LBB1_39
; %bb.9:                                ;   in Loop: Header=BB1_8 Depth=1
	s_and_b32 vcc_lo, exec_lo, s62
	s_cbranch_vccz .LBB1_21
; %bb.10:                               ;   in Loop: Header=BB1_8 Depth=1
	v_cmp_gt_i32_e32 vcc_lo, 0xc01, v2
	s_mov_b32 s10, 0
	s_mov_b32 s9, 0
	s_cbranch_vccz .LBB1_26
; %bb.11:                               ;   in Loop: Header=BB1_8 Depth=1
	global_load_u16 v1, v21, s[46:47]
	global_load_u8 v23, v[5:6], off
	v_mov_b32_e32 v4, v0
	s_mov_b32 s11, 0
	s_waitcnt vmcnt(1)
	v_add_nc_u32_e32 v2, v0, v1
	v_mul_lo_u32 v3, s39, v1
	s_delay_alu instid0(VALU_DEP_2)
	v_mul_lo_u32 v2, s39, v2
	s_branch .LBB1_13
.LBB1_12:                               ;   in Loop: Header=BB1_13 Depth=2
	s_or_b32 exec_lo, exec_lo, s9
	v_cmp_le_i32_e32 vcc_lo, s36, v4
	v_dual_mov_b32 v23, v24 :: v_dual_add_nc_u32 v2, v2, v3
	s_or_b32 s11, vcc_lo, s11
	s_delay_alu instid0(SALU_CYCLE_1)
	s_and_not1_b32 exec_lo, exec_lo, s11
	s_cbranch_execz .LBB1_22
.LBB1_13:                               ;   Parent Loop BB1_8 Depth=1
                                        ; =>  This Inner Loop Header: Depth=2
	s_waitcnt lgkmcnt(0)
	v_dual_mov_b32 v25, 0 :: v_dual_add_nc_u32 v4, v4, v1
	v_mov_b32_e32 v24, 0
	s_mov_b32 s9, exec_lo
	s_delay_alu instid0(VALU_DEP_2)
	v_cmpx_gt_u32_e64 s36, v4
	s_cbranch_execz .LBB1_15
; %bb.14:                               ;   in Loop: Header=BB1_13 Depth=2
	global_load_u8 v24, v2, s[44:45]
.LBB1_15:                               ;   in Loop: Header=BB1_13 Depth=2
	s_or_b32 exec_lo, exec_lo, s9
	s_waitcnt vmcnt(0)
	v_and_b32_e32 v26, s82, v23
	s_delay_alu instid0(VALU_DEP_1) | instskip(NEXT) | instid1(VALU_DEP_1)
	v_and_b32_e32 v26, 0xff, v26
	v_cmp_eq_u32_e32 vcc_lo, s81, v26
	s_cmp_lg_u32 vcc_lo, 0
	s_cselect_b32 s9, -1, 0
	s_delay_alu instid0(SALU_CYCLE_1) | instskip(NEXT) | instid1(SALU_CYCLE_1)
	s_and_b32 s9, s2, s9
	s_and_saveexec_b32 s12, s9
	s_cbranch_execz .LBB1_19
; %bb.16:                               ;   in Loop: Header=BB1_13 Depth=2
	s_mov_b32 s15, exec_lo
	s_bcnt1_i32_b32 s13, vcc_lo
	v_mbcnt_lo_u32_b32 v25, s15, 0
	s_mov_b32 s14, exec_lo
                                        ; implicit-def: $vgpr26
	s_delay_alu instid0(VALU_DEP_1)
	v_cmpx_eq_u32_e32 0, v25
	s_cbranch_execz .LBB1_18
; %bb.17:                               ;   in Loop: Header=BB1_13 Depth=2
	s_bcnt1_i32_b32 s9, s15
	s_delay_alu instid0(SALU_CYCLE_1) | instskip(NEXT) | instid1(SALU_CYCLE_1)
	s_mul_i32 s9, s13, s9
	v_mov_b32_e32 v26, s9
	ds_add_rtn_u32 v26, v21, v26 offset:4104
.LBB1_18:                               ;   in Loop: Header=BB1_13 Depth=2
	s_or_b32 exec_lo, exec_lo, s14
	s_waitcnt lgkmcnt(0)
	v_readfirstlane_b32 s9, v26
	s_delay_alu instid0(VALU_DEP_1)
	v_mad_u32_u24 v25, s13, v25, s9
.LBB1_19:                               ;   in Loop: Header=BB1_13 Depth=2
	s_or_b32 exec_lo, exec_lo, s12
	ds_bpermute_b32 v25, v21, v25
	s_and_saveexec_b32 s9, vcc_lo
	s_cbranch_execz .LBB1_12
; %bb.20:                               ;   in Loop: Header=BB1_13 Depth=2
	v_and_b32_e32 v26, vcc_lo, v15
	s_waitcnt lgkmcnt(0)
	s_delay_alu instid0(VALU_DEP_1)
	v_bcnt_u32_b32 v25, v26, v25
	ds_store_b8 v25, v23
	s_branch .LBB1_12
.LBB1_21:                               ;   in Loop: Header=BB1_8 Depth=1
	s_mov_b32 s10, -1
	s_mov_b32 s9, 0
	s_branch .LBB1_25
.LBB1_22:                               ;   in Loop: Header=BB1_8 Depth=1
	s_or_b32 exec_lo, exec_lo, s11
	s_waitcnt lgkmcnt(0)
	s_barrier
	buffer_gl0_inv
	s_and_saveexec_b32 s9, s0
	s_cbranch_execz .LBB1_24
; %bb.23:                               ;   in Loop: Header=BB1_8 Depth=1
	ds_load_b32 v1, v21 offset:4104
	s_waitcnt lgkmcnt(0)
	ds_store_b32 v21, v1 offset:4096
.LBB1_24:                               ;   in Loop: Header=BB1_8 Depth=1
	s_or_b32 exec_lo, exec_lo, s9
	s_waitcnt lgkmcnt(0)
	s_mov_b32 s9, -1
	s_barrier
.LBB1_25:                               ;   in Loop: Header=BB1_8 Depth=1
                                        ; implicit-def: $sgpr83
.LBB1_26:                               ;   in Loop: Header=BB1_8 Depth=1
	s_and_b32 vcc_lo, exec_lo, s10
	s_cbranch_vccz .LBB1_37
; %bb.27:                               ;   in Loop: Header=BB1_8 Depth=1
	v_mov_b32_e32 v1, 0
	s_and_saveexec_b32 s9, s3
	s_cbranch_execz .LBB1_29
; %bb.28:                               ;   in Loop: Header=BB1_8 Depth=1
	global_load_u8 v1, v[5:6], off
.LBB1_29:                               ;   in Loop: Header=BB1_8 Depth=1
	s_or_b32 exec_lo, exec_lo, s9
	s_and_saveexec_b32 s9, s4
	s_cbranch_execz .LBB1_34
; %bb.30:                               ;   in Loop: Header=BB1_8 Depth=1
	global_load_u16 v2, v21, s[46:47]
	v_mov_b32_e32 v23, v0
	s_mov_b32 s10, 0
	s_waitcnt vmcnt(0)
	v_add_nc_u32_e32 v3, v0, v2
	v_mul_lo_u32 v4, s39, v2
	s_delay_alu instid0(VALU_DEP_2)
	v_mul_lo_u32 v3, s39, v3
	s_branch .LBB1_32
	.p2align	6
.LBB1_31:                               ;   in Loop: Header=BB1_32 Depth=2
	s_or_b32 exec_lo, exec_lo, s11
	v_cmp_le_i32_e32 vcc_lo, s36, v24
	ds_store_b8 v23, v1
	v_add_nc_u32_e32 v3, v3, v4
	s_waitcnt vmcnt(0)
	v_mov_b32_e32 v1, v25
	v_mov_b32_e32 v23, v24
	s_or_b32 s10, vcc_lo, s10
	s_delay_alu instid0(SALU_CYCLE_1)
	s_and_not1_b32 exec_lo, exec_lo, s10
	s_cbranch_execz .LBB1_34
.LBB1_32:                               ;   Parent Loop BB1_8 Depth=1
                                        ; =>  This Inner Loop Header: Depth=2
	s_delay_alu instid0(VALU_DEP_1) | instskip(SKIP_1) | instid1(VALU_DEP_1)
	v_dual_mov_b32 v25, 0 :: v_dual_add_nc_u32 v24, v23, v2
	s_mov_b32 s11, exec_lo
	v_cmpx_gt_u32_e64 s36, v24
	s_cbranch_execz .LBB1_31
; %bb.33:                               ;   in Loop: Header=BB1_32 Depth=2
	global_load_u8 v25, v3, s[44:45]
	s_branch .LBB1_31
.LBB1_34:                               ;   in Loop: Header=BB1_8 Depth=1
	s_or_b32 exec_lo, exec_lo, s9
	s_waitcnt vmcnt(0) lgkmcnt(0)
	s_barrier
	buffer_gl0_inv
	s_and_saveexec_b32 s9, s0
	s_cbranch_execz .LBB1_36
; %bb.35:                               ;   in Loop: Header=BB1_8 Depth=1
	v_mov_b32_e32 v1, s36
	ds_store_b32 v21, v1 offset:4096
.LBB1_36:                               ;   in Loop: Header=BB1_8 Depth=1
	s_or_b32 exec_lo, exec_lo, s9
	s_mov_b32 s9, -1
	s_waitcnt lgkmcnt(0)
	s_barrier
                                        ; implicit-def: $sgpr83
.LBB1_37:                               ;   in Loop: Header=BB1_8 Depth=1
	s_and_b32 vcc_lo, exec_lo, s9
	s_cbranch_vccz .LBB1_39
; %bb.38:                               ;   in Loop: Header=BB1_8 Depth=1
	buffer_gl0_inv
	ds_load_b32 v1, v21 offset:4096
	s_waitcnt lgkmcnt(0)
	v_readfirstlane_b32 s83, v1
.LBB1_39:                               ;   in Loop: Header=BB1_8 Depth=1
	s_delay_alu instid0(VALU_DEP_1)
	s_cmp_lt_i32 s83, 1
	s_cbranch_scc0 .LBB1_43
; %bb.40:                               ;   in Loop: Header=BB1_8 Depth=1
	v_dual_mov_b32 v1, 0 :: v_dual_mov_b32 v2, 0
	v_dual_mov_b32 v3, 0 :: v_dual_mov_b32 v4, 0
	s_mov_b32 s85, 0
	s_and_saveexec_b32 s84, s5
	s_cbranch_execnz .LBB1_44
; %bb.41:                               ;   in Loop: Header=BB1_8 Depth=1
	s_or_b32 exec_lo, exec_lo, s84
	v_mov_b32_e32 v25, 0
	s_and_saveexec_b32 s9, s6
	s_cbranch_execnz .LBB1_47
.LBB1_42:                               ;   in Loop: Header=BB1_8 Depth=1
	s_or_b32 exec_lo, exec_lo, s9
	s_and_saveexec_b32 s13, s7
	s_cbranch_execnz .LBB1_48
	s_branch .LBB1_53
.LBB1_43:                               ;   in Loop: Header=BB1_8 Depth=1
                                        ; implicit-def: $vgpr4
	s_cbranch_execnz .LBB1_54
	s_branch .LBB1_63
.LBB1_44:                               ;   in Loop: Header=BB1_8 Depth=1
	v_mov_b32_e32 v23, v13
	s_and_b32 s86, s72, 0xfe
	s_mov_b32 s87, 0
	s_mov_b32 s88, 0
	;; [unrolled: 1-line block ×5, first 2 shown]
.LBB1_45:                               ;   Parent Loop BB1_8 Depth=1
                                        ; =>  This Inner Loop Header: Depth=2
	v_add_nc_u32_e32 v2, s87, v18
	v_add_nc_u32_e32 v1, s87, v9
	;; [unrolled: 1-line block ×5, first 2 shown]
	v_ashrrev_i32_e32 v25, 31, v2
	v_ashrrev_i32_e32 v28, 31, v1
	;; [unrolled: 1-line block ×4, first 2 shown]
	v_add_co_u32 v26, s11, s44, v2
	v_add_co_u32 v1, vcc_lo, s44, v1
	v_add_co_u32 v3, s9, s44, v3
	v_add_co_ci_u32_e64 v27, s11, s45, v25, s11
	v_add_co_u32 v24, s10, s44, v4
	v_add_co_ci_u32_e32 v2, vcc_lo, s45, v28, vcc_lo
	v_add_co_ci_u32_e64 v4, vcc_lo, s45, v29, s9
	v_add_co_ci_u32_e64 v25, vcc_lo, s45, v30, s10
	s_clause 0x3
	global_load_u8 v26, v[26:27], off
	global_load_u8 v1, v[1:2], off
	;; [unrolled: 1-line block ×4, first 2 shown]
	v_cmp_le_i32_e32 vcc_lo, s70, v23
	s_add_i32 s87, s87, s73
	s_waitcnt vmcnt(3)
	v_and_b32_e32 v4, s82, v26
	v_bfe_u32 v26, v26, s86, 2
	s_waitcnt vmcnt(2)
	v_and_b32_e32 v24, s82, v1
	v_bfe_u32 v1, v1, s86, 2
	;; [unrolled: 3-line block ×3, first 2 shown]
	v_cmp_eq_u32_e64 s9, s81, v4
	v_cmp_eq_u32_e64 s13, 0, v26
	s_waitcnt vmcnt(0)
	v_and_b32_e32 v27, s82, v3
	v_bfe_u32 v3, v3, s86, 2
	v_cmp_eq_u32_e64 s10, s81, v24
	v_cmp_eq_u32_e64 s14, 0, v1
	;; [unrolled: 1-line block ×4, first 2 shown]
	s_and_b32 s13, s9, s13
	v_cmp_eq_u32_e64 s12, s81, v27
	v_cmp_eq_u32_e64 s16, 0, v3
	v_cmp_eq_u32_e64 s18, 1, v1
	v_cmp_eq_u32_e64 s22, 2, v1
	v_cmp_eq_u32_e64 s26, 3, v1
	v_cndmask_b32_e64 v1, 0, 1, s13
	s_and_b32 s13, s10, s14
	v_cmp_eq_u32_e64 s17, 1, v26
	v_cmp_eq_u32_e64 s19, 1, v2
	v_cmp_eq_u32_e64 s23, 2, v2
	v_cmp_eq_u32_e64 s27, 3, v2
	v_cndmask_b32_e64 v2, 0, 1, s13
	s_and_b32 s13, s11, s15
	v_cmp_eq_u32_e64 s20, 1, v3
	v_cmp_eq_u32_e64 s24, 2, v3
	v_cmp_eq_u32_e64 s28, 3, v3
	v_cndmask_b32_e64 v3, 0, 1, s13
	s_and_b32 s13, s12, s16
	v_cmp_eq_u32_e64 s21, 2, v26
	v_cndmask_b32_e64 v4, 0, 1, s13
	s_and_b32 s13, s9, s17
	v_cmp_eq_u32_e64 s25, 3, v26
	v_cndmask_b32_e64 v24, 0, 1, s13
	s_and_b32 s13, s10, s18
	s_delay_alu instid0(SALU_CYCLE_1) | instskip(SKIP_1) | instid1(SALU_CYCLE_1)
	v_cndmask_b32_e64 v25, 0, 1, s13
	s_and_b32 s13, s11, s19
	v_cndmask_b32_e64 v26, 0, 1, s13
	s_and_b32 s13, s12, s20
	s_delay_alu instid0(VALU_DEP_2)
	v_cmp_ne_u32_e64 s14, 0, v25
	v_cndmask_b32_e64 v27, 0, 1, s13
	s_and_b32 s13, s9, s21
	s_and_b32 s9, s9, s25
	v_cndmask_b32_e64 v28, 0, 1, s13
	s_and_b32 s13, s10, s22
	v_cndmask_b32_e64 v32, 0, 1, s9
	s_and_b32 s9, s10, s26
	v_cndmask_b32_e64 v29, 0, 1, s13
	s_and_b32 s13, s11, s23
	v_cndmask_b32_e64 v33, 0, 1, s9
	s_and_b32 s9, s11, s27
	v_cndmask_b32_e64 v30, 0, 1, s13
	s_and_b32 s13, s12, s24
	v_cndmask_b32_e64 v34, 0, 1, s9
	s_and_b32 s9, s12, s28
	v_cndmask_b32_e64 v31, 0, 1, s13
	v_cndmask_b32_e64 v35, 0, 1, s9
	v_cmp_ne_u32_e64 s9, 0, v1
	v_cmp_ne_u32_e64 s13, 0, v24
	;; [unrolled: 1-line block ×11, first 2 shown]
	s_bcnt1_i32_b32 s9, s9
	s_bcnt1_i32_b32 s13, s13
	;; [unrolled: 1-line block ×4, first 2 shown]
	v_cmp_ne_u32_e64 s12, 0, v4
	v_cmp_ne_u32_e64 s16, 0, v27
	;; [unrolled: 1-line block ×4, first 2 shown]
	s_bcnt1_i32_b32 s10, s10
	s_bcnt1_i32_b32 s14, s14
	s_bcnt1_i32_b32 s18, s18
	s_bcnt1_i32_b32 s22, s22
	s_add_i32 s9, s9, s91
	s_add_i32 s13, s13, s90
	s_add_i32 s17, s17, s89
	s_add_i32 s21, s21, s88
	s_bcnt1_i32_b32 s11, s11
	s_bcnt1_i32_b32 s15, s15
	s_bcnt1_i32_b32 s19, s19
	s_bcnt1_i32_b32 s23, s23
	s_add_i32 s9, s9, s10
	s_add_i32 s10, s13, s14
	s_add_i32 s13, s17, s18
	s_add_i32 s14, s21, s22
	;; [unrolled: 8-line block ×3, first 2 shown]
	s_add_i32 s91, s9, s12
	s_add_i32 s90, s10, s16
	;; [unrolled: 1-line block ×4, first 2 shown]
	v_mov_b32_e32 v3, s89
	v_dual_mov_b32 v1, s91 :: v_dual_mov_b32 v2, s90
	v_mov_b32_e32 v4, s88
	s_or_b32 s85, vcc_lo, s85
	s_delay_alu instid0(SALU_CYCLE_1)
	s_and_not1_b32 exec_lo, exec_lo, s85
	s_cbranch_execnz .LBB1_45
; %bb.46:                               ;   in Loop: Header=BB1_8 Depth=1
	s_or_b32 exec_lo, exec_lo, s85
	s_delay_alu instid0(SALU_CYCLE_1)
	s_or_b32 exec_lo, exec_lo, s84
	v_mov_b32_e32 v25, 0
	s_and_saveexec_b32 s9, s6
	s_cbranch_execz .LBB1_42
.LBB1_47:                               ;   in Loop: Header=BB1_8 Depth=1
	global_load_u8 v25, v[7:8], off
	s_or_b32 exec_lo, exec_lo, s9
	s_and_saveexec_b32 s13, s7
	s_cbranch_execz .LBB1_53
.LBB1_48:                               ;   in Loop: Header=BB1_8 Depth=1
	v_dual_mov_b32 v23, v19 :: v_dual_mov_b32 v24, v16
	s_and_b32 s15, s72, 0xfe
	s_mov_b32 s14, 0
	s_branch .LBB1_50
.LBB1_49:                               ;   in Loop: Header=BB1_50 Depth=2
	s_or_b32 exec_lo, exec_lo, s9
	s_waitcnt vmcnt(0)
	v_and_b32_e32 v25, 0xff, v25
	v_add_nc_u32_e32 v23, s59, v23
	s_delay_alu instid0(VALU_DEP_2) | instskip(SKIP_1) | instid1(VALU_DEP_2)
	v_and_b32_e32 v27, s82, v25
	v_bfe_u32 v25, v25, s15, 2
	v_cmp_eq_u32_e32 vcc_lo, s81, v27
	s_delay_alu instid0(VALU_DEP_2) | instskip(SKIP_3) | instid1(VALU_DEP_4)
	v_cmp_eq_u32_e64 s9, 0, v25
	v_cmp_eq_u32_e64 s10, 1, v25
	v_cmp_eq_u32_e64 s11, 2, v25
	v_cmp_eq_u32_e64 s12, 3, v25
	s_and_b32 s9, vcc_lo, s9
	s_delay_alu instid0(SALU_CYCLE_1) | instskip(SKIP_1) | instid1(SALU_CYCLE_1)
	v_cndmask_b32_e64 v25, 0, 1, s9
	s_and_b32 s9, vcc_lo, s10
	v_cndmask_b32_e64 v27, 0, 1, s9
	s_and_b32 s9, vcc_lo, s11
	s_delay_alu instid0(SALU_CYCLE_1)
	v_cndmask_b32_e64 v28, 0, 1, s9
	s_and_b32 s9, vcc_lo, s12
	v_cmp_ne_u32_e32 vcc_lo, 0, v25
	v_cndmask_b32_e64 v29, 0, 1, s9
	v_cmp_ne_u32_e64 s9, 0, v27
	v_cmp_ne_u32_e64 s10, 0, v28
	v_cmp_le_i32_e64 s12, s36, v24
	s_bcnt1_i32_b32 s16, vcc_lo
	v_cmp_ne_u32_e64 s11, 0, v29
	s_bcnt1_i32_b32 s9, s9
	s_bcnt1_i32_b32 s10, s10
	v_add_nc_u32_e32 v1, s16, v1
	v_dual_mov_b32 v25, v26 :: v_dual_add_nc_u32 v2, s9, v2
	s_bcnt1_i32_b32 s11, s11
	v_add_nc_u32_e32 v3, s10, v3
	v_add_nc_u32_e32 v4, s11, v4
	s_or_b32 s14, s12, s14
	s_delay_alu instid0(SALU_CYCLE_1)
	s_and_not1_b32 exec_lo, exec_lo, s14
	s_cbranch_execz .LBB1_52
.LBB1_50:                               ;   Parent Loop BB1_8 Depth=1
                                        ; =>  This Inner Loop Header: Depth=2
	s_delay_alu instid0(VALU_DEP_1) | instskip(SKIP_2) | instid1(VALU_DEP_2)
	v_add_nc_u32_e32 v24, s56, v24
	v_mov_b32_e32 v26, 0
	s_mov_b32 s9, exec_lo
	v_cmpx_gt_u32_e64 s36, v24
	s_cbranch_execz .LBB1_49
; %bb.51:                               ;   in Loop: Header=BB1_50 Depth=2
	v_ashrrev_i32_e32 v27, 31, v23
	v_add_co_u32 v26, vcc_lo, s44, v23
	s_delay_alu instid0(VALU_DEP_2)
	v_add_co_ci_u32_e32 v27, vcc_lo, s45, v27, vcc_lo
	global_load_u8 v26, v[26:27], off
	s_branch .LBB1_49
.LBB1_52:                               ;   in Loop: Header=BB1_8 Depth=1
	s_or_b32 exec_lo, exec_lo, s14
.LBB1_53:                               ;   in Loop: Header=BB1_8 Depth=1
	s_delay_alu instid0(SALU_CYCLE_1)
	s_or_b32 exec_lo, exec_lo, s13
	s_branch .LBB1_63
.LBB1_54:                               ;   in Loop: Header=BB1_8 Depth=1
	s_mul_hi_u32 s9, s83, s68
	v_dual_mov_b32 v1, 0 :: v_dual_mov_b32 v2, 0
	s_mul_i32 s9, s9, s58
	v_dual_mov_b32 v3, 0 :: v_dual_mov_b32 v4, 0
	s_sub_i32 s9, s83, s9
	s_mov_b32 s86, 0
	s_sub_i32 s10, s9, s58
	s_cmp_ge_u32 s9, s58
	s_mov_b32 s85, exec_lo
	s_cselect_b32 s9, s10, s9
	s_delay_alu instid0(SALU_CYCLE_1) | instskip(SKIP_2) | instid1(SALU_CYCLE_1)
	s_sub_i32 s10, s9, s58
	s_cmp_ge_u32 s9, s58
	s_cselect_b32 s9, s10, s9
	s_sub_i32 s84, s83, s9
	s_delay_alu instid0(SALU_CYCLE_1)
	v_cmpx_gt_u32_e64 s84, v13
	s_cbranch_execz .LBB1_58
; %bb.55:                               ;   in Loop: Header=BB1_8 Depth=1
	v_mov_b32_e32 v23, v13
	s_and_b32 s87, s72, 0xfe
	s_mov_b32 s88, 0
	s_mov_b32 s89, 0
	;; [unrolled: 1-line block ×4, first 2 shown]
.LBB1_56:                               ;   Parent Loop BB1_8 Depth=1
                                        ; =>  This Inner Loop Header: Depth=2
	ds_load_b32 v1, v23
	s_waitcnt lgkmcnt(0)
	v_and_b32_e32 v2, 0xff, v1
	v_bfe_u32 v3, v1, 8, 8
	v_bfe_u32 v4, v1, 16, 8
	v_lshrrev_b32_e32 v1, 24, v1
	s_delay_alu instid0(VALU_DEP_4)
	v_and_b32_e32 v24, s82, v2
	v_bfe_u32 v2, v2, s87, 2
	s_waitcnt vmcnt(0)
	v_and_b32_e32 v25, s82, v3
	v_bfe_u32 v3, v3, s87, 2
	v_and_b32_e32 v26, s82, v4
	v_bfe_u32 v4, v4, s87, 2
	v_cmp_eq_u32_e64 s9, s81, v24
	v_cmp_eq_u32_e64 s13, 0, v2
	v_and_b32_e32 v27, s82, v1
	v_bfe_u32 v1, v1, s87, 2
	v_cmp_eq_u32_e64 s10, s81, v25
	v_cmp_eq_u32_e64 s14, 0, v3
	;; [unrolled: 1-line block ×4, first 2 shown]
	s_and_b32 s13, s9, s13
	v_cmp_eq_u32_e64 s12, s81, v27
	v_cmp_eq_u32_e64 s16, 0, v1
	;; [unrolled: 1-line block ×5, first 2 shown]
	v_cndmask_b32_e64 v1, 0, 1, s13
	s_and_b32 s13, s10, s14
	v_cmp_eq_u32_e64 s17, 1, v2
	v_cmp_eq_u32_e64 s21, 2, v2
	v_cmp_eq_u32_e64 s25, 3, v2
	v_cndmask_b32_e64 v2, 0, 1, s13
	s_and_b32 s13, s11, s15
	v_cmp_eq_u32_e64 s18, 1, v3
	v_cmp_eq_u32_e64 s22, 2, v3
	v_cmp_eq_u32_e64 s26, 3, v3
	;; [unrolled: 5-line block ×3, first 2 shown]
	v_cndmask_b32_e64 v4, 0, 1, s13
	s_and_b32 s13, s9, s17
	s_delay_alu instid0(SALU_CYCLE_1) | instskip(SKIP_1) | instid1(SALU_CYCLE_1)
	v_cndmask_b32_e64 v24, 0, 1, s13
	s_and_b32 s13, s10, s18
	v_cndmask_b32_e64 v25, 0, 1, s13
	s_and_b32 s13, s11, s19
	s_delay_alu instid0(SALU_CYCLE_1) | instskip(SKIP_1) | instid1(VALU_DEP_2)
	v_cndmask_b32_e64 v26, 0, 1, s13
	s_and_b32 s13, s12, s20
	v_cmp_ne_u32_e64 s14, 0, v25
	v_cndmask_b32_e64 v27, 0, 1, s13
	s_and_b32 s13, s9, s21
	s_and_b32 s9, s9, s25
	v_cndmask_b32_e64 v28, 0, 1, s13
	s_and_b32 s13, s10, s22
	v_cndmask_b32_e64 v32, 0, 1, s9
	;; [unrolled: 2-line block ×7, first 2 shown]
	v_cndmask_b32_e64 v35, 0, 1, s9
	v_cmp_ne_u32_e64 s9, 0, v1
	v_cmp_ne_u32_e64 s13, 0, v24
	;; [unrolled: 1-line block ×6, first 2 shown]
	s_bcnt1_i32_b32 s9, s9
	s_bcnt1_i32_b32 s13, s13
	v_cmp_ne_u32_e64 s16, 0, v27
	v_cmp_ne_u32_e64 s18, 0, v29
	;; [unrolled: 1-line block ×3, first 2 shown]
	s_bcnt1_i32_b32 s10, s10
	s_bcnt1_i32_b32 s14, s14
	s_add_i32 s9, s9, s91
	s_add_i32 s13, s13, s90
	v_cmp_ne_u32_e64 s11, 0, v3
	v_cmp_ne_u32_e64 s19, 0, v30
	;; [unrolled: 1-line block ×3, first 2 shown]
	s_bcnt1_i32_b32 s15, s15
	s_add_i32 s9, s9, s10
	s_add_i32 s10, s13, s14
	s_bcnt1_i32_b32 s17, s17
	s_bcnt1_i32_b32 s21, s21
	v_cmp_ne_u32_e64 s12, 0, v4
	v_cmp_ne_u32_e64 s20, 0, v31
	;; [unrolled: 1-line block ×3, first 2 shown]
	s_bcnt1_i32_b32 s16, s16
	s_add_i32 s10, s10, s15
	s_bcnt1_i32_b32 s18, s18
	s_bcnt1_i32_b32 s22, s22
	s_add_i32 s17, s17, s89
	s_add_i32 s21, s21, s88
	;; [unrolled: 1-line block ×3, first 2 shown]
	s_delay_alu instid0(SALU_CYCLE_1)
	v_dual_mov_b32 v2, s90 :: v_dual_add_nc_u32 v23, s58, v23
	s_bcnt1_i32_b32 s11, s11
	s_bcnt1_i32_b32 s19, s19
	;; [unrolled: 1-line block ×3, first 2 shown]
	s_add_i32 s13, s17, s18
	s_add_i32 s14, s21, s22
	s_bcnt1_i32_b32 s12, s12
	s_bcnt1_i32_b32 s20, s20
	;; [unrolled: 1-line block ×3, first 2 shown]
	s_add_i32 s9, s9, s11
	s_add_i32 s11, s13, s19
	;; [unrolled: 1-line block ×3, first 2 shown]
	v_cmp_le_i32_e32 vcc_lo, s84, v23
	s_add_i32 s91, s9, s12
	s_add_i32 s89, s11, s20
	;; [unrolled: 1-line block ×3, first 2 shown]
	v_mov_b32_e32 v1, s91
	v_dual_mov_b32 v3, s89 :: v_dual_mov_b32 v4, s88
	s_or_b32 s86, vcc_lo, s86
	s_delay_alu instid0(SALU_CYCLE_1)
	s_and_not1_b32 exec_lo, exec_lo, s86
	s_cbranch_execnz .LBB1_56
; %bb.57:                               ;   in Loop: Header=BB1_8 Depth=1
	s_or_b32 exec_lo, exec_lo, s86
.LBB1_58:                               ;   in Loop: Header=BB1_8 Depth=1
	s_delay_alu instid0(SALU_CYCLE_1) | instskip(SKIP_2) | instid1(VALU_DEP_1)
	s_or_b32 exec_lo, exec_lo, s85
	v_add_nc_u32_e32 v23, s84, v0
	s_mov_b32 s14, exec_lo
	v_cmpx_gt_i32_e64 s83, v23
	s_cbranch_execz .LBB1_62
; %bb.59:                               ;   in Loop: Header=BB1_8 Depth=1
	s_and_b32 s16, s72, 0xfe
	s_mov_b32 s15, 0
	s_set_inst_prefetch_distance 0x1
	.p2align	6
.LBB1_60:                               ;   Parent Loop BB1_8 Depth=1
                                        ; =>  This Inner Loop Header: Depth=2
	ds_load_u8 v24, v23
	v_add_nc_u32_e32 v23, s56, v23
	s_delay_alu instid0(VALU_DEP_1) | instskip(SKIP_3) | instid1(VALU_DEP_2)
	v_cmp_le_i32_e32 vcc_lo, s83, v23
	s_waitcnt vmcnt(0) lgkmcnt(0)
	v_and_b32_e32 v25, s82, v24
	v_bfe_u32 v24, v24, s16, 2
	v_cmp_eq_u32_e64 s9, s81, v25
	s_delay_alu instid0(VALU_DEP_2) | instskip(SKIP_3) | instid1(VALU_DEP_4)
	v_cmp_eq_u32_e64 s10, 0, v24
	v_cmp_eq_u32_e64 s11, 1, v24
	;; [unrolled: 1-line block ×4, first 2 shown]
	s_and_b32 s10, s9, s10
	s_delay_alu instid0(SALU_CYCLE_1) | instskip(SKIP_1) | instid1(SALU_CYCLE_1)
	v_cndmask_b32_e64 v24, 0, 1, s10
	s_and_b32 s10, s9, s11
	v_cndmask_b32_e64 v25, 0, 1, s10
	s_and_b32 s10, s9, s12
	s_and_b32 s9, s9, s13
	v_cndmask_b32_e64 v26, 0, 1, s10
	v_cndmask_b32_e64 v27, 0, 1, s9
	v_cmp_ne_u32_e64 s9, 0, v24
	v_cmp_ne_u32_e64 s10, 0, v25
	s_delay_alu instid0(VALU_DEP_4) | instskip(NEXT) | instid1(VALU_DEP_4)
	v_cmp_ne_u32_e64 s11, 0, v26
	v_cmp_ne_u32_e64 s12, 0, v27
	s_delay_alu instid0(VALU_DEP_4) | instskip(NEXT) | instid1(VALU_DEP_3)
	s_bcnt1_i32_b32 s9, s9
	s_bcnt1_i32_b32 s10, s10
	v_add_nc_u32_e32 v1, s9, v1
	s_bcnt1_i32_b32 s11, s11
	s_bcnt1_i32_b32 s12, s12
	v_add_nc_u32_e32 v2, s10, v2
	v_add_nc_u32_e32 v3, s11, v3
	;; [unrolled: 1-line block ×3, first 2 shown]
	s_or_b32 s15, vcc_lo, s15
	s_delay_alu instid0(SALU_CYCLE_1)
	s_and_not1_b32 exec_lo, exec_lo, s15
	s_cbranch_execnz .LBB1_60
; %bb.61:                               ;   in Loop: Header=BB1_8 Depth=1
	s_set_inst_prefetch_distance 0x2
	s_or_b32 exec_lo, exec_lo, s15
.LBB1_62:                               ;   in Loop: Header=BB1_8 Depth=1
	s_delay_alu instid0(SALU_CYCLE_1)
	s_or_b32 exec_lo, exec_lo, s14
.LBB1_63:                               ;   in Loop: Header=BB1_8 Depth=1
	s_lshl_b32 s9, s79, 7
	s_and_saveexec_b32 s10, s2
	s_cbranch_execz .LBB1_65
; %bb.64:                               ;   in Loop: Header=BB1_8 Depth=1
	v_or_b32_e32 v23, s9, v14
	s_delay_alu instid0(VALU_DEP_1)
	v_lshlrev_b32_e32 v23, 2, v23
	ds_store_b128 v23, v[1:4] offset:3072
.LBB1_65:                               ;   in Loop: Header=BB1_8 Depth=1
	s_or_b32 exec_lo, exec_lo, s10
	s_waitcnt vmcnt(0) lgkmcnt(0)
	s_barrier
	buffer_gl0_inv
	s_and_saveexec_b32 s10, s61
	s_cbranch_execz .LBB1_75
; %bb.66:                               ;   in Loop: Header=BB1_8 Depth=1
	v_mov_b32_e32 v1, 0
	s_and_not1_b32 vcc_lo, exec_lo, s63
	s_cbranch_vccnz .LBB1_74
; %bb.67:                               ;   in Loop: Header=BB1_8 Depth=1
	v_mov_b32_e32 v1, 0
	s_and_not1_b32 vcc_lo, exec_lo, s65
	s_mov_b32 s11, 0
	s_cbranch_vccnz .LBB1_71
; %bb.68:                               ;   in Loop: Header=BB1_8 Depth=1
	v_lshl_add_u32 v2, s79, 9, v20
	v_mov_b32_e32 v1, 0
	.p2align	6
.LBB1_69:                               ;   Parent Loop BB1_8 Depth=1
                                        ; =>  This Inner Loop Header: Depth=2
	ds_load_2addr_b32 v[3:4], v2 offset1:4
	ds_load_2addr_b32 v[23:24], v2 offset0:8 offset1:12
	ds_load_2addr_b32 v[25:26], v2 offset0:16 offset1:20
	;; [unrolled: 1-line block ×3, first 2 shown]
	v_add_nc_u32_e32 v2, 0x80, v2
	s_add_i32 s11, s11, 8
	s_delay_alu instid0(SALU_CYCLE_1) | instskip(SKIP_3) | instid1(VALU_DEP_1)
	s_cmp_eq_u32 s66, s11
	s_waitcnt lgkmcnt(3)
	v_add3_u32 v1, v3, v1, v4
	s_waitcnt lgkmcnt(2)
	v_add3_u32 v1, v23, v1, v24
	s_waitcnt lgkmcnt(1)
	s_delay_alu instid0(VALU_DEP_1) | instskip(SKIP_1) | instid1(VALU_DEP_1)
	v_add3_u32 v1, v25, v1, v26
	s_waitcnt lgkmcnt(0)
	v_add3_u32 v1, v27, v1, v28
	s_cbranch_scc0 .LBB1_69
; %bb.70:                               ;   in Loop: Header=BB1_8 Depth=1
	s_mov_b32 s11, s66
.LBB1_71:                               ;   in Loop: Header=BB1_8 Depth=1
	s_and_not1_b32 vcc_lo, exec_lo, s67
	s_cbranch_vccnz .LBB1_74
; %bb.72:                               ;   in Loop: Header=BB1_8 Depth=1
	s_lshl_b32 s12, s79, 9
	s_lshl_b32 s11, s11, 4
	s_delay_alu instid0(SALU_CYCLE_1)
	v_add3_u32 v2, s12, s11, v20
	s_mov_b32 s11, s64
.LBB1_73:                               ;   Parent Loop BB1_8 Depth=1
                                        ; =>  This Inner Loop Header: Depth=2
	ds_load_b32 v3, v2
	v_add_nc_u32_e32 v2, 16, v2
	s_add_i32 s11, s11, -1
	s_delay_alu instid0(SALU_CYCLE_1)
	s_cmp_lg_u32 s11, 0
	s_waitcnt lgkmcnt(0)
	v_add_nc_u32_e32 v1, v3, v1
	s_cbranch_scc1 .LBB1_73
.LBB1_74:                               ;   in Loop: Header=BB1_8 Depth=1
	v_add_lshl_u32 v2, s9, v12, 2
	ds_store_b32 v2, v1 offset:3072
.LBB1_75:                               ;   in Loop: Header=BB1_8 Depth=1
	s_or_b32 exec_lo, exec_lo, s10
	s_lshl_b32 s9, s9, 2
	s_waitcnt lgkmcnt(0)
	v_mov_b32_e32 v1, s9
	s_barrier
	buffer_gl0_inv
	s_and_b32 s18, s72, 0xfe
	s_mov_b32 s14, -1
	ds_load_b128 v[1:4], v1 offset:3072
	s_lshl_b32 s12, 3, s18
	s_delay_alu instid0(SALU_CYCLE_1) | instskip(SKIP_4) | instid1(VALU_DEP_3)
	s_not_b32 s19, s12
	s_waitcnt lgkmcnt(0)
	v_readfirstlane_b32 s13, v1
	v_readfirstlane_b32 s21, v2
	;; [unrolled: 1-line block ×3, first 2 shown]
	s_cmp_eq_u32 s13, 1
	s_cselect_b32 s9, -1, 0
	s_cmp_eq_u32 s37, 1
	s_cselect_b32 s10, -1, 0
	s_delay_alu instid0(SALU_CYCLE_1)
	s_and_b32 s15, s9, s10
	v_readfirstlane_b32 s10, v4
	s_and_b32 vcc_lo, exec_lo, s15
	s_cbranch_vccz .LBB1_86
; %bb.76:                               ;   in Loop: Header=BB1_8 Depth=1
	ds_load_b32 v1, v21 offset:4096
	s_waitcnt lgkmcnt(0)
	s_barrier
	buffer_gl0_inv
	v_readfirstlane_b32 s11, v1
	s_and_saveexec_b32 s9, s1
	s_cbranch_execz .LBB1_78
; %bb.77:                               ;   in Loop: Header=BB1_8 Depth=1
	ds_store_b8 v0, v21 offset:3072
.LBB1_78:                               ;   in Loop: Header=BB1_8 Depth=1
	s_or_b32 exec_lo, exec_lo, s9
	s_and_b32 s81, s81, s19
	s_or_b32 s82, s82, s12
	s_cmp_lt_i32 s11, 1
	s_waitcnt lgkmcnt(0)
	s_barrier
	buffer_gl0_inv
	s_cbranch_scc0 .LBB1_87
; %bb.79:                               ;   in Loop: Header=BB1_8 Depth=1
	s_mov_b32 s9, 0
                                        ; implicit-def: $vgpr22
	s_and_saveexec_b32 s16, s8
	s_cbranch_execz .LBB1_89
; %bb.80:                               ;   in Loop: Header=BB1_8 Depth=1
	v_dual_mov_b32 v1, v11 :: v_dual_mov_b32 v2, v0
	s_mov_b32 s20, 0
                                        ; implicit-def: $sgpr22
	s_set_inst_prefetch_distance 0x1
	s_branch .LBB1_82
	.p2align	6
.LBB1_81:                               ;   in Loop: Header=BB1_82 Depth=2
	s_or_b32 exec_lo, exec_lo, s9
	s_waitcnt lgkmcnt(0)
	s_barrier
	buffer_gl0_inv
	ds_load_u16 v3, v21 offset:3072
	v_add_nc_u32_e32 v2, s56, v2
	v_add_nc_u32_e32 v1, s59, v1
	s_waitcnt lgkmcnt(0)
	s_barrier
	buffer_gl0_inv
	v_cmp_le_i32_e32 vcc_lo, s71, v2
	v_and_b32_e32 v4, 0xff, v3
	s_delay_alu instid0(VALU_DEP_1) | instskip(NEXT) | instid1(VALU_DEP_1)
	v_cmp_ne_u16_e64 s9, 0, v4
	s_or_b32 s23, vcc_lo, s9
	s_delay_alu instid0(SALU_CYCLE_1) | instskip(NEXT) | instid1(SALU_CYCLE_1)
	s_and_b32 s23, exec_lo, s23
	s_or_b32 s20, s23, s20
	s_and_not1_b32 s22, s22, exec_lo
	s_and_b32 s9, s9, exec_lo
	s_delay_alu instid0(SALU_CYCLE_1)
	s_or_b32 s22, s22, s9
	s_and_not1_b32 exec_lo, exec_lo, s20
	s_cbranch_execz .LBB1_88
.LBB1_82:                               ;   Parent Loop BB1_8 Depth=1
                                        ; =>  This Inner Loop Header: Depth=2
	s_delay_alu instid0(VALU_DEP_1)
	v_cmp_gt_i32_e32 vcc_lo, s36, v2
	v_mov_b32_e32 v3, 0
	s_and_saveexec_b32 s23, vcc_lo
	s_cbranch_execz .LBB1_84
; %bb.83:                               ;   in Loop: Header=BB1_82 Depth=2
	v_ashrrev_i32_e32 v4, 31, v1
	v_add_co_u32 v3, s9, s44, v1
	s_delay_alu instid0(VALU_DEP_1)
	v_add_co_ci_u32_e64 v4, s9, s45, v4, s9
	global_load_u8 v3, v[3:4], off
.LBB1_84:                               ;   in Loop: Header=BB1_82 Depth=2
	s_or_b32 exec_lo, exec_lo, s23
	s_waitcnt vmcnt(0)
	v_and_b32_e32 v4, s82, v3
	s_delay_alu instid0(VALU_DEP_1) | instskip(NEXT) | instid1(VALU_DEP_1)
	v_and_b32_e32 v4, 0xff, v4
	v_cmp_eq_u32_e64 s9, s81, v4
	s_delay_alu instid0(VALU_DEP_1) | instskip(NEXT) | instid1(SALU_CYCLE_1)
	s_and_b32 s23, vcc_lo, s9
	s_and_saveexec_b32 s9, s23
	s_cbranch_execz .LBB1_81
; %bb.85:                               ;   in Loop: Header=BB1_82 Depth=2
	v_lshlrev_b16 v3, 8, v3
	s_delay_alu instid0(VALU_DEP_1)
	v_or_b32_e32 v3, 1, v3
	ds_store_b16 v21, v3 offset:3072
	s_branch .LBB1_81
.LBB1_86:                               ;   in Loop: Header=BB1_8 Depth=1
	s_mov_b32 s9, -1
                                        ; implicit-def: $sgpr16
                                        ; implicit-def: $sgpr22
                                        ; implicit-def: $sgpr20
	s_branch .LBB1_99
.LBB1_87:                               ;   in Loop: Header=BB1_8 Depth=1
	s_mov_b32 s16, -1
	s_mov_b32 s9, 0
                                        ; implicit-def: $sgpr20
                                        ; implicit-def: $vgpr22
	s_mov_b32 s22, s16
	s_cbranch_execnz .LBB1_90
	s_branch .LBB1_99
.LBB1_88:                               ;   in Loop: Header=BB1_8 Depth=1
	s_set_inst_prefetch_distance 0x2
	s_or_b32 exec_lo, exec_lo, s20
	v_lshrrev_b16 v22, 8, v3
	s_and_b32 s9, s22, exec_lo
.LBB1_89:                               ;   in Loop: Header=BB1_8 Depth=1
	s_or_b32 exec_lo, exec_lo, s16
	s_mov_b32 s20, -1
	s_mov_b32 s16, 0
	s_delay_alu instid0(SALU_CYCLE_1)
	s_mov_b32 s22, s16
	s_branch .LBB1_99
.LBB1_90:                               ;   in Loop: Header=BB1_8 Depth=1
	s_add_i32 s20, s11, s60
                                        ; implicit-def: $vgpr22
	s_delay_alu instid0(SALU_CYCLE_1) | instskip(NEXT) | instid1(SALU_CYCLE_1)
	s_abs_i32 s9, s20
	s_mul_hi_u32 s16, s9, s69
	s_delay_alu instid0(SALU_CYCLE_1) | instskip(NEXT) | instid1(SALU_CYCLE_1)
	s_mul_i32 s16, s16, s56
	s_sub_i32 s9, s9, s16
	s_ashr_i32 s16, s20, 31
	s_sub_i32 s22, s9, s56
	s_cmp_ge_u32 s9, s56
	s_cselect_b32 s9, s22, s9
	s_delay_alu instid0(SALU_CYCLE_1) | instskip(SKIP_2) | instid1(SALU_CYCLE_1)
	s_sub_i32 s22, s9, s56
	s_cmp_ge_u32 s9, s56
	s_cselect_b32 s9, s22, s9
	s_xor_b32 s9, s9, s16
	s_delay_alu instid0(SALU_CYCLE_1)
	s_sub_i32 s9, s16, s9
	s_mov_b32 s16, exec_lo
	s_add_i32 s20, s20, s9
	s_mov_b32 s9, 0
	v_cmpx_gt_i32_e64 s20, v0
	s_cbranch_execz .LBB1_98
; %bb.91:                               ;   in Loop: Header=BB1_8 Depth=1
	v_mov_b32_e32 v1, v0
	s_mov_b32 s22, 0
                                        ; implicit-def: $sgpr23
	s_set_inst_prefetch_distance 0x1
	s_branch .LBB1_93
	.p2align	6
.LBB1_92:                               ;   in Loop: Header=BB1_93 Depth=2
	s_or_b32 exec_lo, exec_lo, s9
	s_waitcnt lgkmcnt(0)
	s_barrier
	buffer_gl0_inv
	ds_load_u16 v2, v21 offset:3072
	v_add_nc_u32_e32 v1, s56, v1
	s_waitcnt lgkmcnt(0)
	s_barrier
	buffer_gl0_inv
	v_cmp_le_i32_e32 vcc_lo, s20, v1
	v_and_b32_e32 v3, 0xff, v2
	s_delay_alu instid0(VALU_DEP_1) | instskip(NEXT) | instid1(VALU_DEP_1)
	v_cmp_ne_u16_e64 s9, 0, v3
	s_or_b32 s24, vcc_lo, s9
	s_delay_alu instid0(SALU_CYCLE_1) | instskip(NEXT) | instid1(SALU_CYCLE_1)
	s_and_b32 s24, exec_lo, s24
	s_or_b32 s22, s24, s22
	s_and_not1_b32 s23, s23, exec_lo
	s_and_b32 s9, s9, exec_lo
	s_delay_alu instid0(SALU_CYCLE_1)
	s_or_b32 s23, s23, s9
	s_and_not1_b32 exec_lo, exec_lo, s22
	s_cbranch_execz .LBB1_97
.LBB1_93:                               ;   Parent Loop BB1_8 Depth=1
                                        ; =>  This Inner Loop Header: Depth=2
	s_delay_alu instid0(VALU_DEP_1)
	v_cmp_gt_i32_e32 vcc_lo, s11, v1
	v_mov_b32_e32 v2, 0
	s_and_saveexec_b32 s9, vcc_lo
	s_cbranch_execz .LBB1_95
; %bb.94:                               ;   in Loop: Header=BB1_93 Depth=2
	ds_load_u8 v2, v1
.LBB1_95:                               ;   in Loop: Header=BB1_93 Depth=2
	s_or_b32 exec_lo, exec_lo, s9
	s_waitcnt lgkmcnt(0)
	v_and_b32_e32 v3, s82, v2
	s_delay_alu instid0(VALU_DEP_1) | instskip(NEXT) | instid1(VALU_DEP_1)
	v_and_b32_e32 v3, 0xff, v3
	v_cmp_eq_u32_e64 s9, s81, v3
	s_delay_alu instid0(VALU_DEP_1) | instskip(NEXT) | instid1(SALU_CYCLE_1)
	s_and_b32 s24, vcc_lo, s9
	s_and_saveexec_b32 s9, s24
	s_cbranch_execz .LBB1_92
; %bb.96:                               ;   in Loop: Header=BB1_93 Depth=2
	v_lshlrev_b16 v2, 8, v2
	s_delay_alu instid0(VALU_DEP_1)
	v_or_b32_e32 v2, 1, v2
	ds_store_b16 v21, v2 offset:3072
	s_branch .LBB1_92
.LBB1_97:                               ;   in Loop: Header=BB1_8 Depth=1
	s_set_inst_prefetch_distance 0x2
	s_or_b32 exec_lo, exec_lo, s22
	v_lshrrev_b16 v22, 8, v2
	s_and_b32 s9, s23, exec_lo
.LBB1_98:                               ;   in Loop: Header=BB1_8 Depth=1
	s_or_b32 exec_lo, exec_lo, s16
	s_mov_b32 s22, -1
	s_mov_b32 s16, 0
	s_mov_b32 s20, 0
.LBB1_99:                               ;   in Loop: Header=BB1_8 Depth=1
	s_and_not1_b32 s11, s77, exec_lo
	s_and_b32 s16, s16, exec_lo
	s_and_b32 s20, s20, exec_lo
	s_or_b32 s77, s11, s16
	s_and_not1_b32 s11, s80, exec_lo
	s_and_b32 s16, s22, exec_lo
	s_and_not1_b32 s22, s78, exec_lo
	s_or_b32 s80, s11, s16
	s_or_b32 s78, s22, s20
	s_and_saveexec_b32 s11, s9
	s_cbranch_execz .LBB1_7
; %bb.100:                              ;   in Loop: Header=BB1_8 Depth=1
	s_xor_b32 s9, s15, -1
	s_mov_b32 s14, 0
	s_and_not1_b32 vcc_lo, exec_lo, s9
	s_mov_b32 s22, 1
	s_cbranch_vccnz .LBB1_111
; %bb.101:                              ;   in Loop: Header=BB1_8 Depth=1
	s_cmp_gt_i32 s37, s13
	s_mov_b32 s14, -1
                                        ; implicit-def: $sgpr9
                                        ; implicit-def: $sgpr15
                                        ; implicit-def: $sgpr16
	s_cbranch_scc1 .LBB1_107
; %bb.102:                              ;   in Loop: Header=BB1_8 Depth=1
	ds_load_b32 v1, v21 offset:4096
	s_waitcnt lgkmcnt(0)
	v_cmp_ne_u32_e32 vcc_lo, 0, v1
	s_cbranch_vccnz .LBB1_106
; %bb.103:                              ;   in Loop: Header=BB1_8 Depth=1
	s_and_saveexec_b32 s9, s0
	s_cbranch_execz .LBB1_105
; %bb.104:                              ;   in Loop: Header=BB1_8 Depth=1
	v_mov_b32_e32 v1, s13
	ds_store_b32 v21, v1 offset:4100
.LBB1_105:                              ;   in Loop: Header=BB1_8 Depth=1
	s_or_b32 exec_lo, exec_lo, s9
	s_waitcnt lgkmcnt(0)
	s_barrier
	buffer_gl0_inv
.LBB1_106:                              ;   in Loop: Header=BB1_8 Depth=1
	s_and_b32 s15, s81, s19
	s_or_b32 s16, s82, s12
	s_mov_b32 s14, 0
	s_mov_b32 s9, 8
.LBB1_107:                              ;   in Loop: Header=BB1_8 Depth=1
	s_and_not1_b32 vcc_lo, exec_lo, s14
	s_cbranch_vccnz .LBB1_109
; %bb.108:                              ;   in Loop: Header=BB1_8 Depth=1
	s_sub_i32 s37, s37, s13
	s_mov_b32 s14, -1
	s_mov_b32 s9, 0
	s_mov_b32 s15, s81
	;; [unrolled: 1-line block ×3, first 2 shown]
.LBB1_109:                              ;   in Loop: Header=BB1_8 Depth=1
	s_delay_alu instid0(SALU_CYCLE_1)
	s_mov_b32 s82, s16
	s_mov_b32 s81, s15
	;; [unrolled: 1-line block ×3, first 2 shown]
	s_and_b32 vcc_lo, exec_lo, s14
	s_mov_b32 s13, -1
	s_cbranch_vccnz .LBB1_112
.LBB1_110:                              ;   in Loop: Header=BB1_8 Depth=1
	s_mov_b32 s25, -1
                                        ; implicit-def: $sgpr14
                                        ; implicit-def: $sgpr16
                                        ; implicit-def: $sgpr15
	s_delay_alu instid0(SALU_CYCLE_1) | instskip(NEXT) | instid1(SALU_CYCLE_1)
	s_and_saveexec_b32 s10, s25
	s_xor_b32 s10, exec_lo, s10
	s_cbranch_execz .LBB1_6
	s_branch .LBB1_229
.LBB1_111:                              ;   in Loop: Header=BB1_8 Depth=1
	s_mov_b32 s9, 1
	s_and_b32 vcc_lo, exec_lo, s14
	s_mov_b32 s13, -1
	s_cbranch_vccz .LBB1_110
.LBB1_112:                              ;   in Loop: Header=BB1_8 Depth=1
	s_cmp_eq_u32 s21, 1
	s_mov_b32 s24, -1
	s_cselect_b32 s9, -1, 0
	s_cmp_eq_u32 s22, 1
	s_cselect_b32 s14, -1, 0
	s_delay_alu instid0(SALU_CYCLE_1) | instskip(NEXT) | instid1(SALU_CYCLE_1)
	s_and_b32 s23, s9, s14
	s_and_b32 vcc_lo, exec_lo, s23
	s_cbranch_vccz .LBB1_123
; %bb.113:                              ;   in Loop: Header=BB1_8 Depth=1
	ds_load_b32 v1, v21 offset:4096
	s_waitcnt lgkmcnt(0)
	s_barrier
	buffer_gl0_inv
	v_readfirstlane_b32 s20, v1
	s_and_saveexec_b32 s9, s1
	s_cbranch_execz .LBB1_115
; %bb.114:                              ;   in Loop: Header=BB1_8 Depth=1
	ds_store_b8 v0, v21 offset:3072
.LBB1_115:                              ;   in Loop: Header=BB1_8 Depth=1
	s_or_b32 exec_lo, exec_lo, s9
	s_lshl_b32 s9, 1, s18
	s_and_b32 s14, s81, s19
	s_or_b32 s82, s82, s12
	s_or_b32 s81, s14, s9
	s_cmp_gt_i32 s20, 0
	s_waitcnt lgkmcnt(0)
	s_barrier
	buffer_gl0_inv
	s_cbranch_scc1 .LBB1_124
; %bb.116:                              ;   in Loop: Header=BB1_8 Depth=1
	s_mov_b32 s24, 0
                                        ; implicit-def: $vgpr22
	s_and_saveexec_b32 s14, s8
	s_cbranch_execz .LBB1_126
; %bb.117:                              ;   in Loop: Header=BB1_8 Depth=1
	v_dual_mov_b32 v1, v11 :: v_dual_mov_b32 v2, v0
	s_mov_b32 s15, 0
                                        ; implicit-def: $sgpr16
	s_set_inst_prefetch_distance 0x1
	s_branch .LBB1_119
	.p2align	6
.LBB1_118:                              ;   in Loop: Header=BB1_119 Depth=2
	s_or_b32 exec_lo, exec_lo, s9
	s_waitcnt lgkmcnt(0)
	s_barrier
	buffer_gl0_inv
	ds_load_u16 v3, v21 offset:3072
	v_add_nc_u32_e32 v2, s56, v2
	v_add_nc_u32_e32 v1, s59, v1
	s_waitcnt lgkmcnt(0)
	s_barrier
	buffer_gl0_inv
	v_cmp_le_i32_e32 vcc_lo, s71, v2
	v_and_b32_e32 v4, 0xff, v3
	s_delay_alu instid0(VALU_DEP_1) | instskip(NEXT) | instid1(VALU_DEP_1)
	v_cmp_ne_u16_e64 s9, 0, v4
	s_or_b32 s24, vcc_lo, s9
	s_delay_alu instid0(SALU_CYCLE_1) | instskip(NEXT) | instid1(SALU_CYCLE_1)
	s_and_b32 s24, exec_lo, s24
	s_or_b32 s15, s24, s15
	s_and_not1_b32 s16, s16, exec_lo
	s_and_b32 s9, s9, exec_lo
	s_delay_alu instid0(SALU_CYCLE_1)
	s_or_b32 s16, s16, s9
	s_and_not1_b32 exec_lo, exec_lo, s15
	s_cbranch_execz .LBB1_125
.LBB1_119:                              ;   Parent Loop BB1_8 Depth=1
                                        ; =>  This Inner Loop Header: Depth=2
	s_delay_alu instid0(VALU_DEP_1)
	v_cmp_gt_i32_e32 vcc_lo, s36, v2
	v_mov_b32_e32 v3, 0
	s_and_saveexec_b32 s24, vcc_lo
	s_cbranch_execz .LBB1_121
; %bb.120:                              ;   in Loop: Header=BB1_119 Depth=2
	v_ashrrev_i32_e32 v4, 31, v1
	v_add_co_u32 v3, s9, s44, v1
	s_delay_alu instid0(VALU_DEP_1)
	v_add_co_ci_u32_e64 v4, s9, s45, v4, s9
	global_load_u8 v3, v[3:4], off
.LBB1_121:                              ;   in Loop: Header=BB1_119 Depth=2
	s_or_b32 exec_lo, exec_lo, s24
	s_waitcnt vmcnt(0)
	v_and_b32_e32 v4, s82, v3
	s_delay_alu instid0(VALU_DEP_1) | instskip(NEXT) | instid1(VALU_DEP_1)
	v_and_b32_e32 v4, 0xff, v4
	v_cmp_eq_u32_e64 s9, s81, v4
	s_delay_alu instid0(VALU_DEP_1) | instskip(NEXT) | instid1(SALU_CYCLE_1)
	s_and_b32 s24, vcc_lo, s9
	s_and_saveexec_b32 s9, s24
	s_cbranch_execz .LBB1_118
; %bb.122:                              ;   in Loop: Header=BB1_119 Depth=2
	v_lshlrev_b16 v3, 8, v3
	s_delay_alu instid0(VALU_DEP_1)
	v_or_b32_e32 v3, 1, v3
	ds_store_b16 v21, v3 offset:3072
	s_branch .LBB1_118
.LBB1_123:                              ;   in Loop: Header=BB1_8 Depth=1
                                        ; implicit-def: $sgpr15
                                        ; implicit-def: $sgpr16
                                        ; implicit-def: $sgpr14
	s_branch .LBB1_136
.LBB1_124:                              ;   in Loop: Header=BB1_8 Depth=1
	s_mov_b32 s15, -1
	s_mov_b32 s24, 0
                                        ; implicit-def: $sgpr14
                                        ; implicit-def: $vgpr22
	s_mov_b32 s16, s15
	s_cbranch_execnz .LBB1_127
	s_branch .LBB1_136
.LBB1_125:                              ;   in Loop: Header=BB1_8 Depth=1
	s_set_inst_prefetch_distance 0x2
	s_or_b32 exec_lo, exec_lo, s15
	v_lshrrev_b16 v22, 8, v3
	s_and_b32 s24, s16, exec_lo
.LBB1_126:                              ;   in Loop: Header=BB1_8 Depth=1
	s_or_b32 exec_lo, exec_lo, s14
	s_mov_b32 s14, -1
	s_mov_b32 s15, 0
	s_delay_alu instid0(SALU_CYCLE_1)
	s_mov_b32 s16, s15
	s_branch .LBB1_136
.LBB1_127:                              ;   in Loop: Header=BB1_8 Depth=1
	s_add_i32 s15, s20, s60
	s_mov_b32 s24, 0
	s_abs_i32 s9, s15
                                        ; implicit-def: $vgpr22
	s_delay_alu instid0(SALU_CYCLE_1) | instskip(NEXT) | instid1(SALU_CYCLE_1)
	s_mul_hi_u32 s14, s9, s69
	s_mul_i32 s14, s14, s56
	s_delay_alu instid0(SALU_CYCLE_1) | instskip(SKIP_4) | instid1(SALU_CYCLE_1)
	s_sub_i32 s9, s9, s14
	s_ashr_i32 s14, s15, 31
	s_sub_i32 s16, s9, s56
	s_cmp_ge_u32 s9, s56
	s_cselect_b32 s9, s16, s9
	s_sub_i32 s16, s9, s56
	s_cmp_ge_u32 s9, s56
	s_cselect_b32 s9, s16, s9
	s_delay_alu instid0(SALU_CYCLE_1) | instskip(NEXT) | instid1(SALU_CYCLE_1)
	s_xor_b32 s9, s9, s14
	s_sub_i32 s9, s14, s9
	s_mov_b32 s14, exec_lo
	s_add_i32 s15, s15, s9
	s_delay_alu instid0(SALU_CYCLE_1)
	v_cmpx_gt_i32_e64 s15, v0
	s_cbranch_execz .LBB1_135
; %bb.128:                              ;   in Loop: Header=BB1_8 Depth=1
	v_mov_b32_e32 v1, v0
	s_mov_b32 s16, 0
                                        ; implicit-def: $sgpr24
	s_set_inst_prefetch_distance 0x1
	s_branch .LBB1_130
	.p2align	6
.LBB1_129:                              ;   in Loop: Header=BB1_130 Depth=2
	s_or_b32 exec_lo, exec_lo, s9
	s_waitcnt lgkmcnt(0)
	s_barrier
	buffer_gl0_inv
	ds_load_u16 v2, v21 offset:3072
	v_add_nc_u32_e32 v1, s56, v1
	s_waitcnt lgkmcnt(0)
	s_barrier
	buffer_gl0_inv
	v_cmp_le_i32_e32 vcc_lo, s15, v1
	v_and_b32_e32 v3, 0xff, v2
	s_delay_alu instid0(VALU_DEP_1) | instskip(NEXT) | instid1(VALU_DEP_1)
	v_cmp_ne_u16_e64 s9, 0, v3
	s_or_b32 s25, vcc_lo, s9
	s_delay_alu instid0(SALU_CYCLE_1) | instskip(NEXT) | instid1(SALU_CYCLE_1)
	s_and_b32 s25, exec_lo, s25
	s_or_b32 s16, s25, s16
	s_and_not1_b32 s24, s24, exec_lo
	s_and_b32 s9, s9, exec_lo
	s_delay_alu instid0(SALU_CYCLE_1)
	s_or_b32 s24, s24, s9
	s_and_not1_b32 exec_lo, exec_lo, s16
	s_cbranch_execz .LBB1_134
.LBB1_130:                              ;   Parent Loop BB1_8 Depth=1
                                        ; =>  This Inner Loop Header: Depth=2
	s_delay_alu instid0(VALU_DEP_1)
	v_cmp_gt_i32_e32 vcc_lo, s20, v1
	v_mov_b32_e32 v2, 0
	s_and_saveexec_b32 s9, vcc_lo
	s_cbranch_execz .LBB1_132
; %bb.131:                              ;   in Loop: Header=BB1_130 Depth=2
	ds_load_u8 v2, v1
.LBB1_132:                              ;   in Loop: Header=BB1_130 Depth=2
	s_or_b32 exec_lo, exec_lo, s9
	s_waitcnt lgkmcnt(0)
	v_and_b32_e32 v3, s82, v2
	s_delay_alu instid0(VALU_DEP_1) | instskip(NEXT) | instid1(VALU_DEP_1)
	v_and_b32_e32 v3, 0xff, v3
	v_cmp_eq_u32_e64 s9, s81, v3
	s_delay_alu instid0(VALU_DEP_1) | instskip(NEXT) | instid1(SALU_CYCLE_1)
	s_and_b32 s25, vcc_lo, s9
	s_and_saveexec_b32 s9, s25
	s_cbranch_execz .LBB1_129
; %bb.133:                              ;   in Loop: Header=BB1_130 Depth=2
	v_lshlrev_b16 v2, 8, v2
	s_delay_alu instid0(VALU_DEP_1)
	v_or_b32_e32 v2, 1, v2
	ds_store_b16 v21, v2 offset:3072
	s_branch .LBB1_129
.LBB1_134:                              ;   in Loop: Header=BB1_8 Depth=1
	s_set_inst_prefetch_distance 0x2
	s_or_b32 exec_lo, exec_lo, s16
	v_lshrrev_b16 v22, 8, v2
	s_and_b32 s24, s24, exec_lo
.LBB1_135:                              ;   in Loop: Header=BB1_8 Depth=1
	s_or_b32 exec_lo, exec_lo, s14
	s_mov_b32 s16, -1
	s_mov_b32 s15, 0
	s_mov_b32 s14, 0
.LBB1_136:                              ;   in Loop: Header=BB1_8 Depth=1
	s_mov_b32 s25, 0
                                        ; implicit-def: $sgpr9
	s_and_saveexec_b32 s20, s24
	s_cbranch_execz .LBB1_228
; %bb.137:                              ;   in Loop: Header=BB1_8 Depth=1
	s_xor_b32 s9, s23, -1
	s_mov_b32 s23, 0
	s_and_not1_b32 vcc_lo, exec_lo, s9
	s_mov_b32 s26, 1
	s_cbranch_vccnz .LBB1_148
; %bb.138:                              ;   in Loop: Header=BB1_8 Depth=1
	s_cmp_gt_i32 s22, s21
	s_mov_b32 s23, -1
                                        ; implicit-def: $sgpr9
                                        ; implicit-def: $sgpr24
                                        ; implicit-def: $sgpr25
	s_cbranch_scc1 .LBB1_144
; %bb.139:                              ;   in Loop: Header=BB1_8 Depth=1
	ds_load_b32 v1, v21 offset:4096
	s_waitcnt lgkmcnt(0)
	v_cmp_ne_u32_e32 vcc_lo, 0, v1
	s_cbranch_vccnz .LBB1_143
; %bb.140:                              ;   in Loop: Header=BB1_8 Depth=1
	s_and_saveexec_b32 s9, s0
	s_cbranch_execz .LBB1_142
; %bb.141:                              ;   in Loop: Header=BB1_8 Depth=1
	v_mov_b32_e32 v1, s21
	ds_store_b32 v21, v1 offset:4100
.LBB1_142:                              ;   in Loop: Header=BB1_8 Depth=1
	s_or_b32 exec_lo, exec_lo, s9
	s_waitcnt lgkmcnt(0)
	s_barrier
	buffer_gl0_inv
.LBB1_143:                              ;   in Loop: Header=BB1_8 Depth=1
	s_lshl_b32 s9, 1, s18
	s_and_b32 s23, s81, s19
	s_or_b32 s25, s82, s12
	s_or_b32 s24, s23, s9
	s_mov_b32 s23, 0
	s_mov_b32 s9, 8
.LBB1_144:                              ;   in Loop: Header=BB1_8 Depth=1
	s_and_not1_b32 vcc_lo, exec_lo, s23
	s_cbranch_vccnz .LBB1_146
; %bb.145:                              ;   in Loop: Header=BB1_8 Depth=1
	s_sub_i32 s22, s22, s21
	s_mov_b32 s23, -1
	s_mov_b32 s9, 0
	s_mov_b32 s24, s81
	;; [unrolled: 1-line block ×3, first 2 shown]
.LBB1_146:                              ;   in Loop: Header=BB1_8 Depth=1
	s_delay_alu instid0(SALU_CYCLE_1)
	s_mov_b32 s82, s25
	s_mov_b32 s81, s24
	;; [unrolled: 1-line block ×3, first 2 shown]
	s_and_not1_b32 vcc_lo, exec_lo, s23
	s_mov_b32 s28, -1
	s_cbranch_vccz .LBB1_149
.LBB1_147:                              ;   in Loop: Header=BB1_8 Depth=1
                                        ; implicit-def: $sgpr22
                                        ; implicit-def: $sgpr23
                                        ; implicit-def: $sgpr21
	s_branch .LBB1_227
.LBB1_148:                              ;   in Loop: Header=BB1_8 Depth=1
	s_mov_b32 s9, 1
	s_and_not1_b32 vcc_lo, exec_lo, s23
	s_mov_b32 s28, -1
	s_cbranch_vccnz .LBB1_147
.LBB1_149:                              ;   in Loop: Header=BB1_8 Depth=1
	s_cmp_eq_u32 s17, 1
	s_mov_b32 s27, -1
	s_cselect_b32 s9, -1, 0
	s_cmp_eq_u32 s26, 1
	s_cselect_b32 s21, -1, 0
	s_delay_alu instid0(SALU_CYCLE_1) | instskip(NEXT) | instid1(SALU_CYCLE_1)
	s_and_b32 s25, s9, s21
	s_and_b32 vcc_lo, exec_lo, s25
	s_cbranch_vccz .LBB1_160
; %bb.150:                              ;   in Loop: Header=BB1_8 Depth=1
	ds_load_b32 v1, v21 offset:4096
	s_waitcnt lgkmcnt(0)
	s_barrier
	buffer_gl0_inv
	v_readfirstlane_b32 s24, v1
	s_and_saveexec_b32 s9, s1
	s_cbranch_execz .LBB1_152
; %bb.151:                              ;   in Loop: Header=BB1_8 Depth=1
	ds_store_b8 v0, v21 offset:3072
.LBB1_152:                              ;   in Loop: Header=BB1_8 Depth=1
	s_or_b32 exec_lo, exec_lo, s9
	s_lshl_b32 s9, 2, s18
	s_and_b32 s21, s81, s19
	s_or_b32 s82, s82, s12
	s_or_b32 s81, s21, s9
	s_cmp_gt_i32 s24, 0
	s_waitcnt lgkmcnt(0)
	s_barrier
	buffer_gl0_inv
	s_cbranch_scc1 .LBB1_161
; %bb.153:                              ;   in Loop: Header=BB1_8 Depth=1
	s_mov_b32 s27, 0
                                        ; implicit-def: $vgpr22
	s_and_saveexec_b32 s21, s8
	s_cbranch_execz .LBB1_163
; %bb.154:                              ;   in Loop: Header=BB1_8 Depth=1
	v_dual_mov_b32 v1, v11 :: v_dual_mov_b32 v2, v0
	s_mov_b32 s22, 0
                                        ; implicit-def: $sgpr23
	s_set_inst_prefetch_distance 0x1
	s_branch .LBB1_156
	.p2align	6
.LBB1_155:                              ;   in Loop: Header=BB1_156 Depth=2
	s_or_b32 exec_lo, exec_lo, s9
	s_waitcnt lgkmcnt(0)
	s_barrier
	buffer_gl0_inv
	ds_load_u16 v3, v21 offset:3072
	v_add_nc_u32_e32 v2, s56, v2
	v_add_nc_u32_e32 v1, s59, v1
	s_waitcnt lgkmcnt(0)
	s_barrier
	buffer_gl0_inv
	v_cmp_le_i32_e32 vcc_lo, s71, v2
	v_and_b32_e32 v4, 0xff, v3
	s_delay_alu instid0(VALU_DEP_1) | instskip(NEXT) | instid1(VALU_DEP_1)
	v_cmp_ne_u16_e64 s9, 0, v4
	s_or_b32 s27, vcc_lo, s9
	s_delay_alu instid0(SALU_CYCLE_1) | instskip(NEXT) | instid1(SALU_CYCLE_1)
	s_and_b32 s27, exec_lo, s27
	s_or_b32 s22, s27, s22
	s_and_not1_b32 s23, s23, exec_lo
	s_and_b32 s9, s9, exec_lo
	s_delay_alu instid0(SALU_CYCLE_1)
	s_or_b32 s23, s23, s9
	s_and_not1_b32 exec_lo, exec_lo, s22
	s_cbranch_execz .LBB1_162
.LBB1_156:                              ;   Parent Loop BB1_8 Depth=1
                                        ; =>  This Inner Loop Header: Depth=2
	s_delay_alu instid0(VALU_DEP_1)
	v_cmp_gt_i32_e32 vcc_lo, s36, v2
	v_mov_b32_e32 v3, 0
	s_and_saveexec_b32 s27, vcc_lo
	s_cbranch_execz .LBB1_158
; %bb.157:                              ;   in Loop: Header=BB1_156 Depth=2
	v_ashrrev_i32_e32 v4, 31, v1
	v_add_co_u32 v3, s9, s44, v1
	s_delay_alu instid0(VALU_DEP_1)
	v_add_co_ci_u32_e64 v4, s9, s45, v4, s9
	global_load_u8 v3, v[3:4], off
.LBB1_158:                              ;   in Loop: Header=BB1_156 Depth=2
	s_or_b32 exec_lo, exec_lo, s27
	s_waitcnt vmcnt(0)
	v_and_b32_e32 v4, s82, v3
	s_delay_alu instid0(VALU_DEP_1) | instskip(NEXT) | instid1(VALU_DEP_1)
	v_and_b32_e32 v4, 0xff, v4
	v_cmp_eq_u32_e64 s9, s81, v4
	s_delay_alu instid0(VALU_DEP_1) | instskip(NEXT) | instid1(SALU_CYCLE_1)
	s_and_b32 s27, vcc_lo, s9
	s_and_saveexec_b32 s9, s27
	s_cbranch_execz .LBB1_155
; %bb.159:                              ;   in Loop: Header=BB1_156 Depth=2
	v_lshlrev_b16 v3, 8, v3
	s_delay_alu instid0(VALU_DEP_1)
	v_or_b32_e32 v3, 1, v3
	ds_store_b16 v21, v3 offset:3072
	s_branch .LBB1_155
.LBB1_160:                              ;   in Loop: Header=BB1_8 Depth=1
                                        ; implicit-def: $sgpr21
                                        ; implicit-def: $sgpr23
                                        ; implicit-def: $sgpr22
	s_branch .LBB1_173
.LBB1_161:                              ;   in Loop: Header=BB1_8 Depth=1
	s_mov_b32 s21, -1
	s_mov_b32 s27, 0
                                        ; implicit-def: $sgpr22
                                        ; implicit-def: $vgpr22
	s_mov_b32 s23, s21
	s_cbranch_execnz .LBB1_164
	s_branch .LBB1_173
.LBB1_162:                              ;   in Loop: Header=BB1_8 Depth=1
	s_set_inst_prefetch_distance 0x2
	s_or_b32 exec_lo, exec_lo, s22
	v_lshrrev_b16 v22, 8, v3
	s_and_b32 s27, s23, exec_lo
.LBB1_163:                              ;   in Loop: Header=BB1_8 Depth=1
	s_or_b32 exec_lo, exec_lo, s21
	s_mov_b32 s22, -1
	s_mov_b32 s21, 0
	s_delay_alu instid0(SALU_CYCLE_1)
	s_mov_b32 s23, s21
	s_branch .LBB1_173
.LBB1_164:                              ;   in Loop: Header=BB1_8 Depth=1
	s_add_i32 s22, s24, s60
	s_mov_b32 s27, 0
	s_abs_i32 s9, s22
                                        ; implicit-def: $vgpr22
	s_delay_alu instid0(SALU_CYCLE_1) | instskip(NEXT) | instid1(SALU_CYCLE_1)
	s_mul_hi_u32 s21, s9, s69
	s_mul_i32 s21, s21, s56
	s_delay_alu instid0(SALU_CYCLE_1) | instskip(SKIP_4) | instid1(SALU_CYCLE_1)
	s_sub_i32 s9, s9, s21
	s_ashr_i32 s21, s22, 31
	s_sub_i32 s23, s9, s56
	s_cmp_ge_u32 s9, s56
	s_cselect_b32 s9, s23, s9
	s_sub_i32 s23, s9, s56
	s_cmp_ge_u32 s9, s56
	s_cselect_b32 s9, s23, s9
	s_delay_alu instid0(SALU_CYCLE_1) | instskip(NEXT) | instid1(SALU_CYCLE_1)
	s_xor_b32 s9, s9, s21
	s_sub_i32 s9, s21, s9
	s_mov_b32 s21, exec_lo
	s_add_i32 s22, s22, s9
	s_delay_alu instid0(SALU_CYCLE_1)
	v_cmpx_gt_i32_e64 s22, v0
	s_cbranch_execz .LBB1_172
; %bb.165:                              ;   in Loop: Header=BB1_8 Depth=1
	v_mov_b32_e32 v1, v0
	s_mov_b32 s23, 0
                                        ; implicit-def: $sgpr27
	s_set_inst_prefetch_distance 0x1
	s_branch .LBB1_167
	.p2align	6
.LBB1_166:                              ;   in Loop: Header=BB1_167 Depth=2
	s_or_b32 exec_lo, exec_lo, s9
	s_waitcnt lgkmcnt(0)
	s_barrier
	buffer_gl0_inv
	ds_load_u16 v2, v21 offset:3072
	v_add_nc_u32_e32 v1, s56, v1
	s_waitcnt lgkmcnt(0)
	s_barrier
	buffer_gl0_inv
	v_cmp_le_i32_e32 vcc_lo, s22, v1
	v_and_b32_e32 v3, 0xff, v2
	s_delay_alu instid0(VALU_DEP_1) | instskip(NEXT) | instid1(VALU_DEP_1)
	v_cmp_ne_u16_e64 s9, 0, v3
	s_or_b32 s28, vcc_lo, s9
	s_delay_alu instid0(SALU_CYCLE_1) | instskip(NEXT) | instid1(SALU_CYCLE_1)
	s_and_b32 s28, exec_lo, s28
	s_or_b32 s23, s28, s23
	s_and_not1_b32 s27, s27, exec_lo
	s_and_b32 s9, s9, exec_lo
	s_delay_alu instid0(SALU_CYCLE_1)
	s_or_b32 s27, s27, s9
	s_and_not1_b32 exec_lo, exec_lo, s23
	s_cbranch_execz .LBB1_171
.LBB1_167:                              ;   Parent Loop BB1_8 Depth=1
                                        ; =>  This Inner Loop Header: Depth=2
	s_delay_alu instid0(VALU_DEP_1)
	v_cmp_gt_i32_e32 vcc_lo, s24, v1
	v_mov_b32_e32 v2, 0
	s_and_saveexec_b32 s9, vcc_lo
	s_cbranch_execz .LBB1_169
; %bb.168:                              ;   in Loop: Header=BB1_167 Depth=2
	ds_load_u8 v2, v1
.LBB1_169:                              ;   in Loop: Header=BB1_167 Depth=2
	s_or_b32 exec_lo, exec_lo, s9
	s_waitcnt lgkmcnt(0)
	v_and_b32_e32 v3, s82, v2
	s_delay_alu instid0(VALU_DEP_1) | instskip(NEXT) | instid1(VALU_DEP_1)
	v_and_b32_e32 v3, 0xff, v3
	v_cmp_eq_u32_e64 s9, s81, v3
	s_delay_alu instid0(VALU_DEP_1) | instskip(NEXT) | instid1(SALU_CYCLE_1)
	s_and_b32 s28, vcc_lo, s9
	s_and_saveexec_b32 s9, s28
	s_cbranch_execz .LBB1_166
; %bb.170:                              ;   in Loop: Header=BB1_167 Depth=2
	v_lshlrev_b16 v2, 8, v2
	s_delay_alu instid0(VALU_DEP_1)
	v_or_b32_e32 v2, 1, v2
	ds_store_b16 v21, v2 offset:3072
	s_branch .LBB1_166
.LBB1_171:                              ;   in Loop: Header=BB1_8 Depth=1
	s_set_inst_prefetch_distance 0x2
	s_or_b32 exec_lo, exec_lo, s23
	v_lshrrev_b16 v22, 8, v2
	s_and_b32 s27, s27, exec_lo
.LBB1_172:                              ;   in Loop: Header=BB1_8 Depth=1
	s_or_b32 exec_lo, exec_lo, s21
	s_mov_b32 s23, -1
	s_mov_b32 s21, 0
	s_mov_b32 s22, 0
.LBB1_173:                              ;   in Loop: Header=BB1_8 Depth=1
	s_mov_b32 s28, 0
                                        ; implicit-def: $sgpr9
	s_and_saveexec_b32 s24, s27
	s_cbranch_execz .LBB1_226
; %bb.174:                              ;   in Loop: Header=BB1_8 Depth=1
	s_xor_b32 s9, s25, -1
	s_mov_b32 s27, 0
	s_and_not1_b32 vcc_lo, exec_lo, s9
	s_mov_b32 s25, 1
	s_cbranch_vccnz .LBB1_185
; %bb.175:                              ;   in Loop: Header=BB1_8 Depth=1
	s_cmp_gt_i32 s26, s17
	s_mov_b32 s27, -1
                                        ; implicit-def: $sgpr9
                                        ; implicit-def: $sgpr25
                                        ; implicit-def: $sgpr28
	s_cbranch_scc1 .LBB1_181
; %bb.176:                              ;   in Loop: Header=BB1_8 Depth=1
	ds_load_b32 v1, v21 offset:4096
	s_waitcnt lgkmcnt(0)
	v_cmp_ne_u32_e32 vcc_lo, 0, v1
	s_cbranch_vccnz .LBB1_180
; %bb.177:                              ;   in Loop: Header=BB1_8 Depth=1
	s_and_saveexec_b32 s9, s0
	s_cbranch_execz .LBB1_179
; %bb.178:                              ;   in Loop: Header=BB1_8 Depth=1
	v_mov_b32_e32 v1, s17
	ds_store_b32 v21, v1 offset:4100
.LBB1_179:                              ;   in Loop: Header=BB1_8 Depth=1
	s_or_b32 exec_lo, exec_lo, s9
	s_waitcnt lgkmcnt(0)
	s_barrier
	buffer_gl0_inv
.LBB1_180:                              ;   in Loop: Header=BB1_8 Depth=1
	s_lshl_b32 s9, 2, s18
	s_and_b32 s18, s81, s19
	s_or_b32 s28, s82, s12
	s_or_b32 s25, s18, s9
	s_mov_b32 s27, 0
	s_mov_b32 s9, 8
.LBB1_181:                              ;   in Loop: Header=BB1_8 Depth=1
	s_and_not1_b32 vcc_lo, exec_lo, s27
	s_cbranch_vccnz .LBB1_183
; %bb.182:                              ;   in Loop: Header=BB1_8 Depth=1
	s_sub_i32 s26, s26, s17
	s_mov_b32 s27, -1
	s_mov_b32 s9, 0
	s_mov_b32 s25, s81
	;; [unrolled: 1-line block ×3, first 2 shown]
.LBB1_183:                              ;   in Loop: Header=BB1_8 Depth=1
	s_delay_alu instid0(SALU_CYCLE_1)
	s_mov_b32 s82, s28
	s_mov_b32 s81, s25
	;; [unrolled: 1-line block ×3, first 2 shown]
	s_and_not1_b32 vcc_lo, exec_lo, s27
	s_mov_b32 s37, -1
	s_cbranch_vccz .LBB1_186
.LBB1_184:                              ;   in Loop: Header=BB1_8 Depth=1
                                        ; implicit-def: $sgpr19
                                        ; implicit-def: $sgpr27
                                        ; implicit-def: $sgpr26
	s_branch .LBB1_225
.LBB1_185:                              ;   in Loop: Header=BB1_8 Depth=1
	s_mov_b32 s9, 1
	s_and_not1_b32 vcc_lo, exec_lo, s27
	s_mov_b32 s37, -1
	s_cbranch_vccnz .LBB1_184
.LBB1_186:                              ;   in Loop: Header=BB1_8 Depth=1
	s_cmp_eq_u32 s10, 1
	s_mov_b32 s28, -1
	s_cselect_b32 s9, -1, 0
	s_cmp_eq_u32 s25, 1
	s_cselect_b32 s17, -1, 0
	s_delay_alu instid0(SALU_CYCLE_1) | instskip(NEXT) | instid1(SALU_CYCLE_1)
	s_and_b32 s17, s9, s17
	s_and_b32 vcc_lo, exec_lo, s17
	s_cbranch_vccz .LBB1_197
; %bb.187:                              ;   in Loop: Header=BB1_8 Depth=1
	ds_load_b32 v1, v21 offset:4096
	s_waitcnt lgkmcnt(0)
	s_barrier
	buffer_gl0_inv
	v_readfirstlane_b32 s18, v1
	s_and_saveexec_b32 s9, s1
	s_cbranch_execz .LBB1_189
; %bb.188:                              ;   in Loop: Header=BB1_8 Depth=1
	ds_store_b8 v0, v21 offset:3072
.LBB1_189:                              ;   in Loop: Header=BB1_8 Depth=1
	s_or_b32 exec_lo, exec_lo, s9
	s_or_b32 s81, s81, s12
	s_or_b32 s82, s82, s12
	s_cmp_gt_i32 s18, 0
	s_waitcnt lgkmcnt(0)
	s_barrier
	buffer_gl0_inv
	s_cbranch_scc1 .LBB1_198
; %bb.190:                              ;   in Loop: Header=BB1_8 Depth=1
	s_mov_b32 s28, 0
                                        ; implicit-def: $vgpr22
	s_and_saveexec_b32 s19, s8
	s_cbranch_execz .LBB1_200
; %bb.191:                              ;   in Loop: Header=BB1_8 Depth=1
	v_dual_mov_b32 v1, v11 :: v_dual_mov_b32 v2, v0
	s_mov_b32 s26, 0
                                        ; implicit-def: $sgpr27
	s_set_inst_prefetch_distance 0x1
	s_branch .LBB1_193
	.p2align	6
.LBB1_192:                              ;   in Loop: Header=BB1_193 Depth=2
	s_or_b32 exec_lo, exec_lo, s9
	s_waitcnt lgkmcnt(0)
	s_barrier
	buffer_gl0_inv
	ds_load_u16 v3, v21 offset:3072
	v_add_nc_u32_e32 v2, s56, v2
	v_add_nc_u32_e32 v1, s59, v1
	s_waitcnt lgkmcnt(0)
	s_barrier
	buffer_gl0_inv
	v_cmp_le_i32_e32 vcc_lo, s71, v2
	v_and_b32_e32 v4, 0xff, v3
	s_delay_alu instid0(VALU_DEP_1) | instskip(NEXT) | instid1(VALU_DEP_1)
	v_cmp_ne_u16_e64 s9, 0, v4
	s_or_b32 s28, vcc_lo, s9
	s_delay_alu instid0(SALU_CYCLE_1) | instskip(NEXT) | instid1(SALU_CYCLE_1)
	s_and_b32 s28, exec_lo, s28
	s_or_b32 s26, s28, s26
	s_and_not1_b32 s27, s27, exec_lo
	s_and_b32 s9, s9, exec_lo
	s_delay_alu instid0(SALU_CYCLE_1)
	s_or_b32 s27, s27, s9
	s_and_not1_b32 exec_lo, exec_lo, s26
	s_cbranch_execz .LBB1_199
.LBB1_193:                              ;   Parent Loop BB1_8 Depth=1
                                        ; =>  This Inner Loop Header: Depth=2
	s_delay_alu instid0(VALU_DEP_1)
	v_cmp_gt_i32_e32 vcc_lo, s36, v2
	v_mov_b32_e32 v3, 0
	s_and_saveexec_b32 s28, vcc_lo
	s_cbranch_execz .LBB1_195
; %bb.194:                              ;   in Loop: Header=BB1_193 Depth=2
	v_ashrrev_i32_e32 v4, 31, v1
	v_add_co_u32 v3, s9, s44, v1
	s_delay_alu instid0(VALU_DEP_1)
	v_add_co_ci_u32_e64 v4, s9, s45, v4, s9
	global_load_u8 v3, v[3:4], off
.LBB1_195:                              ;   in Loop: Header=BB1_193 Depth=2
	s_or_b32 exec_lo, exec_lo, s28
	s_waitcnt vmcnt(0)
	v_and_b32_e32 v4, s82, v3
	s_delay_alu instid0(VALU_DEP_1) | instskip(NEXT) | instid1(VALU_DEP_1)
	v_and_b32_e32 v4, 0xff, v4
	v_cmp_eq_u32_e64 s9, s81, v4
	s_delay_alu instid0(VALU_DEP_1) | instskip(NEXT) | instid1(SALU_CYCLE_1)
	s_and_b32 s28, vcc_lo, s9
	s_and_saveexec_b32 s9, s28
	s_cbranch_execz .LBB1_192
; %bb.196:                              ;   in Loop: Header=BB1_193 Depth=2
	v_lshlrev_b16 v3, 8, v3
	s_delay_alu instid0(VALU_DEP_1)
	v_or_b32_e32 v3, 1, v3
	ds_store_b16 v21, v3 offset:3072
	s_branch .LBB1_192
.LBB1_197:                              ;   in Loop: Header=BB1_8 Depth=1
                                        ; implicit-def: $sgpr19
                                        ; implicit-def: $sgpr27
                                        ; implicit-def: $sgpr26
	s_branch .LBB1_210
.LBB1_198:                              ;   in Loop: Header=BB1_8 Depth=1
	s_mov_b32 s19, -1
	s_mov_b32 s28, 0
                                        ; implicit-def: $sgpr26
                                        ; implicit-def: $vgpr22
	s_mov_b32 s27, s19
	s_cbranch_execnz .LBB1_201
	s_branch .LBB1_210
.LBB1_199:                              ;   in Loop: Header=BB1_8 Depth=1
	s_set_inst_prefetch_distance 0x2
	s_or_b32 exec_lo, exec_lo, s26
	v_lshrrev_b16 v22, 8, v3
	s_and_b32 s28, s27, exec_lo
.LBB1_200:                              ;   in Loop: Header=BB1_8 Depth=1
	s_or_b32 exec_lo, exec_lo, s19
	s_mov_b32 s26, -1
	s_mov_b32 s19, 0
	s_delay_alu instid0(SALU_CYCLE_1)
	s_mov_b32 s27, s19
	s_branch .LBB1_210
.LBB1_201:                              ;   in Loop: Header=BB1_8 Depth=1
	s_add_i32 s26, s18, s60
	s_mov_b32 s28, 0
	s_abs_i32 s9, s26
                                        ; implicit-def: $vgpr22
	s_delay_alu instid0(SALU_CYCLE_1) | instskip(NEXT) | instid1(SALU_CYCLE_1)
	s_mul_hi_u32 s19, s9, s69
	s_mul_i32 s19, s19, s56
	s_delay_alu instid0(SALU_CYCLE_1) | instskip(SKIP_4) | instid1(SALU_CYCLE_1)
	s_sub_i32 s9, s9, s19
	s_ashr_i32 s19, s26, 31
	s_sub_i32 s27, s9, s56
	s_cmp_ge_u32 s9, s56
	s_cselect_b32 s9, s27, s9
	s_sub_i32 s27, s9, s56
	s_cmp_ge_u32 s9, s56
	s_cselect_b32 s9, s27, s9
	s_delay_alu instid0(SALU_CYCLE_1) | instskip(NEXT) | instid1(SALU_CYCLE_1)
	s_xor_b32 s9, s9, s19
	s_sub_i32 s9, s19, s9
	s_mov_b32 s19, exec_lo
	s_add_i32 s26, s26, s9
	s_delay_alu instid0(SALU_CYCLE_1)
	v_cmpx_gt_i32_e64 s26, v0
	s_cbranch_execz .LBB1_209
; %bb.202:                              ;   in Loop: Header=BB1_8 Depth=1
	v_mov_b32_e32 v1, v0
	s_mov_b32 s27, 0
                                        ; implicit-def: $sgpr28
	s_set_inst_prefetch_distance 0x1
	s_branch .LBB1_204
	.p2align	6
.LBB1_203:                              ;   in Loop: Header=BB1_204 Depth=2
	s_or_b32 exec_lo, exec_lo, s9
	s_waitcnt lgkmcnt(0)
	s_barrier
	buffer_gl0_inv
	ds_load_u16 v2, v21 offset:3072
	v_add_nc_u32_e32 v1, s56, v1
	s_waitcnt lgkmcnt(0)
	s_barrier
	buffer_gl0_inv
	v_cmp_le_i32_e32 vcc_lo, s26, v1
	v_and_b32_e32 v3, 0xff, v2
	s_delay_alu instid0(VALU_DEP_1) | instskip(NEXT) | instid1(VALU_DEP_1)
	v_cmp_ne_u16_e64 s9, 0, v3
	s_or_b32 s37, vcc_lo, s9
	s_delay_alu instid0(SALU_CYCLE_1) | instskip(NEXT) | instid1(SALU_CYCLE_1)
	s_and_b32 s37, exec_lo, s37
	s_or_b32 s27, s37, s27
	s_and_not1_b32 s28, s28, exec_lo
	s_and_b32 s9, s9, exec_lo
	s_delay_alu instid0(SALU_CYCLE_1)
	s_or_b32 s28, s28, s9
	s_and_not1_b32 exec_lo, exec_lo, s27
	s_cbranch_execz .LBB1_208
.LBB1_204:                              ;   Parent Loop BB1_8 Depth=1
                                        ; =>  This Inner Loop Header: Depth=2
	s_delay_alu instid0(VALU_DEP_1)
	v_cmp_gt_i32_e32 vcc_lo, s18, v1
	v_mov_b32_e32 v2, 0
	s_and_saveexec_b32 s9, vcc_lo
	s_cbranch_execz .LBB1_206
; %bb.205:                              ;   in Loop: Header=BB1_204 Depth=2
	ds_load_u8 v2, v1
.LBB1_206:                              ;   in Loop: Header=BB1_204 Depth=2
	s_or_b32 exec_lo, exec_lo, s9
	s_waitcnt lgkmcnt(0)
	v_and_b32_e32 v3, s82, v2
	s_delay_alu instid0(VALU_DEP_1) | instskip(NEXT) | instid1(VALU_DEP_1)
	v_and_b32_e32 v3, 0xff, v3
	v_cmp_eq_u32_e64 s9, s81, v3
	s_delay_alu instid0(VALU_DEP_1) | instskip(NEXT) | instid1(SALU_CYCLE_1)
	s_and_b32 s37, vcc_lo, s9
	s_and_saveexec_b32 s9, s37
	s_cbranch_execz .LBB1_203
; %bb.207:                              ;   in Loop: Header=BB1_204 Depth=2
	v_lshlrev_b16 v2, 8, v2
	s_delay_alu instid0(VALU_DEP_1)
	v_or_b32_e32 v2, 1, v2
	ds_store_b16 v21, v2 offset:3072
	s_branch .LBB1_203
.LBB1_208:                              ;   in Loop: Header=BB1_8 Depth=1
	s_set_inst_prefetch_distance 0x2
	s_or_b32 exec_lo, exec_lo, s27
	v_lshrrev_b16 v22, 8, v2
	s_and_b32 s28, s28, exec_lo
.LBB1_209:                              ;   in Loop: Header=BB1_8 Depth=1
	s_or_b32 exec_lo, exec_lo, s19
	s_mov_b32 s27, -1
	s_mov_b32 s19, 0
	s_mov_b32 s26, 0
.LBB1_210:                              ;   in Loop: Header=BB1_8 Depth=1
	s_mov_b32 s37, 0
                                        ; implicit-def: $sgpr9
	s_and_saveexec_b32 s18, s28
	s_cbranch_execz .LBB1_224
; %bb.211:                              ;   in Loop: Header=BB1_8 Depth=1
	s_xor_b32 s9, s17, -1
	s_delay_alu instid0(SALU_CYCLE_1)
	s_and_not1_b32 vcc_lo, exec_lo, s9
	s_mov_b32 s9, 1
	s_cbranch_vccnz .LBB1_218
; %bb.212:                              ;   in Loop: Header=BB1_8 Depth=1
	s_cmp_gt_i32 s25, s10
	s_cbranch_scc1 .LBB1_219
; %bb.213:                              ;   in Loop: Header=BB1_8 Depth=1
	ds_load_b32 v1, v21 offset:4096
	s_waitcnt lgkmcnt(0)
	v_cmp_ne_u32_e32 vcc_lo, 0, v1
	s_cbranch_vccnz .LBB1_217
; %bb.214:                              ;   in Loop: Header=BB1_8 Depth=1
	s_and_saveexec_b32 s9, s0
	s_cbranch_execz .LBB1_216
; %bb.215:                              ;   in Loop: Header=BB1_8 Depth=1
	v_mov_b32_e32 v1, s10
	ds_store_b32 v21, v1 offset:4100
.LBB1_216:                              ;   in Loop: Header=BB1_8 Depth=1
	s_or_b32 exec_lo, exec_lo, s9
	s_waitcnt lgkmcnt(0)
	s_barrier
	buffer_gl0_inv
.LBB1_217:                              ;   in Loop: Header=BB1_8 Depth=1
	s_or_b32 s17, s81, s12
	s_or_b32 s12, s82, s12
	s_mov_b32 s28, 0
	s_mov_b32 s9, 8
	s_branch .LBB1_220
.LBB1_218:                              ;   in Loop: Header=BB1_8 Depth=1
	s_mov_b32 s25, 1
	s_branch .LBB1_223
.LBB1_219:                              ;   in Loop: Header=BB1_8 Depth=1
	s_mov_b32 s28, -1
                                        ; implicit-def: $sgpr9
                                        ; implicit-def: $sgpr17
                                        ; implicit-def: $sgpr12
.LBB1_220:                              ;   in Loop: Header=BB1_8 Depth=1
	s_delay_alu instid0(SALU_CYCLE_1)
	s_and_not1_b32 vcc_lo, exec_lo, s28
	s_cbranch_vccnz .LBB1_222
; %bb.221:                              ;   in Loop: Header=BB1_8 Depth=1
	s_sub_i32 s25, s25, s10
	s_mov_b32 s9, 8
	s_mov_b32 s17, s81
	;; [unrolled: 1-line block ×3, first 2 shown]
.LBB1_222:                              ;   in Loop: Header=BB1_8 Depth=1
	s_mov_b32 s81, s17
	s_mov_b32 s82, s12
.LBB1_223:                              ;   in Loop: Header=BB1_8 Depth=1
	s_mov_b32 s37, exec_lo
.LBB1_224:                              ;   in Loop: Header=BB1_8 Depth=1
	s_or_b32 exec_lo, exec_lo, s18
.LBB1_225:                              ;   in Loop: Header=BB1_8 Depth=1
	s_delay_alu instid0(SALU_CYCLE_1)
	s_and_not1_b32 s10, s21, exec_lo
	s_and_b32 s12, s19, exec_lo
	s_and_not1_b32 s17, s22, exec_lo
	s_or_b32 s21, s10, s12
	s_and_not1_b32 s10, s23, exec_lo
	s_and_b32 s12, s27, exec_lo
	s_and_b32 s18, s26, exec_lo
	s_or_b32 s23, s10, s12
	s_or_b32 s22, s17, s18
	s_and_b32 s28, s37, exec_lo
	s_mov_b32 s26, s25
.LBB1_226:                              ;   in Loop: Header=BB1_8 Depth=1
	s_or_b32 exec_lo, exec_lo, s24
.LBB1_227:                              ;   in Loop: Header=BB1_8 Depth=1
	s_delay_alu instid0(SALU_CYCLE_1)
	s_and_not1_b32 s10, s15, exec_lo
	s_and_b32 s12, s21, exec_lo
	s_and_not1_b32 s14, s14, exec_lo
	s_or_b32 s15, s10, s12
	s_and_not1_b32 s10, s16, exec_lo
	s_and_b32 s12, s23, exec_lo
	s_and_b32 s17, s22, exec_lo
	s_or_b32 s16, s10, s12
	s_or_b32 s14, s14, s17
	s_and_b32 s25, s28, exec_lo
	s_mov_b32 s22, s26
.LBB1_228:                              ;   in Loop: Header=BB1_8 Depth=1
	s_or_b32 exec_lo, exec_lo, s20
	s_and_saveexec_b32 s10, s25
	s_delay_alu instid0(SALU_CYCLE_1)
	s_xor_b32 s10, exec_lo, s10
	s_cbranch_execz .LBB1_6
.LBB1_229:                              ;   in Loop: Header=BB1_8 Depth=1
	s_and_b32 s9, s9, -9
	s_delay_alu instid0(SALU_CYCLE_1)
	s_cmp_eq_u32 s9, 0
	s_cbranch_scc1 .LBB1_4
; %bb.230:                              ;   in Loop: Header=BB1_8 Depth=1
	s_mov_b32 s9, -1
	s_mov_b32 s12, -1
                                        ; implicit-def: $sgpr82
                                        ; implicit-def: $sgpr22
                                        ; implicit-def: $sgpr72
                                        ; implicit-def: $sgpr79
	s_branch .LBB1_5
.LBB1_231:
	s_or_b32 exec_lo, exec_lo, s57
	s_xor_b32 s4, s76, -1
	s_xor_b32 s1, s74, -1
	;; [unrolled: 1-line block ×3, first 2 shown]
	s_mov_b32 s2, 0
	s_and_saveexec_b32 s5, s1
	s_delay_alu instid0(SALU_CYCLE_1)
	s_xor_b32 s1, exec_lo, s5
	s_cbranch_execz .LBB1_252
; %bb.232:
	s_and_saveexec_b32 s2, s4
	s_delay_alu instid0(SALU_CYCLE_1)
	s_xor_b32 s2, exec_lo, s2
	s_cbranch_execz .LBB1_250
; %bb.233:
	s_and_saveexec_b32 s4, s3
	s_delay_alu instid0(SALU_CYCLE_1)
	s_xor_b32 s3, exec_lo, s4
; %bb.234:
	v_mov_b32_e32 v22, v1
; %bb.235:
	s_or_b32 exec_lo, exec_lo, s3
	s_and_saveexec_b32 s3, s0
	s_cbranch_execz .LBB1_237
; %bb.236:
	v_dual_mov_b32 v1, 0 :: v_dual_mov_b32 v2, s36
	ds_store_b32 v1, v2 offset:4108
.LBB1_237:
	s_or_b32 exec_lo, exec_lo, s3
	v_mov_b32_e32 v1, 0
	s_waitcnt lgkmcnt(0)
	s_barrier
	buffer_gl0_inv
	s_mov_b32 s3, exec_lo
	ds_load_b32 v1, v1 offset:4108
	s_waitcnt lgkmcnt(0)
	v_min_i32_e32 v1, s36, v1
	s_delay_alu instid0(VALU_DEP_1)
	v_cmpx_lt_i32_e64 v0, v1
	s_cbranch_execz .LBB1_247
; %bb.238:
	v_and_b32_e32 v3, 0xff, v22
	s_mov_b32 s4, 0
                                        ; implicit-def: $sgpr5
                                        ; implicit-def: $sgpr7
                                        ; implicit-def: $sgpr6
	s_set_inst_prefetch_distance 0x1
	s_branch .LBB1_240
	.p2align	6
.LBB1_239:                              ;   in Loop: Header=BB1_240 Depth=1
	s_or_b32 exec_lo, exec_lo, s8
	s_delay_alu instid0(SALU_CYCLE_1) | instskip(NEXT) | instid1(SALU_CYCLE_1)
	s_and_b32 s8, exec_lo, s7
	s_or_b32 s4, s8, s4
	s_and_not1_b32 s5, s5, exec_lo
	s_and_b32 s8, s6, exec_lo
	s_delay_alu instid0(SALU_CYCLE_1)
	s_or_b32 s5, s5, s8
	s_and_not1_b32 exec_lo, exec_lo, s4
	s_cbranch_execz .LBB1_242
.LBB1_240:                              ; =>This Inner Loop Header: Depth=1
	v_ashrrev_i32_e32 v2, 31, v11
	v_add_co_u32 v4, vcc_lo, s44, v11
	s_or_b32 s6, s6, exec_lo
	s_or_b32 s7, s7, exec_lo
	s_delay_alu instid0(VALU_DEP_2)
	v_add_co_ci_u32_e32 v5, vcc_lo, s45, v2, vcc_lo
	v_mov_b32_e32 v2, v0
	s_mov_b32 s8, exec_lo
                                        ; implicit-def: $vgpr0
	global_load_u8 v4, v[4:5], off
	s_waitcnt vmcnt(0)
	v_cmpx_ne_u16_e64 v4, v3
	s_cbranch_execz .LBB1_239
; %bb.241:                              ;   in Loop: Header=BB1_240 Depth=1
	v_add_nc_u32_e32 v0, s56, v2
	s_and_not1_b32 s7, s7, exec_lo
	v_add_nc_u32_e32 v11, s59, v11
	s_and_not1_b32 s6, s6, exec_lo
	s_delay_alu instid0(VALU_DEP_2) | instskip(SKIP_1) | instid1(SALU_CYCLE_1)
	v_cmp_ge_i32_e32 vcc_lo, v0, v1
	s_and_b32 s9, vcc_lo, exec_lo
	s_or_b32 s7, s7, s9
	s_branch .LBB1_239
.LBB1_242:
	s_set_inst_prefetch_distance 0x2
	s_or_b32 exec_lo, exec_lo, s4
	s_and_saveexec_b32 s4, s5
	s_delay_alu instid0(SALU_CYCLE_1)
	s_xor_b32 s4, exec_lo, s4
	s_cbranch_execz .LBB1_247
; %bb.243:
	s_mov_b32 s5, exec_lo
	s_brev_b32 s4, -2
.LBB1_244:                              ; =>This Inner Loop Header: Depth=1
	s_ctz_i32_b32 s6, s5
	s_delay_alu instid0(SALU_CYCLE_1) | instskip(SKIP_1) | instid1(SALU_CYCLE_1)
	v_readlane_b32 s7, v2, s6
	s_lshl_b32 s6, 1, s6
	s_and_not1_b32 s5, s5, s6
	s_delay_alu instid0(VALU_DEP_1)
	s_min_i32 s4, s4, s7
	s_cmp_lg_u32 s5, 0
	s_cbranch_scc1 .LBB1_244
; %bb.245:
	v_mbcnt_lo_u32_b32 v0, exec_lo, 0
	s_mov_b32 s5, exec_lo
	s_delay_alu instid0(VALU_DEP_1)
	v_cmpx_eq_u32_e32 0, v0
	s_xor_b32 s5, exec_lo, s5
	s_cbranch_execz .LBB1_247
; %bb.246:
	v_dual_mov_b32 v0, 0 :: v_dual_mov_b32 v1, s4
	ds_min_i32 v0, v1 offset:4108
.LBB1_247:
	s_or_b32 exec_lo, exec_lo, s3
	s_waitcnt lgkmcnt(0)
	s_barrier
	buffer_gl0_inv
	s_and_saveexec_b32 s3, s0
	s_cbranch_execz .LBB1_249
; %bb.248:
	s_mul_i32 s0, s54, s51
	s_xor_b32 s4, s50, s55
	s_sub_i32 s0, s49, s0
	s_add_i32 s5, s54, 1
	s_sub_i32 s6, s0, s51
	s_cmp_ge_u32 s0, s51
	v_mov_b32_e32 v2, 0
	s_cselect_b32 s5, s5, s54
	s_cselect_b32 s0, s6, s0
	s_add_i32 s6, s5, 1
	s_cmp_ge_u32 s0, s51
	s_mul_i32 s0, s52, s48
	s_cselect_b32 s5, s6, s5
	s_sub_i32 s0, s49, s0
	s_xor_b32 s5, s5, s4
	s_xor_b32 s6, s50, s53
	s_sub_i32 s4, s5, s4
	s_add_i32 s7, s52, 1
	s_mul_i32 s5, s4, s38
	s_mul_i32 s4, s4, s42
	s_sub_i32 s5, s29, s5
	s_sub_i32 s8, s0, s48
	s_mul_i32 s5, s5, s43
	ds_load_b32 v0, v2 offset:4108
	s_add_i32 s5, s4, s5
	s_cmp_ge_u32 s0, s48
	s_cselect_b32 s4, s7, s52
	s_cselect_b32 s0, s8, s0
	s_add_i32 s7, s4, 1
	s_cmp_ge_u32 s0, s48
	s_cselect_b32 s0, s7, s4
	s_ashr_i32 s7, s5, 31
	s_xor_b32 s0, s0, s6
	s_delay_alu instid0(SALU_CYCLE_1) | instskip(NEXT) | instid1(SALU_CYCLE_1)
	s_sub_i32 s0, s0, s6
	s_mul_i32 s4, s0, s33
	s_mul_i32 s0, s0, s40
	s_sub_i32 s4, s29, s4
	s_delay_alu instid0(SALU_CYCLE_1)
	s_mul_i32 s4, s4, s41
	s_waitcnt lgkmcnt(0)
	v_ashrrev_i32_e32 v1, 31, v0
	s_add_i32 s4, s0, s4
	s_add_u32 s6, s34, s5
	s_addc_u32 s7, s35, s7
	s_ashr_i32 s5, s4, 31
	s_delay_alu instid0(SALU_CYCLE_1) | instskip(NEXT) | instid1(SALU_CYCLE_1)
	s_lshl_b64 s[4:5], s[4:5], 3
	s_add_u32 s4, s30, s4
	s_addc_u32 s5, s31, s5
	s_clause 0x1
	global_store_b64 v2, v[0:1], s[4:5]
	global_store_b8 v2, v22, s[6:7]
.LBB1_249:
	s_or_b32 exec_lo, exec_lo, s3
.LBB1_250:
	s_or_saveexec_b32 s0, s2
	s_mov_b32 s2, 0
	s_xor_b32 exec_lo, exec_lo, s0
	s_cbranch_execnz .LBB1_258
.LBB1_251:
	s_or_b32 exec_lo, exec_lo, s0
	s_delay_alu instid0(SALU_CYCLE_1)
	s_and_b32 s2, s2, exec_lo
.LBB1_252:
	s_and_not1_saveexec_b32 s0, s1
	s_cbranch_execnz .LBB1_256
; %bb.253:
	s_or_b32 exec_lo, exec_lo, s0
	s_and_saveexec_b32 s0, s2
.LBB1_254:
	; divergent unreachable
.LBB1_255:
	s_nop 0
	s_sendmsg sendmsg(MSG_DEALLOC_VGPRS)
	s_endpgm
.LBB1_256:
	s_cbranch_execnz .LBB1_260
; %bb.257:
	s_or_b32 s2, s2, exec_lo
	s_or_b32 exec_lo, exec_lo, s0
	s_and_saveexec_b32 s0, s2
	s_cbranch_execnz .LBB1_254
	s_branch .LBB1_255
.LBB1_258:
	s_cbranch_execnz .LBB1_262
; %bb.259:
	s_mov_b32 s2, exec_lo
	s_branch .LBB1_251
.LBB1_260:
	s_trap 2
	s_sendmsg_rtn_b32 s0, sendmsg(MSG_RTN_GET_DOORBELL)
	s_mov_b32 ttmp2, m0
	s_waitcnt lgkmcnt(0)
	s_and_b32 s0, s0, 0x3ff
	s_delay_alu instid0(SALU_CYCLE_1) | instskip(NEXT) | instid1(SALU_CYCLE_1)
	s_bitset1_b32 s0, 10
	s_mov_b32 m0, s0
	s_sendmsg sendmsg(MSG_INTERRUPT)
	s_mov_b32 m0, ttmp2
.LBB1_261:                              ; =>This Inner Loop Header: Depth=1
	s_sethalt 5
	s_branch .LBB1_261
.LBB1_262:
	s_trap 2
	s_sendmsg_rtn_b32 s0, sendmsg(MSG_RTN_GET_DOORBELL)
	s_mov_b32 ttmp2, m0
	s_waitcnt lgkmcnt(0)
	s_and_b32 s0, s0, 0x3ff
	s_delay_alu instid0(SALU_CYCLE_1) | instskip(NEXT) | instid1(SALU_CYCLE_1)
	s_bitset1_b32 s0, 10
	s_mov_b32 m0, s0
	s_sendmsg sendmsg(MSG_INTERRUPT)
	s_mov_b32 m0, ttmp2
.LBB1_263:                              ; =>This Inner Loop Header: Depth=1
	s_sethalt 5
	s_branch .LBB1_263
	.section	.rodata,"a",@progbits
	.p2align	6, 0x0
	.amdhsa_kernel _ZN2at6native12_GLOBAL__N_114gatherKthValueIhiLi2EEEvNS_4cuda6detail10TensorInfoIKT_T0_EES8_S8_S8_S8_NS5_IS6_S8_EENS5_IlS8_EE
		.amdhsa_group_segment_fixed_size 4112
		.amdhsa_private_segment_fixed_size 0
		.amdhsa_kernarg_size 920
		.amdhsa_user_sgpr_count 13
		.amdhsa_user_sgpr_dispatch_ptr 0
		.amdhsa_user_sgpr_queue_ptr 0
		.amdhsa_user_sgpr_kernarg_segment_ptr 1
		.amdhsa_user_sgpr_dispatch_id 0
		.amdhsa_user_sgpr_private_segment_size 0
		.amdhsa_wavefront_size32 1
		.amdhsa_uses_dynamic_stack 0
		.amdhsa_enable_private_segment 0
		.amdhsa_system_sgpr_workgroup_id_x 1
		.amdhsa_system_sgpr_workgroup_id_y 1
		.amdhsa_system_sgpr_workgroup_id_z 1
		.amdhsa_system_sgpr_workgroup_info 0
		.amdhsa_system_vgpr_workitem_id 0
		.amdhsa_next_free_vgpr 36
		.amdhsa_next_free_sgpr 92
		.amdhsa_reserve_vcc 1
		.amdhsa_float_round_mode_32 0
		.amdhsa_float_round_mode_16_64 0
		.amdhsa_float_denorm_mode_32 3
		.amdhsa_float_denorm_mode_16_64 3
		.amdhsa_dx10_clamp 1
		.amdhsa_ieee_mode 1
		.amdhsa_fp16_overflow 0
		.amdhsa_workgroup_processor_mode 1
		.amdhsa_memory_ordered 1
		.amdhsa_forward_progress 0
		.amdhsa_shared_vgpr_count 0
		.amdhsa_exception_fp_ieee_invalid_op 0
		.amdhsa_exception_fp_denorm_src 0
		.amdhsa_exception_fp_ieee_div_zero 0
		.amdhsa_exception_fp_ieee_overflow 0
		.amdhsa_exception_fp_ieee_underflow 0
		.amdhsa_exception_fp_ieee_inexact 0
		.amdhsa_exception_int_div_zero 0
	.end_amdhsa_kernel
	.section	.text._ZN2at6native12_GLOBAL__N_114gatherKthValueIhiLi2EEEvNS_4cuda6detail10TensorInfoIKT_T0_EES8_S8_S8_S8_NS5_IS6_S8_EENS5_IlS8_EE,"axG",@progbits,_ZN2at6native12_GLOBAL__N_114gatherKthValueIhiLi2EEEvNS_4cuda6detail10TensorInfoIKT_T0_EES8_S8_S8_S8_NS5_IS6_S8_EENS5_IlS8_EE,comdat
.Lfunc_end1:
	.size	_ZN2at6native12_GLOBAL__N_114gatherKthValueIhiLi2EEEvNS_4cuda6detail10TensorInfoIKT_T0_EES8_S8_S8_S8_NS5_IS6_S8_EENS5_IlS8_EE, .Lfunc_end1-_ZN2at6native12_GLOBAL__N_114gatherKthValueIhiLi2EEEvNS_4cuda6detail10TensorInfoIKT_T0_EES8_S8_S8_S8_NS5_IS6_S8_EENS5_IlS8_EE
                                        ; -- End function
	.section	.AMDGPU.csdata,"",@progbits
; Kernel info:
; codeLenInByte = 9956
; NumSgprs: 94
; NumVgprs: 36
; ScratchSize: 0
; MemoryBound: 0
; FloatMode: 240
; IeeeMode: 1
; LDSByteSize: 4112 bytes/workgroup (compile time only)
; SGPRBlocks: 11
; VGPRBlocks: 4
; NumSGPRsForWavesPerEU: 94
; NumVGPRsForWavesPerEU: 36
; Occupancy: 16
; WaveLimiterHint : 1
; COMPUTE_PGM_RSRC2:SCRATCH_EN: 0
; COMPUTE_PGM_RSRC2:USER_SGPR: 13
; COMPUTE_PGM_RSRC2:TRAP_HANDLER: 0
; COMPUTE_PGM_RSRC2:TGID_X_EN: 1
; COMPUTE_PGM_RSRC2:TGID_Y_EN: 1
; COMPUTE_PGM_RSRC2:TGID_Z_EN: 1
; COMPUTE_PGM_RSRC2:TIDIG_COMP_CNT: 0
	.section	.text._ZN2at6native12_GLOBAL__N_114gatherKthValueIhiLi3EEEvNS_4cuda6detail10TensorInfoIKT_T0_EES8_S8_S8_S8_NS5_IS6_S8_EENS5_IlS8_EE,"axG",@progbits,_ZN2at6native12_GLOBAL__N_114gatherKthValueIhiLi3EEEvNS_4cuda6detail10TensorInfoIKT_T0_EES8_S8_S8_S8_NS5_IS6_S8_EENS5_IlS8_EE,comdat
	.globl	_ZN2at6native12_GLOBAL__N_114gatherKthValueIhiLi3EEEvNS_4cuda6detail10TensorInfoIKT_T0_EES8_S8_S8_S8_NS5_IS6_S8_EENS5_IlS8_EE ; -- Begin function _ZN2at6native12_GLOBAL__N_114gatherKthValueIhiLi3EEEvNS_4cuda6detail10TensorInfoIKT_T0_EES8_S8_S8_S8_NS5_IS6_S8_EENS5_IlS8_EE
	.p2align	8
	.type	_ZN2at6native12_GLOBAL__N_114gatherKthValueIhiLi3EEEvNS_4cuda6detail10TensorInfoIKT_T0_EES8_S8_S8_S8_NS5_IS6_S8_EENS5_IlS8_EE,@function
_ZN2at6native12_GLOBAL__N_114gatherKthValueIhiLi3EEEvNS_4cuda6detail10TensorInfoIKT_T0_EES8_S8_S8_S8_NS5_IS6_S8_EENS5_IlS8_EE: ; @_ZN2at6native12_GLOBAL__N_114gatherKthValueIhiLi3EEEvNS_4cuda6detail10TensorInfoIKT_T0_EES8_S8_S8_S8_NS5_IS6_S8_EENS5_IlS8_EE
; %bb.0:
	s_clause 0x1
	s_load_b64 s[8:9], s[0:1], 0x298
	s_load_b128 s[44:47], s[0:1], 0xd8
	s_add_u32 s2, s0, 0x298
	s_addc_u32 s3, s1, 0
	s_waitcnt lgkmcnt(0)
	s_mul_i32 s4, s9, s15
	s_delay_alu instid0(SALU_CYCLE_1) | instskip(NEXT) | instid1(SALU_CYCLE_1)
	s_add_i32 s4, s4, s14
	s_mul_i32 s29, s4, s8
	s_delay_alu instid0(SALU_CYCLE_1) | instskip(NEXT) | instid1(SALU_CYCLE_1)
	s_add_i32 s29, s29, s13
	s_cmp_ge_i32 s29, s46
	s_cbranch_scc1 .LBB2_255
; %bb.1:
	s_clause 0x3
	s_load_b64 s[10:11], s[0:1], 0xc
	s_load_b64 s[30:31], s[0:1], 0xf4
	;; [unrolled: 1-line block ×4, first 2 shown]
	s_abs_i32 s14, s29
	s_mov_b32 s65, 0
	s_waitcnt lgkmcnt(0)
	s_ashr_i32 s4, s11, 31
	s_delay_alu instid0(SALU_CYCLE_1) | instskip(NEXT) | instid1(SALU_CYCLE_1)
	s_add_i32 s5, s11, s4
	s_xor_b32 s5, s5, s4
	s_delay_alu instid0(SALU_CYCLE_1) | instskip(SKIP_1) | instid1(VALU_DEP_1)
	v_cvt_f32_u32_e32 v1, s5
	s_sub_i32 s7, 0, s5
	v_rcp_iflag_f32_e32 v1, v1
	s_waitcnt_depctr 0xfff
	v_mul_f32_e32 v1, 0x4f7ffffe, v1
	s_delay_alu instid0(VALU_DEP_1) | instskip(NEXT) | instid1(VALU_DEP_1)
	v_cvt_u32_f32_e32 v1, v1
	v_readfirstlane_b32 s6, v1
	s_delay_alu instid0(VALU_DEP_1) | instskip(NEXT) | instid1(SALU_CYCLE_1)
	s_mul_i32 s7, s7, s6
	s_mul_hi_u32 s7, s6, s7
	s_delay_alu instid0(SALU_CYCLE_1)
	s_add_i32 s6, s6, s7
	s_ashr_i32 s7, s29, 31
	s_mul_hi_u32 s6, s14, s6
	s_xor_b32 s4, s7, s4
	s_mul_i32 s9, s6, s5
	s_add_i32 s12, s6, 1
	s_sub_i32 s9, s14, s9
	s_delay_alu instid0(SALU_CYCLE_1)
	s_sub_i32 s15, s9, s5
	s_cmp_ge_u32 s9, s5
	s_cselect_b32 s6, s12, s6
	s_cselect_b32 s9, s15, s9
	s_add_i32 s12, s6, 1
	s_cmp_ge_u32 s9, s5
	s_cselect_b32 s5, s12, s6
	s_ashr_i32 s6, s31, 31
	s_abs_i32 s12, s10
	s_add_i32 s9, s31, s6
	v_cvt_f32_u32_e32 v2, s12
	s_xor_b32 s15, s9, s6
	s_xor_b32 s5, s5, s4
	v_cvt_f32_u32_e32 v1, s15
	s_sub_i32 s9, s5, s4
	v_rcp_iflag_f32_e32 v2, v2
	s_xor_b32 s5, s7, s6
	s_sub_i32 s6, 0, s15
	v_rcp_iflag_f32_e32 v1, v1
	s_sub_i32 s19, 0, s12
	s_ashr_i32 s16, s10, 31
	s_ashr_i32 s17, s9, 31
	s_abs_i32 s18, s9
	s_waitcnt_depctr 0xfff
	v_dual_mul_f32 v2, 0x4f7ffffe, v2 :: v_dual_mul_f32 v1, 0x4f7ffffe, v1
	s_delay_alu instid0(VALU_DEP_1) | instskip(NEXT) | instid1(VALU_DEP_2)
	v_cvt_u32_f32_e32 v2, v2
	v_cvt_u32_f32_e32 v1, v1
	s_delay_alu instid0(VALU_DEP_2) | instskip(NEXT) | instid1(VALU_DEP_2)
	v_readfirstlane_b32 s20, v2
	v_readfirstlane_b32 s4, v1
	s_delay_alu instid0(VALU_DEP_2) | instskip(NEXT) | instid1(VALU_DEP_1)
	s_mul_i32 s19, s19, s20
	s_mul_i32 s6, s6, s4
	s_delay_alu instid0(SALU_CYCLE_1) | instskip(NEXT) | instid1(SALU_CYCLE_1)
	s_mul_hi_u32 s6, s4, s6
	s_add_i32 s4, s4, s6
	s_mul_hi_u32 s6, s20, s19
	s_mul_hi_u32 s4, s14, s4
	s_add_i32 s20, s20, s6
	s_mul_i32 s19, s4, s15
	s_delay_alu instid0(SALU_CYCLE_1)
	s_sub_i32 s6, s14, s19
	s_add_i32 s19, s4, 1
	s_sub_i32 s21, s6, s15
	s_cmp_ge_u32 s6, s15
	s_cselect_b32 s4, s19, s4
	s_cselect_b32 s6, s21, s6
	s_add_i32 s19, s4, 1
	s_cmp_ge_u32 s6, s15
	s_cselect_b32 s4, s19, s4
	s_ashr_i32 s6, s35, 31
	s_abs_i32 s56, s30
	s_add_i32 s15, s35, s6
	v_cvt_f32_u32_e32 v2, s56
	s_xor_b32 s15, s15, s6
	s_xor_b32 s22, s7, s6
	v_cvt_f32_u32_e32 v1, s15
	s_sub_i32 s6, 0, s15
	v_rcp_iflag_f32_e32 v2, v2
	s_xor_b32 s4, s4, s5
	s_sub_i32 s21, 0, s56
	v_rcp_iflag_f32_e32 v1, v1
	s_sub_i32 s46, s4, s5
	s_delay_alu instid0(SALU_CYCLE_1) | instskip(SKIP_2) | instid1(VALU_DEP_1)
	s_abs_i32 s57, s46
	s_waitcnt_depctr 0xfff
	v_dual_mul_f32 v2, 0x4f7ffffe, v2 :: v_dual_mul_f32 v1, 0x4f7ffffe, v1
	v_cvt_u32_f32_e32 v2, v2
	s_delay_alu instid0(VALU_DEP_2) | instskip(NEXT) | instid1(VALU_DEP_2)
	v_cvt_u32_f32_e32 v1, v1
	v_readfirstlane_b32 s7, v2
	s_delay_alu instid0(VALU_DEP_2) | instskip(NEXT) | instid1(VALU_DEP_2)
	v_readfirstlane_b32 s19, v1
	s_mul_i32 s21, s21, s7
	s_delay_alu instid0(SALU_CYCLE_1) | instskip(NEXT) | instid1(VALU_DEP_1)
	s_mul_hi_u32 s5, s7, s21
	s_mul_i32 s6, s6, s19
	s_delay_alu instid0(SALU_CYCLE_1) | instskip(NEXT) | instid1(SALU_CYCLE_1)
	s_mul_hi_u32 s4, s19, s6
	s_add_i32 s19, s19, s4
	s_delay_alu instid0(SALU_CYCLE_1)
	s_mul_hi_u32 s4, s14, s19
	s_add_i32 s19, s7, s5
	s_mul_i32 s6, s4, s15
	s_mul_hi_u32 s61, s57, s19
	s_sub_i32 s5, s14, s6
	s_add_i32 s6, s4, 1
	s_sub_i32 s7, s5, s15
	s_cmp_ge_u32 s5, s15
	s_cselect_b32 s4, s6, s4
	s_cselect_b32 s5, s7, s5
	s_add_i32 s6, s4, 1
	s_cmp_ge_u32 s5, s15
	s_clause 0x1
	s_load_b128 s[40:43], s[0:1], 0x154
	s_load_b64 s[14:15], s[0:1], 0x0
	s_cselect_b32 s21, s6, s4
	s_abs_i32 s33, s34
	s_clause 0x2
	s_load_b128 s[36:39], s[0:1], 0x22c
	s_load_b64 s[50:51], s[0:1], 0xe8
	s_load_b128 s[4:7], s[0:1], 0x6c
	v_cvt_f32_u32_e32 v1, s33
	s_mul_hi_u32 s1, s18, s20
	s_sub_i32 s20, 0, s33
	s_xor_b32 s0, s21, s22
	s_delay_alu instid0(VALU_DEP_1)
	v_rcp_iflag_f32_e32 v1, v1
	s_waitcnt lgkmcnt(0)
	s_sub_i32 s39, s0, s22
	v_cmp_eq_u32_e64 s0, 0, v0
	s_abs_i32 s58, s39
	s_waitcnt_depctr 0xfff
	v_mul_f32_e32 v1, 0x4f7ffffe, v1
	s_delay_alu instid0(VALU_DEP_1) | instskip(NEXT) | instid1(VALU_DEP_1)
	v_cvt_u32_f32_e32 v1, v1
	v_readfirstlane_b32 s7, v1
	s_delay_alu instid0(VALU_DEP_1) | instskip(NEXT) | instid1(SALU_CYCLE_1)
	s_mul_i32 s20, s20, s7
	s_mul_hi_u32 s20, s7, s20
	s_delay_alu instid0(SALU_CYCLE_1) | instskip(NEXT) | instid1(SALU_CYCLE_1)
	s_add_i32 s7, s7, s20
	s_mul_hi_u32 s43, s58, s7
	s_and_saveexec_b32 s7, s0
	s_cbranch_execz .LBB2_3
; %bb.2:
	v_dual_mov_b32 v1, 0 :: v_dual_mov_b32 v2, s44
	s_delay_alu instid0(VALU_DEP_1)
	v_mov_b32_e32 v3, v1
	ds_store_b96 v1, v[1:3] offset:4096
.LBB2_3:
	s_or_b32 exec_lo, exec_lo, s7
	s_mul_i32 s7, s9, s11
	s_mul_i32 s11, s1, s12
	s_ashr_i32 s62, s46, 31
	s_sub_i32 s11, s18, s11
	s_ashr_i32 s63, s30, 31
	s_ashr_i32 s59, s39, 31
	;; [unrolled: 1-line block ×3, first 2 shown]
	s_sub_i32 s7, s29, s7
	s_xor_b32 s16, s17, s16
	s_add_i32 s17, s1, 1
	s_sub_i32 s18, s11, s12
	s_cmp_ge_u32 s11, s12
	s_waitcnt lgkmcnt(0)
	s_cselect_b32 s1, s17, s1
	s_cselect_b32 s11, s18, s11
	s_add_i32 s17, s1, 1
	s_cmp_ge_u32 s11, s12
	s_barrier
	buffer_gl0_inv
	s_load_b32 s11, s[2:3], 0xc
	s_cselect_b32 s1, s17, s1
	s_mul_i32 s7, s7, s6
	s_xor_b32 s1, s1, s16
	v_mbcnt_lo_u32_b32 v12, -1, 0
	s_sub_i32 s1, s1, s16
	v_cmp_gt_u32_e32 vcc_lo, 32, v0
	s_mul_i32 s10, s1, s10
	s_mul_i32 s1, s1, s4
	s_sub_i32 s9, s9, s10
	v_mul_lo_u32 v11, v0, s47
	s_mul_i32 s5, s9, s5
	v_dual_mov_b32 v22, 0 :: v_dual_lshlrev_b32 v13, 2, v0
	s_add_i32 s5, s5, s7
	v_lshrrev_b32_e32 v3, 3, v0
	s_add_i32 s5, s5, s1
	s_mov_b32 s10, s47
	s_ashr_i32 s1, s5, 31
	s_add_u32 s52, s14, s5
	s_addc_u32 s53, s15, s1
	s_waitcnt lgkmcnt(0)
	s_and_b32 s64, s11, 0xffff
	v_cmp_gt_i32_e64 s1, 4, v12
	s_lshl_b32 s66, s64, 2
	s_add_i32 s68, s64, -1
	v_cvt_f32_u32_e32 v1, s66
	s_bfe_u32 s4, s11, 0xb0005
	s_and_b32 s69, vcc_lo, s1
	s_add_i32 s79, s68, s44
	s_cmpk_gt_i32 s44, 0xc00
	v_rcp_iflag_f32_e32 v1, v1
	s_cselect_b32 s70, -1, 0
	s_cmp_gt_u32 s64, 31
	v_dual_mov_b32 v21, 0 :: v_dual_and_b32 v14, 0x7c, v3
	s_cselect_b32 s71, -1, 0
	s_cmp_lt_u32 s13, s8
	v_or_b32_e32 v3, 3, v13
	s_cselect_b32 s1, 12, 18
	v_mad_u64_u32 v[9:10], null, s47, v13, s[10:11]
	s_waitcnt_depctr 0xfff
	v_mul_f32_e32 v1, 0x4f7ffffe, v1
	s_add_u32 s54, s2, s1
	s_addc_u32 s55, s3, 0
	s_add_i32 s1, s4, -1
	s_bfe_u32 s72, s64, 0x30005
	v_cvt_u32_f32_e32 v1, v1
	s_cmp_gt_u32 s1, 6
	v_mul_lo_u32 v17, s47, v3
	s_cselect_b32 s73, -1, 0
	s_and_b32 s74, s4, 0x7f8
	v_readfirstlane_b32 s2, v1
	v_cvt_f32_u32_e32 v1, s64
	s_cmp_lg_u32 s72, 0
	v_add_co_u32 v5, s4, s52, v11
	s_cselect_b32 s75, -1, 0
	s_delay_alu instid0(VALU_DEP_2)
	v_rcp_iflag_f32_e32 v1, v1
	s_sub_i32 s1, 0, s66
	v_add_co_ci_u32_e64 v6, null, s53, 0, s4
	s_mul_i32 s1, s1, s2
	v_lshlrev_b32_e32 v18, 2, v11
	s_mul_hi_u32 s3, s2, s1
	v_cmp_eq_u32_e64 s1, 0, v12
	s_add_i32 s76, s2, s3
	v_cmp_gt_u32_e64 s2, 2, v0
	s_mul_hi_u32 s3, s44, s76
	s_waitcnt_depctr 0xfff
	v_mul_f32_e32 v1, 0x4f7ffffe, v1
	s_mul_i32 s3, s3, s66
	v_lshl_or_b32 v20, v12, 2, 0xc00
	s_sub_i32 s4, s44, s3
	v_cmp_gt_u32_e64 s3, s44, v0
	s_sub_i32 s5, s4, s66
	v_cvt_u32_f32_e32 v1, v1
	s_cmp_ge_u32 s4, s66
	s_mul_i32 s67, s47, s64
	s_cselect_b32 s5, s5, s4
	v_cmp_gt_i32_e64 s4, s44, v0
	s_sub_i32 s6, s5, s66
	v_readfirstlane_b32 s7, v1
	s_cmp_ge_u32 s5, s66
	v_lshlrev_b64 v[1:2], v12, -1
	s_cselect_b32 s9, s6, s5
	s_sub_i32 s5, 0, s64
	s_sub_i32 s78, s44, s9
	s_mul_i32 s5, s5, s7
	v_add_nc_u32_e32 v16, s78, v0
	s_mul_hi_u32 s5, s7, s5
	s_abs_i32 s6, s79
	s_add_i32 s77, s7, s5
	v_not_b32_e32 v15, v1
	s_mul_hi_u32 s5, s6, s77
	v_mul_lo_u32 v1, v16, s47
	s_mul_i32 s5, s5, s64
	s_ashr_i32 s7, s79, 31
	s_sub_i32 s5, s6, s5
	s_mov_b32 s80, 6
	s_sub_i32 s6, s5, s64
	s_cmp_ge_u32 s5, s64
	s_mov_b32 s87, 0
	s_cselect_b32 s6, s6, s5
	v_ashrrev_i32_e32 v2, 31, v1
	v_add_co_u32 v7, vcc_lo, s52, v1
	v_add3_u32 v1, s64, s44, v0
	s_sub_i32 s8, s6, s64
	s_cmp_ge_u32 s6, s64
	v_add_co_ci_u32_e32 v8, vcc_lo, s53, v2, vcc_lo
	s_cselect_b32 s8, s8, s6
	v_or_b32_e32 v2, 2, v13
	v_subrev_nc_u32_e32 v1, s9, v1
	s_xor_b32 s8, s8, s7
	v_cmp_gt_i32_e64 s5, s78, v13
	s_sub_i32 s7, s7, s8
	v_mul_lo_u32 v10, s47, v2
	v_mul_lo_u32 v19, s47, v1
	s_add_i32 s79, s79, s7
	v_cmp_gt_u32_e64 s6, s44, v16
	v_cmp_gt_i32_e64 s7, s44, v16
	v_cmp_gt_i32_e64 s8, s79, v0
	s_lshl_b32 s81, s67, 2
	s_mov_b32 s89, 0
	s_mov_b32 s90, 0
                                        ; implicit-def: $sgpr82
                                        ; implicit-def: $sgpr84
                                        ; implicit-def: $sgpr83
                                        ; implicit-def: $sgpr86
                                        ; implicit-def: $sgpr88
                                        ; implicit-def: $sgpr85
	s_branch .LBB2_8
.LBB2_4:                                ;   in Loop: Header=BB2_8 Depth=1
	s_xor_b32 s87, s87, 1
	s_add_i32 s13, s80, -2
	s_cmp_eq_u32 s80, 0
	s_mov_b32 s9, 0
	s_cselect_b32 s12, -1, 0
	s_mov_b32 s80, s13
.LBB2_5:                                ;   in Loop: Header=BB2_8 Depth=1
	s_and_not1_b32 s13, s15, exec_lo
	s_and_b32 s9, s9, exec_lo
	s_and_not1_b32 s16, s16, exec_lo
	s_or_b32 s15, s13, s9
	s_and_not1_b32 s14, s14, exec_lo
	s_or_not1_b32 s13, s12, exec_lo
	s_mov_b32 s45, s22
.LBB2_6:                                ;   in Loop: Header=BB2_8 Depth=1
	s_or_b32 exec_lo, exec_lo, s10
	s_delay_alu instid0(SALU_CYCLE_1)
	s_and_not1_b32 s9, s85, exec_lo
	s_and_b32 s10, s15, exec_lo
	s_and_not1_b32 s12, s86, exec_lo
	s_or_b32 s85, s9, s10
	s_and_not1_b32 s9, s88, exec_lo
	s_and_b32 s10, s16, exec_lo
	s_and_b32 s14, s14, exec_lo
	s_or_b32 s88, s9, s10
	s_or_b32 s86, s12, s14
	s_or_not1_b32 s14, s13, exec_lo
.LBB2_7:                                ;   in Loop: Header=BB2_8 Depth=1
	s_or_b32 exec_lo, exec_lo, s11
	s_delay_alu instid0(SALU_CYCLE_1)
	s_and_b32 s9, exec_lo, s14
	v_mov_b32_e32 v1, s89
	s_or_b32 s65, s9, s65
	s_and_not1_b32 s9, s83, exec_lo
	s_and_b32 s10, s85, exec_lo
	s_and_not1_b32 s11, s82, exec_lo
	s_or_b32 s83, s9, s10
	s_and_not1_b32 s9, s84, exec_lo
	s_and_b32 s10, s88, exec_lo
	s_and_b32 s12, s86, exec_lo
	s_or_b32 s84, s9, s10
	s_or_b32 s82, s11, s12
	s_and_not1_b32 exec_lo, exec_lo, s65
	s_cbranch_execz .LBB2_231
.LBB2_8:                                ; =>This Loop Header: Depth=1
                                        ;     Child Loop BB2_13 Depth 2
                                        ;     Child Loop BB2_32 Depth 2
	;; [unrolled: 1-line block ×16, first 2 shown]
	ds_load_b64 v[1:2], v21 offset:4096
	s_waitcnt lgkmcnt(0)
	v_readfirstlane_b32 s91, v1
	s_delay_alu instid0(VALU_DEP_1)
	s_cmp_gt_i32 s91, 0
	s_cbranch_scc1 .LBB2_39
; %bb.9:                                ;   in Loop: Header=BB2_8 Depth=1
	s_and_b32 vcc_lo, exec_lo, s70
	s_cbranch_vccz .LBB2_21
; %bb.10:                               ;   in Loop: Header=BB2_8 Depth=1
	v_cmp_gt_i32_e32 vcc_lo, 0xc01, v2
	s_mov_b32 s10, 0
	s_mov_b32 s9, 0
	s_cbranch_vccz .LBB2_26
; %bb.11:                               ;   in Loop: Header=BB2_8 Depth=1
	global_load_u16 v1, v21, s[54:55]
	global_load_u8 v23, v[5:6], off
	v_mov_b32_e32 v4, v0
	s_mov_b32 s11, 0
	s_waitcnt vmcnt(1)
	v_add_nc_u32_e32 v2, v0, v1
	v_mul_lo_u32 v3, s47, v1
	s_delay_alu instid0(VALU_DEP_2)
	v_mul_lo_u32 v2, s47, v2
	s_branch .LBB2_13
.LBB2_12:                               ;   in Loop: Header=BB2_13 Depth=2
	s_or_b32 exec_lo, exec_lo, s9
	v_cmp_le_i32_e32 vcc_lo, s44, v4
	v_dual_mov_b32 v23, v24 :: v_dual_add_nc_u32 v2, v2, v3
	s_or_b32 s11, vcc_lo, s11
	s_delay_alu instid0(SALU_CYCLE_1)
	s_and_not1_b32 exec_lo, exec_lo, s11
	s_cbranch_execz .LBB2_22
.LBB2_13:                               ;   Parent Loop BB2_8 Depth=1
                                        ; =>  This Inner Loop Header: Depth=2
	s_waitcnt lgkmcnt(0)
	v_dual_mov_b32 v25, 0 :: v_dual_add_nc_u32 v4, v4, v1
	v_mov_b32_e32 v24, 0
	s_mov_b32 s9, exec_lo
	s_delay_alu instid0(VALU_DEP_2)
	v_cmpx_gt_u32_e64 s44, v4
	s_cbranch_execz .LBB2_15
; %bb.14:                               ;   in Loop: Header=BB2_13 Depth=2
	global_load_u8 v24, v2, s[52:53]
.LBB2_15:                               ;   in Loop: Header=BB2_13 Depth=2
	s_or_b32 exec_lo, exec_lo, s9
	s_waitcnt vmcnt(0)
	v_and_b32_e32 v26, s90, v23
	s_delay_alu instid0(VALU_DEP_1) | instskip(NEXT) | instid1(VALU_DEP_1)
	v_and_b32_e32 v26, 0xff, v26
	v_cmp_eq_u32_e32 vcc_lo, s89, v26
	s_cmp_lg_u32 vcc_lo, 0
	s_cselect_b32 s9, -1, 0
	s_delay_alu instid0(SALU_CYCLE_1) | instskip(NEXT) | instid1(SALU_CYCLE_1)
	s_and_b32 s9, s1, s9
	s_and_saveexec_b32 s12, s9
	s_cbranch_execz .LBB2_19
; %bb.16:                               ;   in Loop: Header=BB2_13 Depth=2
	s_mov_b32 s15, exec_lo
	s_bcnt1_i32_b32 s13, vcc_lo
	v_mbcnt_lo_u32_b32 v25, s15, 0
	s_mov_b32 s14, exec_lo
                                        ; implicit-def: $vgpr26
	s_delay_alu instid0(VALU_DEP_1)
	v_cmpx_eq_u32_e32 0, v25
	s_cbranch_execz .LBB2_18
; %bb.17:                               ;   in Loop: Header=BB2_13 Depth=2
	s_bcnt1_i32_b32 s9, s15
	s_delay_alu instid0(SALU_CYCLE_1) | instskip(NEXT) | instid1(SALU_CYCLE_1)
	s_mul_i32 s9, s13, s9
	v_mov_b32_e32 v26, s9
	ds_add_rtn_u32 v26, v21, v26 offset:4104
.LBB2_18:                               ;   in Loop: Header=BB2_13 Depth=2
	s_or_b32 exec_lo, exec_lo, s14
	s_waitcnt lgkmcnt(0)
	v_readfirstlane_b32 s9, v26
	s_delay_alu instid0(VALU_DEP_1)
	v_mad_u32_u24 v25, s13, v25, s9
.LBB2_19:                               ;   in Loop: Header=BB2_13 Depth=2
	s_or_b32 exec_lo, exec_lo, s12
	ds_bpermute_b32 v25, v21, v25
	s_and_saveexec_b32 s9, vcc_lo
	s_cbranch_execz .LBB2_12
; %bb.20:                               ;   in Loop: Header=BB2_13 Depth=2
	v_and_b32_e32 v26, vcc_lo, v15
	s_waitcnt lgkmcnt(0)
	s_delay_alu instid0(VALU_DEP_1)
	v_bcnt_u32_b32 v25, v26, v25
	ds_store_b8 v25, v23
	s_branch .LBB2_12
.LBB2_21:                               ;   in Loop: Header=BB2_8 Depth=1
	s_mov_b32 s10, -1
	s_mov_b32 s9, 0
	s_branch .LBB2_25
.LBB2_22:                               ;   in Loop: Header=BB2_8 Depth=1
	s_or_b32 exec_lo, exec_lo, s11
	s_waitcnt lgkmcnt(0)
	s_barrier
	buffer_gl0_inv
	s_and_saveexec_b32 s9, s0
	s_cbranch_execz .LBB2_24
; %bb.23:                               ;   in Loop: Header=BB2_8 Depth=1
	ds_load_b32 v1, v21 offset:4104
	s_waitcnt lgkmcnt(0)
	ds_store_b32 v21, v1 offset:4096
.LBB2_24:                               ;   in Loop: Header=BB2_8 Depth=1
	s_or_b32 exec_lo, exec_lo, s9
	s_waitcnt lgkmcnt(0)
	s_mov_b32 s9, -1
	s_barrier
.LBB2_25:                               ;   in Loop: Header=BB2_8 Depth=1
                                        ; implicit-def: $sgpr91
.LBB2_26:                               ;   in Loop: Header=BB2_8 Depth=1
	s_and_b32 vcc_lo, exec_lo, s10
	s_cbranch_vccz .LBB2_37
; %bb.27:                               ;   in Loop: Header=BB2_8 Depth=1
	v_mov_b32_e32 v1, 0
	s_and_saveexec_b32 s9, s3
	s_cbranch_execz .LBB2_29
; %bb.28:                               ;   in Loop: Header=BB2_8 Depth=1
	global_load_u8 v1, v[5:6], off
.LBB2_29:                               ;   in Loop: Header=BB2_8 Depth=1
	s_or_b32 exec_lo, exec_lo, s9
	s_and_saveexec_b32 s9, s4
	s_cbranch_execz .LBB2_34
; %bb.30:                               ;   in Loop: Header=BB2_8 Depth=1
	global_load_u16 v2, v21, s[54:55]
	v_mov_b32_e32 v23, v0
	s_mov_b32 s10, 0
	s_waitcnt vmcnt(0)
	v_add_nc_u32_e32 v3, v0, v2
	v_mul_lo_u32 v4, s47, v2
	s_delay_alu instid0(VALU_DEP_2)
	v_mul_lo_u32 v3, s47, v3
	s_branch .LBB2_32
	.p2align	6
.LBB2_31:                               ;   in Loop: Header=BB2_32 Depth=2
	s_or_b32 exec_lo, exec_lo, s11
	v_cmp_le_i32_e32 vcc_lo, s44, v24
	ds_store_b8 v23, v1
	v_add_nc_u32_e32 v3, v3, v4
	s_waitcnt vmcnt(0)
	v_mov_b32_e32 v1, v25
	v_mov_b32_e32 v23, v24
	s_or_b32 s10, vcc_lo, s10
	s_delay_alu instid0(SALU_CYCLE_1)
	s_and_not1_b32 exec_lo, exec_lo, s10
	s_cbranch_execz .LBB2_34
.LBB2_32:                               ;   Parent Loop BB2_8 Depth=1
                                        ; =>  This Inner Loop Header: Depth=2
	s_delay_alu instid0(VALU_DEP_1) | instskip(SKIP_1) | instid1(VALU_DEP_1)
	v_dual_mov_b32 v25, 0 :: v_dual_add_nc_u32 v24, v23, v2
	s_mov_b32 s11, exec_lo
	v_cmpx_gt_u32_e64 s44, v24
	s_cbranch_execz .LBB2_31
; %bb.33:                               ;   in Loop: Header=BB2_32 Depth=2
	global_load_u8 v25, v3, s[52:53]
	s_branch .LBB2_31
.LBB2_34:                               ;   in Loop: Header=BB2_8 Depth=1
	s_or_b32 exec_lo, exec_lo, s9
	s_waitcnt vmcnt(0) lgkmcnt(0)
	s_barrier
	buffer_gl0_inv
	s_and_saveexec_b32 s9, s0
	s_cbranch_execz .LBB2_36
; %bb.35:                               ;   in Loop: Header=BB2_8 Depth=1
	v_mov_b32_e32 v1, s44
	ds_store_b32 v21, v1 offset:4096
.LBB2_36:                               ;   in Loop: Header=BB2_8 Depth=1
	s_or_b32 exec_lo, exec_lo, s9
	s_mov_b32 s9, -1
	s_waitcnt lgkmcnt(0)
	s_barrier
                                        ; implicit-def: $sgpr91
.LBB2_37:                               ;   in Loop: Header=BB2_8 Depth=1
	s_and_b32 vcc_lo, exec_lo, s9
	s_cbranch_vccz .LBB2_39
; %bb.38:                               ;   in Loop: Header=BB2_8 Depth=1
	buffer_gl0_inv
	ds_load_b32 v1, v21 offset:4096
	s_waitcnt lgkmcnt(0)
	v_readfirstlane_b32 s91, v1
.LBB2_39:                               ;   in Loop: Header=BB2_8 Depth=1
	s_delay_alu instid0(VALU_DEP_1)
	s_cmp_lt_i32 s91, 1
	s_cbranch_scc0 .LBB2_43
; %bb.40:                               ;   in Loop: Header=BB2_8 Depth=1
	v_dual_mov_b32 v1, 0 :: v_dual_mov_b32 v2, 0
	v_dual_mov_b32 v3, 0 :: v_dual_mov_b32 v4, 0
	s_mov_b32 s93, 0
	s_and_saveexec_b32 s92, s5
	s_cbranch_execnz .LBB2_44
; %bb.41:                               ;   in Loop: Header=BB2_8 Depth=1
	s_or_b32 exec_lo, exec_lo, s92
	v_mov_b32_e32 v25, 0
	s_and_saveexec_b32 s9, s6
	s_cbranch_execnz .LBB2_47
.LBB2_42:                               ;   in Loop: Header=BB2_8 Depth=1
	s_or_b32 exec_lo, exec_lo, s9
	s_and_saveexec_b32 s13, s7
	s_cbranch_execnz .LBB2_48
	s_branch .LBB2_53
.LBB2_43:                               ;   in Loop: Header=BB2_8 Depth=1
                                        ; implicit-def: $vgpr4
	s_cbranch_execnz .LBB2_54
	s_branch .LBB2_63
.LBB2_44:                               ;   in Loop: Header=BB2_8 Depth=1
	v_mov_b32_e32 v23, v13
	s_and_b32 s94, s80, 0xfe
	s_mov_b32 s95, 0
	s_mov_b32 s96, 0
	;; [unrolled: 1-line block ×5, first 2 shown]
.LBB2_45:                               ;   Parent Loop BB2_8 Depth=1
                                        ; =>  This Inner Loop Header: Depth=2
	v_add_nc_u32_e32 v2, s95, v18
	v_add_nc_u32_e32 v1, s95, v9
	;; [unrolled: 1-line block ×5, first 2 shown]
	v_ashrrev_i32_e32 v25, 31, v2
	v_ashrrev_i32_e32 v28, 31, v1
	;; [unrolled: 1-line block ×4, first 2 shown]
	v_add_co_u32 v26, s11, s52, v2
	v_add_co_u32 v1, vcc_lo, s52, v1
	v_add_co_u32 v3, s9, s52, v3
	v_add_co_ci_u32_e64 v27, s11, s53, v25, s11
	v_add_co_u32 v24, s10, s52, v4
	v_add_co_ci_u32_e32 v2, vcc_lo, s53, v28, vcc_lo
	v_add_co_ci_u32_e64 v4, vcc_lo, s53, v29, s9
	v_add_co_ci_u32_e64 v25, vcc_lo, s53, v30, s10
	s_clause 0x3
	global_load_u8 v26, v[26:27], off
	global_load_u8 v1, v[1:2], off
	;; [unrolled: 1-line block ×4, first 2 shown]
	v_cmp_le_i32_e32 vcc_lo, s78, v23
	s_add_i32 s95, s95, s81
	s_waitcnt vmcnt(3)
	v_and_b32_e32 v4, s90, v26
	v_bfe_u32 v26, v26, s94, 2
	s_waitcnt vmcnt(2)
	v_and_b32_e32 v24, s90, v1
	v_bfe_u32 v1, v1, s94, 2
	;; [unrolled: 3-line block ×3, first 2 shown]
	v_cmp_eq_u32_e64 s9, s89, v4
	v_cmp_eq_u32_e64 s13, 0, v26
	s_waitcnt vmcnt(0)
	v_and_b32_e32 v27, s90, v3
	v_bfe_u32 v3, v3, s94, 2
	v_cmp_eq_u32_e64 s10, s89, v24
	v_cmp_eq_u32_e64 s14, 0, v1
	;; [unrolled: 1-line block ×4, first 2 shown]
	s_and_b32 s13, s9, s13
	v_cmp_eq_u32_e64 s12, s89, v27
	v_cmp_eq_u32_e64 s16, 0, v3
	;; [unrolled: 1-line block ×5, first 2 shown]
	v_cndmask_b32_e64 v1, 0, 1, s13
	s_and_b32 s13, s10, s14
	v_cmp_eq_u32_e64 s17, 1, v26
	v_cmp_eq_u32_e64 s19, 1, v2
	;; [unrolled: 1-line block ×4, first 2 shown]
	v_cndmask_b32_e64 v2, 0, 1, s13
	s_and_b32 s13, s11, s15
	v_cmp_eq_u32_e64 s20, 1, v3
	v_cmp_eq_u32_e64 s24, 2, v3
	;; [unrolled: 1-line block ×3, first 2 shown]
	v_cndmask_b32_e64 v3, 0, 1, s13
	s_and_b32 s13, s12, s16
	v_cmp_eq_u32_e64 s21, 2, v26
	v_cndmask_b32_e64 v4, 0, 1, s13
	s_and_b32 s13, s9, s17
	v_cmp_eq_u32_e64 s25, 3, v26
	v_cndmask_b32_e64 v24, 0, 1, s13
	s_and_b32 s13, s10, s18
	s_delay_alu instid0(SALU_CYCLE_1) | instskip(SKIP_1) | instid1(SALU_CYCLE_1)
	v_cndmask_b32_e64 v25, 0, 1, s13
	s_and_b32 s13, s11, s19
	v_cndmask_b32_e64 v26, 0, 1, s13
	s_and_b32 s13, s12, s20
	s_delay_alu instid0(VALU_DEP_2)
	v_cmp_ne_u32_e64 s14, 0, v25
	v_cndmask_b32_e64 v27, 0, 1, s13
	s_and_b32 s13, s9, s21
	s_and_b32 s9, s9, s25
	v_cndmask_b32_e64 v28, 0, 1, s13
	s_and_b32 s13, s10, s22
	v_cndmask_b32_e64 v32, 0, 1, s9
	;; [unrolled: 2-line block ×7, first 2 shown]
	v_cndmask_b32_e64 v35, 0, 1, s9
	v_cmp_ne_u32_e64 s9, 0, v1
	v_cmp_ne_u32_e64 s13, 0, v24
	;; [unrolled: 1-line block ×11, first 2 shown]
	s_bcnt1_i32_b32 s9, s9
	s_bcnt1_i32_b32 s13, s13
	;; [unrolled: 1-line block ×4, first 2 shown]
	v_cmp_ne_u32_e64 s12, 0, v4
	v_cmp_ne_u32_e64 s16, 0, v27
	;; [unrolled: 1-line block ×4, first 2 shown]
	s_bcnt1_i32_b32 s10, s10
	s_bcnt1_i32_b32 s14, s14
	s_bcnt1_i32_b32 s18, s18
	s_bcnt1_i32_b32 s22, s22
	s_add_i32 s9, s9, s99
	s_add_i32 s13, s13, s98
	s_add_i32 s17, s17, s97
	s_add_i32 s21, s21, s96
	s_bcnt1_i32_b32 s11, s11
	s_bcnt1_i32_b32 s15, s15
	s_bcnt1_i32_b32 s19, s19
	s_bcnt1_i32_b32 s23, s23
	s_add_i32 s9, s9, s10
	s_add_i32 s10, s13, s14
	s_add_i32 s13, s17, s18
	s_add_i32 s14, s21, s22
	s_bcnt1_i32_b32 s12, s12
	s_bcnt1_i32_b32 s16, s16
	s_bcnt1_i32_b32 s20, s20
	s_bcnt1_i32_b32 s24, s24
	s_add_i32 s9, s9, s11
	s_add_i32 s10, s10, s15
	s_add_i32 s11, s13, s19
	s_add_i32 s13, s14, s23
	s_add_i32 s99, s9, s12
	s_add_i32 s98, s10, s16
	;; [unrolled: 1-line block ×4, first 2 shown]
	v_mov_b32_e32 v3, s97
	v_dual_mov_b32 v1, s99 :: v_dual_mov_b32 v2, s98
	v_mov_b32_e32 v4, s96
	s_or_b32 s93, vcc_lo, s93
	s_delay_alu instid0(SALU_CYCLE_1)
	s_and_not1_b32 exec_lo, exec_lo, s93
	s_cbranch_execnz .LBB2_45
; %bb.46:                               ;   in Loop: Header=BB2_8 Depth=1
	s_or_b32 exec_lo, exec_lo, s93
	s_delay_alu instid0(SALU_CYCLE_1)
	s_or_b32 exec_lo, exec_lo, s92
	v_mov_b32_e32 v25, 0
	s_and_saveexec_b32 s9, s6
	s_cbranch_execz .LBB2_42
.LBB2_47:                               ;   in Loop: Header=BB2_8 Depth=1
	global_load_u8 v25, v[7:8], off
	s_or_b32 exec_lo, exec_lo, s9
	s_and_saveexec_b32 s13, s7
	s_cbranch_execz .LBB2_53
.LBB2_48:                               ;   in Loop: Header=BB2_8 Depth=1
	v_dual_mov_b32 v23, v19 :: v_dual_mov_b32 v24, v16
	s_and_b32 s15, s80, 0xfe
	s_mov_b32 s14, 0
	s_branch .LBB2_50
.LBB2_49:                               ;   in Loop: Header=BB2_50 Depth=2
	s_or_b32 exec_lo, exec_lo, s9
	s_waitcnt vmcnt(0)
	v_and_b32_e32 v25, 0xff, v25
	v_add_nc_u32_e32 v23, s67, v23
	s_delay_alu instid0(VALU_DEP_2) | instskip(SKIP_1) | instid1(VALU_DEP_2)
	v_and_b32_e32 v27, s90, v25
	v_bfe_u32 v25, v25, s15, 2
	v_cmp_eq_u32_e32 vcc_lo, s89, v27
	s_delay_alu instid0(VALU_DEP_2) | instskip(SKIP_3) | instid1(VALU_DEP_4)
	v_cmp_eq_u32_e64 s9, 0, v25
	v_cmp_eq_u32_e64 s10, 1, v25
	;; [unrolled: 1-line block ×4, first 2 shown]
	s_and_b32 s9, vcc_lo, s9
	s_delay_alu instid0(SALU_CYCLE_1) | instskip(SKIP_1) | instid1(SALU_CYCLE_1)
	v_cndmask_b32_e64 v25, 0, 1, s9
	s_and_b32 s9, vcc_lo, s10
	v_cndmask_b32_e64 v27, 0, 1, s9
	s_and_b32 s9, vcc_lo, s11
	s_delay_alu instid0(SALU_CYCLE_1)
	v_cndmask_b32_e64 v28, 0, 1, s9
	s_and_b32 s9, vcc_lo, s12
	v_cmp_ne_u32_e32 vcc_lo, 0, v25
	v_cndmask_b32_e64 v29, 0, 1, s9
	v_cmp_ne_u32_e64 s9, 0, v27
	v_cmp_ne_u32_e64 s10, 0, v28
	v_cmp_le_i32_e64 s12, s44, v24
	s_bcnt1_i32_b32 s16, vcc_lo
	v_cmp_ne_u32_e64 s11, 0, v29
	s_bcnt1_i32_b32 s9, s9
	s_bcnt1_i32_b32 s10, s10
	v_add_nc_u32_e32 v1, s16, v1
	v_dual_mov_b32 v25, v26 :: v_dual_add_nc_u32 v2, s9, v2
	s_bcnt1_i32_b32 s11, s11
	v_add_nc_u32_e32 v3, s10, v3
	v_add_nc_u32_e32 v4, s11, v4
	s_or_b32 s14, s12, s14
	s_delay_alu instid0(SALU_CYCLE_1)
	s_and_not1_b32 exec_lo, exec_lo, s14
	s_cbranch_execz .LBB2_52
.LBB2_50:                               ;   Parent Loop BB2_8 Depth=1
                                        ; =>  This Inner Loop Header: Depth=2
	s_delay_alu instid0(VALU_DEP_1) | instskip(SKIP_2) | instid1(VALU_DEP_2)
	v_add_nc_u32_e32 v24, s64, v24
	v_mov_b32_e32 v26, 0
	s_mov_b32 s9, exec_lo
	v_cmpx_gt_u32_e64 s44, v24
	s_cbranch_execz .LBB2_49
; %bb.51:                               ;   in Loop: Header=BB2_50 Depth=2
	v_ashrrev_i32_e32 v27, 31, v23
	v_add_co_u32 v26, vcc_lo, s52, v23
	s_delay_alu instid0(VALU_DEP_2)
	v_add_co_ci_u32_e32 v27, vcc_lo, s53, v27, vcc_lo
	global_load_u8 v26, v[26:27], off
	s_branch .LBB2_49
.LBB2_52:                               ;   in Loop: Header=BB2_8 Depth=1
	s_or_b32 exec_lo, exec_lo, s14
.LBB2_53:                               ;   in Loop: Header=BB2_8 Depth=1
	s_delay_alu instid0(SALU_CYCLE_1)
	s_or_b32 exec_lo, exec_lo, s13
	s_branch .LBB2_63
.LBB2_54:                               ;   in Loop: Header=BB2_8 Depth=1
	s_mul_hi_u32 s9, s91, s76
	v_dual_mov_b32 v1, 0 :: v_dual_mov_b32 v2, 0
	s_mul_i32 s9, s9, s66
	v_dual_mov_b32 v3, 0 :: v_dual_mov_b32 v4, 0
	s_sub_i32 s9, s91, s9
	s_mov_b32 s94, 0
	s_sub_i32 s10, s9, s66
	s_cmp_ge_u32 s9, s66
	s_mov_b32 s93, exec_lo
	s_cselect_b32 s9, s10, s9
	s_delay_alu instid0(SALU_CYCLE_1) | instskip(SKIP_2) | instid1(SALU_CYCLE_1)
	s_sub_i32 s10, s9, s66
	s_cmp_ge_u32 s9, s66
	s_cselect_b32 s9, s10, s9
	s_sub_i32 s92, s91, s9
	s_delay_alu instid0(SALU_CYCLE_1)
	v_cmpx_gt_u32_e64 s92, v13
	s_cbranch_execz .LBB2_58
; %bb.55:                               ;   in Loop: Header=BB2_8 Depth=1
	v_mov_b32_e32 v23, v13
	s_and_b32 s95, s80, 0xfe
	s_mov_b32 s96, 0
	s_mov_b32 s97, 0
	;; [unrolled: 1-line block ×4, first 2 shown]
.LBB2_56:                               ;   Parent Loop BB2_8 Depth=1
                                        ; =>  This Inner Loop Header: Depth=2
	ds_load_b32 v1, v23
	s_waitcnt lgkmcnt(0)
	v_and_b32_e32 v2, 0xff, v1
	v_bfe_u32 v3, v1, 8, 8
	v_bfe_u32 v4, v1, 16, 8
	v_lshrrev_b32_e32 v1, 24, v1
	s_delay_alu instid0(VALU_DEP_4)
	v_and_b32_e32 v24, s90, v2
	v_bfe_u32 v2, v2, s95, 2
	s_waitcnt vmcnt(0)
	v_and_b32_e32 v25, s90, v3
	v_bfe_u32 v3, v3, s95, 2
	v_and_b32_e32 v26, s90, v4
	v_bfe_u32 v4, v4, s95, 2
	v_cmp_eq_u32_e64 s9, s89, v24
	v_cmp_eq_u32_e64 s13, 0, v2
	v_and_b32_e32 v27, s90, v1
	v_bfe_u32 v1, v1, s95, 2
	v_cmp_eq_u32_e64 s10, s89, v25
	v_cmp_eq_u32_e64 s14, 0, v3
	;; [unrolled: 1-line block ×4, first 2 shown]
	s_and_b32 s13, s9, s13
	v_cmp_eq_u32_e64 s12, s89, v27
	v_cmp_eq_u32_e64 s16, 0, v1
	;; [unrolled: 1-line block ×5, first 2 shown]
	v_cndmask_b32_e64 v1, 0, 1, s13
	s_and_b32 s13, s10, s14
	v_cmp_eq_u32_e64 s17, 1, v2
	v_cmp_eq_u32_e64 s21, 2, v2
	v_cmp_eq_u32_e64 s25, 3, v2
	v_cndmask_b32_e64 v2, 0, 1, s13
	s_and_b32 s13, s11, s15
	v_cmp_eq_u32_e64 s18, 1, v3
	v_cmp_eq_u32_e64 s22, 2, v3
	v_cmp_eq_u32_e64 s26, 3, v3
	;; [unrolled: 5-line block ×3, first 2 shown]
	v_cndmask_b32_e64 v4, 0, 1, s13
	s_and_b32 s13, s9, s17
	s_delay_alu instid0(SALU_CYCLE_1) | instskip(SKIP_1) | instid1(SALU_CYCLE_1)
	v_cndmask_b32_e64 v24, 0, 1, s13
	s_and_b32 s13, s10, s18
	v_cndmask_b32_e64 v25, 0, 1, s13
	s_and_b32 s13, s11, s19
	s_delay_alu instid0(SALU_CYCLE_1) | instskip(SKIP_1) | instid1(VALU_DEP_2)
	v_cndmask_b32_e64 v26, 0, 1, s13
	s_and_b32 s13, s12, s20
	v_cmp_ne_u32_e64 s14, 0, v25
	v_cndmask_b32_e64 v27, 0, 1, s13
	s_and_b32 s13, s9, s21
	s_and_b32 s9, s9, s25
	v_cndmask_b32_e64 v28, 0, 1, s13
	s_and_b32 s13, s10, s22
	v_cndmask_b32_e64 v32, 0, 1, s9
	s_and_b32 s9, s10, s26
	v_cndmask_b32_e64 v29, 0, 1, s13
	s_and_b32 s13, s11, s23
	v_cndmask_b32_e64 v33, 0, 1, s9
	s_and_b32 s9, s11, s27
	v_cndmask_b32_e64 v30, 0, 1, s13
	s_and_b32 s13, s12, s24
	v_cndmask_b32_e64 v34, 0, 1, s9
	s_and_b32 s9, s12, s28
	v_cndmask_b32_e64 v31, 0, 1, s13
	v_cndmask_b32_e64 v35, 0, 1, s9
	v_cmp_ne_u32_e64 s9, 0, v1
	v_cmp_ne_u32_e64 s13, 0, v24
	;; [unrolled: 1-line block ×6, first 2 shown]
	s_bcnt1_i32_b32 s9, s9
	s_bcnt1_i32_b32 s13, s13
	v_cmp_ne_u32_e64 s16, 0, v27
	v_cmp_ne_u32_e64 s18, 0, v29
	;; [unrolled: 1-line block ×3, first 2 shown]
	s_bcnt1_i32_b32 s10, s10
	s_bcnt1_i32_b32 s14, s14
	s_add_i32 s9, s9, s99
	s_add_i32 s13, s13, s98
	v_cmp_ne_u32_e64 s11, 0, v3
	v_cmp_ne_u32_e64 s19, 0, v30
	;; [unrolled: 1-line block ×3, first 2 shown]
	s_bcnt1_i32_b32 s15, s15
	s_add_i32 s9, s9, s10
	s_add_i32 s10, s13, s14
	s_bcnt1_i32_b32 s17, s17
	s_bcnt1_i32_b32 s21, s21
	v_cmp_ne_u32_e64 s12, 0, v4
	v_cmp_ne_u32_e64 s20, 0, v31
	;; [unrolled: 1-line block ×3, first 2 shown]
	s_bcnt1_i32_b32 s16, s16
	s_add_i32 s10, s10, s15
	s_bcnt1_i32_b32 s18, s18
	s_bcnt1_i32_b32 s22, s22
	s_add_i32 s17, s17, s97
	s_add_i32 s21, s21, s96
	s_add_i32 s98, s10, s16
	s_delay_alu instid0(SALU_CYCLE_1)
	v_dual_mov_b32 v2, s98 :: v_dual_add_nc_u32 v23, s66, v23
	s_bcnt1_i32_b32 s11, s11
	s_bcnt1_i32_b32 s19, s19
	;; [unrolled: 1-line block ×3, first 2 shown]
	s_add_i32 s13, s17, s18
	s_add_i32 s14, s21, s22
	s_bcnt1_i32_b32 s12, s12
	s_bcnt1_i32_b32 s20, s20
	;; [unrolled: 1-line block ×3, first 2 shown]
	s_add_i32 s9, s9, s11
	s_add_i32 s11, s13, s19
	;; [unrolled: 1-line block ×3, first 2 shown]
	v_cmp_le_i32_e32 vcc_lo, s92, v23
	s_add_i32 s99, s9, s12
	s_add_i32 s97, s11, s20
	;; [unrolled: 1-line block ×3, first 2 shown]
	v_mov_b32_e32 v1, s99
	v_dual_mov_b32 v3, s97 :: v_dual_mov_b32 v4, s96
	s_or_b32 s94, vcc_lo, s94
	s_delay_alu instid0(SALU_CYCLE_1)
	s_and_not1_b32 exec_lo, exec_lo, s94
	s_cbranch_execnz .LBB2_56
; %bb.57:                               ;   in Loop: Header=BB2_8 Depth=1
	s_or_b32 exec_lo, exec_lo, s94
.LBB2_58:                               ;   in Loop: Header=BB2_8 Depth=1
	s_delay_alu instid0(SALU_CYCLE_1) | instskip(SKIP_2) | instid1(VALU_DEP_1)
	s_or_b32 exec_lo, exec_lo, s93
	v_add_nc_u32_e32 v23, s92, v0
	s_mov_b32 s14, exec_lo
	v_cmpx_gt_i32_e64 s91, v23
	s_cbranch_execz .LBB2_62
; %bb.59:                               ;   in Loop: Header=BB2_8 Depth=1
	s_and_b32 s16, s80, 0xfe
	s_mov_b32 s15, 0
	s_set_inst_prefetch_distance 0x1
	.p2align	6
.LBB2_60:                               ;   Parent Loop BB2_8 Depth=1
                                        ; =>  This Inner Loop Header: Depth=2
	ds_load_u8 v24, v23
	v_add_nc_u32_e32 v23, s64, v23
	s_delay_alu instid0(VALU_DEP_1) | instskip(SKIP_3) | instid1(VALU_DEP_2)
	v_cmp_le_i32_e32 vcc_lo, s91, v23
	s_waitcnt vmcnt(0) lgkmcnt(0)
	v_and_b32_e32 v25, s90, v24
	v_bfe_u32 v24, v24, s16, 2
	v_cmp_eq_u32_e64 s9, s89, v25
	s_delay_alu instid0(VALU_DEP_2) | instskip(SKIP_3) | instid1(VALU_DEP_4)
	v_cmp_eq_u32_e64 s10, 0, v24
	v_cmp_eq_u32_e64 s11, 1, v24
	;; [unrolled: 1-line block ×4, first 2 shown]
	s_and_b32 s10, s9, s10
	s_delay_alu instid0(SALU_CYCLE_1) | instskip(SKIP_1) | instid1(SALU_CYCLE_1)
	v_cndmask_b32_e64 v24, 0, 1, s10
	s_and_b32 s10, s9, s11
	v_cndmask_b32_e64 v25, 0, 1, s10
	s_and_b32 s10, s9, s12
	s_and_b32 s9, s9, s13
	v_cndmask_b32_e64 v26, 0, 1, s10
	v_cndmask_b32_e64 v27, 0, 1, s9
	v_cmp_ne_u32_e64 s9, 0, v24
	v_cmp_ne_u32_e64 s10, 0, v25
	s_delay_alu instid0(VALU_DEP_4) | instskip(NEXT) | instid1(VALU_DEP_4)
	v_cmp_ne_u32_e64 s11, 0, v26
	v_cmp_ne_u32_e64 s12, 0, v27
	s_delay_alu instid0(VALU_DEP_4) | instskip(NEXT) | instid1(VALU_DEP_3)
	s_bcnt1_i32_b32 s9, s9
	s_bcnt1_i32_b32 s10, s10
	v_add_nc_u32_e32 v1, s9, v1
	s_bcnt1_i32_b32 s11, s11
	s_bcnt1_i32_b32 s12, s12
	v_add_nc_u32_e32 v2, s10, v2
	v_add_nc_u32_e32 v3, s11, v3
	;; [unrolled: 1-line block ×3, first 2 shown]
	s_or_b32 s15, vcc_lo, s15
	s_delay_alu instid0(SALU_CYCLE_1)
	s_and_not1_b32 exec_lo, exec_lo, s15
	s_cbranch_execnz .LBB2_60
; %bb.61:                               ;   in Loop: Header=BB2_8 Depth=1
	s_set_inst_prefetch_distance 0x2
	s_or_b32 exec_lo, exec_lo, s15
.LBB2_62:                               ;   in Loop: Header=BB2_8 Depth=1
	s_delay_alu instid0(SALU_CYCLE_1)
	s_or_b32 exec_lo, exec_lo, s14
.LBB2_63:                               ;   in Loop: Header=BB2_8 Depth=1
	s_lshl_b32 s9, s87, 7
	s_and_saveexec_b32 s10, s1
	s_cbranch_execz .LBB2_65
; %bb.64:                               ;   in Loop: Header=BB2_8 Depth=1
	v_or_b32_e32 v23, s9, v14
	s_delay_alu instid0(VALU_DEP_1)
	v_lshlrev_b32_e32 v23, 2, v23
	ds_store_b128 v23, v[1:4] offset:3072
.LBB2_65:                               ;   in Loop: Header=BB2_8 Depth=1
	s_or_b32 exec_lo, exec_lo, s10
	s_waitcnt vmcnt(0) lgkmcnt(0)
	s_barrier
	buffer_gl0_inv
	s_and_saveexec_b32 s10, s69
	s_cbranch_execz .LBB2_75
; %bb.66:                               ;   in Loop: Header=BB2_8 Depth=1
	v_mov_b32_e32 v1, 0
	s_and_not1_b32 vcc_lo, exec_lo, s71
	s_cbranch_vccnz .LBB2_74
; %bb.67:                               ;   in Loop: Header=BB2_8 Depth=1
	v_mov_b32_e32 v1, 0
	s_and_not1_b32 vcc_lo, exec_lo, s73
	s_mov_b32 s11, 0
	s_cbranch_vccnz .LBB2_71
; %bb.68:                               ;   in Loop: Header=BB2_8 Depth=1
	v_lshl_add_u32 v2, s87, 9, v20
	v_mov_b32_e32 v1, 0
	.p2align	6
.LBB2_69:                               ;   Parent Loop BB2_8 Depth=1
                                        ; =>  This Inner Loop Header: Depth=2
	ds_load_2addr_b32 v[3:4], v2 offset1:4
	ds_load_2addr_b32 v[23:24], v2 offset0:8 offset1:12
	ds_load_2addr_b32 v[25:26], v2 offset0:16 offset1:20
	;; [unrolled: 1-line block ×3, first 2 shown]
	v_add_nc_u32_e32 v2, 0x80, v2
	s_add_i32 s11, s11, 8
	s_delay_alu instid0(SALU_CYCLE_1) | instskip(SKIP_3) | instid1(VALU_DEP_1)
	s_cmp_eq_u32 s74, s11
	s_waitcnt lgkmcnt(3)
	v_add3_u32 v1, v3, v1, v4
	s_waitcnt lgkmcnt(2)
	v_add3_u32 v1, v23, v1, v24
	s_waitcnt lgkmcnt(1)
	s_delay_alu instid0(VALU_DEP_1) | instskip(SKIP_1) | instid1(VALU_DEP_1)
	v_add3_u32 v1, v25, v1, v26
	s_waitcnt lgkmcnt(0)
	v_add3_u32 v1, v27, v1, v28
	s_cbranch_scc0 .LBB2_69
; %bb.70:                               ;   in Loop: Header=BB2_8 Depth=1
	s_mov_b32 s11, s74
.LBB2_71:                               ;   in Loop: Header=BB2_8 Depth=1
	s_and_not1_b32 vcc_lo, exec_lo, s75
	s_cbranch_vccnz .LBB2_74
; %bb.72:                               ;   in Loop: Header=BB2_8 Depth=1
	s_lshl_b32 s12, s87, 9
	s_lshl_b32 s11, s11, 4
	s_delay_alu instid0(SALU_CYCLE_1)
	v_add3_u32 v2, s12, s11, v20
	s_mov_b32 s11, s72
.LBB2_73:                               ;   Parent Loop BB2_8 Depth=1
                                        ; =>  This Inner Loop Header: Depth=2
	ds_load_b32 v3, v2
	v_add_nc_u32_e32 v2, 16, v2
	s_add_i32 s11, s11, -1
	s_delay_alu instid0(SALU_CYCLE_1)
	s_cmp_lg_u32 s11, 0
	s_waitcnt lgkmcnt(0)
	v_add_nc_u32_e32 v1, v3, v1
	s_cbranch_scc1 .LBB2_73
.LBB2_74:                               ;   in Loop: Header=BB2_8 Depth=1
	v_add_lshl_u32 v2, s9, v12, 2
	ds_store_b32 v2, v1 offset:3072
.LBB2_75:                               ;   in Loop: Header=BB2_8 Depth=1
	s_or_b32 exec_lo, exec_lo, s10
	s_lshl_b32 s9, s9, 2
	s_waitcnt lgkmcnt(0)
	v_mov_b32_e32 v1, s9
	s_barrier
	buffer_gl0_inv
	s_and_b32 s18, s80, 0xfe
	s_mov_b32 s14, -1
	ds_load_b128 v[1:4], v1 offset:3072
	s_lshl_b32 s12, 3, s18
	s_delay_alu instid0(SALU_CYCLE_1) | instskip(SKIP_4) | instid1(VALU_DEP_3)
	s_not_b32 s19, s12
	s_waitcnt lgkmcnt(0)
	v_readfirstlane_b32 s13, v1
	v_readfirstlane_b32 s21, v2
	;; [unrolled: 1-line block ×3, first 2 shown]
	s_cmp_eq_u32 s13, 1
	s_cselect_b32 s9, -1, 0
	s_cmp_eq_u32 s45, 1
	s_cselect_b32 s10, -1, 0
	s_delay_alu instid0(SALU_CYCLE_1)
	s_and_b32 s15, s9, s10
	v_readfirstlane_b32 s10, v4
	s_and_b32 vcc_lo, exec_lo, s15
	s_cbranch_vccz .LBB2_86
; %bb.76:                               ;   in Loop: Header=BB2_8 Depth=1
	ds_load_b32 v1, v21 offset:4096
	s_waitcnt lgkmcnt(0)
	s_barrier
	buffer_gl0_inv
	v_readfirstlane_b32 s11, v1
	s_and_saveexec_b32 s9, s2
	s_cbranch_execz .LBB2_78
; %bb.77:                               ;   in Loop: Header=BB2_8 Depth=1
	ds_store_b8 v0, v21 offset:3072
.LBB2_78:                               ;   in Loop: Header=BB2_8 Depth=1
	s_or_b32 exec_lo, exec_lo, s9
	s_and_b32 s89, s89, s19
	s_or_b32 s90, s90, s12
	s_cmp_lt_i32 s11, 1
	s_waitcnt lgkmcnt(0)
	s_barrier
	buffer_gl0_inv
	s_cbranch_scc0 .LBB2_87
; %bb.79:                               ;   in Loop: Header=BB2_8 Depth=1
	s_mov_b32 s9, 0
                                        ; implicit-def: $vgpr22
	s_and_saveexec_b32 s16, s8
	s_cbranch_execz .LBB2_89
; %bb.80:                               ;   in Loop: Header=BB2_8 Depth=1
	v_dual_mov_b32 v1, v11 :: v_dual_mov_b32 v2, v0
	s_mov_b32 s20, 0
                                        ; implicit-def: $sgpr22
	s_set_inst_prefetch_distance 0x1
	s_branch .LBB2_82
	.p2align	6
.LBB2_81:                               ;   in Loop: Header=BB2_82 Depth=2
	s_or_b32 exec_lo, exec_lo, s9
	s_waitcnt lgkmcnt(0)
	s_barrier
	buffer_gl0_inv
	ds_load_u16 v3, v21 offset:3072
	v_add_nc_u32_e32 v2, s64, v2
	v_add_nc_u32_e32 v1, s67, v1
	s_waitcnt lgkmcnt(0)
	s_barrier
	buffer_gl0_inv
	v_cmp_le_i32_e32 vcc_lo, s79, v2
	v_and_b32_e32 v4, 0xff, v3
	s_delay_alu instid0(VALU_DEP_1) | instskip(NEXT) | instid1(VALU_DEP_1)
	v_cmp_ne_u16_e64 s9, 0, v4
	s_or_b32 s23, vcc_lo, s9
	s_delay_alu instid0(SALU_CYCLE_1) | instskip(NEXT) | instid1(SALU_CYCLE_1)
	s_and_b32 s23, exec_lo, s23
	s_or_b32 s20, s23, s20
	s_and_not1_b32 s22, s22, exec_lo
	s_and_b32 s9, s9, exec_lo
	s_delay_alu instid0(SALU_CYCLE_1)
	s_or_b32 s22, s22, s9
	s_and_not1_b32 exec_lo, exec_lo, s20
	s_cbranch_execz .LBB2_88
.LBB2_82:                               ;   Parent Loop BB2_8 Depth=1
                                        ; =>  This Inner Loop Header: Depth=2
	s_delay_alu instid0(VALU_DEP_1)
	v_cmp_gt_i32_e32 vcc_lo, s44, v2
	v_mov_b32_e32 v3, 0
	s_and_saveexec_b32 s23, vcc_lo
	s_cbranch_execz .LBB2_84
; %bb.83:                               ;   in Loop: Header=BB2_82 Depth=2
	v_ashrrev_i32_e32 v4, 31, v1
	v_add_co_u32 v3, s9, s52, v1
	s_delay_alu instid0(VALU_DEP_1)
	v_add_co_ci_u32_e64 v4, s9, s53, v4, s9
	global_load_u8 v3, v[3:4], off
.LBB2_84:                               ;   in Loop: Header=BB2_82 Depth=2
	s_or_b32 exec_lo, exec_lo, s23
	s_waitcnt vmcnt(0)
	v_and_b32_e32 v4, s90, v3
	s_delay_alu instid0(VALU_DEP_1) | instskip(NEXT) | instid1(VALU_DEP_1)
	v_and_b32_e32 v4, 0xff, v4
	v_cmp_eq_u32_e64 s9, s89, v4
	s_delay_alu instid0(VALU_DEP_1) | instskip(NEXT) | instid1(SALU_CYCLE_1)
	s_and_b32 s23, vcc_lo, s9
	s_and_saveexec_b32 s9, s23
	s_cbranch_execz .LBB2_81
; %bb.85:                               ;   in Loop: Header=BB2_82 Depth=2
	v_lshlrev_b16 v3, 8, v3
	s_delay_alu instid0(VALU_DEP_1)
	v_or_b32_e32 v3, 1, v3
	ds_store_b16 v21, v3 offset:3072
	s_branch .LBB2_81
.LBB2_86:                               ;   in Loop: Header=BB2_8 Depth=1
	s_mov_b32 s9, -1
                                        ; implicit-def: $sgpr16
                                        ; implicit-def: $sgpr22
                                        ; implicit-def: $sgpr20
	s_branch .LBB2_99
.LBB2_87:                               ;   in Loop: Header=BB2_8 Depth=1
	s_mov_b32 s16, -1
	s_mov_b32 s9, 0
                                        ; implicit-def: $sgpr20
                                        ; implicit-def: $vgpr22
	s_mov_b32 s22, s16
	s_cbranch_execnz .LBB2_90
	s_branch .LBB2_99
.LBB2_88:                               ;   in Loop: Header=BB2_8 Depth=1
	s_set_inst_prefetch_distance 0x2
	s_or_b32 exec_lo, exec_lo, s20
	v_lshrrev_b16 v22, 8, v3
	s_and_b32 s9, s22, exec_lo
.LBB2_89:                               ;   in Loop: Header=BB2_8 Depth=1
	s_or_b32 exec_lo, exec_lo, s16
	s_mov_b32 s20, -1
	s_mov_b32 s16, 0
	s_delay_alu instid0(SALU_CYCLE_1)
	s_mov_b32 s22, s16
	s_branch .LBB2_99
.LBB2_90:                               ;   in Loop: Header=BB2_8 Depth=1
	s_add_i32 s20, s11, s68
                                        ; implicit-def: $vgpr22
	s_delay_alu instid0(SALU_CYCLE_1) | instskip(NEXT) | instid1(SALU_CYCLE_1)
	s_abs_i32 s9, s20
	s_mul_hi_u32 s16, s9, s77
	s_delay_alu instid0(SALU_CYCLE_1) | instskip(NEXT) | instid1(SALU_CYCLE_1)
	s_mul_i32 s16, s16, s64
	s_sub_i32 s9, s9, s16
	s_ashr_i32 s16, s20, 31
	s_sub_i32 s22, s9, s64
	s_cmp_ge_u32 s9, s64
	s_cselect_b32 s9, s22, s9
	s_delay_alu instid0(SALU_CYCLE_1) | instskip(SKIP_2) | instid1(SALU_CYCLE_1)
	s_sub_i32 s22, s9, s64
	s_cmp_ge_u32 s9, s64
	s_cselect_b32 s9, s22, s9
	s_xor_b32 s9, s9, s16
	s_delay_alu instid0(SALU_CYCLE_1)
	s_sub_i32 s9, s16, s9
	s_mov_b32 s16, exec_lo
	s_add_i32 s20, s20, s9
	s_mov_b32 s9, 0
	v_cmpx_gt_i32_e64 s20, v0
	s_cbranch_execz .LBB2_98
; %bb.91:                               ;   in Loop: Header=BB2_8 Depth=1
	v_mov_b32_e32 v1, v0
	s_mov_b32 s22, 0
                                        ; implicit-def: $sgpr23
	s_set_inst_prefetch_distance 0x1
	s_branch .LBB2_93
	.p2align	6
.LBB2_92:                               ;   in Loop: Header=BB2_93 Depth=2
	s_or_b32 exec_lo, exec_lo, s9
	s_waitcnt lgkmcnt(0)
	s_barrier
	buffer_gl0_inv
	ds_load_u16 v2, v21 offset:3072
	v_add_nc_u32_e32 v1, s64, v1
	s_waitcnt lgkmcnt(0)
	s_barrier
	buffer_gl0_inv
	v_cmp_le_i32_e32 vcc_lo, s20, v1
	v_and_b32_e32 v3, 0xff, v2
	s_delay_alu instid0(VALU_DEP_1) | instskip(NEXT) | instid1(VALU_DEP_1)
	v_cmp_ne_u16_e64 s9, 0, v3
	s_or_b32 s24, vcc_lo, s9
	s_delay_alu instid0(SALU_CYCLE_1) | instskip(NEXT) | instid1(SALU_CYCLE_1)
	s_and_b32 s24, exec_lo, s24
	s_or_b32 s22, s24, s22
	s_and_not1_b32 s23, s23, exec_lo
	s_and_b32 s9, s9, exec_lo
	s_delay_alu instid0(SALU_CYCLE_1)
	s_or_b32 s23, s23, s9
	s_and_not1_b32 exec_lo, exec_lo, s22
	s_cbranch_execz .LBB2_97
.LBB2_93:                               ;   Parent Loop BB2_8 Depth=1
                                        ; =>  This Inner Loop Header: Depth=2
	s_delay_alu instid0(VALU_DEP_1)
	v_cmp_gt_i32_e32 vcc_lo, s11, v1
	v_mov_b32_e32 v2, 0
	s_and_saveexec_b32 s9, vcc_lo
	s_cbranch_execz .LBB2_95
; %bb.94:                               ;   in Loop: Header=BB2_93 Depth=2
	ds_load_u8 v2, v1
.LBB2_95:                               ;   in Loop: Header=BB2_93 Depth=2
	s_or_b32 exec_lo, exec_lo, s9
	s_waitcnt lgkmcnt(0)
	v_and_b32_e32 v3, s90, v2
	s_delay_alu instid0(VALU_DEP_1) | instskip(NEXT) | instid1(VALU_DEP_1)
	v_and_b32_e32 v3, 0xff, v3
	v_cmp_eq_u32_e64 s9, s89, v3
	s_delay_alu instid0(VALU_DEP_1) | instskip(NEXT) | instid1(SALU_CYCLE_1)
	s_and_b32 s24, vcc_lo, s9
	s_and_saveexec_b32 s9, s24
	s_cbranch_execz .LBB2_92
; %bb.96:                               ;   in Loop: Header=BB2_93 Depth=2
	v_lshlrev_b16 v2, 8, v2
	s_delay_alu instid0(VALU_DEP_1)
	v_or_b32_e32 v2, 1, v2
	ds_store_b16 v21, v2 offset:3072
	s_branch .LBB2_92
.LBB2_97:                               ;   in Loop: Header=BB2_8 Depth=1
	s_set_inst_prefetch_distance 0x2
	s_or_b32 exec_lo, exec_lo, s22
	v_lshrrev_b16 v22, 8, v2
	s_and_b32 s9, s23, exec_lo
.LBB2_98:                               ;   in Loop: Header=BB2_8 Depth=1
	s_or_b32 exec_lo, exec_lo, s16
	s_mov_b32 s22, -1
	s_mov_b32 s16, 0
	s_mov_b32 s20, 0
.LBB2_99:                               ;   in Loop: Header=BB2_8 Depth=1
	s_and_not1_b32 s11, s85, exec_lo
	s_and_b32 s16, s16, exec_lo
	s_and_b32 s20, s20, exec_lo
	s_or_b32 s85, s11, s16
	s_and_not1_b32 s11, s88, exec_lo
	s_and_b32 s16, s22, exec_lo
	s_and_not1_b32 s22, s86, exec_lo
	s_or_b32 s88, s11, s16
	s_or_b32 s86, s22, s20
	s_and_saveexec_b32 s11, s9
	s_cbranch_execz .LBB2_7
; %bb.100:                              ;   in Loop: Header=BB2_8 Depth=1
	s_xor_b32 s9, s15, -1
	s_mov_b32 s14, 0
	s_and_not1_b32 vcc_lo, exec_lo, s9
	s_mov_b32 s22, 1
	s_cbranch_vccnz .LBB2_111
; %bb.101:                              ;   in Loop: Header=BB2_8 Depth=1
	s_cmp_gt_i32 s45, s13
	s_mov_b32 s14, -1
                                        ; implicit-def: $sgpr9
                                        ; implicit-def: $sgpr15
                                        ; implicit-def: $sgpr16
	s_cbranch_scc1 .LBB2_107
; %bb.102:                              ;   in Loop: Header=BB2_8 Depth=1
	ds_load_b32 v1, v21 offset:4096
	s_waitcnt lgkmcnt(0)
	v_cmp_ne_u32_e32 vcc_lo, 0, v1
	s_cbranch_vccnz .LBB2_106
; %bb.103:                              ;   in Loop: Header=BB2_8 Depth=1
	s_and_saveexec_b32 s9, s0
	s_cbranch_execz .LBB2_105
; %bb.104:                              ;   in Loop: Header=BB2_8 Depth=1
	v_mov_b32_e32 v1, s13
	ds_store_b32 v21, v1 offset:4100
.LBB2_105:                              ;   in Loop: Header=BB2_8 Depth=1
	s_or_b32 exec_lo, exec_lo, s9
	s_waitcnt lgkmcnt(0)
	s_barrier
	buffer_gl0_inv
.LBB2_106:                              ;   in Loop: Header=BB2_8 Depth=1
	s_and_b32 s15, s89, s19
	s_or_b32 s16, s90, s12
	s_mov_b32 s14, 0
	s_mov_b32 s9, 8
.LBB2_107:                              ;   in Loop: Header=BB2_8 Depth=1
	s_and_not1_b32 vcc_lo, exec_lo, s14
	s_cbranch_vccnz .LBB2_109
; %bb.108:                              ;   in Loop: Header=BB2_8 Depth=1
	s_sub_i32 s45, s45, s13
	s_mov_b32 s14, -1
	s_mov_b32 s9, 0
	s_mov_b32 s15, s89
	;; [unrolled: 1-line block ×3, first 2 shown]
.LBB2_109:                              ;   in Loop: Header=BB2_8 Depth=1
	s_delay_alu instid0(SALU_CYCLE_1)
	s_mov_b32 s90, s16
	s_mov_b32 s89, s15
	;; [unrolled: 1-line block ×3, first 2 shown]
	s_and_b32 vcc_lo, exec_lo, s14
	s_mov_b32 s13, -1
	s_cbranch_vccnz .LBB2_112
.LBB2_110:                              ;   in Loop: Header=BB2_8 Depth=1
	s_mov_b32 s25, -1
                                        ; implicit-def: $sgpr14
                                        ; implicit-def: $sgpr16
                                        ; implicit-def: $sgpr15
	s_delay_alu instid0(SALU_CYCLE_1) | instskip(NEXT) | instid1(SALU_CYCLE_1)
	s_and_saveexec_b32 s10, s25
	s_xor_b32 s10, exec_lo, s10
	s_cbranch_execz .LBB2_6
	s_branch .LBB2_229
.LBB2_111:                              ;   in Loop: Header=BB2_8 Depth=1
	s_mov_b32 s9, 1
	s_and_b32 vcc_lo, exec_lo, s14
	s_mov_b32 s13, -1
	s_cbranch_vccz .LBB2_110
.LBB2_112:                              ;   in Loop: Header=BB2_8 Depth=1
	s_cmp_eq_u32 s21, 1
	s_mov_b32 s24, -1
	s_cselect_b32 s9, -1, 0
	s_cmp_eq_u32 s22, 1
	s_cselect_b32 s14, -1, 0
	s_delay_alu instid0(SALU_CYCLE_1) | instskip(NEXT) | instid1(SALU_CYCLE_1)
	s_and_b32 s23, s9, s14
	s_and_b32 vcc_lo, exec_lo, s23
	s_cbranch_vccz .LBB2_123
; %bb.113:                              ;   in Loop: Header=BB2_8 Depth=1
	ds_load_b32 v1, v21 offset:4096
	s_waitcnt lgkmcnt(0)
	s_barrier
	buffer_gl0_inv
	v_readfirstlane_b32 s20, v1
	s_and_saveexec_b32 s9, s2
	s_cbranch_execz .LBB2_115
; %bb.114:                              ;   in Loop: Header=BB2_8 Depth=1
	ds_store_b8 v0, v21 offset:3072
.LBB2_115:                              ;   in Loop: Header=BB2_8 Depth=1
	s_or_b32 exec_lo, exec_lo, s9
	s_lshl_b32 s9, 1, s18
	s_and_b32 s14, s89, s19
	s_or_b32 s90, s90, s12
	s_or_b32 s89, s14, s9
	s_cmp_gt_i32 s20, 0
	s_waitcnt lgkmcnt(0)
	s_barrier
	buffer_gl0_inv
	s_cbranch_scc1 .LBB2_124
; %bb.116:                              ;   in Loop: Header=BB2_8 Depth=1
	s_mov_b32 s24, 0
                                        ; implicit-def: $vgpr22
	s_and_saveexec_b32 s14, s8
	s_cbranch_execz .LBB2_126
; %bb.117:                              ;   in Loop: Header=BB2_8 Depth=1
	v_dual_mov_b32 v1, v11 :: v_dual_mov_b32 v2, v0
	s_mov_b32 s15, 0
                                        ; implicit-def: $sgpr16
	s_set_inst_prefetch_distance 0x1
	s_branch .LBB2_119
	.p2align	6
.LBB2_118:                              ;   in Loop: Header=BB2_119 Depth=2
	s_or_b32 exec_lo, exec_lo, s9
	s_waitcnt lgkmcnt(0)
	s_barrier
	buffer_gl0_inv
	ds_load_u16 v3, v21 offset:3072
	v_add_nc_u32_e32 v2, s64, v2
	v_add_nc_u32_e32 v1, s67, v1
	s_waitcnt lgkmcnt(0)
	s_barrier
	buffer_gl0_inv
	v_cmp_le_i32_e32 vcc_lo, s79, v2
	v_and_b32_e32 v4, 0xff, v3
	s_delay_alu instid0(VALU_DEP_1) | instskip(NEXT) | instid1(VALU_DEP_1)
	v_cmp_ne_u16_e64 s9, 0, v4
	s_or_b32 s24, vcc_lo, s9
	s_delay_alu instid0(SALU_CYCLE_1) | instskip(NEXT) | instid1(SALU_CYCLE_1)
	s_and_b32 s24, exec_lo, s24
	s_or_b32 s15, s24, s15
	s_and_not1_b32 s16, s16, exec_lo
	s_and_b32 s9, s9, exec_lo
	s_delay_alu instid0(SALU_CYCLE_1)
	s_or_b32 s16, s16, s9
	s_and_not1_b32 exec_lo, exec_lo, s15
	s_cbranch_execz .LBB2_125
.LBB2_119:                              ;   Parent Loop BB2_8 Depth=1
                                        ; =>  This Inner Loop Header: Depth=2
	s_delay_alu instid0(VALU_DEP_1)
	v_cmp_gt_i32_e32 vcc_lo, s44, v2
	v_mov_b32_e32 v3, 0
	s_and_saveexec_b32 s24, vcc_lo
	s_cbranch_execz .LBB2_121
; %bb.120:                              ;   in Loop: Header=BB2_119 Depth=2
	v_ashrrev_i32_e32 v4, 31, v1
	v_add_co_u32 v3, s9, s52, v1
	s_delay_alu instid0(VALU_DEP_1)
	v_add_co_ci_u32_e64 v4, s9, s53, v4, s9
	global_load_u8 v3, v[3:4], off
.LBB2_121:                              ;   in Loop: Header=BB2_119 Depth=2
	s_or_b32 exec_lo, exec_lo, s24
	s_waitcnt vmcnt(0)
	v_and_b32_e32 v4, s90, v3
	s_delay_alu instid0(VALU_DEP_1) | instskip(NEXT) | instid1(VALU_DEP_1)
	v_and_b32_e32 v4, 0xff, v4
	v_cmp_eq_u32_e64 s9, s89, v4
	s_delay_alu instid0(VALU_DEP_1) | instskip(NEXT) | instid1(SALU_CYCLE_1)
	s_and_b32 s24, vcc_lo, s9
	s_and_saveexec_b32 s9, s24
	s_cbranch_execz .LBB2_118
; %bb.122:                              ;   in Loop: Header=BB2_119 Depth=2
	v_lshlrev_b16 v3, 8, v3
	s_delay_alu instid0(VALU_DEP_1)
	v_or_b32_e32 v3, 1, v3
	ds_store_b16 v21, v3 offset:3072
	s_branch .LBB2_118
.LBB2_123:                              ;   in Loop: Header=BB2_8 Depth=1
                                        ; implicit-def: $sgpr15
                                        ; implicit-def: $sgpr16
                                        ; implicit-def: $sgpr14
	s_branch .LBB2_136
.LBB2_124:                              ;   in Loop: Header=BB2_8 Depth=1
	s_mov_b32 s15, -1
	s_mov_b32 s24, 0
                                        ; implicit-def: $sgpr14
                                        ; implicit-def: $vgpr22
	s_mov_b32 s16, s15
	s_cbranch_execnz .LBB2_127
	s_branch .LBB2_136
.LBB2_125:                              ;   in Loop: Header=BB2_8 Depth=1
	s_set_inst_prefetch_distance 0x2
	s_or_b32 exec_lo, exec_lo, s15
	v_lshrrev_b16 v22, 8, v3
	s_and_b32 s24, s16, exec_lo
.LBB2_126:                              ;   in Loop: Header=BB2_8 Depth=1
	s_or_b32 exec_lo, exec_lo, s14
	s_mov_b32 s14, -1
	s_mov_b32 s15, 0
	s_delay_alu instid0(SALU_CYCLE_1)
	s_mov_b32 s16, s15
	s_branch .LBB2_136
.LBB2_127:                              ;   in Loop: Header=BB2_8 Depth=1
	s_add_i32 s15, s20, s68
	s_mov_b32 s24, 0
	s_abs_i32 s9, s15
                                        ; implicit-def: $vgpr22
	s_delay_alu instid0(SALU_CYCLE_1) | instskip(NEXT) | instid1(SALU_CYCLE_1)
	s_mul_hi_u32 s14, s9, s77
	s_mul_i32 s14, s14, s64
	s_delay_alu instid0(SALU_CYCLE_1) | instskip(SKIP_4) | instid1(SALU_CYCLE_1)
	s_sub_i32 s9, s9, s14
	s_ashr_i32 s14, s15, 31
	s_sub_i32 s16, s9, s64
	s_cmp_ge_u32 s9, s64
	s_cselect_b32 s9, s16, s9
	s_sub_i32 s16, s9, s64
	s_cmp_ge_u32 s9, s64
	s_cselect_b32 s9, s16, s9
	s_delay_alu instid0(SALU_CYCLE_1) | instskip(NEXT) | instid1(SALU_CYCLE_1)
	s_xor_b32 s9, s9, s14
	s_sub_i32 s9, s14, s9
	s_mov_b32 s14, exec_lo
	s_add_i32 s15, s15, s9
	s_delay_alu instid0(SALU_CYCLE_1)
	v_cmpx_gt_i32_e64 s15, v0
	s_cbranch_execz .LBB2_135
; %bb.128:                              ;   in Loop: Header=BB2_8 Depth=1
	v_mov_b32_e32 v1, v0
	s_mov_b32 s16, 0
                                        ; implicit-def: $sgpr24
	s_set_inst_prefetch_distance 0x1
	s_branch .LBB2_130
	.p2align	6
.LBB2_129:                              ;   in Loop: Header=BB2_130 Depth=2
	s_or_b32 exec_lo, exec_lo, s9
	s_waitcnt lgkmcnt(0)
	s_barrier
	buffer_gl0_inv
	ds_load_u16 v2, v21 offset:3072
	v_add_nc_u32_e32 v1, s64, v1
	s_waitcnt lgkmcnt(0)
	s_barrier
	buffer_gl0_inv
	v_cmp_le_i32_e32 vcc_lo, s15, v1
	v_and_b32_e32 v3, 0xff, v2
	s_delay_alu instid0(VALU_DEP_1) | instskip(NEXT) | instid1(VALU_DEP_1)
	v_cmp_ne_u16_e64 s9, 0, v3
	s_or_b32 s25, vcc_lo, s9
	s_delay_alu instid0(SALU_CYCLE_1) | instskip(NEXT) | instid1(SALU_CYCLE_1)
	s_and_b32 s25, exec_lo, s25
	s_or_b32 s16, s25, s16
	s_and_not1_b32 s24, s24, exec_lo
	s_and_b32 s9, s9, exec_lo
	s_delay_alu instid0(SALU_CYCLE_1)
	s_or_b32 s24, s24, s9
	s_and_not1_b32 exec_lo, exec_lo, s16
	s_cbranch_execz .LBB2_134
.LBB2_130:                              ;   Parent Loop BB2_8 Depth=1
                                        ; =>  This Inner Loop Header: Depth=2
	s_delay_alu instid0(VALU_DEP_1)
	v_cmp_gt_i32_e32 vcc_lo, s20, v1
	v_mov_b32_e32 v2, 0
	s_and_saveexec_b32 s9, vcc_lo
	s_cbranch_execz .LBB2_132
; %bb.131:                              ;   in Loop: Header=BB2_130 Depth=2
	ds_load_u8 v2, v1
.LBB2_132:                              ;   in Loop: Header=BB2_130 Depth=2
	s_or_b32 exec_lo, exec_lo, s9
	s_waitcnt lgkmcnt(0)
	v_and_b32_e32 v3, s90, v2
	s_delay_alu instid0(VALU_DEP_1) | instskip(NEXT) | instid1(VALU_DEP_1)
	v_and_b32_e32 v3, 0xff, v3
	v_cmp_eq_u32_e64 s9, s89, v3
	s_delay_alu instid0(VALU_DEP_1) | instskip(NEXT) | instid1(SALU_CYCLE_1)
	s_and_b32 s25, vcc_lo, s9
	s_and_saveexec_b32 s9, s25
	s_cbranch_execz .LBB2_129
; %bb.133:                              ;   in Loop: Header=BB2_130 Depth=2
	v_lshlrev_b16 v2, 8, v2
	s_delay_alu instid0(VALU_DEP_1)
	v_or_b32_e32 v2, 1, v2
	ds_store_b16 v21, v2 offset:3072
	s_branch .LBB2_129
.LBB2_134:                              ;   in Loop: Header=BB2_8 Depth=1
	s_set_inst_prefetch_distance 0x2
	s_or_b32 exec_lo, exec_lo, s16
	v_lshrrev_b16 v22, 8, v2
	s_and_b32 s24, s24, exec_lo
.LBB2_135:                              ;   in Loop: Header=BB2_8 Depth=1
	s_or_b32 exec_lo, exec_lo, s14
	s_mov_b32 s16, -1
	s_mov_b32 s15, 0
	s_mov_b32 s14, 0
.LBB2_136:                              ;   in Loop: Header=BB2_8 Depth=1
	s_mov_b32 s25, 0
                                        ; implicit-def: $sgpr9
	s_and_saveexec_b32 s20, s24
	s_cbranch_execz .LBB2_228
; %bb.137:                              ;   in Loop: Header=BB2_8 Depth=1
	s_xor_b32 s9, s23, -1
	s_mov_b32 s23, 0
	s_and_not1_b32 vcc_lo, exec_lo, s9
	s_mov_b32 s26, 1
	s_cbranch_vccnz .LBB2_148
; %bb.138:                              ;   in Loop: Header=BB2_8 Depth=1
	s_cmp_gt_i32 s22, s21
	s_mov_b32 s23, -1
                                        ; implicit-def: $sgpr9
                                        ; implicit-def: $sgpr24
                                        ; implicit-def: $sgpr25
	s_cbranch_scc1 .LBB2_144
; %bb.139:                              ;   in Loop: Header=BB2_8 Depth=1
	ds_load_b32 v1, v21 offset:4096
	s_waitcnt lgkmcnt(0)
	v_cmp_ne_u32_e32 vcc_lo, 0, v1
	s_cbranch_vccnz .LBB2_143
; %bb.140:                              ;   in Loop: Header=BB2_8 Depth=1
	s_and_saveexec_b32 s9, s0
	s_cbranch_execz .LBB2_142
; %bb.141:                              ;   in Loop: Header=BB2_8 Depth=1
	v_mov_b32_e32 v1, s21
	ds_store_b32 v21, v1 offset:4100
.LBB2_142:                              ;   in Loop: Header=BB2_8 Depth=1
	s_or_b32 exec_lo, exec_lo, s9
	s_waitcnt lgkmcnt(0)
	s_barrier
	buffer_gl0_inv
.LBB2_143:                              ;   in Loop: Header=BB2_8 Depth=1
	s_lshl_b32 s9, 1, s18
	s_and_b32 s23, s89, s19
	s_or_b32 s25, s90, s12
	s_or_b32 s24, s23, s9
	s_mov_b32 s23, 0
	s_mov_b32 s9, 8
.LBB2_144:                              ;   in Loop: Header=BB2_8 Depth=1
	s_and_not1_b32 vcc_lo, exec_lo, s23
	s_cbranch_vccnz .LBB2_146
; %bb.145:                              ;   in Loop: Header=BB2_8 Depth=1
	s_sub_i32 s22, s22, s21
	s_mov_b32 s23, -1
	s_mov_b32 s9, 0
	s_mov_b32 s24, s89
	;; [unrolled: 1-line block ×3, first 2 shown]
.LBB2_146:                              ;   in Loop: Header=BB2_8 Depth=1
	s_delay_alu instid0(SALU_CYCLE_1)
	s_mov_b32 s90, s25
	s_mov_b32 s89, s24
	;; [unrolled: 1-line block ×3, first 2 shown]
	s_and_not1_b32 vcc_lo, exec_lo, s23
	s_mov_b32 s28, -1
	s_cbranch_vccz .LBB2_149
.LBB2_147:                              ;   in Loop: Header=BB2_8 Depth=1
                                        ; implicit-def: $sgpr22
                                        ; implicit-def: $sgpr23
                                        ; implicit-def: $sgpr21
	s_branch .LBB2_227
.LBB2_148:                              ;   in Loop: Header=BB2_8 Depth=1
	s_mov_b32 s9, 1
	s_and_not1_b32 vcc_lo, exec_lo, s23
	s_mov_b32 s28, -1
	s_cbranch_vccnz .LBB2_147
.LBB2_149:                              ;   in Loop: Header=BB2_8 Depth=1
	s_cmp_eq_u32 s17, 1
	s_mov_b32 s27, -1
	s_cselect_b32 s9, -1, 0
	s_cmp_eq_u32 s26, 1
	s_cselect_b32 s21, -1, 0
	s_delay_alu instid0(SALU_CYCLE_1) | instskip(NEXT) | instid1(SALU_CYCLE_1)
	s_and_b32 s25, s9, s21
	s_and_b32 vcc_lo, exec_lo, s25
	s_cbranch_vccz .LBB2_160
; %bb.150:                              ;   in Loop: Header=BB2_8 Depth=1
	ds_load_b32 v1, v21 offset:4096
	s_waitcnt lgkmcnt(0)
	s_barrier
	buffer_gl0_inv
	v_readfirstlane_b32 s24, v1
	s_and_saveexec_b32 s9, s2
	s_cbranch_execz .LBB2_152
; %bb.151:                              ;   in Loop: Header=BB2_8 Depth=1
	ds_store_b8 v0, v21 offset:3072
.LBB2_152:                              ;   in Loop: Header=BB2_8 Depth=1
	s_or_b32 exec_lo, exec_lo, s9
	s_lshl_b32 s9, 2, s18
	s_and_b32 s21, s89, s19
	s_or_b32 s90, s90, s12
	s_or_b32 s89, s21, s9
	s_cmp_gt_i32 s24, 0
	s_waitcnt lgkmcnt(0)
	s_barrier
	buffer_gl0_inv
	s_cbranch_scc1 .LBB2_161
; %bb.153:                              ;   in Loop: Header=BB2_8 Depth=1
	s_mov_b32 s27, 0
                                        ; implicit-def: $vgpr22
	s_and_saveexec_b32 s21, s8
	s_cbranch_execz .LBB2_163
; %bb.154:                              ;   in Loop: Header=BB2_8 Depth=1
	v_dual_mov_b32 v1, v11 :: v_dual_mov_b32 v2, v0
	s_mov_b32 s22, 0
                                        ; implicit-def: $sgpr23
	s_set_inst_prefetch_distance 0x1
	s_branch .LBB2_156
	.p2align	6
.LBB2_155:                              ;   in Loop: Header=BB2_156 Depth=2
	s_or_b32 exec_lo, exec_lo, s9
	s_waitcnt lgkmcnt(0)
	s_barrier
	buffer_gl0_inv
	ds_load_u16 v3, v21 offset:3072
	v_add_nc_u32_e32 v2, s64, v2
	v_add_nc_u32_e32 v1, s67, v1
	s_waitcnt lgkmcnt(0)
	s_barrier
	buffer_gl0_inv
	v_cmp_le_i32_e32 vcc_lo, s79, v2
	v_and_b32_e32 v4, 0xff, v3
	s_delay_alu instid0(VALU_DEP_1) | instskip(NEXT) | instid1(VALU_DEP_1)
	v_cmp_ne_u16_e64 s9, 0, v4
	s_or_b32 s27, vcc_lo, s9
	s_delay_alu instid0(SALU_CYCLE_1) | instskip(NEXT) | instid1(SALU_CYCLE_1)
	s_and_b32 s27, exec_lo, s27
	s_or_b32 s22, s27, s22
	s_and_not1_b32 s23, s23, exec_lo
	s_and_b32 s9, s9, exec_lo
	s_delay_alu instid0(SALU_CYCLE_1)
	s_or_b32 s23, s23, s9
	s_and_not1_b32 exec_lo, exec_lo, s22
	s_cbranch_execz .LBB2_162
.LBB2_156:                              ;   Parent Loop BB2_8 Depth=1
                                        ; =>  This Inner Loop Header: Depth=2
	s_delay_alu instid0(VALU_DEP_1)
	v_cmp_gt_i32_e32 vcc_lo, s44, v2
	v_mov_b32_e32 v3, 0
	s_and_saveexec_b32 s27, vcc_lo
	s_cbranch_execz .LBB2_158
; %bb.157:                              ;   in Loop: Header=BB2_156 Depth=2
	v_ashrrev_i32_e32 v4, 31, v1
	v_add_co_u32 v3, s9, s52, v1
	s_delay_alu instid0(VALU_DEP_1)
	v_add_co_ci_u32_e64 v4, s9, s53, v4, s9
	global_load_u8 v3, v[3:4], off
.LBB2_158:                              ;   in Loop: Header=BB2_156 Depth=2
	s_or_b32 exec_lo, exec_lo, s27
	s_waitcnt vmcnt(0)
	v_and_b32_e32 v4, s90, v3
	s_delay_alu instid0(VALU_DEP_1) | instskip(NEXT) | instid1(VALU_DEP_1)
	v_and_b32_e32 v4, 0xff, v4
	v_cmp_eq_u32_e64 s9, s89, v4
	s_delay_alu instid0(VALU_DEP_1) | instskip(NEXT) | instid1(SALU_CYCLE_1)
	s_and_b32 s27, vcc_lo, s9
	s_and_saveexec_b32 s9, s27
	s_cbranch_execz .LBB2_155
; %bb.159:                              ;   in Loop: Header=BB2_156 Depth=2
	v_lshlrev_b16 v3, 8, v3
	s_delay_alu instid0(VALU_DEP_1)
	v_or_b32_e32 v3, 1, v3
	ds_store_b16 v21, v3 offset:3072
	s_branch .LBB2_155
.LBB2_160:                              ;   in Loop: Header=BB2_8 Depth=1
                                        ; implicit-def: $sgpr21
                                        ; implicit-def: $sgpr23
                                        ; implicit-def: $sgpr22
	s_branch .LBB2_173
.LBB2_161:                              ;   in Loop: Header=BB2_8 Depth=1
	s_mov_b32 s21, -1
	s_mov_b32 s27, 0
                                        ; implicit-def: $sgpr22
                                        ; implicit-def: $vgpr22
	s_mov_b32 s23, s21
	s_cbranch_execnz .LBB2_164
	s_branch .LBB2_173
.LBB2_162:                              ;   in Loop: Header=BB2_8 Depth=1
	s_set_inst_prefetch_distance 0x2
	s_or_b32 exec_lo, exec_lo, s22
	v_lshrrev_b16 v22, 8, v3
	s_and_b32 s27, s23, exec_lo
.LBB2_163:                              ;   in Loop: Header=BB2_8 Depth=1
	s_or_b32 exec_lo, exec_lo, s21
	s_mov_b32 s22, -1
	s_mov_b32 s21, 0
	s_delay_alu instid0(SALU_CYCLE_1)
	s_mov_b32 s23, s21
	s_branch .LBB2_173
.LBB2_164:                              ;   in Loop: Header=BB2_8 Depth=1
	s_add_i32 s22, s24, s68
	s_mov_b32 s27, 0
	s_abs_i32 s9, s22
                                        ; implicit-def: $vgpr22
	s_delay_alu instid0(SALU_CYCLE_1) | instskip(NEXT) | instid1(SALU_CYCLE_1)
	s_mul_hi_u32 s21, s9, s77
	s_mul_i32 s21, s21, s64
	s_delay_alu instid0(SALU_CYCLE_1) | instskip(SKIP_4) | instid1(SALU_CYCLE_1)
	s_sub_i32 s9, s9, s21
	s_ashr_i32 s21, s22, 31
	s_sub_i32 s23, s9, s64
	s_cmp_ge_u32 s9, s64
	s_cselect_b32 s9, s23, s9
	s_sub_i32 s23, s9, s64
	s_cmp_ge_u32 s9, s64
	s_cselect_b32 s9, s23, s9
	s_delay_alu instid0(SALU_CYCLE_1) | instskip(NEXT) | instid1(SALU_CYCLE_1)
	s_xor_b32 s9, s9, s21
	s_sub_i32 s9, s21, s9
	s_mov_b32 s21, exec_lo
	s_add_i32 s22, s22, s9
	s_delay_alu instid0(SALU_CYCLE_1)
	v_cmpx_gt_i32_e64 s22, v0
	s_cbranch_execz .LBB2_172
; %bb.165:                              ;   in Loop: Header=BB2_8 Depth=1
	v_mov_b32_e32 v1, v0
	s_mov_b32 s23, 0
                                        ; implicit-def: $sgpr27
	s_set_inst_prefetch_distance 0x1
	s_branch .LBB2_167
	.p2align	6
.LBB2_166:                              ;   in Loop: Header=BB2_167 Depth=2
	s_or_b32 exec_lo, exec_lo, s9
	s_waitcnt lgkmcnt(0)
	s_barrier
	buffer_gl0_inv
	ds_load_u16 v2, v21 offset:3072
	v_add_nc_u32_e32 v1, s64, v1
	s_waitcnt lgkmcnt(0)
	s_barrier
	buffer_gl0_inv
	v_cmp_le_i32_e32 vcc_lo, s22, v1
	v_and_b32_e32 v3, 0xff, v2
	s_delay_alu instid0(VALU_DEP_1) | instskip(NEXT) | instid1(VALU_DEP_1)
	v_cmp_ne_u16_e64 s9, 0, v3
	s_or_b32 s28, vcc_lo, s9
	s_delay_alu instid0(SALU_CYCLE_1) | instskip(NEXT) | instid1(SALU_CYCLE_1)
	s_and_b32 s28, exec_lo, s28
	s_or_b32 s23, s28, s23
	s_and_not1_b32 s27, s27, exec_lo
	s_and_b32 s9, s9, exec_lo
	s_delay_alu instid0(SALU_CYCLE_1)
	s_or_b32 s27, s27, s9
	s_and_not1_b32 exec_lo, exec_lo, s23
	s_cbranch_execz .LBB2_171
.LBB2_167:                              ;   Parent Loop BB2_8 Depth=1
                                        ; =>  This Inner Loop Header: Depth=2
	s_delay_alu instid0(VALU_DEP_1)
	v_cmp_gt_i32_e32 vcc_lo, s24, v1
	v_mov_b32_e32 v2, 0
	s_and_saveexec_b32 s9, vcc_lo
	s_cbranch_execz .LBB2_169
; %bb.168:                              ;   in Loop: Header=BB2_167 Depth=2
	ds_load_u8 v2, v1
.LBB2_169:                              ;   in Loop: Header=BB2_167 Depth=2
	s_or_b32 exec_lo, exec_lo, s9
	s_waitcnt lgkmcnt(0)
	v_and_b32_e32 v3, s90, v2
	s_delay_alu instid0(VALU_DEP_1) | instskip(NEXT) | instid1(VALU_DEP_1)
	v_and_b32_e32 v3, 0xff, v3
	v_cmp_eq_u32_e64 s9, s89, v3
	s_delay_alu instid0(VALU_DEP_1) | instskip(NEXT) | instid1(SALU_CYCLE_1)
	s_and_b32 s28, vcc_lo, s9
	s_and_saveexec_b32 s9, s28
	s_cbranch_execz .LBB2_166
; %bb.170:                              ;   in Loop: Header=BB2_167 Depth=2
	v_lshlrev_b16 v2, 8, v2
	s_delay_alu instid0(VALU_DEP_1)
	v_or_b32_e32 v2, 1, v2
	ds_store_b16 v21, v2 offset:3072
	s_branch .LBB2_166
.LBB2_171:                              ;   in Loop: Header=BB2_8 Depth=1
	s_set_inst_prefetch_distance 0x2
	s_or_b32 exec_lo, exec_lo, s23
	v_lshrrev_b16 v22, 8, v2
	s_and_b32 s27, s27, exec_lo
.LBB2_172:                              ;   in Loop: Header=BB2_8 Depth=1
	s_or_b32 exec_lo, exec_lo, s21
	s_mov_b32 s23, -1
	s_mov_b32 s21, 0
	s_mov_b32 s22, 0
.LBB2_173:                              ;   in Loop: Header=BB2_8 Depth=1
	s_mov_b32 s28, 0
                                        ; implicit-def: $sgpr9
	s_and_saveexec_b32 s24, s27
	s_cbranch_execz .LBB2_226
; %bb.174:                              ;   in Loop: Header=BB2_8 Depth=1
	s_xor_b32 s9, s25, -1
	s_mov_b32 s27, 0
	s_and_not1_b32 vcc_lo, exec_lo, s9
	s_mov_b32 s25, 1
	s_cbranch_vccnz .LBB2_185
; %bb.175:                              ;   in Loop: Header=BB2_8 Depth=1
	s_cmp_gt_i32 s26, s17
	s_mov_b32 s27, -1
                                        ; implicit-def: $sgpr9
                                        ; implicit-def: $sgpr25
                                        ; implicit-def: $sgpr28
	s_cbranch_scc1 .LBB2_181
; %bb.176:                              ;   in Loop: Header=BB2_8 Depth=1
	ds_load_b32 v1, v21 offset:4096
	s_waitcnt lgkmcnt(0)
	v_cmp_ne_u32_e32 vcc_lo, 0, v1
	s_cbranch_vccnz .LBB2_180
; %bb.177:                              ;   in Loop: Header=BB2_8 Depth=1
	s_and_saveexec_b32 s9, s0
	s_cbranch_execz .LBB2_179
; %bb.178:                              ;   in Loop: Header=BB2_8 Depth=1
	v_mov_b32_e32 v1, s17
	ds_store_b32 v21, v1 offset:4100
.LBB2_179:                              ;   in Loop: Header=BB2_8 Depth=1
	s_or_b32 exec_lo, exec_lo, s9
	s_waitcnt lgkmcnt(0)
	s_barrier
	buffer_gl0_inv
.LBB2_180:                              ;   in Loop: Header=BB2_8 Depth=1
	s_lshl_b32 s9, 2, s18
	s_and_b32 s18, s89, s19
	s_or_b32 s28, s90, s12
	s_or_b32 s25, s18, s9
	s_mov_b32 s27, 0
	s_mov_b32 s9, 8
.LBB2_181:                              ;   in Loop: Header=BB2_8 Depth=1
	s_and_not1_b32 vcc_lo, exec_lo, s27
	s_cbranch_vccnz .LBB2_183
; %bb.182:                              ;   in Loop: Header=BB2_8 Depth=1
	s_sub_i32 s26, s26, s17
	s_mov_b32 s27, -1
	s_mov_b32 s9, 0
	s_mov_b32 s25, s89
	;; [unrolled: 1-line block ×3, first 2 shown]
.LBB2_183:                              ;   in Loop: Header=BB2_8 Depth=1
	s_delay_alu instid0(SALU_CYCLE_1)
	s_mov_b32 s90, s28
	s_mov_b32 s89, s25
	s_mov_b32 s25, s26
	s_and_not1_b32 vcc_lo, exec_lo, s27
	s_mov_b32 s45, -1
	s_cbranch_vccz .LBB2_186
.LBB2_184:                              ;   in Loop: Header=BB2_8 Depth=1
                                        ; implicit-def: $sgpr19
                                        ; implicit-def: $sgpr27
                                        ; implicit-def: $sgpr26
	s_branch .LBB2_225
.LBB2_185:                              ;   in Loop: Header=BB2_8 Depth=1
	s_mov_b32 s9, 1
	s_and_not1_b32 vcc_lo, exec_lo, s27
	s_mov_b32 s45, -1
	s_cbranch_vccnz .LBB2_184
.LBB2_186:                              ;   in Loop: Header=BB2_8 Depth=1
	s_cmp_eq_u32 s10, 1
	s_mov_b32 s28, -1
	s_cselect_b32 s9, -1, 0
	s_cmp_eq_u32 s25, 1
	s_cselect_b32 s17, -1, 0
	s_delay_alu instid0(SALU_CYCLE_1) | instskip(NEXT) | instid1(SALU_CYCLE_1)
	s_and_b32 s17, s9, s17
	s_and_b32 vcc_lo, exec_lo, s17
	s_cbranch_vccz .LBB2_197
; %bb.187:                              ;   in Loop: Header=BB2_8 Depth=1
	ds_load_b32 v1, v21 offset:4096
	s_waitcnt lgkmcnt(0)
	s_barrier
	buffer_gl0_inv
	v_readfirstlane_b32 s18, v1
	s_and_saveexec_b32 s9, s2
	s_cbranch_execz .LBB2_189
; %bb.188:                              ;   in Loop: Header=BB2_8 Depth=1
	ds_store_b8 v0, v21 offset:3072
.LBB2_189:                              ;   in Loop: Header=BB2_8 Depth=1
	s_or_b32 exec_lo, exec_lo, s9
	s_or_b32 s89, s89, s12
	s_or_b32 s90, s90, s12
	s_cmp_gt_i32 s18, 0
	s_waitcnt lgkmcnt(0)
	s_barrier
	buffer_gl0_inv
	s_cbranch_scc1 .LBB2_198
; %bb.190:                              ;   in Loop: Header=BB2_8 Depth=1
	s_mov_b32 s28, 0
                                        ; implicit-def: $vgpr22
	s_and_saveexec_b32 s19, s8
	s_cbranch_execz .LBB2_200
; %bb.191:                              ;   in Loop: Header=BB2_8 Depth=1
	v_dual_mov_b32 v1, v11 :: v_dual_mov_b32 v2, v0
	s_mov_b32 s26, 0
                                        ; implicit-def: $sgpr27
	s_set_inst_prefetch_distance 0x1
	s_branch .LBB2_193
	.p2align	6
.LBB2_192:                              ;   in Loop: Header=BB2_193 Depth=2
	s_or_b32 exec_lo, exec_lo, s9
	s_waitcnt lgkmcnt(0)
	s_barrier
	buffer_gl0_inv
	ds_load_u16 v3, v21 offset:3072
	v_add_nc_u32_e32 v2, s64, v2
	v_add_nc_u32_e32 v1, s67, v1
	s_waitcnt lgkmcnt(0)
	s_barrier
	buffer_gl0_inv
	v_cmp_le_i32_e32 vcc_lo, s79, v2
	v_and_b32_e32 v4, 0xff, v3
	s_delay_alu instid0(VALU_DEP_1) | instskip(NEXT) | instid1(VALU_DEP_1)
	v_cmp_ne_u16_e64 s9, 0, v4
	s_or_b32 s28, vcc_lo, s9
	s_delay_alu instid0(SALU_CYCLE_1) | instskip(NEXT) | instid1(SALU_CYCLE_1)
	s_and_b32 s28, exec_lo, s28
	s_or_b32 s26, s28, s26
	s_and_not1_b32 s27, s27, exec_lo
	s_and_b32 s9, s9, exec_lo
	s_delay_alu instid0(SALU_CYCLE_1)
	s_or_b32 s27, s27, s9
	s_and_not1_b32 exec_lo, exec_lo, s26
	s_cbranch_execz .LBB2_199
.LBB2_193:                              ;   Parent Loop BB2_8 Depth=1
                                        ; =>  This Inner Loop Header: Depth=2
	s_delay_alu instid0(VALU_DEP_1)
	v_cmp_gt_i32_e32 vcc_lo, s44, v2
	v_mov_b32_e32 v3, 0
	s_and_saveexec_b32 s28, vcc_lo
	s_cbranch_execz .LBB2_195
; %bb.194:                              ;   in Loop: Header=BB2_193 Depth=2
	v_ashrrev_i32_e32 v4, 31, v1
	v_add_co_u32 v3, s9, s52, v1
	s_delay_alu instid0(VALU_DEP_1)
	v_add_co_ci_u32_e64 v4, s9, s53, v4, s9
	global_load_u8 v3, v[3:4], off
.LBB2_195:                              ;   in Loop: Header=BB2_193 Depth=2
	s_or_b32 exec_lo, exec_lo, s28
	s_waitcnt vmcnt(0)
	v_and_b32_e32 v4, s90, v3
	s_delay_alu instid0(VALU_DEP_1) | instskip(NEXT) | instid1(VALU_DEP_1)
	v_and_b32_e32 v4, 0xff, v4
	v_cmp_eq_u32_e64 s9, s89, v4
	s_delay_alu instid0(VALU_DEP_1) | instskip(NEXT) | instid1(SALU_CYCLE_1)
	s_and_b32 s28, vcc_lo, s9
	s_and_saveexec_b32 s9, s28
	s_cbranch_execz .LBB2_192
; %bb.196:                              ;   in Loop: Header=BB2_193 Depth=2
	v_lshlrev_b16 v3, 8, v3
	s_delay_alu instid0(VALU_DEP_1)
	v_or_b32_e32 v3, 1, v3
	ds_store_b16 v21, v3 offset:3072
	s_branch .LBB2_192
.LBB2_197:                              ;   in Loop: Header=BB2_8 Depth=1
                                        ; implicit-def: $sgpr19
                                        ; implicit-def: $sgpr27
                                        ; implicit-def: $sgpr26
	s_branch .LBB2_210
.LBB2_198:                              ;   in Loop: Header=BB2_8 Depth=1
	s_mov_b32 s19, -1
	s_mov_b32 s28, 0
                                        ; implicit-def: $sgpr26
                                        ; implicit-def: $vgpr22
	s_mov_b32 s27, s19
	s_cbranch_execnz .LBB2_201
	s_branch .LBB2_210
.LBB2_199:                              ;   in Loop: Header=BB2_8 Depth=1
	s_set_inst_prefetch_distance 0x2
	s_or_b32 exec_lo, exec_lo, s26
	v_lshrrev_b16 v22, 8, v3
	s_and_b32 s28, s27, exec_lo
.LBB2_200:                              ;   in Loop: Header=BB2_8 Depth=1
	s_or_b32 exec_lo, exec_lo, s19
	s_mov_b32 s26, -1
	s_mov_b32 s19, 0
	s_delay_alu instid0(SALU_CYCLE_1)
	s_mov_b32 s27, s19
	s_branch .LBB2_210
.LBB2_201:                              ;   in Loop: Header=BB2_8 Depth=1
	s_add_i32 s26, s18, s68
	s_mov_b32 s28, 0
	s_abs_i32 s9, s26
                                        ; implicit-def: $vgpr22
	s_delay_alu instid0(SALU_CYCLE_1) | instskip(NEXT) | instid1(SALU_CYCLE_1)
	s_mul_hi_u32 s19, s9, s77
	s_mul_i32 s19, s19, s64
	s_delay_alu instid0(SALU_CYCLE_1) | instskip(SKIP_4) | instid1(SALU_CYCLE_1)
	s_sub_i32 s9, s9, s19
	s_ashr_i32 s19, s26, 31
	s_sub_i32 s27, s9, s64
	s_cmp_ge_u32 s9, s64
	s_cselect_b32 s9, s27, s9
	s_sub_i32 s27, s9, s64
	s_cmp_ge_u32 s9, s64
	s_cselect_b32 s9, s27, s9
	s_delay_alu instid0(SALU_CYCLE_1) | instskip(NEXT) | instid1(SALU_CYCLE_1)
	s_xor_b32 s9, s9, s19
	s_sub_i32 s9, s19, s9
	s_mov_b32 s19, exec_lo
	s_add_i32 s26, s26, s9
	s_delay_alu instid0(SALU_CYCLE_1)
	v_cmpx_gt_i32_e64 s26, v0
	s_cbranch_execz .LBB2_209
; %bb.202:                              ;   in Loop: Header=BB2_8 Depth=1
	v_mov_b32_e32 v1, v0
	s_mov_b32 s27, 0
                                        ; implicit-def: $sgpr28
	s_set_inst_prefetch_distance 0x1
	s_branch .LBB2_204
	.p2align	6
.LBB2_203:                              ;   in Loop: Header=BB2_204 Depth=2
	s_or_b32 exec_lo, exec_lo, s9
	s_waitcnt lgkmcnt(0)
	s_barrier
	buffer_gl0_inv
	ds_load_u16 v2, v21 offset:3072
	v_add_nc_u32_e32 v1, s64, v1
	s_waitcnt lgkmcnt(0)
	s_barrier
	buffer_gl0_inv
	v_cmp_le_i32_e32 vcc_lo, s26, v1
	v_and_b32_e32 v3, 0xff, v2
	s_delay_alu instid0(VALU_DEP_1) | instskip(NEXT) | instid1(VALU_DEP_1)
	v_cmp_ne_u16_e64 s9, 0, v3
	s_or_b32 s45, vcc_lo, s9
	s_delay_alu instid0(SALU_CYCLE_1) | instskip(NEXT) | instid1(SALU_CYCLE_1)
	s_and_b32 s45, exec_lo, s45
	s_or_b32 s27, s45, s27
	s_and_not1_b32 s28, s28, exec_lo
	s_and_b32 s9, s9, exec_lo
	s_delay_alu instid0(SALU_CYCLE_1)
	s_or_b32 s28, s28, s9
	s_and_not1_b32 exec_lo, exec_lo, s27
	s_cbranch_execz .LBB2_208
.LBB2_204:                              ;   Parent Loop BB2_8 Depth=1
                                        ; =>  This Inner Loop Header: Depth=2
	s_delay_alu instid0(VALU_DEP_1)
	v_cmp_gt_i32_e32 vcc_lo, s18, v1
	v_mov_b32_e32 v2, 0
	s_and_saveexec_b32 s9, vcc_lo
	s_cbranch_execz .LBB2_206
; %bb.205:                              ;   in Loop: Header=BB2_204 Depth=2
	ds_load_u8 v2, v1
.LBB2_206:                              ;   in Loop: Header=BB2_204 Depth=2
	s_or_b32 exec_lo, exec_lo, s9
	s_waitcnt lgkmcnt(0)
	v_and_b32_e32 v3, s90, v2
	s_delay_alu instid0(VALU_DEP_1) | instskip(NEXT) | instid1(VALU_DEP_1)
	v_and_b32_e32 v3, 0xff, v3
	v_cmp_eq_u32_e64 s9, s89, v3
	s_delay_alu instid0(VALU_DEP_1) | instskip(NEXT) | instid1(SALU_CYCLE_1)
	s_and_b32 s45, vcc_lo, s9
	s_and_saveexec_b32 s9, s45
	s_cbranch_execz .LBB2_203
; %bb.207:                              ;   in Loop: Header=BB2_204 Depth=2
	v_lshlrev_b16 v2, 8, v2
	s_delay_alu instid0(VALU_DEP_1)
	v_or_b32_e32 v2, 1, v2
	ds_store_b16 v21, v2 offset:3072
	s_branch .LBB2_203
.LBB2_208:                              ;   in Loop: Header=BB2_8 Depth=1
	s_set_inst_prefetch_distance 0x2
	s_or_b32 exec_lo, exec_lo, s27
	v_lshrrev_b16 v22, 8, v2
	s_and_b32 s28, s28, exec_lo
.LBB2_209:                              ;   in Loop: Header=BB2_8 Depth=1
	s_or_b32 exec_lo, exec_lo, s19
	s_mov_b32 s27, -1
	s_mov_b32 s19, 0
	s_mov_b32 s26, 0
.LBB2_210:                              ;   in Loop: Header=BB2_8 Depth=1
	s_mov_b32 s45, 0
                                        ; implicit-def: $sgpr9
	s_and_saveexec_b32 s18, s28
	s_cbranch_execz .LBB2_224
; %bb.211:                              ;   in Loop: Header=BB2_8 Depth=1
	s_xor_b32 s9, s17, -1
	s_delay_alu instid0(SALU_CYCLE_1)
	s_and_not1_b32 vcc_lo, exec_lo, s9
	s_mov_b32 s9, 1
	s_cbranch_vccnz .LBB2_218
; %bb.212:                              ;   in Loop: Header=BB2_8 Depth=1
	s_cmp_gt_i32 s25, s10
	s_cbranch_scc1 .LBB2_219
; %bb.213:                              ;   in Loop: Header=BB2_8 Depth=1
	ds_load_b32 v1, v21 offset:4096
	s_waitcnt lgkmcnt(0)
	v_cmp_ne_u32_e32 vcc_lo, 0, v1
	s_cbranch_vccnz .LBB2_217
; %bb.214:                              ;   in Loop: Header=BB2_8 Depth=1
	s_and_saveexec_b32 s9, s0
	s_cbranch_execz .LBB2_216
; %bb.215:                              ;   in Loop: Header=BB2_8 Depth=1
	v_mov_b32_e32 v1, s10
	ds_store_b32 v21, v1 offset:4100
.LBB2_216:                              ;   in Loop: Header=BB2_8 Depth=1
	s_or_b32 exec_lo, exec_lo, s9
	s_waitcnt lgkmcnt(0)
	s_barrier
	buffer_gl0_inv
.LBB2_217:                              ;   in Loop: Header=BB2_8 Depth=1
	s_or_b32 s17, s89, s12
	s_or_b32 s12, s90, s12
	s_mov_b32 s28, 0
	s_mov_b32 s9, 8
	s_branch .LBB2_220
.LBB2_218:                              ;   in Loop: Header=BB2_8 Depth=1
	s_mov_b32 s25, 1
	s_branch .LBB2_223
.LBB2_219:                              ;   in Loop: Header=BB2_8 Depth=1
	s_mov_b32 s28, -1
                                        ; implicit-def: $sgpr9
                                        ; implicit-def: $sgpr17
                                        ; implicit-def: $sgpr12
.LBB2_220:                              ;   in Loop: Header=BB2_8 Depth=1
	s_delay_alu instid0(SALU_CYCLE_1)
	s_and_not1_b32 vcc_lo, exec_lo, s28
	s_cbranch_vccnz .LBB2_222
; %bb.221:                              ;   in Loop: Header=BB2_8 Depth=1
	s_sub_i32 s25, s25, s10
	s_mov_b32 s9, 8
	s_mov_b32 s17, s89
	;; [unrolled: 1-line block ×3, first 2 shown]
.LBB2_222:                              ;   in Loop: Header=BB2_8 Depth=1
	s_mov_b32 s89, s17
	s_mov_b32 s90, s12
.LBB2_223:                              ;   in Loop: Header=BB2_8 Depth=1
	s_mov_b32 s45, exec_lo
.LBB2_224:                              ;   in Loop: Header=BB2_8 Depth=1
	s_or_b32 exec_lo, exec_lo, s18
.LBB2_225:                              ;   in Loop: Header=BB2_8 Depth=1
	s_delay_alu instid0(SALU_CYCLE_1)
	s_and_not1_b32 s10, s21, exec_lo
	s_and_b32 s12, s19, exec_lo
	s_and_not1_b32 s17, s22, exec_lo
	s_or_b32 s21, s10, s12
	s_and_not1_b32 s10, s23, exec_lo
	s_and_b32 s12, s27, exec_lo
	s_and_b32 s18, s26, exec_lo
	s_or_b32 s23, s10, s12
	s_or_b32 s22, s17, s18
	s_and_b32 s28, s45, exec_lo
	s_mov_b32 s26, s25
.LBB2_226:                              ;   in Loop: Header=BB2_8 Depth=1
	s_or_b32 exec_lo, exec_lo, s24
.LBB2_227:                              ;   in Loop: Header=BB2_8 Depth=1
	s_delay_alu instid0(SALU_CYCLE_1)
	s_and_not1_b32 s10, s15, exec_lo
	s_and_b32 s12, s21, exec_lo
	s_and_not1_b32 s14, s14, exec_lo
	s_or_b32 s15, s10, s12
	s_and_not1_b32 s10, s16, exec_lo
	s_and_b32 s12, s23, exec_lo
	s_and_b32 s17, s22, exec_lo
	s_or_b32 s16, s10, s12
	s_or_b32 s14, s14, s17
	s_and_b32 s25, s28, exec_lo
	s_mov_b32 s22, s26
.LBB2_228:                              ;   in Loop: Header=BB2_8 Depth=1
	s_or_b32 exec_lo, exec_lo, s20
	s_and_saveexec_b32 s10, s25
	s_delay_alu instid0(SALU_CYCLE_1)
	s_xor_b32 s10, exec_lo, s10
	s_cbranch_execz .LBB2_6
.LBB2_229:                              ;   in Loop: Header=BB2_8 Depth=1
	s_and_b32 s9, s9, -9
	s_delay_alu instid0(SALU_CYCLE_1)
	s_cmp_eq_u32 s9, 0
	s_cbranch_scc1 .LBB2_4
; %bb.230:                              ;   in Loop: Header=BB2_8 Depth=1
	s_mov_b32 s9, -1
	s_mov_b32 s12, -1
                                        ; implicit-def: $sgpr90
                                        ; implicit-def: $sgpr22
                                        ; implicit-def: $sgpr80
                                        ; implicit-def: $sgpr87
	s_branch .LBB2_5
.LBB2_231:
	s_or_b32 exec_lo, exec_lo, s65
	s_xor_b32 s4, s84, -1
	s_xor_b32 s1, s82, -1
	;; [unrolled: 1-line block ×3, first 2 shown]
	s_mov_b32 s2, 0
	s_and_saveexec_b32 s5, s1
	s_delay_alu instid0(SALU_CYCLE_1)
	s_xor_b32 s1, exec_lo, s5
	s_cbranch_execz .LBB2_252
; %bb.232:
	s_and_saveexec_b32 s2, s4
	s_delay_alu instid0(SALU_CYCLE_1)
	s_xor_b32 s2, exec_lo, s2
	s_cbranch_execz .LBB2_250
; %bb.233:
	s_and_saveexec_b32 s4, s3
	s_delay_alu instid0(SALU_CYCLE_1)
	s_xor_b32 s3, exec_lo, s4
; %bb.234:
	v_mov_b32_e32 v22, v1
; %bb.235:
	s_or_b32 exec_lo, exec_lo, s3
	s_and_saveexec_b32 s3, s0
	s_cbranch_execz .LBB2_237
; %bb.236:
	v_dual_mov_b32 v1, 0 :: v_dual_mov_b32 v2, s44
	ds_store_b32 v1, v2 offset:4108
.LBB2_237:
	s_or_b32 exec_lo, exec_lo, s3
	v_mov_b32_e32 v1, 0
	s_waitcnt lgkmcnt(0)
	s_barrier
	buffer_gl0_inv
	s_mov_b32 s3, exec_lo
	ds_load_b32 v1, v1 offset:4108
	s_waitcnt lgkmcnt(0)
	v_min_i32_e32 v1, s44, v1
	s_delay_alu instid0(VALU_DEP_1)
	v_cmpx_lt_i32_e64 v0, v1
	s_cbranch_execz .LBB2_247
; %bb.238:
	v_and_b32_e32 v3, 0xff, v22
	s_mov_b32 s4, 0
                                        ; implicit-def: $sgpr5
                                        ; implicit-def: $sgpr7
                                        ; implicit-def: $sgpr6
	s_set_inst_prefetch_distance 0x1
	s_branch .LBB2_240
	.p2align	6
.LBB2_239:                              ;   in Loop: Header=BB2_240 Depth=1
	s_or_b32 exec_lo, exec_lo, s8
	s_delay_alu instid0(SALU_CYCLE_1) | instskip(NEXT) | instid1(SALU_CYCLE_1)
	s_and_b32 s8, exec_lo, s7
	s_or_b32 s4, s8, s4
	s_and_not1_b32 s5, s5, exec_lo
	s_and_b32 s8, s6, exec_lo
	s_delay_alu instid0(SALU_CYCLE_1)
	s_or_b32 s5, s5, s8
	s_and_not1_b32 exec_lo, exec_lo, s4
	s_cbranch_execz .LBB2_242
.LBB2_240:                              ; =>This Inner Loop Header: Depth=1
	v_ashrrev_i32_e32 v2, 31, v11
	v_add_co_u32 v4, vcc_lo, s52, v11
	s_or_b32 s6, s6, exec_lo
	s_or_b32 s7, s7, exec_lo
	s_delay_alu instid0(VALU_DEP_2)
	v_add_co_ci_u32_e32 v5, vcc_lo, s53, v2, vcc_lo
	v_mov_b32_e32 v2, v0
	s_mov_b32 s8, exec_lo
                                        ; implicit-def: $vgpr0
	global_load_u8 v4, v[4:5], off
	s_waitcnt vmcnt(0)
	v_cmpx_ne_u16_e64 v4, v3
	s_cbranch_execz .LBB2_239
; %bb.241:                              ;   in Loop: Header=BB2_240 Depth=1
	v_add_nc_u32_e32 v0, s64, v2
	s_and_not1_b32 s7, s7, exec_lo
	v_add_nc_u32_e32 v11, s67, v11
	s_and_not1_b32 s6, s6, exec_lo
	s_delay_alu instid0(VALU_DEP_2) | instskip(SKIP_1) | instid1(SALU_CYCLE_1)
	v_cmp_ge_i32_e32 vcc_lo, v0, v1
	s_and_b32 s9, vcc_lo, exec_lo
	s_or_b32 s7, s7, s9
	s_branch .LBB2_239
.LBB2_242:
	s_set_inst_prefetch_distance 0x2
	s_or_b32 exec_lo, exec_lo, s4
	s_and_saveexec_b32 s4, s5
	s_delay_alu instid0(SALU_CYCLE_1)
	s_xor_b32 s4, exec_lo, s4
	s_cbranch_execz .LBB2_247
; %bb.243:
	s_mov_b32 s5, exec_lo
	s_brev_b32 s4, -2
.LBB2_244:                              ; =>This Inner Loop Header: Depth=1
	s_ctz_i32_b32 s6, s5
	s_delay_alu instid0(SALU_CYCLE_1) | instskip(SKIP_1) | instid1(SALU_CYCLE_1)
	v_readlane_b32 s7, v2, s6
	s_lshl_b32 s6, 1, s6
	s_and_not1_b32 s5, s5, s6
	s_delay_alu instid0(VALU_DEP_1)
	s_min_i32 s4, s4, s7
	s_cmp_lg_u32 s5, 0
	s_cbranch_scc1 .LBB2_244
; %bb.245:
	v_mbcnt_lo_u32_b32 v0, exec_lo, 0
	s_mov_b32 s5, exec_lo
	s_delay_alu instid0(VALU_DEP_1)
	v_cmpx_eq_u32_e32 0, v0
	s_xor_b32 s5, exec_lo, s5
	s_cbranch_execz .LBB2_247
; %bb.246:
	v_dual_mov_b32 v0, 0 :: v_dual_mov_b32 v1, s4
	ds_min_i32 v0, v1 offset:4108
.LBB2_247:
	s_or_b32 exec_lo, exec_lo, s3
	s_waitcnt lgkmcnt(0)
	s_barrier
	buffer_gl0_inv
	s_and_saveexec_b32 s3, s0
	s_cbranch_execz .LBB2_249
; %bb.248:
	s_mul_i32 s4, s61, s56
	s_mul_i32 s0, s46, s31
	s_sub_i32 s4, s57, s4
	s_sub_i32 s0, s29, s0
	s_xor_b32 s5, s62, s63
	s_add_i32 s6, s61, 1
	s_sub_i32 s7, s4, s56
	s_cmp_ge_u32 s4, s56
	s_mul_i32 s0, s0, s42
	s_cselect_b32 s6, s6, s61
	s_cselect_b32 s4, s7, s4
	s_add_i32 s7, s6, 1
	s_cmp_ge_u32 s4, s56
	v_mov_b32_e32 v2, 0
	s_cselect_b32 s4, s7, s6
	s_mul_i32 s7, s43, s33
	s_xor_b32 s4, s4, s5
	s_mul_i32 s6, s39, s35
	s_sub_i32 s4, s4, s5
	s_sub_i32 s6, s29, s6
	s_mul_i32 s5, s4, s30
	s_mul_i32 s4, s4, s40
	s_sub_i32 s5, s46, s5
	s_xor_b32 s8, s59, s60
	s_mul_i32 s5, s5, s41
	ds_load_b32 v0, v2 offset:4108
	s_add_i32 s0, s5, s0
	s_sub_i32 s5, s58, s7
	s_add_i32 s0, s0, s4
	s_add_i32 s4, s43, 1
	s_sub_i32 s7, s5, s33
	s_cmp_ge_u32 s5, s33
	s_mul_i32 s6, s6, s38
	s_cselect_b32 s4, s4, s43
	s_cselect_b32 s5, s7, s5
	s_add_i32 s7, s4, 1
	s_cmp_ge_u32 s5, s33
	s_cselect_b32 s4, s7, s4
	s_ashr_i32 s7, s0, 31
	s_xor_b32 s4, s4, s8
	s_delay_alu instid0(SALU_CYCLE_1) | instskip(NEXT) | instid1(SALU_CYCLE_1)
	s_sub_i32 s4, s4, s8
	s_mul_i32 s5, s4, s34
	s_mul_i32 s4, s4, s36
	s_sub_i32 s5, s39, s5
	s_waitcnt lgkmcnt(0)
	v_ashrrev_i32_e32 v1, 31, v0
	s_mul_i32 s5, s5, s37
	s_delay_alu instid0(SALU_CYCLE_1) | instskip(NEXT) | instid1(SALU_CYCLE_1)
	s_add_i32 s5, s5, s6
	s_add_i32 s4, s5, s4
	s_add_u32 s6, s50, s0
	s_addc_u32 s7, s51, s7
	s_ashr_i32 s5, s4, 31
	s_delay_alu instid0(SALU_CYCLE_1) | instskip(NEXT) | instid1(SALU_CYCLE_1)
	s_lshl_b64 s[4:5], s[4:5], 3
	s_add_u32 s4, s48, s4
	s_addc_u32 s5, s49, s5
	s_clause 0x1
	global_store_b64 v2, v[0:1], s[4:5]
	global_store_b8 v2, v22, s[6:7]
.LBB2_249:
	s_or_b32 exec_lo, exec_lo, s3
.LBB2_250:
	s_or_saveexec_b32 s0, s2
	s_mov_b32 s2, 0
	s_xor_b32 exec_lo, exec_lo, s0
	s_cbranch_execnz .LBB2_258
.LBB2_251:
	s_or_b32 exec_lo, exec_lo, s0
	s_delay_alu instid0(SALU_CYCLE_1)
	s_and_b32 s2, s2, exec_lo
.LBB2_252:
	s_and_not1_saveexec_b32 s0, s1
	s_cbranch_execnz .LBB2_256
; %bb.253:
	s_or_b32 exec_lo, exec_lo, s0
	s_and_saveexec_b32 s0, s2
.LBB2_254:
	; divergent unreachable
.LBB2_255:
	s_nop 0
	s_sendmsg sendmsg(MSG_DEALLOC_VGPRS)
	s_endpgm
.LBB2_256:
	s_cbranch_execnz .LBB2_260
; %bb.257:
	s_or_b32 s2, s2, exec_lo
	s_or_b32 exec_lo, exec_lo, s0
	s_and_saveexec_b32 s0, s2
	s_cbranch_execnz .LBB2_254
	s_branch .LBB2_255
.LBB2_258:
	s_cbranch_execnz .LBB2_262
; %bb.259:
	s_mov_b32 s2, exec_lo
	s_branch .LBB2_251
.LBB2_260:
	s_trap 2
	s_sendmsg_rtn_b32 s0, sendmsg(MSG_RTN_GET_DOORBELL)
	s_mov_b32 ttmp2, m0
	s_waitcnt lgkmcnt(0)
	s_and_b32 s0, s0, 0x3ff
	s_delay_alu instid0(SALU_CYCLE_1) | instskip(NEXT) | instid1(SALU_CYCLE_1)
	s_bitset1_b32 s0, 10
	s_mov_b32 m0, s0
	s_sendmsg sendmsg(MSG_INTERRUPT)
	s_mov_b32 m0, ttmp2
.LBB2_261:                              ; =>This Inner Loop Header: Depth=1
	s_sethalt 5
	s_branch .LBB2_261
.LBB2_262:
	s_trap 2
	s_sendmsg_rtn_b32 s0, sendmsg(MSG_RTN_GET_DOORBELL)
	s_mov_b32 ttmp2, m0
	s_waitcnt lgkmcnt(0)
	s_and_b32 s0, s0, 0x3ff
	s_delay_alu instid0(SALU_CYCLE_1) | instskip(NEXT) | instid1(SALU_CYCLE_1)
	s_bitset1_b32 s0, 10
	s_mov_b32 m0, s0
	s_sendmsg sendmsg(MSG_INTERRUPT)
	s_mov_b32 m0, ttmp2
.LBB2_263:                              ; =>This Inner Loop Header: Depth=1
	s_sethalt 5
	s_branch .LBB2_263
	.section	.rodata,"a",@progbits
	.p2align	6, 0x0
	.amdhsa_kernel _ZN2at6native12_GLOBAL__N_114gatherKthValueIhiLi3EEEvNS_4cuda6detail10TensorInfoIKT_T0_EES8_S8_S8_S8_NS5_IS6_S8_EENS5_IlS8_EE
		.amdhsa_group_segment_fixed_size 4112
		.amdhsa_private_segment_fixed_size 0
		.amdhsa_kernarg_size 920
		.amdhsa_user_sgpr_count 13
		.amdhsa_user_sgpr_dispatch_ptr 0
		.amdhsa_user_sgpr_queue_ptr 0
		.amdhsa_user_sgpr_kernarg_segment_ptr 1
		.amdhsa_user_sgpr_dispatch_id 0
		.amdhsa_user_sgpr_private_segment_size 0
		.amdhsa_wavefront_size32 1
		.amdhsa_uses_dynamic_stack 0
		.amdhsa_enable_private_segment 0
		.amdhsa_system_sgpr_workgroup_id_x 1
		.amdhsa_system_sgpr_workgroup_id_y 1
		.amdhsa_system_sgpr_workgroup_id_z 1
		.amdhsa_system_sgpr_workgroup_info 0
		.amdhsa_system_vgpr_workitem_id 0
		.amdhsa_next_free_vgpr 36
		.amdhsa_next_free_sgpr 100
		.amdhsa_reserve_vcc 1
		.amdhsa_float_round_mode_32 0
		.amdhsa_float_round_mode_16_64 0
		.amdhsa_float_denorm_mode_32 3
		.amdhsa_float_denorm_mode_16_64 3
		.amdhsa_dx10_clamp 1
		.amdhsa_ieee_mode 1
		.amdhsa_fp16_overflow 0
		.amdhsa_workgroup_processor_mode 1
		.amdhsa_memory_ordered 1
		.amdhsa_forward_progress 0
		.amdhsa_shared_vgpr_count 0
		.amdhsa_exception_fp_ieee_invalid_op 0
		.amdhsa_exception_fp_denorm_src 0
		.amdhsa_exception_fp_ieee_div_zero 0
		.amdhsa_exception_fp_ieee_overflow 0
		.amdhsa_exception_fp_ieee_underflow 0
		.amdhsa_exception_fp_ieee_inexact 0
		.amdhsa_exception_int_div_zero 0
	.end_amdhsa_kernel
	.section	.text._ZN2at6native12_GLOBAL__N_114gatherKthValueIhiLi3EEEvNS_4cuda6detail10TensorInfoIKT_T0_EES8_S8_S8_S8_NS5_IS6_S8_EENS5_IlS8_EE,"axG",@progbits,_ZN2at6native12_GLOBAL__N_114gatherKthValueIhiLi3EEEvNS_4cuda6detail10TensorInfoIKT_T0_EES8_S8_S8_S8_NS5_IS6_S8_EENS5_IlS8_EE,comdat
.Lfunc_end2:
	.size	_ZN2at6native12_GLOBAL__N_114gatherKthValueIhiLi3EEEvNS_4cuda6detail10TensorInfoIKT_T0_EES8_S8_S8_S8_NS5_IS6_S8_EENS5_IlS8_EE, .Lfunc_end2-_ZN2at6native12_GLOBAL__N_114gatherKthValueIhiLi3EEEvNS_4cuda6detail10TensorInfoIKT_T0_EES8_S8_S8_S8_NS5_IS6_S8_EENS5_IlS8_EE
                                        ; -- End function
	.section	.AMDGPU.csdata,"",@progbits
; Kernel info:
; codeLenInByte = 10436
; NumSgprs: 102
; NumVgprs: 36
; ScratchSize: 0
; MemoryBound: 0
; FloatMode: 240
; IeeeMode: 1
; LDSByteSize: 4112 bytes/workgroup (compile time only)
; SGPRBlocks: 12
; VGPRBlocks: 4
; NumSGPRsForWavesPerEU: 102
; NumVGPRsForWavesPerEU: 36
; Occupancy: 16
; WaveLimiterHint : 1
; COMPUTE_PGM_RSRC2:SCRATCH_EN: 0
; COMPUTE_PGM_RSRC2:USER_SGPR: 13
; COMPUTE_PGM_RSRC2:TRAP_HANDLER: 0
; COMPUTE_PGM_RSRC2:TGID_X_EN: 1
; COMPUTE_PGM_RSRC2:TGID_Y_EN: 1
; COMPUTE_PGM_RSRC2:TGID_Z_EN: 1
; COMPUTE_PGM_RSRC2:TIDIG_COMP_CNT: 0
	.section	.text._ZN2at6native12_GLOBAL__N_114gatherKthValueIhiLin1EEEvNS_4cuda6detail10TensorInfoIKT_T0_EES8_S8_S8_S8_NS5_IS6_S8_EENS5_IlS8_EE,"axG",@progbits,_ZN2at6native12_GLOBAL__N_114gatherKthValueIhiLin1EEEvNS_4cuda6detail10TensorInfoIKT_T0_EES8_S8_S8_S8_NS5_IS6_S8_EENS5_IlS8_EE,comdat
	.globl	_ZN2at6native12_GLOBAL__N_114gatherKthValueIhiLin1EEEvNS_4cuda6detail10TensorInfoIKT_T0_EES8_S8_S8_S8_NS5_IS6_S8_EENS5_IlS8_EE ; -- Begin function _ZN2at6native12_GLOBAL__N_114gatherKthValueIhiLin1EEEvNS_4cuda6detail10TensorInfoIKT_T0_EES8_S8_S8_S8_NS5_IS6_S8_EENS5_IlS8_EE
	.p2align	8
	.type	_ZN2at6native12_GLOBAL__N_114gatherKthValueIhiLin1EEEvNS_4cuda6detail10TensorInfoIKT_T0_EES8_S8_S8_S8_NS5_IS6_S8_EENS5_IlS8_EE,@function
_ZN2at6native12_GLOBAL__N_114gatherKthValueIhiLin1EEEvNS_4cuda6detail10TensorInfoIKT_T0_EES8_S8_S8_S8_NS5_IS6_S8_EENS5_IlS8_EE: ; @_ZN2at6native12_GLOBAL__N_114gatherKthValueIhiLin1EEEvNS_4cuda6detail10TensorInfoIKT_T0_EES8_S8_S8_S8_NS5_IS6_S8_EENS5_IlS8_EE
; %bb.0:
	s_clause 0x1
	s_load_b64 s[6:7], s[0:1], 0x298
	s_load_b128 s[36:39], s[0:1], 0xd8
	s_add_u32 s4, s0, 0x298
	s_addc_u32 s5, s1, 0
	s_waitcnt lgkmcnt(0)
	s_mul_i32 s2, s7, s15
	s_delay_alu instid0(SALU_CYCLE_1) | instskip(NEXT) | instid1(SALU_CYCLE_1)
	s_add_i32 s2, s2, s14
	s_mul_i32 s2, s2, s6
	s_delay_alu instid0(SALU_CYCLE_1) | instskip(NEXT) | instid1(SALU_CYCLE_1)
	s_add_i32 s33, s2, s13
	s_cmp_ge_i32 s33, s38
	s_cbranch_scc1 .LBB3_264
; %bb.1:
	s_load_b32 s8, s[0:1], 0xd0
	s_mov_b32 s3, 0
	s_mov_b32 s7, s33
	s_waitcnt lgkmcnt(0)
	s_cmp_lt_i32 s8, 2
	s_cbranch_scc1 .LBB3_4
; %bb.2:
	s_add_i32 s2, s8, -1
	s_delay_alu instid0(SALU_CYCLE_1)
	s_lshl_b64 s[10:11], s[2:3], 2
	s_add_i32 s2, s8, 1
	s_add_u32 s7, s10, s0
	s_addc_u32 s9, s11, s1
	s_add_u32 s8, s7, 8
	s_addc_u32 s9, s9, 0
	s_mov_b32 s7, s33
	s_set_inst_prefetch_distance 0x1
	.p2align	6
.LBB3_3:                                ; =>This Inner Loop Header: Depth=1
	s_clause 0x1
	s_load_b32 s10, s[8:9], 0x0
	s_load_b32 s11, s[8:9], 0x64
	s_mov_b32 s16, s7
	s_waitcnt lgkmcnt(0)
	s_abs_i32 s12, s10
	s_delay_alu instid0(SALU_CYCLE_1)
	v_cvt_f32_u32_e32 v1, s12
	s_sub_i32 s15, 0, s12
	s_waitcnt_depctr 0xfff
	v_rcp_iflag_f32_e32 v1, v1
	s_waitcnt_depctr 0xfff
	v_mul_f32_e32 v1, 0x4f7ffffe, v1
	s_delay_alu instid0(VALU_DEP_1) | instskip(NEXT) | instid1(VALU_DEP_1)
	v_cvt_u32_f32_e32 v1, v1
	v_readfirstlane_b32 s14, v1
	s_delay_alu instid0(VALU_DEP_1) | instskip(NEXT) | instid1(SALU_CYCLE_1)
	s_mul_i32 s15, s15, s14
	s_mul_hi_u32 s7, s14, s15
	s_abs_i32 s15, s16
	s_add_i32 s14, s14, s7
	s_delay_alu instid0(SALU_CYCLE_1)
	s_mul_hi_u32 s7, s15, s14
	s_xor_b32 s14, s16, s10
	s_mul_i32 s17, s7, s12
	s_ashr_i32 s14, s14, 31
	s_sub_i32 s15, s15, s17
	s_add_i32 s17, s7, 1
	s_sub_i32 s18, s15, s12
	s_cmp_ge_u32 s15, s12
	s_cselect_b32 s7, s17, s7
	s_cselect_b32 s15, s18, s15
	s_add_i32 s17, s7, 1
	s_cmp_ge_u32 s15, s12
	s_cselect_b32 s7, s17, s7
	s_add_i32 s2, s2, -1
	s_xor_b32 s7, s7, s14
	s_delay_alu instid0(SALU_CYCLE_1) | instskip(NEXT) | instid1(SALU_CYCLE_1)
	s_sub_i32 s7, s7, s14
	s_mul_i32 s10, s7, s10
	s_delay_alu instid0(SALU_CYCLE_1) | instskip(NEXT) | instid1(SALU_CYCLE_1)
	s_sub_i32 s10, s16, s10
	s_mul_i32 s10, s11, s10
	s_delay_alu instid0(SALU_CYCLE_1)
	s_add_i32 s3, s10, s3
	s_add_u32 s8, s8, -4
	s_addc_u32 s9, s9, -1
	s_cmp_gt_u32 s2, 2
	s_cbranch_scc1 .LBB3_3
.LBB3_4:
	s_set_inst_prefetch_distance 0x2
	s_load_b32 s2, s[0:1], 0x1b8
	s_add_u32 s8, s0, 0xe8
	s_addc_u32 s9, s1, 0
	s_mov_b32 s29, 0
	s_mov_b32 s38, s33
	s_waitcnt lgkmcnt(0)
	s_cmp_lt_i32 s2, 2
	s_cbranch_scc1 .LBB3_7
; %bb.5:
	s_add_i32 s28, s2, -1
	s_add_i32 s2, s2, 1
	s_lshl_b64 s[10:11], s[28:29], 2
	s_mov_b32 s38, s33
	s_add_u32 s10, s10, s8
	s_addc_u32 s11, s11, s9
	s_add_u32 s10, s10, 8
	s_addc_u32 s11, s11, 0
	s_set_inst_prefetch_distance 0x1
	.p2align	6
.LBB3_6:                                ; =>This Inner Loop Header: Depth=1
	s_clause 0x1
	s_load_b32 s12, s[10:11], 0x0
	s_load_b32 s14, s[10:11], 0x64
	s_abs_i32 s19, s38
	s_mov_b32 s18, s38
	s_waitcnt lgkmcnt(0)
	s_abs_i32 s15, s12
	s_delay_alu instid0(SALU_CYCLE_1)
	v_cvt_f32_u32_e32 v1, s15
	s_sub_i32 s17, 0, s15
	s_waitcnt_depctr 0xfff
	v_rcp_iflag_f32_e32 v1, v1
	s_waitcnt_depctr 0xfff
	v_mul_f32_e32 v1, 0x4f7ffffe, v1
	s_delay_alu instid0(VALU_DEP_1) | instskip(NEXT) | instid1(VALU_DEP_1)
	v_cvt_u32_f32_e32 v1, v1
	v_readfirstlane_b32 s16, v1
	s_delay_alu instid0(VALU_DEP_1) | instskip(NEXT) | instid1(SALU_CYCLE_1)
	s_mul_i32 s17, s17, s16
	s_mul_hi_u32 s17, s16, s17
	s_delay_alu instid0(SALU_CYCLE_1) | instskip(SKIP_4) | instid1(SALU_CYCLE_1)
	s_add_i32 s16, s16, s17
	s_xor_b32 s17, s38, s12
	s_mul_hi_u32 s16, s19, s16
	s_ashr_i32 s17, s17, 31
	s_mul_i32 s20, s16, s15
	s_sub_i32 s19, s19, s20
	s_add_i32 s20, s16, 1
	s_sub_i32 s21, s19, s15
	s_cmp_ge_u32 s19, s15
	s_cselect_b32 s16, s20, s16
	s_cselect_b32 s19, s21, s19
	s_add_i32 s20, s16, 1
	s_cmp_ge_u32 s19, s15
	s_cselect_b32 s15, s20, s16
	s_add_i32 s2, s2, -1
	s_xor_b32 s15, s15, s17
	s_delay_alu instid0(SALU_CYCLE_1) | instskip(NEXT) | instid1(SALU_CYCLE_1)
	s_sub_i32 s38, s15, s17
	s_mul_i32 s12, s38, s12
	s_delay_alu instid0(SALU_CYCLE_1) | instskip(NEXT) | instid1(SALU_CYCLE_1)
	s_sub_i32 s12, s18, s12
	s_mul_i32 s12, s14, s12
	s_delay_alu instid0(SALU_CYCLE_1)
	s_add_i32 s29, s12, s29
	s_add_u32 s10, s10, -4
	s_addc_u32 s11, s11, -1
	s_cmp_gt_u32 s2, 2
	s_cbranch_scc1 .LBB3_6
.LBB3_7:
	s_set_inst_prefetch_distance 0x2
	s_clause 0x1
	s_load_b32 s12, s[0:1], 0x6c
	s_load_b32 s2, s[0:1], 0x290
	s_add_u32 s10, s0, 0x1c0
	s_addc_u32 s11, s1, 0
	s_mov_b32 s31, 0
	s_waitcnt lgkmcnt(0)
	s_cmp_lt_i32 s2, 2
	s_cbranch_scc1 .LBB3_10
; %bb.8:
	s_add_i32 s30, s2, -1
	s_add_i32 s2, s2, 1
	s_lshl_b64 s[14:15], s[30:31], 2
	s_delay_alu instid0(SALU_CYCLE_1)
	s_add_u32 s10, s14, s10
	s_addc_u32 s11, s15, s11
	s_add_u32 s10, s10, 8
	s_addc_u32 s11, s11, 0
	s_set_inst_prefetch_distance 0x1
	.p2align	6
.LBB3_9:                                ; =>This Inner Loop Header: Depth=1
	s_clause 0x1
	s_load_b32 s14, s[10:11], 0x0
	s_load_b32 s15, s[10:11], 0x64
	s_abs_i32 s20, s33
	s_mov_b32 s19, s33
	s_waitcnt lgkmcnt(0)
	s_abs_i32 s16, s14
	s_delay_alu instid0(SALU_CYCLE_1)
	v_cvt_f32_u32_e32 v1, s16
	s_sub_i32 s18, 0, s16
	s_waitcnt_depctr 0xfff
	v_rcp_iflag_f32_e32 v1, v1
	s_waitcnt_depctr 0xfff
	v_mul_f32_e32 v1, 0x4f7ffffe, v1
	s_delay_alu instid0(VALU_DEP_1) | instskip(NEXT) | instid1(VALU_DEP_1)
	v_cvt_u32_f32_e32 v1, v1
	v_readfirstlane_b32 s17, v1
	s_delay_alu instid0(VALU_DEP_1) | instskip(NEXT) | instid1(SALU_CYCLE_1)
	s_mul_i32 s18, s18, s17
	s_mul_hi_u32 s18, s17, s18
	s_delay_alu instid0(SALU_CYCLE_1) | instskip(SKIP_4) | instid1(SALU_CYCLE_1)
	s_add_i32 s17, s17, s18
	s_xor_b32 s18, s33, s14
	s_mul_hi_u32 s17, s20, s17
	s_ashr_i32 s18, s18, 31
	s_mul_i32 s21, s17, s16
	s_sub_i32 s20, s20, s21
	s_add_i32 s21, s17, 1
	s_sub_i32 s22, s20, s16
	s_cmp_ge_u32 s20, s16
	s_cselect_b32 s17, s21, s17
	s_cselect_b32 s20, s22, s20
	s_add_i32 s21, s17, 1
	s_cmp_ge_u32 s20, s16
	s_cselect_b32 s16, s21, s17
	s_add_i32 s2, s2, -1
	s_xor_b32 s16, s16, s18
	s_delay_alu instid0(SALU_CYCLE_1) | instskip(NEXT) | instid1(SALU_CYCLE_1)
	s_sub_i32 s33, s16, s18
	s_mul_i32 s14, s33, s14
	s_delay_alu instid0(SALU_CYCLE_1) | instskip(NEXT) | instid1(SALU_CYCLE_1)
	s_sub_i32 s14, s19, s14
	s_mul_i32 s14, s15, s14
	s_delay_alu instid0(SALU_CYCLE_1)
	s_add_i32 s31, s14, s31
	s_add_u32 s10, s10, -4
	s_addc_u32 s11, s11, -1
	s_cmp_gt_u32 s2, 2
	s_cbranch_scc1 .LBB3_9
.LBB3_10:
	s_set_inst_prefetch_distance 0x2
	s_clause 0x3
	s_load_b32 s30, s[8:9], 0x6c
	s_load_b64 s[8:9], s[0:1], 0x0
	s_load_b64 s[40:41], s[0:1], 0xe8
	;; [unrolled: 1-line block ×3, first 2 shown]
	v_cmp_eq_u32_e64 s2, 0, v0
	s_mov_b32 s48, 0
	s_delay_alu instid0(VALU_DEP_1)
	s_and_saveexec_b32 s10, s2
	s_cbranch_execz .LBB3_12
; %bb.11:
	v_dual_mov_b32 v1, 0 :: v_dual_mov_b32 v2, s36
	s_delay_alu instid0(VALU_DEP_1)
	v_mov_b32_e32 v3, v1
	ds_store_b96 v1, v[1:3] offset:4096
.LBB3_12:
	s_or_b32 exec_lo, exec_lo, s10
	s_waitcnt lgkmcnt(0)
	s_barrier
	buffer_gl0_inv
	s_load_b32 s10, s[4:5], 0xc
	s_mul_i32 s7, s12, s7
	v_mbcnt_lo_u32_b32 v12, -1, 0
	s_add_i32 s7, s7, s3
	v_cmp_gt_u32_e32 vcc_lo, 32, v0
	s_ashr_i32 s11, s7, 31
	s_add_u32 s42, s8, s7
	s_addc_u32 s43, s9, s11
	v_cmp_gt_i32_e64 s3, 4, v12
	s_load_b32 s46, s[0:1], 0x22c
	v_mul_lo_u32 v11, v0, s39
	v_cmp_gt_u32_e64 s0, 2, v0
	v_lshl_or_b32 v20, v12, 2, 0xc00
	s_and_b32 s50, vcc_lo, s3
	v_mov_b32_e32 v22, 0
	s_mov_b32 s60, 6
	s_mov_b32 s70, 0
	;; [unrolled: 1-line block ×3, first 2 shown]
	v_lshlrev_b32_e32 v18, 2, v11
	s_mov_b32 s73, 0
	s_waitcnt lgkmcnt(0)
	s_and_b32 s47, s10, 0xffff
	s_bfe_u32 s1, s10, 0xb0005
	s_lshl_b32 s49, s47, 2
	s_add_i32 s51, s47, -1
	v_cvt_f32_u32_e32 v1, s49
	s_add_i32 s63, s51, s36
	s_cmpk_gt_i32 s36, 0xc00
	v_cvt_f32_u32_e32 v2, s47
	s_cselect_b32 s52, -1, 0
	v_rcp_iflag_f32_e32 v1, v1
	s_cmp_gt_u32 s47, 31
	s_mov_b32 s10, s39
	s_cselect_b32 s53, -1, 0
	s_cmp_lt_u32 s13, s6
	v_rcp_iflag_f32_e32 v2, v2
	s_cselect_b32 s3, 12, 18
	v_lshlrev_b32_e32 v13, 2, v0
	s_add_u32 s44, s4, s3
	s_addc_u32 s45, s5, 0
	s_waitcnt_depctr 0xfff
	v_mul_f32_e32 v1, 0x4f7ffffe, v1
	s_add_i32 s3, s1, -1
	s_bfe_u32 s55, s47, 0x30005
	s_cmp_gt_u32 s3, 6
	s_mul_i32 s54, s39, s47
	v_cvt_u32_f32_e32 v1, v1
	s_cselect_b32 s56, -1, 0
	s_and_b32 s57, s1, 0x7f8
	s_cmp_lg_u32 s55, 0
	v_mul_f32_e32 v2, 0x4f7ffffe, v2
	v_readfirstlane_b32 s4, v1
	s_cselect_b32 s58, -1, 0
	s_sub_i32 s3, 0, s49
	v_lshrrev_b32_e32 v1, 3, v0
	v_cvt_u32_f32_e32 v2, v2
	s_mul_i32 s5, s3, s4
	v_cmp_gt_u32_e64 s1, s36, v0
	s_mul_hi_u32 s5, s4, s5
	v_dual_mov_b32 v21, 0 :: v_dual_and_b32 v14, 0x7c, v1
	s_add_i32 s59, s4, s5
	v_cmp_gt_i32_e64 s3, s36, v0
	s_mul_hi_u32 s4, s36, s59
                                        ; implicit-def: $sgpr65
                                        ; implicit-def: $sgpr67
                                        ; implicit-def: $sgpr66
                                        ; implicit-def: $sgpr69
                                        ; implicit-def: $sgpr71
                                        ; implicit-def: $sgpr68
	s_delay_alu instid0(SALU_CYCLE_1) | instskip(NEXT) | instid1(SALU_CYCLE_1)
	s_mul_i32 s4, s4, s49
	s_sub_i32 s5, s36, s4
	v_cmp_eq_u32_e64 s4, 0, v12
	s_sub_i32 s6, s5, s49
	s_cmp_ge_u32 s5, s49
	s_cselect_b32 s5, s6, s5
	v_readfirstlane_b32 s6, v2
	s_sub_i32 s7, s5, s49
	s_cmp_ge_u32 s5, s49
	v_lshlrev_b64 v[1:2], v12, -1
	s_cselect_b32 s9, s7, s5
	s_sub_i32 s5, 0, s47
	s_sub_i32 s62, s36, s9
	s_mul_i32 s5, s5, s6
	v_add_co_u32 v5, s7, s42, v11
	s_mul_hi_u32 s5, s6, s5
	v_add_nc_u32_e32 v16, s62, v0
	v_add_co_ci_u32_e64 v6, null, s43, 0, s7
	s_abs_i32 s7, s63
	s_add_i32 s61, s6, s5
	s_delay_alu instid0(VALU_DEP_2)
	v_mul_lo_u32 v2, v16, s39
	s_mul_hi_u32 s5, s7, s61
	s_ashr_i32 s8, s63, 31
	s_mul_i32 s5, s5, s47
	v_not_b32_e32 v15, v1
	s_sub_i32 s5, s7, s5
	v_add3_u32 v1, s47, s36, v0
	s_sub_i32 s6, s5, s47
	s_cmp_ge_u32 s5, s47
	v_ashrrev_i32_e32 v3, 31, v2
	s_cselect_b32 s6, s6, s5
	v_add_co_u32 v7, vcc_lo, s42, v2
	s_sub_i32 s7, s6, s47
	s_cmp_ge_u32 s6, s47
	v_add_co_ci_u32_e32 v8, vcc_lo, s43, v3, vcc_lo
	s_cselect_b32 s7, s7, s6
	v_or_b32_e32 v2, 2, v13
	v_or_b32_e32 v3, 3, v13
	v_subrev_nc_u32_e32 v1, s9, v1
	s_xor_b32 s11, s7, s8
	v_cmp_gt_i32_e64 s5, s62, v13
	s_sub_i32 s8, s8, s11
	v_mad_u64_u32 v[9:10], null, s39, v13, s[10:11]
	v_mul_lo_u32 v10, s39, v2
	v_mul_lo_u32 v17, s39, v3
	v_mul_lo_u32 v19, s39, v1
	s_add_i32 s63, s63, s8
	v_cmp_gt_u32_e64 s6, s36, v16
	v_cmp_gt_i32_e64 s7, s36, v16
	v_cmp_gt_i32_e64 s8, s63, v0
	s_lshl_b32 s64, s54, 2
	s_branch .LBB3_17
.LBB3_13:                               ;   in Loop: Header=BB3_17 Depth=1
	s_xor_b32 s70, s70, 1
	s_add_i32 s13, s60, -2
	s_cmp_eq_u32 s60, 0
	s_mov_b32 s9, 0
	s_cselect_b32 s12, -1, 0
	s_mov_b32 s60, s13
.LBB3_14:                               ;   in Loop: Header=BB3_17 Depth=1
	s_and_not1_b32 s13, s15, exec_lo
	s_and_b32 s9, s9, exec_lo
	s_and_not1_b32 s16, s16, exec_lo
	s_or_b32 s15, s13, s9
	s_and_not1_b32 s14, s14, exec_lo
	s_or_not1_b32 s13, s12, exec_lo
	s_mov_b32 s37, s22
.LBB3_15:                               ;   in Loop: Header=BB3_17 Depth=1
	s_or_b32 exec_lo, exec_lo, s10
	s_delay_alu instid0(SALU_CYCLE_1)
	s_and_not1_b32 s9, s68, exec_lo
	s_and_b32 s10, s15, exec_lo
	s_and_not1_b32 s12, s69, exec_lo
	s_or_b32 s68, s9, s10
	s_and_not1_b32 s9, s71, exec_lo
	s_and_b32 s10, s16, exec_lo
	s_and_b32 s14, s14, exec_lo
	s_or_b32 s71, s9, s10
	s_or_b32 s69, s12, s14
	s_or_not1_b32 s14, s13, exec_lo
.LBB3_16:                               ;   in Loop: Header=BB3_17 Depth=1
	s_or_b32 exec_lo, exec_lo, s11
	s_delay_alu instid0(SALU_CYCLE_1)
	s_and_b32 s9, exec_lo, s14
	v_mov_b32_e32 v1, s72
	s_or_b32 s48, s9, s48
	s_and_not1_b32 s9, s66, exec_lo
	s_and_b32 s10, s68, exec_lo
	s_and_not1_b32 s11, s65, exec_lo
	s_or_b32 s66, s9, s10
	s_and_not1_b32 s9, s67, exec_lo
	s_and_b32 s10, s71, exec_lo
	s_and_b32 s12, s69, exec_lo
	s_or_b32 s67, s9, s10
	s_or_b32 s65, s11, s12
	s_and_not1_b32 exec_lo, exec_lo, s48
	s_cbranch_execz .LBB3_240
.LBB3_17:                               ; =>This Loop Header: Depth=1
                                        ;     Child Loop BB3_22 Depth 2
                                        ;     Child Loop BB3_41 Depth 2
	;; [unrolled: 1-line block ×16, first 2 shown]
	ds_load_b64 v[1:2], v21 offset:4096
	s_waitcnt lgkmcnt(0)
	v_readfirstlane_b32 s74, v1
	s_delay_alu instid0(VALU_DEP_1)
	s_cmp_gt_i32 s74, 0
	s_cbranch_scc1 .LBB3_48
; %bb.18:                               ;   in Loop: Header=BB3_17 Depth=1
	s_and_b32 vcc_lo, exec_lo, s52
	s_cbranch_vccz .LBB3_30
; %bb.19:                               ;   in Loop: Header=BB3_17 Depth=1
	v_cmp_gt_i32_e32 vcc_lo, 0xc01, v2
	s_mov_b32 s10, 0
	s_mov_b32 s9, 0
	s_cbranch_vccz .LBB3_35
; %bb.20:                               ;   in Loop: Header=BB3_17 Depth=1
	global_load_u16 v1, v21, s[44:45]
	global_load_u8 v23, v[5:6], off
	v_mov_b32_e32 v4, v0
	s_mov_b32 s11, 0
	s_waitcnt vmcnt(1)
	v_add_nc_u32_e32 v2, v0, v1
	v_mul_lo_u32 v3, s39, v1
	s_delay_alu instid0(VALU_DEP_2)
	v_mul_lo_u32 v2, s39, v2
	s_branch .LBB3_22
.LBB3_21:                               ;   in Loop: Header=BB3_22 Depth=2
	s_or_b32 exec_lo, exec_lo, s9
	v_cmp_le_i32_e32 vcc_lo, s36, v4
	v_dual_mov_b32 v23, v24 :: v_dual_add_nc_u32 v2, v2, v3
	s_or_b32 s11, vcc_lo, s11
	s_delay_alu instid0(SALU_CYCLE_1)
	s_and_not1_b32 exec_lo, exec_lo, s11
	s_cbranch_execz .LBB3_31
.LBB3_22:                               ;   Parent Loop BB3_17 Depth=1
                                        ; =>  This Inner Loop Header: Depth=2
	s_waitcnt lgkmcnt(0)
	v_dual_mov_b32 v25, 0 :: v_dual_add_nc_u32 v4, v4, v1
	v_mov_b32_e32 v24, 0
	s_mov_b32 s9, exec_lo
	s_delay_alu instid0(VALU_DEP_2)
	v_cmpx_gt_u32_e64 s36, v4
	s_cbranch_execz .LBB3_24
; %bb.23:                               ;   in Loop: Header=BB3_22 Depth=2
	global_load_u8 v24, v2, s[42:43]
.LBB3_24:                               ;   in Loop: Header=BB3_22 Depth=2
	s_or_b32 exec_lo, exec_lo, s9
	s_waitcnt vmcnt(0)
	v_and_b32_e32 v26, s73, v23
	s_delay_alu instid0(VALU_DEP_1) | instskip(NEXT) | instid1(VALU_DEP_1)
	v_and_b32_e32 v26, 0xff, v26
	v_cmp_eq_u32_e32 vcc_lo, s72, v26
	s_cmp_lg_u32 vcc_lo, 0
	s_cselect_b32 s9, -1, 0
	s_delay_alu instid0(SALU_CYCLE_1) | instskip(NEXT) | instid1(SALU_CYCLE_1)
	s_and_b32 s9, s4, s9
	s_and_saveexec_b32 s12, s9
	s_cbranch_execz .LBB3_28
; %bb.25:                               ;   in Loop: Header=BB3_22 Depth=2
	s_mov_b32 s15, exec_lo
	s_bcnt1_i32_b32 s13, vcc_lo
	v_mbcnt_lo_u32_b32 v25, s15, 0
	s_mov_b32 s14, exec_lo
                                        ; implicit-def: $vgpr26
	s_delay_alu instid0(VALU_DEP_1)
	v_cmpx_eq_u32_e32 0, v25
	s_cbranch_execz .LBB3_27
; %bb.26:                               ;   in Loop: Header=BB3_22 Depth=2
	s_bcnt1_i32_b32 s9, s15
	s_delay_alu instid0(SALU_CYCLE_1) | instskip(NEXT) | instid1(SALU_CYCLE_1)
	s_mul_i32 s9, s13, s9
	v_mov_b32_e32 v26, s9
	ds_add_rtn_u32 v26, v21, v26 offset:4104
.LBB3_27:                               ;   in Loop: Header=BB3_22 Depth=2
	s_or_b32 exec_lo, exec_lo, s14
	s_waitcnt lgkmcnt(0)
	v_readfirstlane_b32 s9, v26
	s_delay_alu instid0(VALU_DEP_1)
	v_mad_u32_u24 v25, s13, v25, s9
.LBB3_28:                               ;   in Loop: Header=BB3_22 Depth=2
	s_or_b32 exec_lo, exec_lo, s12
	ds_bpermute_b32 v25, v21, v25
	s_and_saveexec_b32 s9, vcc_lo
	s_cbranch_execz .LBB3_21
; %bb.29:                               ;   in Loop: Header=BB3_22 Depth=2
	v_and_b32_e32 v26, vcc_lo, v15
	s_waitcnt lgkmcnt(0)
	s_delay_alu instid0(VALU_DEP_1)
	v_bcnt_u32_b32 v25, v26, v25
	ds_store_b8 v25, v23
	s_branch .LBB3_21
.LBB3_30:                               ;   in Loop: Header=BB3_17 Depth=1
	s_mov_b32 s10, -1
	s_mov_b32 s9, 0
	s_branch .LBB3_34
.LBB3_31:                               ;   in Loop: Header=BB3_17 Depth=1
	s_or_b32 exec_lo, exec_lo, s11
	s_waitcnt lgkmcnt(0)
	s_barrier
	buffer_gl0_inv
	s_and_saveexec_b32 s9, s2
	s_cbranch_execz .LBB3_33
; %bb.32:                               ;   in Loop: Header=BB3_17 Depth=1
	ds_load_b32 v1, v21 offset:4104
	s_waitcnt lgkmcnt(0)
	ds_store_b32 v21, v1 offset:4096
.LBB3_33:                               ;   in Loop: Header=BB3_17 Depth=1
	s_or_b32 exec_lo, exec_lo, s9
	s_waitcnt lgkmcnt(0)
	s_mov_b32 s9, -1
	s_barrier
.LBB3_34:                               ;   in Loop: Header=BB3_17 Depth=1
                                        ; implicit-def: $sgpr74
.LBB3_35:                               ;   in Loop: Header=BB3_17 Depth=1
	s_and_b32 vcc_lo, exec_lo, s10
	s_cbranch_vccz .LBB3_46
; %bb.36:                               ;   in Loop: Header=BB3_17 Depth=1
	v_mov_b32_e32 v1, 0
	s_and_saveexec_b32 s9, s1
	s_cbranch_execz .LBB3_38
; %bb.37:                               ;   in Loop: Header=BB3_17 Depth=1
	global_load_u8 v1, v[5:6], off
.LBB3_38:                               ;   in Loop: Header=BB3_17 Depth=1
	s_or_b32 exec_lo, exec_lo, s9
	s_and_saveexec_b32 s9, s3
	s_cbranch_execz .LBB3_43
; %bb.39:                               ;   in Loop: Header=BB3_17 Depth=1
	global_load_u16 v2, v21, s[44:45]
	v_mov_b32_e32 v23, v0
	s_mov_b32 s10, 0
	s_waitcnt vmcnt(0)
	v_add_nc_u32_e32 v3, v0, v2
	v_mul_lo_u32 v4, s39, v2
	s_delay_alu instid0(VALU_DEP_2)
	v_mul_lo_u32 v3, s39, v3
	s_branch .LBB3_41
	.p2align	6
.LBB3_40:                               ;   in Loop: Header=BB3_41 Depth=2
	s_or_b32 exec_lo, exec_lo, s11
	v_cmp_le_i32_e32 vcc_lo, s36, v24
	ds_store_b8 v23, v1
	v_add_nc_u32_e32 v3, v3, v4
	s_waitcnt vmcnt(0)
	v_mov_b32_e32 v1, v25
	v_mov_b32_e32 v23, v24
	s_or_b32 s10, vcc_lo, s10
	s_delay_alu instid0(SALU_CYCLE_1)
	s_and_not1_b32 exec_lo, exec_lo, s10
	s_cbranch_execz .LBB3_43
.LBB3_41:                               ;   Parent Loop BB3_17 Depth=1
                                        ; =>  This Inner Loop Header: Depth=2
	s_delay_alu instid0(VALU_DEP_1) | instskip(SKIP_1) | instid1(VALU_DEP_1)
	v_dual_mov_b32 v25, 0 :: v_dual_add_nc_u32 v24, v23, v2
	s_mov_b32 s11, exec_lo
	v_cmpx_gt_u32_e64 s36, v24
	s_cbranch_execz .LBB3_40
; %bb.42:                               ;   in Loop: Header=BB3_41 Depth=2
	global_load_u8 v25, v3, s[42:43]
	s_branch .LBB3_40
.LBB3_43:                               ;   in Loop: Header=BB3_17 Depth=1
	s_or_b32 exec_lo, exec_lo, s9
	s_waitcnt vmcnt(0) lgkmcnt(0)
	s_barrier
	buffer_gl0_inv
	s_and_saveexec_b32 s9, s2
	s_cbranch_execz .LBB3_45
; %bb.44:                               ;   in Loop: Header=BB3_17 Depth=1
	v_mov_b32_e32 v1, s36
	ds_store_b32 v21, v1 offset:4096
.LBB3_45:                               ;   in Loop: Header=BB3_17 Depth=1
	s_or_b32 exec_lo, exec_lo, s9
	s_mov_b32 s9, -1
	s_waitcnt lgkmcnt(0)
	s_barrier
                                        ; implicit-def: $sgpr74
.LBB3_46:                               ;   in Loop: Header=BB3_17 Depth=1
	s_and_b32 vcc_lo, exec_lo, s9
	s_cbranch_vccz .LBB3_48
; %bb.47:                               ;   in Loop: Header=BB3_17 Depth=1
	buffer_gl0_inv
	ds_load_b32 v1, v21 offset:4096
	s_waitcnt lgkmcnt(0)
	v_readfirstlane_b32 s74, v1
.LBB3_48:                               ;   in Loop: Header=BB3_17 Depth=1
	s_delay_alu instid0(VALU_DEP_1)
	s_cmp_lt_i32 s74, 1
	s_cbranch_scc0 .LBB3_52
; %bb.49:                               ;   in Loop: Header=BB3_17 Depth=1
	v_dual_mov_b32 v1, 0 :: v_dual_mov_b32 v2, 0
	v_dual_mov_b32 v3, 0 :: v_dual_mov_b32 v4, 0
	s_mov_b32 s76, 0
	s_and_saveexec_b32 s75, s5
	s_cbranch_execnz .LBB3_53
; %bb.50:                               ;   in Loop: Header=BB3_17 Depth=1
	s_or_b32 exec_lo, exec_lo, s75
	v_mov_b32_e32 v25, 0
	s_and_saveexec_b32 s9, s6
	s_cbranch_execnz .LBB3_56
.LBB3_51:                               ;   in Loop: Header=BB3_17 Depth=1
	s_or_b32 exec_lo, exec_lo, s9
	s_and_saveexec_b32 s13, s7
	s_cbranch_execnz .LBB3_57
	s_branch .LBB3_62
.LBB3_52:                               ;   in Loop: Header=BB3_17 Depth=1
                                        ; implicit-def: $vgpr4
	s_cbranch_execnz .LBB3_63
	s_branch .LBB3_72
.LBB3_53:                               ;   in Loop: Header=BB3_17 Depth=1
	v_mov_b32_e32 v23, v13
	s_and_b32 s77, s60, 0xfe
	s_mov_b32 s78, 0
	s_mov_b32 s79, 0
	;; [unrolled: 1-line block ×5, first 2 shown]
.LBB3_54:                               ;   Parent Loop BB3_17 Depth=1
                                        ; =>  This Inner Loop Header: Depth=2
	v_add_nc_u32_e32 v2, s78, v18
	v_add_nc_u32_e32 v1, s78, v9
	;; [unrolled: 1-line block ×5, first 2 shown]
	v_ashrrev_i32_e32 v25, 31, v2
	v_ashrrev_i32_e32 v28, 31, v1
	;; [unrolled: 1-line block ×4, first 2 shown]
	v_add_co_u32 v26, s11, s42, v2
	v_add_co_u32 v1, vcc_lo, s42, v1
	v_add_co_u32 v3, s9, s42, v3
	v_add_co_ci_u32_e64 v27, s11, s43, v25, s11
	v_add_co_u32 v24, s10, s42, v4
	v_add_co_ci_u32_e32 v2, vcc_lo, s43, v28, vcc_lo
	v_add_co_ci_u32_e64 v4, vcc_lo, s43, v29, s9
	v_add_co_ci_u32_e64 v25, vcc_lo, s43, v30, s10
	s_clause 0x3
	global_load_u8 v26, v[26:27], off
	global_load_u8 v1, v[1:2], off
	;; [unrolled: 1-line block ×4, first 2 shown]
	v_cmp_le_i32_e32 vcc_lo, s62, v23
	s_add_i32 s78, s78, s64
	s_waitcnt vmcnt(3)
	v_and_b32_e32 v4, s73, v26
	v_bfe_u32 v26, v26, s77, 2
	s_waitcnt vmcnt(2)
	v_and_b32_e32 v24, s73, v1
	v_bfe_u32 v1, v1, s77, 2
	;; [unrolled: 3-line block ×3, first 2 shown]
	v_cmp_eq_u32_e64 s9, s72, v4
	v_cmp_eq_u32_e64 s13, 0, v26
	s_waitcnt vmcnt(0)
	v_and_b32_e32 v27, s73, v3
	v_bfe_u32 v3, v3, s77, 2
	v_cmp_eq_u32_e64 s10, s72, v24
	v_cmp_eq_u32_e64 s14, 0, v1
	;; [unrolled: 1-line block ×4, first 2 shown]
	s_and_b32 s13, s9, s13
	v_cmp_eq_u32_e64 s12, s72, v27
	v_cmp_eq_u32_e64 s16, 0, v3
	;; [unrolled: 1-line block ×5, first 2 shown]
	v_cndmask_b32_e64 v1, 0, 1, s13
	s_and_b32 s13, s10, s14
	v_cmp_eq_u32_e64 s17, 1, v26
	v_cmp_eq_u32_e64 s19, 1, v2
	;; [unrolled: 1-line block ×4, first 2 shown]
	v_cndmask_b32_e64 v2, 0, 1, s13
	s_and_b32 s13, s11, s15
	v_cmp_eq_u32_e64 s20, 1, v3
	v_cmp_eq_u32_e64 s24, 2, v3
	;; [unrolled: 1-line block ×3, first 2 shown]
	v_cndmask_b32_e64 v3, 0, 1, s13
	s_and_b32 s13, s12, s16
	v_cmp_eq_u32_e64 s21, 2, v26
	v_cndmask_b32_e64 v4, 0, 1, s13
	s_and_b32 s13, s9, s17
	v_cmp_eq_u32_e64 s25, 3, v26
	v_cndmask_b32_e64 v24, 0, 1, s13
	s_and_b32 s13, s10, s18
	s_delay_alu instid0(SALU_CYCLE_1) | instskip(SKIP_1) | instid1(SALU_CYCLE_1)
	v_cndmask_b32_e64 v25, 0, 1, s13
	s_and_b32 s13, s11, s19
	v_cndmask_b32_e64 v26, 0, 1, s13
	s_and_b32 s13, s12, s20
	s_delay_alu instid0(VALU_DEP_2)
	v_cmp_ne_u32_e64 s14, 0, v25
	v_cndmask_b32_e64 v27, 0, 1, s13
	s_and_b32 s13, s9, s21
	s_and_b32 s9, s9, s25
	v_cndmask_b32_e64 v28, 0, 1, s13
	s_and_b32 s13, s10, s22
	v_cndmask_b32_e64 v32, 0, 1, s9
	;; [unrolled: 2-line block ×7, first 2 shown]
	v_cndmask_b32_e64 v35, 0, 1, s9
	v_cmp_ne_u32_e64 s9, 0, v1
	v_cmp_ne_u32_e64 s13, 0, v24
	;; [unrolled: 1-line block ×11, first 2 shown]
	s_bcnt1_i32_b32 s9, s9
	s_bcnt1_i32_b32 s13, s13
	;; [unrolled: 1-line block ×4, first 2 shown]
	v_cmp_ne_u32_e64 s12, 0, v4
	v_cmp_ne_u32_e64 s16, 0, v27
	;; [unrolled: 1-line block ×4, first 2 shown]
	s_bcnt1_i32_b32 s10, s10
	s_bcnt1_i32_b32 s14, s14
	s_bcnt1_i32_b32 s18, s18
	s_bcnt1_i32_b32 s22, s22
	s_add_i32 s9, s9, s82
	s_add_i32 s13, s13, s81
	s_add_i32 s17, s17, s80
	s_add_i32 s21, s21, s79
	s_bcnt1_i32_b32 s11, s11
	s_bcnt1_i32_b32 s15, s15
	s_bcnt1_i32_b32 s19, s19
	s_bcnt1_i32_b32 s23, s23
	s_add_i32 s9, s9, s10
	s_add_i32 s10, s13, s14
	s_add_i32 s13, s17, s18
	s_add_i32 s14, s21, s22
	;; [unrolled: 8-line block ×3, first 2 shown]
	s_add_i32 s82, s9, s12
	s_add_i32 s81, s10, s16
	;; [unrolled: 1-line block ×4, first 2 shown]
	v_mov_b32_e32 v3, s80
	v_dual_mov_b32 v1, s82 :: v_dual_mov_b32 v2, s81
	v_mov_b32_e32 v4, s79
	s_or_b32 s76, vcc_lo, s76
	s_delay_alu instid0(SALU_CYCLE_1)
	s_and_not1_b32 exec_lo, exec_lo, s76
	s_cbranch_execnz .LBB3_54
; %bb.55:                               ;   in Loop: Header=BB3_17 Depth=1
	s_or_b32 exec_lo, exec_lo, s76
	s_delay_alu instid0(SALU_CYCLE_1)
	s_or_b32 exec_lo, exec_lo, s75
	v_mov_b32_e32 v25, 0
	s_and_saveexec_b32 s9, s6
	s_cbranch_execz .LBB3_51
.LBB3_56:                               ;   in Loop: Header=BB3_17 Depth=1
	global_load_u8 v25, v[7:8], off
	s_or_b32 exec_lo, exec_lo, s9
	s_and_saveexec_b32 s13, s7
	s_cbranch_execz .LBB3_62
.LBB3_57:                               ;   in Loop: Header=BB3_17 Depth=1
	v_dual_mov_b32 v23, v19 :: v_dual_mov_b32 v24, v16
	s_and_b32 s15, s60, 0xfe
	s_mov_b32 s14, 0
	s_branch .LBB3_59
.LBB3_58:                               ;   in Loop: Header=BB3_59 Depth=2
	s_or_b32 exec_lo, exec_lo, s9
	s_waitcnt vmcnt(0)
	v_and_b32_e32 v25, 0xff, v25
	v_add_nc_u32_e32 v23, s54, v23
	s_delay_alu instid0(VALU_DEP_2) | instskip(SKIP_1) | instid1(VALU_DEP_2)
	v_and_b32_e32 v27, s73, v25
	v_bfe_u32 v25, v25, s15, 2
	v_cmp_eq_u32_e32 vcc_lo, s72, v27
	s_delay_alu instid0(VALU_DEP_2) | instskip(SKIP_3) | instid1(VALU_DEP_4)
	v_cmp_eq_u32_e64 s9, 0, v25
	v_cmp_eq_u32_e64 s10, 1, v25
	;; [unrolled: 1-line block ×4, first 2 shown]
	s_and_b32 s9, vcc_lo, s9
	s_delay_alu instid0(SALU_CYCLE_1) | instskip(SKIP_1) | instid1(SALU_CYCLE_1)
	v_cndmask_b32_e64 v25, 0, 1, s9
	s_and_b32 s9, vcc_lo, s10
	v_cndmask_b32_e64 v27, 0, 1, s9
	s_and_b32 s9, vcc_lo, s11
	s_delay_alu instid0(SALU_CYCLE_1)
	v_cndmask_b32_e64 v28, 0, 1, s9
	s_and_b32 s9, vcc_lo, s12
	v_cmp_ne_u32_e32 vcc_lo, 0, v25
	v_cndmask_b32_e64 v29, 0, 1, s9
	v_cmp_ne_u32_e64 s9, 0, v27
	v_cmp_ne_u32_e64 s10, 0, v28
	v_cmp_le_i32_e64 s12, s36, v24
	s_bcnt1_i32_b32 s16, vcc_lo
	v_cmp_ne_u32_e64 s11, 0, v29
	s_bcnt1_i32_b32 s9, s9
	s_bcnt1_i32_b32 s10, s10
	v_add_nc_u32_e32 v1, s16, v1
	v_dual_mov_b32 v25, v26 :: v_dual_add_nc_u32 v2, s9, v2
	s_bcnt1_i32_b32 s11, s11
	v_add_nc_u32_e32 v3, s10, v3
	v_add_nc_u32_e32 v4, s11, v4
	s_or_b32 s14, s12, s14
	s_delay_alu instid0(SALU_CYCLE_1)
	s_and_not1_b32 exec_lo, exec_lo, s14
	s_cbranch_execz .LBB3_61
.LBB3_59:                               ;   Parent Loop BB3_17 Depth=1
                                        ; =>  This Inner Loop Header: Depth=2
	s_delay_alu instid0(VALU_DEP_1) | instskip(SKIP_2) | instid1(VALU_DEP_2)
	v_add_nc_u32_e32 v24, s47, v24
	v_mov_b32_e32 v26, 0
	s_mov_b32 s9, exec_lo
	v_cmpx_gt_u32_e64 s36, v24
	s_cbranch_execz .LBB3_58
; %bb.60:                               ;   in Loop: Header=BB3_59 Depth=2
	v_ashrrev_i32_e32 v27, 31, v23
	v_add_co_u32 v26, vcc_lo, s42, v23
	s_delay_alu instid0(VALU_DEP_2)
	v_add_co_ci_u32_e32 v27, vcc_lo, s43, v27, vcc_lo
	global_load_u8 v26, v[26:27], off
	s_branch .LBB3_58
.LBB3_61:                               ;   in Loop: Header=BB3_17 Depth=1
	s_or_b32 exec_lo, exec_lo, s14
.LBB3_62:                               ;   in Loop: Header=BB3_17 Depth=1
	s_delay_alu instid0(SALU_CYCLE_1)
	s_or_b32 exec_lo, exec_lo, s13
	s_branch .LBB3_72
.LBB3_63:                               ;   in Loop: Header=BB3_17 Depth=1
	s_mul_hi_u32 s9, s74, s59
	v_dual_mov_b32 v1, 0 :: v_dual_mov_b32 v2, 0
	s_mul_i32 s9, s9, s49
	v_dual_mov_b32 v3, 0 :: v_dual_mov_b32 v4, 0
	s_sub_i32 s9, s74, s9
	s_mov_b32 s77, 0
	s_sub_i32 s10, s9, s49
	s_cmp_ge_u32 s9, s49
	s_mov_b32 s76, exec_lo
	s_cselect_b32 s9, s10, s9
	s_delay_alu instid0(SALU_CYCLE_1) | instskip(SKIP_2) | instid1(SALU_CYCLE_1)
	s_sub_i32 s10, s9, s49
	s_cmp_ge_u32 s9, s49
	s_cselect_b32 s9, s10, s9
	s_sub_i32 s75, s74, s9
	s_delay_alu instid0(SALU_CYCLE_1)
	v_cmpx_gt_u32_e64 s75, v13
	s_cbranch_execz .LBB3_67
; %bb.64:                               ;   in Loop: Header=BB3_17 Depth=1
	v_mov_b32_e32 v23, v13
	s_and_b32 s78, s60, 0xfe
	s_mov_b32 s79, 0
	s_mov_b32 s80, 0
	;; [unrolled: 1-line block ×4, first 2 shown]
.LBB3_65:                               ;   Parent Loop BB3_17 Depth=1
                                        ; =>  This Inner Loop Header: Depth=2
	ds_load_b32 v1, v23
	s_waitcnt lgkmcnt(0)
	v_and_b32_e32 v2, 0xff, v1
	v_bfe_u32 v3, v1, 8, 8
	v_bfe_u32 v4, v1, 16, 8
	v_lshrrev_b32_e32 v1, 24, v1
	s_delay_alu instid0(VALU_DEP_4)
	v_and_b32_e32 v24, s73, v2
	v_bfe_u32 v2, v2, s78, 2
	s_waitcnt vmcnt(0)
	v_and_b32_e32 v25, s73, v3
	v_bfe_u32 v3, v3, s78, 2
	v_and_b32_e32 v26, s73, v4
	v_bfe_u32 v4, v4, s78, 2
	v_cmp_eq_u32_e64 s9, s72, v24
	v_cmp_eq_u32_e64 s13, 0, v2
	v_and_b32_e32 v27, s73, v1
	v_bfe_u32 v1, v1, s78, 2
	v_cmp_eq_u32_e64 s10, s72, v25
	v_cmp_eq_u32_e64 s14, 0, v3
	;; [unrolled: 1-line block ×4, first 2 shown]
	s_and_b32 s13, s9, s13
	v_cmp_eq_u32_e64 s12, s72, v27
	v_cmp_eq_u32_e64 s16, 0, v1
	;; [unrolled: 1-line block ×5, first 2 shown]
	v_cndmask_b32_e64 v1, 0, 1, s13
	s_and_b32 s13, s10, s14
	v_cmp_eq_u32_e64 s17, 1, v2
	v_cmp_eq_u32_e64 s21, 2, v2
	v_cmp_eq_u32_e64 s25, 3, v2
	v_cndmask_b32_e64 v2, 0, 1, s13
	s_and_b32 s13, s11, s15
	v_cmp_eq_u32_e64 s18, 1, v3
	v_cmp_eq_u32_e64 s22, 2, v3
	v_cmp_eq_u32_e64 s26, 3, v3
	;; [unrolled: 5-line block ×3, first 2 shown]
	v_cndmask_b32_e64 v4, 0, 1, s13
	s_and_b32 s13, s9, s17
	s_delay_alu instid0(SALU_CYCLE_1) | instskip(SKIP_1) | instid1(SALU_CYCLE_1)
	v_cndmask_b32_e64 v24, 0, 1, s13
	s_and_b32 s13, s10, s18
	v_cndmask_b32_e64 v25, 0, 1, s13
	s_and_b32 s13, s11, s19
	s_delay_alu instid0(SALU_CYCLE_1) | instskip(SKIP_1) | instid1(VALU_DEP_2)
	v_cndmask_b32_e64 v26, 0, 1, s13
	s_and_b32 s13, s12, s20
	v_cmp_ne_u32_e64 s14, 0, v25
	v_cndmask_b32_e64 v27, 0, 1, s13
	s_and_b32 s13, s9, s21
	s_and_b32 s9, s9, s25
	v_cndmask_b32_e64 v28, 0, 1, s13
	s_and_b32 s13, s10, s22
	v_cndmask_b32_e64 v32, 0, 1, s9
	;; [unrolled: 2-line block ×7, first 2 shown]
	v_cndmask_b32_e64 v35, 0, 1, s9
	v_cmp_ne_u32_e64 s9, 0, v1
	v_cmp_ne_u32_e64 s13, 0, v24
	;; [unrolled: 1-line block ×6, first 2 shown]
	s_bcnt1_i32_b32 s9, s9
	s_bcnt1_i32_b32 s13, s13
	v_cmp_ne_u32_e64 s16, 0, v27
	v_cmp_ne_u32_e64 s18, 0, v29
	;; [unrolled: 1-line block ×3, first 2 shown]
	s_bcnt1_i32_b32 s10, s10
	s_bcnt1_i32_b32 s14, s14
	s_add_i32 s9, s9, s82
	s_add_i32 s13, s13, s81
	v_cmp_ne_u32_e64 s11, 0, v3
	v_cmp_ne_u32_e64 s19, 0, v30
	;; [unrolled: 1-line block ×3, first 2 shown]
	s_bcnt1_i32_b32 s15, s15
	s_add_i32 s9, s9, s10
	s_add_i32 s10, s13, s14
	s_bcnt1_i32_b32 s17, s17
	s_bcnt1_i32_b32 s21, s21
	v_cmp_ne_u32_e64 s12, 0, v4
	v_cmp_ne_u32_e64 s20, 0, v31
	;; [unrolled: 1-line block ×3, first 2 shown]
	s_bcnt1_i32_b32 s16, s16
	s_add_i32 s10, s10, s15
	s_bcnt1_i32_b32 s18, s18
	s_bcnt1_i32_b32 s22, s22
	s_add_i32 s17, s17, s80
	s_add_i32 s21, s21, s79
	;; [unrolled: 1-line block ×3, first 2 shown]
	s_delay_alu instid0(SALU_CYCLE_1)
	v_dual_mov_b32 v2, s81 :: v_dual_add_nc_u32 v23, s49, v23
	s_bcnt1_i32_b32 s11, s11
	s_bcnt1_i32_b32 s19, s19
	;; [unrolled: 1-line block ×3, first 2 shown]
	s_add_i32 s13, s17, s18
	s_add_i32 s14, s21, s22
	s_bcnt1_i32_b32 s12, s12
	s_bcnt1_i32_b32 s20, s20
	;; [unrolled: 1-line block ×3, first 2 shown]
	s_add_i32 s9, s9, s11
	s_add_i32 s11, s13, s19
	;; [unrolled: 1-line block ×3, first 2 shown]
	v_cmp_le_i32_e32 vcc_lo, s75, v23
	s_add_i32 s82, s9, s12
	s_add_i32 s80, s11, s20
	;; [unrolled: 1-line block ×3, first 2 shown]
	v_mov_b32_e32 v1, s82
	v_dual_mov_b32 v3, s80 :: v_dual_mov_b32 v4, s79
	s_or_b32 s77, vcc_lo, s77
	s_delay_alu instid0(SALU_CYCLE_1)
	s_and_not1_b32 exec_lo, exec_lo, s77
	s_cbranch_execnz .LBB3_65
; %bb.66:                               ;   in Loop: Header=BB3_17 Depth=1
	s_or_b32 exec_lo, exec_lo, s77
.LBB3_67:                               ;   in Loop: Header=BB3_17 Depth=1
	s_delay_alu instid0(SALU_CYCLE_1) | instskip(SKIP_2) | instid1(VALU_DEP_1)
	s_or_b32 exec_lo, exec_lo, s76
	v_add_nc_u32_e32 v23, s75, v0
	s_mov_b32 s14, exec_lo
	v_cmpx_gt_i32_e64 s74, v23
	s_cbranch_execz .LBB3_71
; %bb.68:                               ;   in Loop: Header=BB3_17 Depth=1
	s_and_b32 s16, s60, 0xfe
	s_mov_b32 s15, 0
	s_set_inst_prefetch_distance 0x1
	.p2align	6
.LBB3_69:                               ;   Parent Loop BB3_17 Depth=1
                                        ; =>  This Inner Loop Header: Depth=2
	ds_load_u8 v24, v23
	v_add_nc_u32_e32 v23, s47, v23
	s_delay_alu instid0(VALU_DEP_1) | instskip(SKIP_3) | instid1(VALU_DEP_2)
	v_cmp_le_i32_e32 vcc_lo, s74, v23
	s_waitcnt vmcnt(0) lgkmcnt(0)
	v_and_b32_e32 v25, s73, v24
	v_bfe_u32 v24, v24, s16, 2
	v_cmp_eq_u32_e64 s9, s72, v25
	s_delay_alu instid0(VALU_DEP_2) | instskip(SKIP_3) | instid1(VALU_DEP_4)
	v_cmp_eq_u32_e64 s10, 0, v24
	v_cmp_eq_u32_e64 s11, 1, v24
	v_cmp_eq_u32_e64 s12, 2, v24
	v_cmp_eq_u32_e64 s13, 3, v24
	s_and_b32 s10, s9, s10
	s_delay_alu instid0(SALU_CYCLE_1) | instskip(SKIP_1) | instid1(SALU_CYCLE_1)
	v_cndmask_b32_e64 v24, 0, 1, s10
	s_and_b32 s10, s9, s11
	v_cndmask_b32_e64 v25, 0, 1, s10
	s_and_b32 s10, s9, s12
	s_and_b32 s9, s9, s13
	v_cndmask_b32_e64 v26, 0, 1, s10
	v_cndmask_b32_e64 v27, 0, 1, s9
	v_cmp_ne_u32_e64 s9, 0, v24
	v_cmp_ne_u32_e64 s10, 0, v25
	s_delay_alu instid0(VALU_DEP_4) | instskip(NEXT) | instid1(VALU_DEP_4)
	v_cmp_ne_u32_e64 s11, 0, v26
	v_cmp_ne_u32_e64 s12, 0, v27
	s_delay_alu instid0(VALU_DEP_4) | instskip(NEXT) | instid1(VALU_DEP_3)
	s_bcnt1_i32_b32 s9, s9
	s_bcnt1_i32_b32 s10, s10
	v_add_nc_u32_e32 v1, s9, v1
	s_bcnt1_i32_b32 s11, s11
	s_bcnt1_i32_b32 s12, s12
	v_add_nc_u32_e32 v2, s10, v2
	v_add_nc_u32_e32 v3, s11, v3
	;; [unrolled: 1-line block ×3, first 2 shown]
	s_or_b32 s15, vcc_lo, s15
	s_delay_alu instid0(SALU_CYCLE_1)
	s_and_not1_b32 exec_lo, exec_lo, s15
	s_cbranch_execnz .LBB3_69
; %bb.70:                               ;   in Loop: Header=BB3_17 Depth=1
	s_set_inst_prefetch_distance 0x2
	s_or_b32 exec_lo, exec_lo, s15
.LBB3_71:                               ;   in Loop: Header=BB3_17 Depth=1
	s_delay_alu instid0(SALU_CYCLE_1)
	s_or_b32 exec_lo, exec_lo, s14
.LBB3_72:                               ;   in Loop: Header=BB3_17 Depth=1
	s_lshl_b32 s9, s70, 7
	s_and_saveexec_b32 s10, s4
	s_cbranch_execz .LBB3_74
; %bb.73:                               ;   in Loop: Header=BB3_17 Depth=1
	v_or_b32_e32 v23, s9, v14
	s_delay_alu instid0(VALU_DEP_1)
	v_lshlrev_b32_e32 v23, 2, v23
	ds_store_b128 v23, v[1:4] offset:3072
.LBB3_74:                               ;   in Loop: Header=BB3_17 Depth=1
	s_or_b32 exec_lo, exec_lo, s10
	s_waitcnt vmcnt(0) lgkmcnt(0)
	s_barrier
	buffer_gl0_inv
	s_and_saveexec_b32 s10, s50
	s_cbranch_execz .LBB3_84
; %bb.75:                               ;   in Loop: Header=BB3_17 Depth=1
	v_mov_b32_e32 v1, 0
	s_and_not1_b32 vcc_lo, exec_lo, s53
	s_cbranch_vccnz .LBB3_83
; %bb.76:                               ;   in Loop: Header=BB3_17 Depth=1
	v_mov_b32_e32 v1, 0
	s_and_not1_b32 vcc_lo, exec_lo, s56
	s_mov_b32 s11, 0
	s_cbranch_vccnz .LBB3_80
; %bb.77:                               ;   in Loop: Header=BB3_17 Depth=1
	v_lshl_add_u32 v2, s70, 9, v20
	v_mov_b32_e32 v1, 0
	.p2align	6
.LBB3_78:                               ;   Parent Loop BB3_17 Depth=1
                                        ; =>  This Inner Loop Header: Depth=2
	ds_load_2addr_b32 v[3:4], v2 offset1:4
	ds_load_2addr_b32 v[23:24], v2 offset0:8 offset1:12
	ds_load_2addr_b32 v[25:26], v2 offset0:16 offset1:20
	;; [unrolled: 1-line block ×3, first 2 shown]
	v_add_nc_u32_e32 v2, 0x80, v2
	s_add_i32 s11, s11, 8
	s_delay_alu instid0(SALU_CYCLE_1) | instskip(SKIP_3) | instid1(VALU_DEP_1)
	s_cmp_eq_u32 s57, s11
	s_waitcnt lgkmcnt(3)
	v_add3_u32 v1, v3, v1, v4
	s_waitcnt lgkmcnt(2)
	v_add3_u32 v1, v23, v1, v24
	s_waitcnt lgkmcnt(1)
	s_delay_alu instid0(VALU_DEP_1) | instskip(SKIP_1) | instid1(VALU_DEP_1)
	v_add3_u32 v1, v25, v1, v26
	s_waitcnt lgkmcnt(0)
	v_add3_u32 v1, v27, v1, v28
	s_cbranch_scc0 .LBB3_78
; %bb.79:                               ;   in Loop: Header=BB3_17 Depth=1
	s_mov_b32 s11, s57
.LBB3_80:                               ;   in Loop: Header=BB3_17 Depth=1
	s_and_not1_b32 vcc_lo, exec_lo, s58
	s_cbranch_vccnz .LBB3_83
; %bb.81:                               ;   in Loop: Header=BB3_17 Depth=1
	s_lshl_b32 s12, s70, 9
	s_lshl_b32 s11, s11, 4
	s_delay_alu instid0(SALU_CYCLE_1)
	v_add3_u32 v2, s12, s11, v20
	s_mov_b32 s11, s55
.LBB3_82:                               ;   Parent Loop BB3_17 Depth=1
                                        ; =>  This Inner Loop Header: Depth=2
	ds_load_b32 v3, v2
	v_add_nc_u32_e32 v2, 16, v2
	s_add_i32 s11, s11, -1
	s_delay_alu instid0(SALU_CYCLE_1)
	s_cmp_lg_u32 s11, 0
	s_waitcnt lgkmcnt(0)
	v_add_nc_u32_e32 v1, v3, v1
	s_cbranch_scc1 .LBB3_82
.LBB3_83:                               ;   in Loop: Header=BB3_17 Depth=1
	v_add_lshl_u32 v2, s9, v12, 2
	ds_store_b32 v2, v1 offset:3072
.LBB3_84:                               ;   in Loop: Header=BB3_17 Depth=1
	s_or_b32 exec_lo, exec_lo, s10
	s_lshl_b32 s9, s9, 2
	s_waitcnt lgkmcnt(0)
	v_mov_b32_e32 v1, s9
	s_barrier
	buffer_gl0_inv
	s_and_b32 s18, s60, 0xfe
	s_mov_b32 s14, -1
	ds_load_b128 v[1:4], v1 offset:3072
	s_lshl_b32 s12, 3, s18
	s_delay_alu instid0(SALU_CYCLE_1) | instskip(SKIP_4) | instid1(VALU_DEP_3)
	s_not_b32 s19, s12
	s_waitcnt lgkmcnt(0)
	v_readfirstlane_b32 s13, v1
	v_readfirstlane_b32 s21, v2
	;; [unrolled: 1-line block ×3, first 2 shown]
	s_cmp_eq_u32 s13, 1
	s_cselect_b32 s9, -1, 0
	s_cmp_eq_u32 s37, 1
	s_cselect_b32 s10, -1, 0
	s_delay_alu instid0(SALU_CYCLE_1)
	s_and_b32 s15, s9, s10
	v_readfirstlane_b32 s10, v4
	s_and_b32 vcc_lo, exec_lo, s15
	s_cbranch_vccz .LBB3_95
; %bb.85:                               ;   in Loop: Header=BB3_17 Depth=1
	ds_load_b32 v1, v21 offset:4096
	s_waitcnt lgkmcnt(0)
	s_barrier
	buffer_gl0_inv
	v_readfirstlane_b32 s11, v1
	s_and_saveexec_b32 s9, s0
	s_cbranch_execz .LBB3_87
; %bb.86:                               ;   in Loop: Header=BB3_17 Depth=1
	ds_store_b8 v0, v21 offset:3072
.LBB3_87:                               ;   in Loop: Header=BB3_17 Depth=1
	s_or_b32 exec_lo, exec_lo, s9
	s_and_b32 s72, s72, s19
	s_or_b32 s73, s73, s12
	s_cmp_lt_i32 s11, 1
	s_waitcnt lgkmcnt(0)
	s_barrier
	buffer_gl0_inv
	s_cbranch_scc0 .LBB3_96
; %bb.88:                               ;   in Loop: Header=BB3_17 Depth=1
	s_mov_b32 s9, 0
                                        ; implicit-def: $vgpr22
	s_and_saveexec_b32 s16, s8
	s_cbranch_execz .LBB3_98
; %bb.89:                               ;   in Loop: Header=BB3_17 Depth=1
	v_dual_mov_b32 v1, v11 :: v_dual_mov_b32 v2, v0
	s_mov_b32 s20, 0
                                        ; implicit-def: $sgpr22
	s_set_inst_prefetch_distance 0x1
	s_branch .LBB3_91
	.p2align	6
.LBB3_90:                               ;   in Loop: Header=BB3_91 Depth=2
	s_or_b32 exec_lo, exec_lo, s9
	s_waitcnt lgkmcnt(0)
	s_barrier
	buffer_gl0_inv
	ds_load_u16 v3, v21 offset:3072
	v_add_nc_u32_e32 v2, s47, v2
	v_add_nc_u32_e32 v1, s54, v1
	s_waitcnt lgkmcnt(0)
	s_barrier
	buffer_gl0_inv
	v_cmp_le_i32_e32 vcc_lo, s63, v2
	v_and_b32_e32 v4, 0xff, v3
	s_delay_alu instid0(VALU_DEP_1) | instskip(NEXT) | instid1(VALU_DEP_1)
	v_cmp_ne_u16_e64 s9, 0, v4
	s_or_b32 s23, vcc_lo, s9
	s_delay_alu instid0(SALU_CYCLE_1) | instskip(NEXT) | instid1(SALU_CYCLE_1)
	s_and_b32 s23, exec_lo, s23
	s_or_b32 s20, s23, s20
	s_and_not1_b32 s22, s22, exec_lo
	s_and_b32 s9, s9, exec_lo
	s_delay_alu instid0(SALU_CYCLE_1)
	s_or_b32 s22, s22, s9
	s_and_not1_b32 exec_lo, exec_lo, s20
	s_cbranch_execz .LBB3_97
.LBB3_91:                               ;   Parent Loop BB3_17 Depth=1
                                        ; =>  This Inner Loop Header: Depth=2
	s_delay_alu instid0(VALU_DEP_1)
	v_cmp_gt_i32_e32 vcc_lo, s36, v2
	v_mov_b32_e32 v3, 0
	s_and_saveexec_b32 s23, vcc_lo
	s_cbranch_execz .LBB3_93
; %bb.92:                               ;   in Loop: Header=BB3_91 Depth=2
	v_ashrrev_i32_e32 v4, 31, v1
	v_add_co_u32 v3, s9, s42, v1
	s_delay_alu instid0(VALU_DEP_1)
	v_add_co_ci_u32_e64 v4, s9, s43, v4, s9
	global_load_u8 v3, v[3:4], off
.LBB3_93:                               ;   in Loop: Header=BB3_91 Depth=2
	s_or_b32 exec_lo, exec_lo, s23
	s_waitcnt vmcnt(0)
	v_and_b32_e32 v4, s73, v3
	s_delay_alu instid0(VALU_DEP_1) | instskip(NEXT) | instid1(VALU_DEP_1)
	v_and_b32_e32 v4, 0xff, v4
	v_cmp_eq_u32_e64 s9, s72, v4
	s_delay_alu instid0(VALU_DEP_1) | instskip(NEXT) | instid1(SALU_CYCLE_1)
	s_and_b32 s23, vcc_lo, s9
	s_and_saveexec_b32 s9, s23
	s_cbranch_execz .LBB3_90
; %bb.94:                               ;   in Loop: Header=BB3_91 Depth=2
	v_lshlrev_b16 v3, 8, v3
	s_delay_alu instid0(VALU_DEP_1)
	v_or_b32_e32 v3, 1, v3
	ds_store_b16 v21, v3 offset:3072
	s_branch .LBB3_90
.LBB3_95:                               ;   in Loop: Header=BB3_17 Depth=1
	s_mov_b32 s9, -1
                                        ; implicit-def: $sgpr16
                                        ; implicit-def: $sgpr22
                                        ; implicit-def: $sgpr20
	s_branch .LBB3_108
.LBB3_96:                               ;   in Loop: Header=BB3_17 Depth=1
	s_mov_b32 s16, -1
	s_mov_b32 s9, 0
                                        ; implicit-def: $sgpr20
                                        ; implicit-def: $vgpr22
	s_mov_b32 s22, s16
	s_cbranch_execnz .LBB3_99
	s_branch .LBB3_108
.LBB3_97:                               ;   in Loop: Header=BB3_17 Depth=1
	s_set_inst_prefetch_distance 0x2
	s_or_b32 exec_lo, exec_lo, s20
	v_lshrrev_b16 v22, 8, v3
	s_and_b32 s9, s22, exec_lo
.LBB3_98:                               ;   in Loop: Header=BB3_17 Depth=1
	s_or_b32 exec_lo, exec_lo, s16
	s_mov_b32 s20, -1
	s_mov_b32 s16, 0
	s_delay_alu instid0(SALU_CYCLE_1)
	s_mov_b32 s22, s16
	s_branch .LBB3_108
.LBB3_99:                               ;   in Loop: Header=BB3_17 Depth=1
	s_add_i32 s20, s11, s51
                                        ; implicit-def: $vgpr22
	s_delay_alu instid0(SALU_CYCLE_1) | instskip(NEXT) | instid1(SALU_CYCLE_1)
	s_abs_i32 s9, s20
	s_mul_hi_u32 s16, s9, s61
	s_delay_alu instid0(SALU_CYCLE_1) | instskip(NEXT) | instid1(SALU_CYCLE_1)
	s_mul_i32 s16, s16, s47
	s_sub_i32 s9, s9, s16
	s_ashr_i32 s16, s20, 31
	s_sub_i32 s22, s9, s47
	s_cmp_ge_u32 s9, s47
	s_cselect_b32 s9, s22, s9
	s_delay_alu instid0(SALU_CYCLE_1) | instskip(SKIP_2) | instid1(SALU_CYCLE_1)
	s_sub_i32 s22, s9, s47
	s_cmp_ge_u32 s9, s47
	s_cselect_b32 s9, s22, s9
	s_xor_b32 s9, s9, s16
	s_delay_alu instid0(SALU_CYCLE_1)
	s_sub_i32 s9, s16, s9
	s_mov_b32 s16, exec_lo
	s_add_i32 s20, s20, s9
	s_mov_b32 s9, 0
	v_cmpx_gt_i32_e64 s20, v0
	s_cbranch_execz .LBB3_107
; %bb.100:                              ;   in Loop: Header=BB3_17 Depth=1
	v_mov_b32_e32 v1, v0
	s_mov_b32 s22, 0
                                        ; implicit-def: $sgpr23
	s_set_inst_prefetch_distance 0x1
	s_branch .LBB3_102
	.p2align	6
.LBB3_101:                              ;   in Loop: Header=BB3_102 Depth=2
	s_or_b32 exec_lo, exec_lo, s9
	s_waitcnt lgkmcnt(0)
	s_barrier
	buffer_gl0_inv
	ds_load_u16 v2, v21 offset:3072
	v_add_nc_u32_e32 v1, s47, v1
	s_waitcnt lgkmcnt(0)
	s_barrier
	buffer_gl0_inv
	v_cmp_le_i32_e32 vcc_lo, s20, v1
	v_and_b32_e32 v3, 0xff, v2
	s_delay_alu instid0(VALU_DEP_1) | instskip(NEXT) | instid1(VALU_DEP_1)
	v_cmp_ne_u16_e64 s9, 0, v3
	s_or_b32 s24, vcc_lo, s9
	s_delay_alu instid0(SALU_CYCLE_1) | instskip(NEXT) | instid1(SALU_CYCLE_1)
	s_and_b32 s24, exec_lo, s24
	s_or_b32 s22, s24, s22
	s_and_not1_b32 s23, s23, exec_lo
	s_and_b32 s9, s9, exec_lo
	s_delay_alu instid0(SALU_CYCLE_1)
	s_or_b32 s23, s23, s9
	s_and_not1_b32 exec_lo, exec_lo, s22
	s_cbranch_execz .LBB3_106
.LBB3_102:                              ;   Parent Loop BB3_17 Depth=1
                                        ; =>  This Inner Loop Header: Depth=2
	s_delay_alu instid0(VALU_DEP_1)
	v_cmp_gt_i32_e32 vcc_lo, s11, v1
	v_mov_b32_e32 v2, 0
	s_and_saveexec_b32 s9, vcc_lo
	s_cbranch_execz .LBB3_104
; %bb.103:                              ;   in Loop: Header=BB3_102 Depth=2
	ds_load_u8 v2, v1
.LBB3_104:                              ;   in Loop: Header=BB3_102 Depth=2
	s_or_b32 exec_lo, exec_lo, s9
	s_waitcnt lgkmcnt(0)
	v_and_b32_e32 v3, s73, v2
	s_delay_alu instid0(VALU_DEP_1) | instskip(NEXT) | instid1(VALU_DEP_1)
	v_and_b32_e32 v3, 0xff, v3
	v_cmp_eq_u32_e64 s9, s72, v3
	s_delay_alu instid0(VALU_DEP_1) | instskip(NEXT) | instid1(SALU_CYCLE_1)
	s_and_b32 s24, vcc_lo, s9
	s_and_saveexec_b32 s9, s24
	s_cbranch_execz .LBB3_101
; %bb.105:                              ;   in Loop: Header=BB3_102 Depth=2
	v_lshlrev_b16 v2, 8, v2
	s_delay_alu instid0(VALU_DEP_1)
	v_or_b32_e32 v2, 1, v2
	ds_store_b16 v21, v2 offset:3072
	s_branch .LBB3_101
.LBB3_106:                              ;   in Loop: Header=BB3_17 Depth=1
	s_set_inst_prefetch_distance 0x2
	s_or_b32 exec_lo, exec_lo, s22
	v_lshrrev_b16 v22, 8, v2
	s_and_b32 s9, s23, exec_lo
.LBB3_107:                              ;   in Loop: Header=BB3_17 Depth=1
	s_or_b32 exec_lo, exec_lo, s16
	s_mov_b32 s22, -1
	s_mov_b32 s16, 0
	s_mov_b32 s20, 0
.LBB3_108:                              ;   in Loop: Header=BB3_17 Depth=1
	s_and_not1_b32 s11, s68, exec_lo
	s_and_b32 s16, s16, exec_lo
	s_and_b32 s20, s20, exec_lo
	s_or_b32 s68, s11, s16
	s_and_not1_b32 s11, s71, exec_lo
	s_and_b32 s16, s22, exec_lo
	s_and_not1_b32 s22, s69, exec_lo
	s_or_b32 s71, s11, s16
	s_or_b32 s69, s22, s20
	s_and_saveexec_b32 s11, s9
	s_cbranch_execz .LBB3_16
; %bb.109:                              ;   in Loop: Header=BB3_17 Depth=1
	s_xor_b32 s9, s15, -1
	s_mov_b32 s14, 0
	s_and_not1_b32 vcc_lo, exec_lo, s9
	s_mov_b32 s22, 1
	s_cbranch_vccnz .LBB3_120
; %bb.110:                              ;   in Loop: Header=BB3_17 Depth=1
	s_cmp_gt_i32 s37, s13
	s_mov_b32 s14, -1
                                        ; implicit-def: $sgpr9
                                        ; implicit-def: $sgpr15
                                        ; implicit-def: $sgpr16
	s_cbranch_scc1 .LBB3_116
; %bb.111:                              ;   in Loop: Header=BB3_17 Depth=1
	ds_load_b32 v1, v21 offset:4096
	s_waitcnt lgkmcnt(0)
	v_cmp_ne_u32_e32 vcc_lo, 0, v1
	s_cbranch_vccnz .LBB3_115
; %bb.112:                              ;   in Loop: Header=BB3_17 Depth=1
	s_and_saveexec_b32 s9, s2
	s_cbranch_execz .LBB3_114
; %bb.113:                              ;   in Loop: Header=BB3_17 Depth=1
	v_mov_b32_e32 v1, s13
	ds_store_b32 v21, v1 offset:4100
.LBB3_114:                              ;   in Loop: Header=BB3_17 Depth=1
	s_or_b32 exec_lo, exec_lo, s9
	s_waitcnt lgkmcnt(0)
	s_barrier
	buffer_gl0_inv
.LBB3_115:                              ;   in Loop: Header=BB3_17 Depth=1
	s_and_b32 s15, s72, s19
	s_or_b32 s16, s73, s12
	s_mov_b32 s14, 0
	s_mov_b32 s9, 8
.LBB3_116:                              ;   in Loop: Header=BB3_17 Depth=1
	s_and_not1_b32 vcc_lo, exec_lo, s14
	s_cbranch_vccnz .LBB3_118
; %bb.117:                              ;   in Loop: Header=BB3_17 Depth=1
	s_sub_i32 s37, s37, s13
	s_mov_b32 s14, -1
	s_mov_b32 s9, 0
	s_mov_b32 s15, s72
	;; [unrolled: 1-line block ×3, first 2 shown]
.LBB3_118:                              ;   in Loop: Header=BB3_17 Depth=1
	s_delay_alu instid0(SALU_CYCLE_1)
	s_mov_b32 s73, s16
	s_mov_b32 s72, s15
	;; [unrolled: 1-line block ×3, first 2 shown]
	s_and_b32 vcc_lo, exec_lo, s14
	s_mov_b32 s13, -1
	s_cbranch_vccnz .LBB3_121
.LBB3_119:                              ;   in Loop: Header=BB3_17 Depth=1
	s_mov_b32 s25, -1
                                        ; implicit-def: $sgpr14
                                        ; implicit-def: $sgpr16
                                        ; implicit-def: $sgpr15
	s_delay_alu instid0(SALU_CYCLE_1) | instskip(NEXT) | instid1(SALU_CYCLE_1)
	s_and_saveexec_b32 s10, s25
	s_xor_b32 s10, exec_lo, s10
	s_cbranch_execz .LBB3_15
	s_branch .LBB3_238
.LBB3_120:                              ;   in Loop: Header=BB3_17 Depth=1
	s_mov_b32 s9, 1
	s_and_b32 vcc_lo, exec_lo, s14
	s_mov_b32 s13, -1
	s_cbranch_vccz .LBB3_119
.LBB3_121:                              ;   in Loop: Header=BB3_17 Depth=1
	s_cmp_eq_u32 s21, 1
	s_mov_b32 s24, -1
	s_cselect_b32 s9, -1, 0
	s_cmp_eq_u32 s22, 1
	s_cselect_b32 s14, -1, 0
	s_delay_alu instid0(SALU_CYCLE_1) | instskip(NEXT) | instid1(SALU_CYCLE_1)
	s_and_b32 s23, s9, s14
	s_and_b32 vcc_lo, exec_lo, s23
	s_cbranch_vccz .LBB3_132
; %bb.122:                              ;   in Loop: Header=BB3_17 Depth=1
	ds_load_b32 v1, v21 offset:4096
	s_waitcnt lgkmcnt(0)
	s_barrier
	buffer_gl0_inv
	v_readfirstlane_b32 s20, v1
	s_and_saveexec_b32 s9, s0
	s_cbranch_execz .LBB3_124
; %bb.123:                              ;   in Loop: Header=BB3_17 Depth=1
	ds_store_b8 v0, v21 offset:3072
.LBB3_124:                              ;   in Loop: Header=BB3_17 Depth=1
	s_or_b32 exec_lo, exec_lo, s9
	s_lshl_b32 s9, 1, s18
	s_and_b32 s14, s72, s19
	s_or_b32 s73, s73, s12
	s_or_b32 s72, s14, s9
	s_cmp_gt_i32 s20, 0
	s_waitcnt lgkmcnt(0)
	s_barrier
	buffer_gl0_inv
	s_cbranch_scc1 .LBB3_133
; %bb.125:                              ;   in Loop: Header=BB3_17 Depth=1
	s_mov_b32 s24, 0
                                        ; implicit-def: $vgpr22
	s_and_saveexec_b32 s14, s8
	s_cbranch_execz .LBB3_135
; %bb.126:                              ;   in Loop: Header=BB3_17 Depth=1
	v_dual_mov_b32 v1, v11 :: v_dual_mov_b32 v2, v0
	s_mov_b32 s15, 0
                                        ; implicit-def: $sgpr16
	s_set_inst_prefetch_distance 0x1
	s_branch .LBB3_128
	.p2align	6
.LBB3_127:                              ;   in Loop: Header=BB3_128 Depth=2
	s_or_b32 exec_lo, exec_lo, s9
	s_waitcnt lgkmcnt(0)
	s_barrier
	buffer_gl0_inv
	ds_load_u16 v3, v21 offset:3072
	v_add_nc_u32_e32 v2, s47, v2
	v_add_nc_u32_e32 v1, s54, v1
	s_waitcnt lgkmcnt(0)
	s_barrier
	buffer_gl0_inv
	v_cmp_le_i32_e32 vcc_lo, s63, v2
	v_and_b32_e32 v4, 0xff, v3
	s_delay_alu instid0(VALU_DEP_1) | instskip(NEXT) | instid1(VALU_DEP_1)
	v_cmp_ne_u16_e64 s9, 0, v4
	s_or_b32 s24, vcc_lo, s9
	s_delay_alu instid0(SALU_CYCLE_1) | instskip(NEXT) | instid1(SALU_CYCLE_1)
	s_and_b32 s24, exec_lo, s24
	s_or_b32 s15, s24, s15
	s_and_not1_b32 s16, s16, exec_lo
	s_and_b32 s9, s9, exec_lo
	s_delay_alu instid0(SALU_CYCLE_1)
	s_or_b32 s16, s16, s9
	s_and_not1_b32 exec_lo, exec_lo, s15
	s_cbranch_execz .LBB3_134
.LBB3_128:                              ;   Parent Loop BB3_17 Depth=1
                                        ; =>  This Inner Loop Header: Depth=2
	s_delay_alu instid0(VALU_DEP_1)
	v_cmp_gt_i32_e32 vcc_lo, s36, v2
	v_mov_b32_e32 v3, 0
	s_and_saveexec_b32 s24, vcc_lo
	s_cbranch_execz .LBB3_130
; %bb.129:                              ;   in Loop: Header=BB3_128 Depth=2
	v_ashrrev_i32_e32 v4, 31, v1
	v_add_co_u32 v3, s9, s42, v1
	s_delay_alu instid0(VALU_DEP_1)
	v_add_co_ci_u32_e64 v4, s9, s43, v4, s9
	global_load_u8 v3, v[3:4], off
.LBB3_130:                              ;   in Loop: Header=BB3_128 Depth=2
	s_or_b32 exec_lo, exec_lo, s24
	s_waitcnt vmcnt(0)
	v_and_b32_e32 v4, s73, v3
	s_delay_alu instid0(VALU_DEP_1) | instskip(NEXT) | instid1(VALU_DEP_1)
	v_and_b32_e32 v4, 0xff, v4
	v_cmp_eq_u32_e64 s9, s72, v4
	s_delay_alu instid0(VALU_DEP_1) | instskip(NEXT) | instid1(SALU_CYCLE_1)
	s_and_b32 s24, vcc_lo, s9
	s_and_saveexec_b32 s9, s24
	s_cbranch_execz .LBB3_127
; %bb.131:                              ;   in Loop: Header=BB3_128 Depth=2
	v_lshlrev_b16 v3, 8, v3
	s_delay_alu instid0(VALU_DEP_1)
	v_or_b32_e32 v3, 1, v3
	ds_store_b16 v21, v3 offset:3072
	s_branch .LBB3_127
.LBB3_132:                              ;   in Loop: Header=BB3_17 Depth=1
                                        ; implicit-def: $sgpr15
                                        ; implicit-def: $sgpr16
                                        ; implicit-def: $sgpr14
	s_branch .LBB3_145
.LBB3_133:                              ;   in Loop: Header=BB3_17 Depth=1
	s_mov_b32 s15, -1
	s_mov_b32 s24, 0
                                        ; implicit-def: $sgpr14
                                        ; implicit-def: $vgpr22
	s_mov_b32 s16, s15
	s_cbranch_execnz .LBB3_136
	s_branch .LBB3_145
.LBB3_134:                              ;   in Loop: Header=BB3_17 Depth=1
	s_set_inst_prefetch_distance 0x2
	s_or_b32 exec_lo, exec_lo, s15
	v_lshrrev_b16 v22, 8, v3
	s_and_b32 s24, s16, exec_lo
.LBB3_135:                              ;   in Loop: Header=BB3_17 Depth=1
	s_or_b32 exec_lo, exec_lo, s14
	s_mov_b32 s14, -1
	s_mov_b32 s15, 0
	s_delay_alu instid0(SALU_CYCLE_1)
	s_mov_b32 s16, s15
	s_branch .LBB3_145
.LBB3_136:                              ;   in Loop: Header=BB3_17 Depth=1
	s_add_i32 s15, s20, s51
	s_mov_b32 s24, 0
	s_abs_i32 s9, s15
                                        ; implicit-def: $vgpr22
	s_delay_alu instid0(SALU_CYCLE_1) | instskip(NEXT) | instid1(SALU_CYCLE_1)
	s_mul_hi_u32 s14, s9, s61
	s_mul_i32 s14, s14, s47
	s_delay_alu instid0(SALU_CYCLE_1) | instskip(SKIP_4) | instid1(SALU_CYCLE_1)
	s_sub_i32 s9, s9, s14
	s_ashr_i32 s14, s15, 31
	s_sub_i32 s16, s9, s47
	s_cmp_ge_u32 s9, s47
	s_cselect_b32 s9, s16, s9
	s_sub_i32 s16, s9, s47
	s_cmp_ge_u32 s9, s47
	s_cselect_b32 s9, s16, s9
	s_delay_alu instid0(SALU_CYCLE_1) | instskip(NEXT) | instid1(SALU_CYCLE_1)
	s_xor_b32 s9, s9, s14
	s_sub_i32 s9, s14, s9
	s_mov_b32 s14, exec_lo
	s_add_i32 s15, s15, s9
	s_delay_alu instid0(SALU_CYCLE_1)
	v_cmpx_gt_i32_e64 s15, v0
	s_cbranch_execz .LBB3_144
; %bb.137:                              ;   in Loop: Header=BB3_17 Depth=1
	v_mov_b32_e32 v1, v0
	s_mov_b32 s16, 0
                                        ; implicit-def: $sgpr24
	s_set_inst_prefetch_distance 0x1
	s_branch .LBB3_139
	.p2align	6
.LBB3_138:                              ;   in Loop: Header=BB3_139 Depth=2
	s_or_b32 exec_lo, exec_lo, s9
	s_waitcnt lgkmcnt(0)
	s_barrier
	buffer_gl0_inv
	ds_load_u16 v2, v21 offset:3072
	v_add_nc_u32_e32 v1, s47, v1
	s_waitcnt lgkmcnt(0)
	s_barrier
	buffer_gl0_inv
	v_cmp_le_i32_e32 vcc_lo, s15, v1
	v_and_b32_e32 v3, 0xff, v2
	s_delay_alu instid0(VALU_DEP_1) | instskip(NEXT) | instid1(VALU_DEP_1)
	v_cmp_ne_u16_e64 s9, 0, v3
	s_or_b32 s25, vcc_lo, s9
	s_delay_alu instid0(SALU_CYCLE_1) | instskip(NEXT) | instid1(SALU_CYCLE_1)
	s_and_b32 s25, exec_lo, s25
	s_or_b32 s16, s25, s16
	s_and_not1_b32 s24, s24, exec_lo
	s_and_b32 s9, s9, exec_lo
	s_delay_alu instid0(SALU_CYCLE_1)
	s_or_b32 s24, s24, s9
	s_and_not1_b32 exec_lo, exec_lo, s16
	s_cbranch_execz .LBB3_143
.LBB3_139:                              ;   Parent Loop BB3_17 Depth=1
                                        ; =>  This Inner Loop Header: Depth=2
	s_delay_alu instid0(VALU_DEP_1)
	v_cmp_gt_i32_e32 vcc_lo, s20, v1
	v_mov_b32_e32 v2, 0
	s_and_saveexec_b32 s9, vcc_lo
	s_cbranch_execz .LBB3_141
; %bb.140:                              ;   in Loop: Header=BB3_139 Depth=2
	ds_load_u8 v2, v1
.LBB3_141:                              ;   in Loop: Header=BB3_139 Depth=2
	s_or_b32 exec_lo, exec_lo, s9
	s_waitcnt lgkmcnt(0)
	v_and_b32_e32 v3, s73, v2
	s_delay_alu instid0(VALU_DEP_1) | instskip(NEXT) | instid1(VALU_DEP_1)
	v_and_b32_e32 v3, 0xff, v3
	v_cmp_eq_u32_e64 s9, s72, v3
	s_delay_alu instid0(VALU_DEP_1) | instskip(NEXT) | instid1(SALU_CYCLE_1)
	s_and_b32 s25, vcc_lo, s9
	s_and_saveexec_b32 s9, s25
	s_cbranch_execz .LBB3_138
; %bb.142:                              ;   in Loop: Header=BB3_139 Depth=2
	v_lshlrev_b16 v2, 8, v2
	s_delay_alu instid0(VALU_DEP_1)
	v_or_b32_e32 v2, 1, v2
	ds_store_b16 v21, v2 offset:3072
	s_branch .LBB3_138
.LBB3_143:                              ;   in Loop: Header=BB3_17 Depth=1
	s_set_inst_prefetch_distance 0x2
	s_or_b32 exec_lo, exec_lo, s16
	v_lshrrev_b16 v22, 8, v2
	s_and_b32 s24, s24, exec_lo
.LBB3_144:                              ;   in Loop: Header=BB3_17 Depth=1
	s_or_b32 exec_lo, exec_lo, s14
	s_mov_b32 s16, -1
	s_mov_b32 s15, 0
	s_mov_b32 s14, 0
.LBB3_145:                              ;   in Loop: Header=BB3_17 Depth=1
	s_mov_b32 s25, 0
                                        ; implicit-def: $sgpr9
	s_and_saveexec_b32 s20, s24
	s_cbranch_execz .LBB3_237
; %bb.146:                              ;   in Loop: Header=BB3_17 Depth=1
	s_xor_b32 s9, s23, -1
	s_mov_b32 s23, 0
	s_and_not1_b32 vcc_lo, exec_lo, s9
	s_mov_b32 s26, 1
	s_cbranch_vccnz .LBB3_157
; %bb.147:                              ;   in Loop: Header=BB3_17 Depth=1
	s_cmp_gt_i32 s22, s21
	s_mov_b32 s23, -1
                                        ; implicit-def: $sgpr9
                                        ; implicit-def: $sgpr24
                                        ; implicit-def: $sgpr25
	s_cbranch_scc1 .LBB3_153
; %bb.148:                              ;   in Loop: Header=BB3_17 Depth=1
	ds_load_b32 v1, v21 offset:4096
	s_waitcnt lgkmcnt(0)
	v_cmp_ne_u32_e32 vcc_lo, 0, v1
	s_cbranch_vccnz .LBB3_152
; %bb.149:                              ;   in Loop: Header=BB3_17 Depth=1
	s_and_saveexec_b32 s9, s2
	s_cbranch_execz .LBB3_151
; %bb.150:                              ;   in Loop: Header=BB3_17 Depth=1
	v_mov_b32_e32 v1, s21
	ds_store_b32 v21, v1 offset:4100
.LBB3_151:                              ;   in Loop: Header=BB3_17 Depth=1
	s_or_b32 exec_lo, exec_lo, s9
	s_waitcnt lgkmcnt(0)
	s_barrier
	buffer_gl0_inv
.LBB3_152:                              ;   in Loop: Header=BB3_17 Depth=1
	s_lshl_b32 s9, 1, s18
	s_and_b32 s23, s72, s19
	s_or_b32 s25, s73, s12
	s_or_b32 s24, s23, s9
	s_mov_b32 s23, 0
	s_mov_b32 s9, 8
.LBB3_153:                              ;   in Loop: Header=BB3_17 Depth=1
	s_and_not1_b32 vcc_lo, exec_lo, s23
	s_cbranch_vccnz .LBB3_155
; %bb.154:                              ;   in Loop: Header=BB3_17 Depth=1
	s_sub_i32 s22, s22, s21
	s_mov_b32 s23, -1
	s_mov_b32 s9, 0
	s_mov_b32 s24, s72
	;; [unrolled: 1-line block ×3, first 2 shown]
.LBB3_155:                              ;   in Loop: Header=BB3_17 Depth=1
	s_delay_alu instid0(SALU_CYCLE_1)
	s_mov_b32 s73, s25
	s_mov_b32 s72, s24
	;; [unrolled: 1-line block ×3, first 2 shown]
	s_and_not1_b32 vcc_lo, exec_lo, s23
	s_mov_b32 s28, -1
	s_cbranch_vccz .LBB3_158
.LBB3_156:                              ;   in Loop: Header=BB3_17 Depth=1
                                        ; implicit-def: $sgpr22
                                        ; implicit-def: $sgpr23
                                        ; implicit-def: $sgpr21
	s_branch .LBB3_236
.LBB3_157:                              ;   in Loop: Header=BB3_17 Depth=1
	s_mov_b32 s9, 1
	s_and_not1_b32 vcc_lo, exec_lo, s23
	s_mov_b32 s28, -1
	s_cbranch_vccnz .LBB3_156
.LBB3_158:                              ;   in Loop: Header=BB3_17 Depth=1
	s_cmp_eq_u32 s17, 1
	s_mov_b32 s27, -1
	s_cselect_b32 s9, -1, 0
	s_cmp_eq_u32 s26, 1
	s_cselect_b32 s21, -1, 0
	s_delay_alu instid0(SALU_CYCLE_1) | instskip(NEXT) | instid1(SALU_CYCLE_1)
	s_and_b32 s25, s9, s21
	s_and_b32 vcc_lo, exec_lo, s25
	s_cbranch_vccz .LBB3_169
; %bb.159:                              ;   in Loop: Header=BB3_17 Depth=1
	ds_load_b32 v1, v21 offset:4096
	s_waitcnt lgkmcnt(0)
	s_barrier
	buffer_gl0_inv
	v_readfirstlane_b32 s24, v1
	s_and_saveexec_b32 s9, s0
	s_cbranch_execz .LBB3_161
; %bb.160:                              ;   in Loop: Header=BB3_17 Depth=1
	ds_store_b8 v0, v21 offset:3072
.LBB3_161:                              ;   in Loop: Header=BB3_17 Depth=1
	s_or_b32 exec_lo, exec_lo, s9
	s_lshl_b32 s9, 2, s18
	s_and_b32 s21, s72, s19
	s_or_b32 s73, s73, s12
	s_or_b32 s72, s21, s9
	s_cmp_gt_i32 s24, 0
	s_waitcnt lgkmcnt(0)
	s_barrier
	buffer_gl0_inv
	s_cbranch_scc1 .LBB3_170
; %bb.162:                              ;   in Loop: Header=BB3_17 Depth=1
	s_mov_b32 s27, 0
                                        ; implicit-def: $vgpr22
	s_and_saveexec_b32 s21, s8
	s_cbranch_execz .LBB3_172
; %bb.163:                              ;   in Loop: Header=BB3_17 Depth=1
	v_dual_mov_b32 v1, v11 :: v_dual_mov_b32 v2, v0
	s_mov_b32 s22, 0
                                        ; implicit-def: $sgpr23
	s_set_inst_prefetch_distance 0x1
	s_branch .LBB3_165
	.p2align	6
.LBB3_164:                              ;   in Loop: Header=BB3_165 Depth=2
	s_or_b32 exec_lo, exec_lo, s9
	s_waitcnt lgkmcnt(0)
	s_barrier
	buffer_gl0_inv
	ds_load_u16 v3, v21 offset:3072
	v_add_nc_u32_e32 v2, s47, v2
	v_add_nc_u32_e32 v1, s54, v1
	s_waitcnt lgkmcnt(0)
	s_barrier
	buffer_gl0_inv
	v_cmp_le_i32_e32 vcc_lo, s63, v2
	v_and_b32_e32 v4, 0xff, v3
	s_delay_alu instid0(VALU_DEP_1) | instskip(NEXT) | instid1(VALU_DEP_1)
	v_cmp_ne_u16_e64 s9, 0, v4
	s_or_b32 s27, vcc_lo, s9
	s_delay_alu instid0(SALU_CYCLE_1) | instskip(NEXT) | instid1(SALU_CYCLE_1)
	s_and_b32 s27, exec_lo, s27
	s_or_b32 s22, s27, s22
	s_and_not1_b32 s23, s23, exec_lo
	s_and_b32 s9, s9, exec_lo
	s_delay_alu instid0(SALU_CYCLE_1)
	s_or_b32 s23, s23, s9
	s_and_not1_b32 exec_lo, exec_lo, s22
	s_cbranch_execz .LBB3_171
.LBB3_165:                              ;   Parent Loop BB3_17 Depth=1
                                        ; =>  This Inner Loop Header: Depth=2
	s_delay_alu instid0(VALU_DEP_1)
	v_cmp_gt_i32_e32 vcc_lo, s36, v2
	v_mov_b32_e32 v3, 0
	s_and_saveexec_b32 s27, vcc_lo
	s_cbranch_execz .LBB3_167
; %bb.166:                              ;   in Loop: Header=BB3_165 Depth=2
	v_ashrrev_i32_e32 v4, 31, v1
	v_add_co_u32 v3, s9, s42, v1
	s_delay_alu instid0(VALU_DEP_1)
	v_add_co_ci_u32_e64 v4, s9, s43, v4, s9
	global_load_u8 v3, v[3:4], off
.LBB3_167:                              ;   in Loop: Header=BB3_165 Depth=2
	s_or_b32 exec_lo, exec_lo, s27
	s_waitcnt vmcnt(0)
	v_and_b32_e32 v4, s73, v3
	s_delay_alu instid0(VALU_DEP_1) | instskip(NEXT) | instid1(VALU_DEP_1)
	v_and_b32_e32 v4, 0xff, v4
	v_cmp_eq_u32_e64 s9, s72, v4
	s_delay_alu instid0(VALU_DEP_1) | instskip(NEXT) | instid1(SALU_CYCLE_1)
	s_and_b32 s27, vcc_lo, s9
	s_and_saveexec_b32 s9, s27
	s_cbranch_execz .LBB3_164
; %bb.168:                              ;   in Loop: Header=BB3_165 Depth=2
	v_lshlrev_b16 v3, 8, v3
	s_delay_alu instid0(VALU_DEP_1)
	v_or_b32_e32 v3, 1, v3
	ds_store_b16 v21, v3 offset:3072
	s_branch .LBB3_164
.LBB3_169:                              ;   in Loop: Header=BB3_17 Depth=1
                                        ; implicit-def: $sgpr21
                                        ; implicit-def: $sgpr23
                                        ; implicit-def: $sgpr22
	s_branch .LBB3_182
.LBB3_170:                              ;   in Loop: Header=BB3_17 Depth=1
	s_mov_b32 s21, -1
	s_mov_b32 s27, 0
                                        ; implicit-def: $sgpr22
                                        ; implicit-def: $vgpr22
	s_mov_b32 s23, s21
	s_cbranch_execnz .LBB3_173
	s_branch .LBB3_182
.LBB3_171:                              ;   in Loop: Header=BB3_17 Depth=1
	s_set_inst_prefetch_distance 0x2
	s_or_b32 exec_lo, exec_lo, s22
	v_lshrrev_b16 v22, 8, v3
	s_and_b32 s27, s23, exec_lo
.LBB3_172:                              ;   in Loop: Header=BB3_17 Depth=1
	s_or_b32 exec_lo, exec_lo, s21
	s_mov_b32 s22, -1
	s_mov_b32 s21, 0
	s_delay_alu instid0(SALU_CYCLE_1)
	s_mov_b32 s23, s21
	s_branch .LBB3_182
.LBB3_173:                              ;   in Loop: Header=BB3_17 Depth=1
	s_add_i32 s22, s24, s51
	s_mov_b32 s27, 0
	s_abs_i32 s9, s22
                                        ; implicit-def: $vgpr22
	s_delay_alu instid0(SALU_CYCLE_1) | instskip(NEXT) | instid1(SALU_CYCLE_1)
	s_mul_hi_u32 s21, s9, s61
	s_mul_i32 s21, s21, s47
	s_delay_alu instid0(SALU_CYCLE_1) | instskip(SKIP_4) | instid1(SALU_CYCLE_1)
	s_sub_i32 s9, s9, s21
	s_ashr_i32 s21, s22, 31
	s_sub_i32 s23, s9, s47
	s_cmp_ge_u32 s9, s47
	s_cselect_b32 s9, s23, s9
	s_sub_i32 s23, s9, s47
	s_cmp_ge_u32 s9, s47
	s_cselect_b32 s9, s23, s9
	s_delay_alu instid0(SALU_CYCLE_1) | instskip(NEXT) | instid1(SALU_CYCLE_1)
	s_xor_b32 s9, s9, s21
	s_sub_i32 s9, s21, s9
	s_mov_b32 s21, exec_lo
	s_add_i32 s22, s22, s9
	s_delay_alu instid0(SALU_CYCLE_1)
	v_cmpx_gt_i32_e64 s22, v0
	s_cbranch_execz .LBB3_181
; %bb.174:                              ;   in Loop: Header=BB3_17 Depth=1
	v_mov_b32_e32 v1, v0
	s_mov_b32 s23, 0
                                        ; implicit-def: $sgpr27
	s_set_inst_prefetch_distance 0x1
	s_branch .LBB3_176
	.p2align	6
.LBB3_175:                              ;   in Loop: Header=BB3_176 Depth=2
	s_or_b32 exec_lo, exec_lo, s9
	s_waitcnt lgkmcnt(0)
	s_barrier
	buffer_gl0_inv
	ds_load_u16 v2, v21 offset:3072
	v_add_nc_u32_e32 v1, s47, v1
	s_waitcnt lgkmcnt(0)
	s_barrier
	buffer_gl0_inv
	v_cmp_le_i32_e32 vcc_lo, s22, v1
	v_and_b32_e32 v3, 0xff, v2
	s_delay_alu instid0(VALU_DEP_1) | instskip(NEXT) | instid1(VALU_DEP_1)
	v_cmp_ne_u16_e64 s9, 0, v3
	s_or_b32 s28, vcc_lo, s9
	s_delay_alu instid0(SALU_CYCLE_1) | instskip(NEXT) | instid1(SALU_CYCLE_1)
	s_and_b32 s28, exec_lo, s28
	s_or_b32 s23, s28, s23
	s_and_not1_b32 s27, s27, exec_lo
	s_and_b32 s9, s9, exec_lo
	s_delay_alu instid0(SALU_CYCLE_1)
	s_or_b32 s27, s27, s9
	s_and_not1_b32 exec_lo, exec_lo, s23
	s_cbranch_execz .LBB3_180
.LBB3_176:                              ;   Parent Loop BB3_17 Depth=1
                                        ; =>  This Inner Loop Header: Depth=2
	s_delay_alu instid0(VALU_DEP_1)
	v_cmp_gt_i32_e32 vcc_lo, s24, v1
	v_mov_b32_e32 v2, 0
	s_and_saveexec_b32 s9, vcc_lo
	s_cbranch_execz .LBB3_178
; %bb.177:                              ;   in Loop: Header=BB3_176 Depth=2
	ds_load_u8 v2, v1
.LBB3_178:                              ;   in Loop: Header=BB3_176 Depth=2
	s_or_b32 exec_lo, exec_lo, s9
	s_waitcnt lgkmcnt(0)
	v_and_b32_e32 v3, s73, v2
	s_delay_alu instid0(VALU_DEP_1) | instskip(NEXT) | instid1(VALU_DEP_1)
	v_and_b32_e32 v3, 0xff, v3
	v_cmp_eq_u32_e64 s9, s72, v3
	s_delay_alu instid0(VALU_DEP_1) | instskip(NEXT) | instid1(SALU_CYCLE_1)
	s_and_b32 s28, vcc_lo, s9
	s_and_saveexec_b32 s9, s28
	s_cbranch_execz .LBB3_175
; %bb.179:                              ;   in Loop: Header=BB3_176 Depth=2
	v_lshlrev_b16 v2, 8, v2
	s_delay_alu instid0(VALU_DEP_1)
	v_or_b32_e32 v2, 1, v2
	ds_store_b16 v21, v2 offset:3072
	s_branch .LBB3_175
.LBB3_180:                              ;   in Loop: Header=BB3_17 Depth=1
	s_set_inst_prefetch_distance 0x2
	s_or_b32 exec_lo, exec_lo, s23
	v_lshrrev_b16 v22, 8, v2
	s_and_b32 s27, s27, exec_lo
.LBB3_181:                              ;   in Loop: Header=BB3_17 Depth=1
	s_or_b32 exec_lo, exec_lo, s21
	s_mov_b32 s23, -1
	s_mov_b32 s21, 0
	s_mov_b32 s22, 0
.LBB3_182:                              ;   in Loop: Header=BB3_17 Depth=1
	s_mov_b32 s28, 0
                                        ; implicit-def: $sgpr9
	s_and_saveexec_b32 s24, s27
	s_cbranch_execz .LBB3_235
; %bb.183:                              ;   in Loop: Header=BB3_17 Depth=1
	s_xor_b32 s9, s25, -1
	s_mov_b32 s27, 0
	s_and_not1_b32 vcc_lo, exec_lo, s9
	s_mov_b32 s25, 1
	s_cbranch_vccnz .LBB3_194
; %bb.184:                              ;   in Loop: Header=BB3_17 Depth=1
	s_cmp_gt_i32 s26, s17
	s_mov_b32 s27, -1
                                        ; implicit-def: $sgpr9
                                        ; implicit-def: $sgpr25
                                        ; implicit-def: $sgpr28
	s_cbranch_scc1 .LBB3_190
; %bb.185:                              ;   in Loop: Header=BB3_17 Depth=1
	ds_load_b32 v1, v21 offset:4096
	s_waitcnt lgkmcnt(0)
	v_cmp_ne_u32_e32 vcc_lo, 0, v1
	s_cbranch_vccnz .LBB3_189
; %bb.186:                              ;   in Loop: Header=BB3_17 Depth=1
	s_and_saveexec_b32 s9, s2
	s_cbranch_execz .LBB3_188
; %bb.187:                              ;   in Loop: Header=BB3_17 Depth=1
	v_mov_b32_e32 v1, s17
	ds_store_b32 v21, v1 offset:4100
.LBB3_188:                              ;   in Loop: Header=BB3_17 Depth=1
	s_or_b32 exec_lo, exec_lo, s9
	s_waitcnt lgkmcnt(0)
	s_barrier
	buffer_gl0_inv
.LBB3_189:                              ;   in Loop: Header=BB3_17 Depth=1
	s_lshl_b32 s9, 2, s18
	s_and_b32 s18, s72, s19
	s_or_b32 s28, s73, s12
	s_or_b32 s25, s18, s9
	s_mov_b32 s27, 0
	s_mov_b32 s9, 8
.LBB3_190:                              ;   in Loop: Header=BB3_17 Depth=1
	s_and_not1_b32 vcc_lo, exec_lo, s27
	s_cbranch_vccnz .LBB3_192
; %bb.191:                              ;   in Loop: Header=BB3_17 Depth=1
	s_sub_i32 s26, s26, s17
	s_mov_b32 s27, -1
	s_mov_b32 s9, 0
	s_mov_b32 s25, s72
	;; [unrolled: 1-line block ×3, first 2 shown]
.LBB3_192:                              ;   in Loop: Header=BB3_17 Depth=1
	s_delay_alu instid0(SALU_CYCLE_1)
	s_mov_b32 s73, s28
	s_mov_b32 s72, s25
	;; [unrolled: 1-line block ×3, first 2 shown]
	s_and_not1_b32 vcc_lo, exec_lo, s27
	s_mov_b32 s37, -1
	s_cbranch_vccz .LBB3_195
.LBB3_193:                              ;   in Loop: Header=BB3_17 Depth=1
                                        ; implicit-def: $sgpr19
                                        ; implicit-def: $sgpr27
                                        ; implicit-def: $sgpr26
	s_branch .LBB3_234
.LBB3_194:                              ;   in Loop: Header=BB3_17 Depth=1
	s_mov_b32 s9, 1
	s_and_not1_b32 vcc_lo, exec_lo, s27
	s_mov_b32 s37, -1
	s_cbranch_vccnz .LBB3_193
.LBB3_195:                              ;   in Loop: Header=BB3_17 Depth=1
	s_cmp_eq_u32 s10, 1
	s_mov_b32 s28, -1
	s_cselect_b32 s9, -1, 0
	s_cmp_eq_u32 s25, 1
	s_cselect_b32 s17, -1, 0
	s_delay_alu instid0(SALU_CYCLE_1) | instskip(NEXT) | instid1(SALU_CYCLE_1)
	s_and_b32 s17, s9, s17
	s_and_b32 vcc_lo, exec_lo, s17
	s_cbranch_vccz .LBB3_206
; %bb.196:                              ;   in Loop: Header=BB3_17 Depth=1
	ds_load_b32 v1, v21 offset:4096
	s_waitcnt lgkmcnt(0)
	s_barrier
	buffer_gl0_inv
	v_readfirstlane_b32 s18, v1
	s_and_saveexec_b32 s9, s0
	s_cbranch_execz .LBB3_198
; %bb.197:                              ;   in Loop: Header=BB3_17 Depth=1
	ds_store_b8 v0, v21 offset:3072
.LBB3_198:                              ;   in Loop: Header=BB3_17 Depth=1
	s_or_b32 exec_lo, exec_lo, s9
	s_or_b32 s72, s72, s12
	s_or_b32 s73, s73, s12
	s_cmp_gt_i32 s18, 0
	s_waitcnt lgkmcnt(0)
	s_barrier
	buffer_gl0_inv
	s_cbranch_scc1 .LBB3_207
; %bb.199:                              ;   in Loop: Header=BB3_17 Depth=1
	s_mov_b32 s28, 0
                                        ; implicit-def: $vgpr22
	s_and_saveexec_b32 s19, s8
	s_cbranch_execz .LBB3_209
; %bb.200:                              ;   in Loop: Header=BB3_17 Depth=1
	v_dual_mov_b32 v1, v11 :: v_dual_mov_b32 v2, v0
	s_mov_b32 s26, 0
                                        ; implicit-def: $sgpr27
	s_set_inst_prefetch_distance 0x1
	s_branch .LBB3_202
	.p2align	6
.LBB3_201:                              ;   in Loop: Header=BB3_202 Depth=2
	s_or_b32 exec_lo, exec_lo, s9
	s_waitcnt lgkmcnt(0)
	s_barrier
	buffer_gl0_inv
	ds_load_u16 v3, v21 offset:3072
	v_add_nc_u32_e32 v2, s47, v2
	v_add_nc_u32_e32 v1, s54, v1
	s_waitcnt lgkmcnt(0)
	s_barrier
	buffer_gl0_inv
	v_cmp_le_i32_e32 vcc_lo, s63, v2
	v_and_b32_e32 v4, 0xff, v3
	s_delay_alu instid0(VALU_DEP_1) | instskip(NEXT) | instid1(VALU_DEP_1)
	v_cmp_ne_u16_e64 s9, 0, v4
	s_or_b32 s28, vcc_lo, s9
	s_delay_alu instid0(SALU_CYCLE_1) | instskip(NEXT) | instid1(SALU_CYCLE_1)
	s_and_b32 s28, exec_lo, s28
	s_or_b32 s26, s28, s26
	s_and_not1_b32 s27, s27, exec_lo
	s_and_b32 s9, s9, exec_lo
	s_delay_alu instid0(SALU_CYCLE_1)
	s_or_b32 s27, s27, s9
	s_and_not1_b32 exec_lo, exec_lo, s26
	s_cbranch_execz .LBB3_208
.LBB3_202:                              ;   Parent Loop BB3_17 Depth=1
                                        ; =>  This Inner Loop Header: Depth=2
	s_delay_alu instid0(VALU_DEP_1)
	v_cmp_gt_i32_e32 vcc_lo, s36, v2
	v_mov_b32_e32 v3, 0
	s_and_saveexec_b32 s28, vcc_lo
	s_cbranch_execz .LBB3_204
; %bb.203:                              ;   in Loop: Header=BB3_202 Depth=2
	v_ashrrev_i32_e32 v4, 31, v1
	v_add_co_u32 v3, s9, s42, v1
	s_delay_alu instid0(VALU_DEP_1)
	v_add_co_ci_u32_e64 v4, s9, s43, v4, s9
	global_load_u8 v3, v[3:4], off
.LBB3_204:                              ;   in Loop: Header=BB3_202 Depth=2
	s_or_b32 exec_lo, exec_lo, s28
	s_waitcnt vmcnt(0)
	v_and_b32_e32 v4, s73, v3
	s_delay_alu instid0(VALU_DEP_1) | instskip(NEXT) | instid1(VALU_DEP_1)
	v_and_b32_e32 v4, 0xff, v4
	v_cmp_eq_u32_e64 s9, s72, v4
	s_delay_alu instid0(VALU_DEP_1) | instskip(NEXT) | instid1(SALU_CYCLE_1)
	s_and_b32 s28, vcc_lo, s9
	s_and_saveexec_b32 s9, s28
	s_cbranch_execz .LBB3_201
; %bb.205:                              ;   in Loop: Header=BB3_202 Depth=2
	v_lshlrev_b16 v3, 8, v3
	s_delay_alu instid0(VALU_DEP_1)
	v_or_b32_e32 v3, 1, v3
	ds_store_b16 v21, v3 offset:3072
	s_branch .LBB3_201
.LBB3_206:                              ;   in Loop: Header=BB3_17 Depth=1
                                        ; implicit-def: $sgpr19
                                        ; implicit-def: $sgpr27
                                        ; implicit-def: $sgpr26
	s_branch .LBB3_219
.LBB3_207:                              ;   in Loop: Header=BB3_17 Depth=1
	s_mov_b32 s19, -1
	s_mov_b32 s28, 0
                                        ; implicit-def: $sgpr26
                                        ; implicit-def: $vgpr22
	s_mov_b32 s27, s19
	s_cbranch_execnz .LBB3_210
	s_branch .LBB3_219
.LBB3_208:                              ;   in Loop: Header=BB3_17 Depth=1
	s_set_inst_prefetch_distance 0x2
	s_or_b32 exec_lo, exec_lo, s26
	v_lshrrev_b16 v22, 8, v3
	s_and_b32 s28, s27, exec_lo
.LBB3_209:                              ;   in Loop: Header=BB3_17 Depth=1
	s_or_b32 exec_lo, exec_lo, s19
	s_mov_b32 s26, -1
	s_mov_b32 s19, 0
	s_delay_alu instid0(SALU_CYCLE_1)
	s_mov_b32 s27, s19
	s_branch .LBB3_219
.LBB3_210:                              ;   in Loop: Header=BB3_17 Depth=1
	s_add_i32 s26, s18, s51
	s_mov_b32 s28, 0
	s_abs_i32 s9, s26
                                        ; implicit-def: $vgpr22
	s_delay_alu instid0(SALU_CYCLE_1) | instskip(NEXT) | instid1(SALU_CYCLE_1)
	s_mul_hi_u32 s19, s9, s61
	s_mul_i32 s19, s19, s47
	s_delay_alu instid0(SALU_CYCLE_1) | instskip(SKIP_4) | instid1(SALU_CYCLE_1)
	s_sub_i32 s9, s9, s19
	s_ashr_i32 s19, s26, 31
	s_sub_i32 s27, s9, s47
	s_cmp_ge_u32 s9, s47
	s_cselect_b32 s9, s27, s9
	s_sub_i32 s27, s9, s47
	s_cmp_ge_u32 s9, s47
	s_cselect_b32 s9, s27, s9
	s_delay_alu instid0(SALU_CYCLE_1) | instskip(NEXT) | instid1(SALU_CYCLE_1)
	s_xor_b32 s9, s9, s19
	s_sub_i32 s9, s19, s9
	s_mov_b32 s19, exec_lo
	s_add_i32 s26, s26, s9
	s_delay_alu instid0(SALU_CYCLE_1)
	v_cmpx_gt_i32_e64 s26, v0
	s_cbranch_execz .LBB3_218
; %bb.211:                              ;   in Loop: Header=BB3_17 Depth=1
	v_mov_b32_e32 v1, v0
	s_mov_b32 s27, 0
                                        ; implicit-def: $sgpr28
	s_set_inst_prefetch_distance 0x1
	s_branch .LBB3_213
	.p2align	6
.LBB3_212:                              ;   in Loop: Header=BB3_213 Depth=2
	s_or_b32 exec_lo, exec_lo, s9
	s_waitcnt lgkmcnt(0)
	s_barrier
	buffer_gl0_inv
	ds_load_u16 v2, v21 offset:3072
	v_add_nc_u32_e32 v1, s47, v1
	s_waitcnt lgkmcnt(0)
	s_barrier
	buffer_gl0_inv
	v_cmp_le_i32_e32 vcc_lo, s26, v1
	v_and_b32_e32 v3, 0xff, v2
	s_delay_alu instid0(VALU_DEP_1) | instskip(NEXT) | instid1(VALU_DEP_1)
	v_cmp_ne_u16_e64 s9, 0, v3
	s_or_b32 s37, vcc_lo, s9
	s_delay_alu instid0(SALU_CYCLE_1) | instskip(NEXT) | instid1(SALU_CYCLE_1)
	s_and_b32 s37, exec_lo, s37
	s_or_b32 s27, s37, s27
	s_and_not1_b32 s28, s28, exec_lo
	s_and_b32 s9, s9, exec_lo
	s_delay_alu instid0(SALU_CYCLE_1)
	s_or_b32 s28, s28, s9
	s_and_not1_b32 exec_lo, exec_lo, s27
	s_cbranch_execz .LBB3_217
.LBB3_213:                              ;   Parent Loop BB3_17 Depth=1
                                        ; =>  This Inner Loop Header: Depth=2
	s_delay_alu instid0(VALU_DEP_1)
	v_cmp_gt_i32_e32 vcc_lo, s18, v1
	v_mov_b32_e32 v2, 0
	s_and_saveexec_b32 s9, vcc_lo
	s_cbranch_execz .LBB3_215
; %bb.214:                              ;   in Loop: Header=BB3_213 Depth=2
	ds_load_u8 v2, v1
.LBB3_215:                              ;   in Loop: Header=BB3_213 Depth=2
	s_or_b32 exec_lo, exec_lo, s9
	s_waitcnt lgkmcnt(0)
	v_and_b32_e32 v3, s73, v2
	s_delay_alu instid0(VALU_DEP_1) | instskip(NEXT) | instid1(VALU_DEP_1)
	v_and_b32_e32 v3, 0xff, v3
	v_cmp_eq_u32_e64 s9, s72, v3
	s_delay_alu instid0(VALU_DEP_1) | instskip(NEXT) | instid1(SALU_CYCLE_1)
	s_and_b32 s37, vcc_lo, s9
	s_and_saveexec_b32 s9, s37
	s_cbranch_execz .LBB3_212
; %bb.216:                              ;   in Loop: Header=BB3_213 Depth=2
	v_lshlrev_b16 v2, 8, v2
	s_delay_alu instid0(VALU_DEP_1)
	v_or_b32_e32 v2, 1, v2
	ds_store_b16 v21, v2 offset:3072
	s_branch .LBB3_212
.LBB3_217:                              ;   in Loop: Header=BB3_17 Depth=1
	s_set_inst_prefetch_distance 0x2
	s_or_b32 exec_lo, exec_lo, s27
	v_lshrrev_b16 v22, 8, v2
	s_and_b32 s28, s28, exec_lo
.LBB3_218:                              ;   in Loop: Header=BB3_17 Depth=1
	s_or_b32 exec_lo, exec_lo, s19
	s_mov_b32 s27, -1
	s_mov_b32 s19, 0
	s_mov_b32 s26, 0
.LBB3_219:                              ;   in Loop: Header=BB3_17 Depth=1
	s_mov_b32 s37, 0
                                        ; implicit-def: $sgpr9
	s_and_saveexec_b32 s18, s28
	s_cbranch_execz .LBB3_233
; %bb.220:                              ;   in Loop: Header=BB3_17 Depth=1
	s_xor_b32 s9, s17, -1
	s_delay_alu instid0(SALU_CYCLE_1)
	s_and_not1_b32 vcc_lo, exec_lo, s9
	s_mov_b32 s9, 1
	s_cbranch_vccnz .LBB3_227
; %bb.221:                              ;   in Loop: Header=BB3_17 Depth=1
	s_cmp_gt_i32 s25, s10
	s_cbranch_scc1 .LBB3_228
; %bb.222:                              ;   in Loop: Header=BB3_17 Depth=1
	ds_load_b32 v1, v21 offset:4096
	s_waitcnt lgkmcnt(0)
	v_cmp_ne_u32_e32 vcc_lo, 0, v1
	s_cbranch_vccnz .LBB3_226
; %bb.223:                              ;   in Loop: Header=BB3_17 Depth=1
	s_and_saveexec_b32 s9, s2
	s_cbranch_execz .LBB3_225
; %bb.224:                              ;   in Loop: Header=BB3_17 Depth=1
	v_mov_b32_e32 v1, s10
	ds_store_b32 v21, v1 offset:4100
.LBB3_225:                              ;   in Loop: Header=BB3_17 Depth=1
	s_or_b32 exec_lo, exec_lo, s9
	s_waitcnt lgkmcnt(0)
	s_barrier
	buffer_gl0_inv
.LBB3_226:                              ;   in Loop: Header=BB3_17 Depth=1
	s_or_b32 s17, s72, s12
	s_or_b32 s12, s73, s12
	s_mov_b32 s28, 0
	s_mov_b32 s9, 8
	s_branch .LBB3_229
.LBB3_227:                              ;   in Loop: Header=BB3_17 Depth=1
	s_mov_b32 s25, 1
	s_branch .LBB3_232
.LBB3_228:                              ;   in Loop: Header=BB3_17 Depth=1
	s_mov_b32 s28, -1
                                        ; implicit-def: $sgpr9
                                        ; implicit-def: $sgpr17
                                        ; implicit-def: $sgpr12
.LBB3_229:                              ;   in Loop: Header=BB3_17 Depth=1
	s_delay_alu instid0(SALU_CYCLE_1)
	s_and_not1_b32 vcc_lo, exec_lo, s28
	s_cbranch_vccnz .LBB3_231
; %bb.230:                              ;   in Loop: Header=BB3_17 Depth=1
	s_sub_i32 s25, s25, s10
	s_mov_b32 s9, 8
	s_mov_b32 s17, s72
	;; [unrolled: 1-line block ×3, first 2 shown]
.LBB3_231:                              ;   in Loop: Header=BB3_17 Depth=1
	s_mov_b32 s72, s17
	s_mov_b32 s73, s12
.LBB3_232:                              ;   in Loop: Header=BB3_17 Depth=1
	s_mov_b32 s37, exec_lo
.LBB3_233:                              ;   in Loop: Header=BB3_17 Depth=1
	s_or_b32 exec_lo, exec_lo, s18
.LBB3_234:                              ;   in Loop: Header=BB3_17 Depth=1
	s_delay_alu instid0(SALU_CYCLE_1)
	s_and_not1_b32 s10, s21, exec_lo
	s_and_b32 s12, s19, exec_lo
	s_and_not1_b32 s17, s22, exec_lo
	s_or_b32 s21, s10, s12
	s_and_not1_b32 s10, s23, exec_lo
	s_and_b32 s12, s27, exec_lo
	s_and_b32 s18, s26, exec_lo
	s_or_b32 s23, s10, s12
	s_or_b32 s22, s17, s18
	s_and_b32 s28, s37, exec_lo
	s_mov_b32 s26, s25
.LBB3_235:                              ;   in Loop: Header=BB3_17 Depth=1
	s_or_b32 exec_lo, exec_lo, s24
.LBB3_236:                              ;   in Loop: Header=BB3_17 Depth=1
	s_delay_alu instid0(SALU_CYCLE_1)
	s_and_not1_b32 s10, s15, exec_lo
	s_and_b32 s12, s21, exec_lo
	s_and_not1_b32 s14, s14, exec_lo
	s_or_b32 s15, s10, s12
	s_and_not1_b32 s10, s16, exec_lo
	s_and_b32 s12, s23, exec_lo
	s_and_b32 s17, s22, exec_lo
	s_or_b32 s16, s10, s12
	s_or_b32 s14, s14, s17
	s_and_b32 s25, s28, exec_lo
	s_mov_b32 s22, s26
.LBB3_237:                              ;   in Loop: Header=BB3_17 Depth=1
	s_or_b32 exec_lo, exec_lo, s20
	s_and_saveexec_b32 s10, s25
	s_delay_alu instid0(SALU_CYCLE_1)
	s_xor_b32 s10, exec_lo, s10
	s_cbranch_execz .LBB3_15
.LBB3_238:                              ;   in Loop: Header=BB3_17 Depth=1
	s_and_b32 s9, s9, -9
	s_delay_alu instid0(SALU_CYCLE_1)
	s_cmp_eq_u32 s9, 0
	s_cbranch_scc1 .LBB3_13
; %bb.239:                              ;   in Loop: Header=BB3_17 Depth=1
	s_mov_b32 s9, -1
	s_mov_b32 s12, -1
                                        ; implicit-def: $sgpr73
                                        ; implicit-def: $sgpr22
                                        ; implicit-def: $sgpr60
                                        ; implicit-def: $sgpr70
	s_branch .LBB3_14
.LBB3_240:
	s_or_b32 exec_lo, exec_lo, s48
	s_xor_b32 s4, s67, -1
	s_xor_b32 s0, s65, -1
	;; [unrolled: 1-line block ×3, first 2 shown]
	s_mov_b32 s1, 0
	s_and_saveexec_b32 s5, s0
	s_delay_alu instid0(SALU_CYCLE_1)
	s_xor_b32 s0, exec_lo, s5
	s_cbranch_execz .LBB3_261
; %bb.241:
	s_and_saveexec_b32 s1, s4
	s_delay_alu instid0(SALU_CYCLE_1)
	s_xor_b32 s1, exec_lo, s1
	s_cbranch_execz .LBB3_259
; %bb.242:
	s_and_saveexec_b32 s4, s3
	s_delay_alu instid0(SALU_CYCLE_1)
	s_xor_b32 s3, exec_lo, s4
; %bb.243:
	v_mov_b32_e32 v22, v1
; %bb.244:
	s_or_b32 exec_lo, exec_lo, s3
	s_and_saveexec_b32 s3, s2
	s_cbranch_execz .LBB3_246
; %bb.245:
	v_dual_mov_b32 v1, 0 :: v_dual_mov_b32 v2, s36
	ds_store_b32 v1, v2 offset:4108
.LBB3_246:
	s_or_b32 exec_lo, exec_lo, s3
	v_mov_b32_e32 v1, 0
	s_waitcnt lgkmcnt(0)
	s_barrier
	buffer_gl0_inv
	s_mov_b32 s3, exec_lo
	ds_load_b32 v1, v1 offset:4108
	s_waitcnt lgkmcnt(0)
	v_min_i32_e32 v1, s36, v1
	s_delay_alu instid0(VALU_DEP_1)
	v_cmpx_lt_i32_e64 v0, v1
	s_cbranch_execz .LBB3_256
; %bb.247:
	v_and_b32_e32 v3, 0xff, v22
	s_mov_b32 s4, 0
                                        ; implicit-def: $sgpr5
                                        ; implicit-def: $sgpr7
                                        ; implicit-def: $sgpr6
	s_set_inst_prefetch_distance 0x1
	s_branch .LBB3_249
	.p2align	6
.LBB3_248:                              ;   in Loop: Header=BB3_249 Depth=1
	s_or_b32 exec_lo, exec_lo, s8
	s_delay_alu instid0(SALU_CYCLE_1) | instskip(NEXT) | instid1(SALU_CYCLE_1)
	s_and_b32 s8, exec_lo, s7
	s_or_b32 s4, s8, s4
	s_and_not1_b32 s5, s5, exec_lo
	s_and_b32 s8, s6, exec_lo
	s_delay_alu instid0(SALU_CYCLE_1)
	s_or_b32 s5, s5, s8
	s_and_not1_b32 exec_lo, exec_lo, s4
	s_cbranch_execz .LBB3_251
.LBB3_249:                              ; =>This Inner Loop Header: Depth=1
	v_ashrrev_i32_e32 v2, 31, v11
	v_add_co_u32 v4, vcc_lo, s42, v11
	s_or_b32 s6, s6, exec_lo
	s_or_b32 s7, s7, exec_lo
	s_delay_alu instid0(VALU_DEP_2)
	v_add_co_ci_u32_e32 v5, vcc_lo, s43, v2, vcc_lo
	v_mov_b32_e32 v2, v0
	s_mov_b32 s8, exec_lo
                                        ; implicit-def: $vgpr0
	global_load_u8 v4, v[4:5], off
	s_waitcnt vmcnt(0)
	v_cmpx_ne_u16_e64 v4, v3
	s_cbranch_execz .LBB3_248
; %bb.250:                              ;   in Loop: Header=BB3_249 Depth=1
	v_add_nc_u32_e32 v0, s47, v2
	s_and_not1_b32 s7, s7, exec_lo
	v_add_nc_u32_e32 v11, s54, v11
	s_and_not1_b32 s6, s6, exec_lo
	s_delay_alu instid0(VALU_DEP_2) | instskip(SKIP_1) | instid1(SALU_CYCLE_1)
	v_cmp_ge_i32_e32 vcc_lo, v0, v1
	s_and_b32 s9, vcc_lo, exec_lo
	s_or_b32 s7, s7, s9
	s_branch .LBB3_248
.LBB3_251:
	s_set_inst_prefetch_distance 0x2
	s_or_b32 exec_lo, exec_lo, s4
	s_and_saveexec_b32 s4, s5
	s_delay_alu instid0(SALU_CYCLE_1)
	s_xor_b32 s4, exec_lo, s4
	s_cbranch_execz .LBB3_256
; %bb.252:
	s_mov_b32 s5, exec_lo
	s_brev_b32 s4, -2
.LBB3_253:                              ; =>This Inner Loop Header: Depth=1
	s_ctz_i32_b32 s6, s5
	s_delay_alu instid0(SALU_CYCLE_1) | instskip(SKIP_1) | instid1(SALU_CYCLE_1)
	v_readlane_b32 s7, v2, s6
	s_lshl_b32 s6, 1, s6
	s_and_not1_b32 s5, s5, s6
	s_delay_alu instid0(VALU_DEP_1)
	s_min_i32 s4, s4, s7
	s_cmp_lg_u32 s5, 0
	s_cbranch_scc1 .LBB3_253
; %bb.254:
	v_mbcnt_lo_u32_b32 v0, exec_lo, 0
	s_mov_b32 s5, exec_lo
	s_delay_alu instid0(VALU_DEP_1)
	v_cmpx_eq_u32_e32 0, v0
	s_xor_b32 s5, exec_lo, s5
	s_cbranch_execz .LBB3_256
; %bb.255:
	v_dual_mov_b32 v0, 0 :: v_dual_mov_b32 v1, s4
	ds_min_i32 v0, v1 offset:4108
.LBB3_256:
	s_or_b32 exec_lo, exec_lo, s3
	s_waitcnt lgkmcnt(0)
	s_barrier
	buffer_gl0_inv
	s_and_saveexec_b32 s3, s2
	s_cbranch_execz .LBB3_258
; %bb.257:
	v_mov_b32_e32 v2, 0
	s_mul_i32 s2, s30, s38
	s_mul_i32 s4, s46, s33
	s_add_i32 s2, s2, s29
	s_add_i32 s4, s4, s31
	ds_load_b32 v0, v2 offset:4108
	s_ashr_i32 s5, s2, 31
	s_add_u32 s6, s40, s2
	s_addc_u32 s7, s41, s5
	s_ashr_i32 s5, s4, 31
	s_delay_alu instid0(SALU_CYCLE_1) | instskip(NEXT) | instid1(SALU_CYCLE_1)
	s_lshl_b64 s[4:5], s[4:5], 3
	s_add_u32 s4, s34, s4
	s_addc_u32 s5, s35, s5
	s_waitcnt lgkmcnt(0)
	v_ashrrev_i32_e32 v1, 31, v0
	s_clause 0x1
	global_store_b64 v2, v[0:1], s[4:5]
	global_store_b8 v2, v22, s[6:7]
.LBB3_258:
	s_or_b32 exec_lo, exec_lo, s3
.LBB3_259:
	s_or_saveexec_b32 s1, s1
	s_mov_b32 s2, 0
	s_xor_b32 exec_lo, exec_lo, s1
	s_cbranch_execnz .LBB3_267
.LBB3_260:
	s_or_b32 exec_lo, exec_lo, s1
	s_delay_alu instid0(SALU_CYCLE_1)
	s_and_b32 s1, s2, exec_lo
.LBB3_261:
	s_and_not1_saveexec_b32 s0, s0
	s_cbranch_execnz .LBB3_265
; %bb.262:
	s_or_b32 exec_lo, exec_lo, s0
	s_and_saveexec_b32 s0, s1
.LBB3_263:
	; divergent unreachable
.LBB3_264:
	s_nop 0
	s_sendmsg sendmsg(MSG_DEALLOC_VGPRS)
	s_endpgm
.LBB3_265:
	s_cbranch_execnz .LBB3_269
; %bb.266:
	s_or_b32 s1, s1, exec_lo
	s_or_b32 exec_lo, exec_lo, s0
	s_and_saveexec_b32 s0, s1
	s_cbranch_execnz .LBB3_263
	s_branch .LBB3_264
.LBB3_267:
	s_cbranch_execnz .LBB3_271
; %bb.268:
	s_mov_b32 s2, exec_lo
	s_branch .LBB3_260
.LBB3_269:
	s_trap 2
	s_sendmsg_rtn_b32 s0, sendmsg(MSG_RTN_GET_DOORBELL)
	s_mov_b32 ttmp2, m0
	s_waitcnt lgkmcnt(0)
	s_and_b32 s0, s0, 0x3ff
	s_delay_alu instid0(SALU_CYCLE_1) | instskip(NEXT) | instid1(SALU_CYCLE_1)
	s_bitset1_b32 s0, 10
	s_mov_b32 m0, s0
	s_sendmsg sendmsg(MSG_INTERRUPT)
	s_mov_b32 m0, ttmp2
.LBB3_270:                              ; =>This Inner Loop Header: Depth=1
	s_sethalt 5
	s_branch .LBB3_270
.LBB3_271:
	s_trap 2
	s_sendmsg_rtn_b32 s0, sendmsg(MSG_RTN_GET_DOORBELL)
	s_mov_b32 ttmp2, m0
	s_waitcnt lgkmcnt(0)
	s_and_b32 s0, s0, 0x3ff
	s_delay_alu instid0(SALU_CYCLE_1) | instskip(NEXT) | instid1(SALU_CYCLE_1)
	s_bitset1_b32 s0, 10
	s_mov_b32 m0, s0
	s_sendmsg sendmsg(MSG_INTERRUPT)
	s_mov_b32 m0, ttmp2
.LBB3_272:                              ; =>This Inner Loop Header: Depth=1
	s_sethalt 5
	s_branch .LBB3_272
	.section	.rodata,"a",@progbits
	.p2align	6, 0x0
	.amdhsa_kernel _ZN2at6native12_GLOBAL__N_114gatherKthValueIhiLin1EEEvNS_4cuda6detail10TensorInfoIKT_T0_EES8_S8_S8_S8_NS5_IS6_S8_EENS5_IlS8_EE
		.amdhsa_group_segment_fixed_size 4112
		.amdhsa_private_segment_fixed_size 0
		.amdhsa_kernarg_size 920
		.amdhsa_user_sgpr_count 13
		.amdhsa_user_sgpr_dispatch_ptr 0
		.amdhsa_user_sgpr_queue_ptr 0
		.amdhsa_user_sgpr_kernarg_segment_ptr 1
		.amdhsa_user_sgpr_dispatch_id 0
		.amdhsa_user_sgpr_private_segment_size 0
		.amdhsa_wavefront_size32 1
		.amdhsa_uses_dynamic_stack 0
		.amdhsa_enable_private_segment 0
		.amdhsa_system_sgpr_workgroup_id_x 1
		.amdhsa_system_sgpr_workgroup_id_y 1
		.amdhsa_system_sgpr_workgroup_id_z 1
		.amdhsa_system_sgpr_workgroup_info 0
		.amdhsa_system_vgpr_workitem_id 0
		.amdhsa_next_free_vgpr 36
		.amdhsa_next_free_sgpr 83
		.amdhsa_reserve_vcc 1
		.amdhsa_float_round_mode_32 0
		.amdhsa_float_round_mode_16_64 0
		.amdhsa_float_denorm_mode_32 3
		.amdhsa_float_denorm_mode_16_64 3
		.amdhsa_dx10_clamp 1
		.amdhsa_ieee_mode 1
		.amdhsa_fp16_overflow 0
		.amdhsa_workgroup_processor_mode 1
		.amdhsa_memory_ordered 1
		.amdhsa_forward_progress 0
		.amdhsa_shared_vgpr_count 0
		.amdhsa_exception_fp_ieee_invalid_op 0
		.amdhsa_exception_fp_denorm_src 0
		.amdhsa_exception_fp_ieee_div_zero 0
		.amdhsa_exception_fp_ieee_overflow 0
		.amdhsa_exception_fp_ieee_underflow 0
		.amdhsa_exception_fp_ieee_inexact 0
		.amdhsa_exception_int_div_zero 0
	.end_amdhsa_kernel
	.section	.text._ZN2at6native12_GLOBAL__N_114gatherKthValueIhiLin1EEEvNS_4cuda6detail10TensorInfoIKT_T0_EES8_S8_S8_S8_NS5_IS6_S8_EENS5_IlS8_EE,"axG",@progbits,_ZN2at6native12_GLOBAL__N_114gatherKthValueIhiLin1EEEvNS_4cuda6detail10TensorInfoIKT_T0_EES8_S8_S8_S8_NS5_IS6_S8_EENS5_IlS8_EE,comdat
.Lfunc_end3:
	.size	_ZN2at6native12_GLOBAL__N_114gatherKthValueIhiLin1EEEvNS_4cuda6detail10TensorInfoIKT_T0_EES8_S8_S8_S8_NS5_IS6_S8_EENS5_IlS8_EE, .Lfunc_end3-_ZN2at6native12_GLOBAL__N_114gatherKthValueIhiLin1EEEvNS_4cuda6detail10TensorInfoIKT_T0_EES8_S8_S8_S8_NS5_IS6_S8_EENS5_IlS8_EE
                                        ; -- End function
	.section	.AMDGPU.csdata,"",@progbits
; Kernel info:
; codeLenInByte = 10404
; NumSgprs: 85
; NumVgprs: 36
; ScratchSize: 0
; MemoryBound: 0
; FloatMode: 240
; IeeeMode: 1
; LDSByteSize: 4112 bytes/workgroup (compile time only)
; SGPRBlocks: 10
; VGPRBlocks: 4
; NumSGPRsForWavesPerEU: 85
; NumVGPRsForWavesPerEU: 36
; Occupancy: 16
; WaveLimiterHint : 1
; COMPUTE_PGM_RSRC2:SCRATCH_EN: 0
; COMPUTE_PGM_RSRC2:USER_SGPR: 13
; COMPUTE_PGM_RSRC2:TRAP_HANDLER: 0
; COMPUTE_PGM_RSRC2:TGID_X_EN: 1
; COMPUTE_PGM_RSRC2:TGID_Y_EN: 1
; COMPUTE_PGM_RSRC2:TGID_Z_EN: 1
; COMPUTE_PGM_RSRC2:TIDIG_COMP_CNT: 0
	.section	.text._ZN2at6native12_GLOBAL__N_114gatherKthValueIhlLi1EEEvNS_4cuda6detail10TensorInfoIKT_T0_EES8_S8_S8_S8_NS5_IS6_S8_EENS5_IlS8_EE,"axG",@progbits,_ZN2at6native12_GLOBAL__N_114gatherKthValueIhlLi1EEEvNS_4cuda6detail10TensorInfoIKT_T0_EES8_S8_S8_S8_NS5_IS6_S8_EENS5_IlS8_EE,comdat
	.globl	_ZN2at6native12_GLOBAL__N_114gatherKthValueIhlLi1EEEvNS_4cuda6detail10TensorInfoIKT_T0_EES8_S8_S8_S8_NS5_IS6_S8_EENS5_IlS8_EE ; -- Begin function _ZN2at6native12_GLOBAL__N_114gatherKthValueIhlLi1EEEvNS_4cuda6detail10TensorInfoIKT_T0_EES8_S8_S8_S8_NS5_IS6_S8_EENS5_IlS8_EE
	.p2align	8
	.type	_ZN2at6native12_GLOBAL__N_114gatherKthValueIhlLi1EEEvNS_4cuda6detail10TensorInfoIKT_T0_EES8_S8_S8_S8_NS5_IS6_S8_EENS5_IlS8_EE,@function
_ZN2at6native12_GLOBAL__N_114gatherKthValueIhlLi1EEEvNS_4cuda6detail10TensorInfoIKT_T0_EES8_S8_S8_S8_NS5_IS6_S8_EENS5_IlS8_EE: ; @_ZN2at6native12_GLOBAL__N_114gatherKthValueIhlLi1EEEvNS_4cuda6detail10TensorInfoIKT_T0_EES8_S8_S8_S8_NS5_IS6_S8_EENS5_IlS8_EE
; %bb.0:
	s_clause 0x1
	s_load_b64 s[6:7], s[0:1], 0x500
	s_load_b256 s[24:31], s[0:1], 0x1a0
	s_add_u32 s4, s0, 0x500
	s_addc_u32 s5, s1, 0
	s_mov_b32 s35, 0
	s_waitcnt lgkmcnt(0)
	s_mul_i32 s2, s7, s15
	s_delay_alu instid0(SALU_CYCLE_1) | instskip(NEXT) | instid1(SALU_CYCLE_1)
	s_add_i32 s2, s2, s14
	s_mul_i32 s2, s2, s6
	s_delay_alu instid0(SALU_CYCLE_1) | instskip(NEXT) | instid1(SALU_CYCLE_1)
	s_add_i32 s34, s2, s13
	v_cmp_ge_i64_e64 s2, s[34:35], s[28:29]
	s_delay_alu instid0(VALU_DEP_1)
	s_and_b32 vcc_lo, exec_lo, s2
	s_cbranch_vccnz .LBB4_292
; %bb.1:
	s_clause 0x5
	s_load_b64 s[38:39], s[0:1], 0x430
	s_load_b64 s[28:29], s[0:1], 0x360
	;; [unrolled: 1-line block ×6, first 2 shown]
	v_cmp_eq_u32_e64 s0, 0, v0
	s_delay_alu instid0(VALU_DEP_1)
	s_and_saveexec_b32 s1, s0
	s_cbranch_execz .LBB4_3
; %bb.2:
	v_dual_mov_b32 v1, 0 :: v_dual_mov_b32 v4, s25
	s_delay_alu instid0(VALU_DEP_1)
	v_dual_mov_b32 v3, s24 :: v_dual_mov_b32 v2, v1
	ds_store_b32 v1, v1 offset:5136
	ds_store_b128 v1, v[1:4] offset:5120
.LBB4_3:
	s_or_b32 exec_lo, exec_lo, s1
	v_mad_u64_u32 v[2:3], null, v0, s30, 0
	s_waitcnt lgkmcnt(0)
	s_mul_i32 s1, s9, s34
	s_mul_hi_u32 s7, s8, s34
	s_mul_i32 s8, s8, s34
	s_add_i32 s7, s7, s1
	s_add_u32 s42, s2, s8
	s_addc_u32 s43, s3, s7
	v_dual_mov_b32 v1, v3 :: v_dual_lshlrev_b32 v14, 2, v0
	s_barrier
	buffer_gl0_inv
	s_load_b32 s7, s[4:5], 0xc
	v_or_b32_e32 v9, 3, v14
	v_or_b32_e32 v12, 2, v14
	v_mbcnt_lo_u32_b32 v29, -1, 0
	v_mad_u64_u32 v[3:4], null, v0, s31, v[1:2]
	s_delay_alu instid0(VALU_DEP_4) | instskip(NEXT) | instid1(VALU_DEP_4)
	v_mad_u64_u32 v[16:17], null, s30, v9, 0
	v_mad_u64_u32 v[18:19], null, s30, v12, 0
	s_delay_alu instid0(VALU_DEP_4)
	v_lshlrev_b64 v[4:5], v29, -1
	v_mad_u64_u32 v[20:21], null, s30, v14, s[30:31]
	v_cmp_gt_u32_e32 vcc_lo, 32, v0
	v_cmp_gt_i32_e64 s1, 4, v29
	v_lshrrev_b32_e32 v6, 3, v0
	v_not_b32_e32 v31, v4
	v_dual_mov_b32 v4, v17 :: v_dual_mov_b32 v5, v19
	s_delay_alu instid0(VALU_DEP_3)
	v_dual_mov_b32 v13, 0 :: v_dual_and_b32 v30, 0x7c, v6
	s_waitcnt lgkmcnt(0)
	s_and_b32 s33, s7, 0xffff
	s_and_b32 s65, vcc_lo, s1
	v_mad_u64_u32 v[7:8], null, s31, v9, v[4:5]
	s_bfe_u32 s8, s7, 0xb0005
	v_mov_b32_e32 v6, v21
	s_add_u32 s68, s33, -1
	s_addc_u32 s69, 0, -1
	s_add_u32 s70, s68, s24
	s_addc_u32 s47, s69, s25
	s_delay_alu instid0(VALU_DEP_2)
	v_mov_b32_e32 v17, v7
	s_cmp_lt_u32 s13, s6
	v_mad_u64_u32 v[8:9], null, s31, v12, v[5:6]
	v_mad_u64_u32 v[4:5], null, s31, v14, v[6:7]
	s_cselect_b32 s6, 12, 18
	v_mov_b32_e32 v1, v13
	s_add_u32 s48, s4, s6
	s_addc_u32 s49, s5, 0
	s_add_i32 s4, s8, -1
	s_bfe_u32 s71, s33, 0x30005
	s_delay_alu instid0(VALU_DEP_2)
	v_mov_b32_e32 v32, v4
	v_add_co_u32 v10, vcc_lo, s42, v2
	s_cmp_gt_u32 s4, 6
	v_add_co_u32 v33, s4, s24, v0
	v_cmp_lt_i64_e64 s66, 0xc00, s[24:25]
	v_cmp_gt_i64_e64 s1, s[24:25], v[0:1]
	v_lshlrev_b64 v[21:22], 2, v[2:3]
	v_cmp_eq_u32_e64 s2, 0, v29
	v_cmp_gt_u32_e64 s3, 2, v0
	v_add_co_ci_u32_e32 v11, vcc_lo, s43, v3, vcc_lo
	v_mov_b32_e32 v15, v13
	v_cmp_gt_u16_e64 s67, s7, 31
	s_cselect_b32 s72, -1, 0
	s_and_b32 s73, s8, 0x7f8
	v_mov_b32_e32 v19, v8
	v_add_co_ci_u32_e64 v34, null, s25, 0, s4
	v_lshl_or_b32 v35, v29, 3, 0xc00
	v_cvt_f32_ubyte0_e32 v36, 0
	v_mov_b32_e32 v37, 0
	s_cmp_lg_u32 s71, 0
	s_mul_i32 s4, s31, s33
	s_mul_hi_u32 s5, s30, s33
	s_mov_b32 s45, 0
	s_mov_b32 s75, 6
	s_cselect_b32 s74, -1, 0
	s_lshl_b64 s[50:51], s[30:31], 2
	s_add_i32 s35, s5, s4
	s_mul_i32 s64, s30, s33
	s_mov_b32 s76, 0
	s_mov_b32 s80, 0
	;; [unrolled: 1-line block ×4, first 2 shown]
                                        ; implicit-def: $sgpr77
                                        ; implicit-def: $sgpr79
                                        ; implicit-def: $sgpr78
                                        ; implicit-def: $sgpr82
                                        ; implicit-def: $sgpr83
                                        ; implicit-def: $sgpr81
	s_branch .LBB4_8
.LBB4_4:                                ;   in Loop: Header=BB4_8 Depth=1
	s_xor_b32 s80, s80, 1
	s_add_i32 s7, s75, -2
	s_cmp_eq_u32 s75, 0
	s_mov_b32 s5, 0
	s_cselect_b32 s6, -1, 0
	s_mov_b32 s75, s7
.LBB4_5:                                ;   in Loop: Header=BB4_8 Depth=1
	s_and_not1_b32 s7, s20, exec_lo
	s_and_b32 s5, s5, exec_lo
	s_and_not1_b32 s21, s21, exec_lo
	s_or_b32 s20, s7, s5
	s_and_not1_b32 s19, s19, exec_lo
	s_or_not1_b32 s15, s6, exec_lo
.LBB4_6:                                ;   in Loop: Header=BB4_8 Depth=1
	s_or_b32 exec_lo, exec_lo, s4
	s_delay_alu instid0(SALU_CYCLE_1)
	s_and_not1_b32 s4, s81, exec_lo
	s_and_b32 s5, s20, exec_lo
	s_and_not1_b32 s6, s82, exec_lo
	s_or_b32 s81, s4, s5
	s_and_not1_b32 s4, s83, exec_lo
	s_and_b32 s5, s21, exec_lo
	s_and_b32 s7, s19, exec_lo
	s_or_b32 s83, s4, s5
	s_or_b32 s82, s6, s7
	s_or_not1_b32 s19, s15, exec_lo
.LBB4_7:                                ;   in Loop: Header=BB4_8 Depth=1
	s_or_b32 exec_lo, exec_lo, s14
	s_delay_alu instid0(SALU_CYCLE_1)
	s_and_b32 s4, exec_lo, s19
	v_mov_b32_e32 v2, s85
	s_or_b32 s76, s4, s76
	s_and_not1_b32 s4, s78, exec_lo
	s_and_b32 s5, s81, exec_lo
	s_and_not1_b32 s6, s77, exec_lo
	s_or_b32 s78, s4, s5
	s_and_not1_b32 s4, s79, exec_lo
	s_and_b32 s5, s83, exec_lo
	s_and_b32 s7, s82, exec_lo
	s_or_b32 s79, s4, s5
	s_or_b32 s77, s6, s7
	s_and_not1_b32 exec_lo, exec_lo, s76
	s_cbranch_execz .LBB4_266
.LBB4_8:                                ; =>This Loop Header: Depth=1
                                        ;     Child Loop BB4_13 Depth 2
                                        ;     Child Loop BB4_32 Depth 2
	;; [unrolled: 1-line block ×16, first 2 shown]
	ds_load_b128 v[2:5], v13 offset:5120
	s_waitcnt lgkmcnt(0)
	v_readfirstlane_b32 s53, v3
	v_readfirstlane_b32 s52, v2
	s_delay_alu instid0(VALU_DEP_1) | instskip(NEXT) | instid1(VALU_DEP_1)
	v_cmp_gt_i64_e64 s4, s[52:53], 0
	s_and_b32 vcc_lo, exec_lo, s4
	s_cbranch_vccnz .LBB4_39
; %bb.9:                                ;   in Loop: Header=BB4_8 Depth=1
	s_and_b32 vcc_lo, exec_lo, s66
	s_cbranch_vccz .LBB4_21
; %bb.10:                               ;   in Loop: Header=BB4_8 Depth=1
	v_cmp_gt_i64_e32 vcc_lo, 0xc01, v[4:5]
	s_mov_b32 s6, 0
	s_mov_b32 s4, 0
	s_cbranch_vccz .LBB4_26
; %bb.11:                               ;   in Loop: Header=BB4_8 Depth=1
	global_load_u16 v6, v13, s[48:49]
	global_load_u8 v7, v[10:11], off
	s_mov_b32 s8, 0
	s_waitcnt vmcnt(1)
	v_readfirstlane_b32 s4, v6
	v_and_b32_e32 v6, 0xffff, v6
	s_delay_alu instid0(VALU_DEP_2) | instskip(NEXT) | instid1(SALU_CYCLE_1)
	s_and_b32 s4, 0xffff, s4
	v_add_nc_u32_e32 v8, s4, v0
	s_mul_i32 s5, s31, s4
	s_mul_hi_u32 s7, s30, s4
	s_mul_i32 s9, s30, s4
	s_add_i32 s7, s7, s5
	v_mad_u64_u32 v[2:3], null, s30, v8, s[42:43]
	s_delay_alu instid0(VALU_DEP_1) | instskip(NEXT) | instid1(VALU_DEP_1)
	v_mad_u64_u32 v[4:5], null, s31, v8, v[3:4]
	v_mov_b32_e32 v3, v4
	v_dual_mov_b32 v5, v1 :: v_dual_mov_b32 v4, v0
	s_branch .LBB4_13
.LBB4_12:                               ;   in Loop: Header=BB4_13 Depth=2
	s_or_b32 exec_lo, exec_lo, s5
	v_add_co_u32 v2, vcc_lo, v2, s9
	v_add_co_ci_u32_e32 v3, vcc_lo, s7, v3, vcc_lo
	v_mov_b32_e32 v7, v8
	s_and_not1_b32 exec_lo, exec_lo, s8
	s_cbranch_execz .LBB4_22
.LBB4_13:                               ;   Parent Loop BB4_8 Depth=1
                                        ; =>  This Inner Loop Header: Depth=2
	s_delay_alu instid0(VALU_DEP_1) | instskip(NEXT) | instid1(VALU_DEP_2)
	v_add_co_u32 v4, vcc_lo, v4, v6
	v_add_co_ci_u32_e32 v5, vcc_lo, 0, v5, vcc_lo
	s_waitcnt lgkmcnt(0)
	v_dual_mov_b32 v9, 0 :: v_dual_mov_b32 v8, 0
	s_mov_b32 s5, exec_lo
	s_delay_alu instid0(VALU_DEP_2)
	v_cmp_le_i64_e32 vcc_lo, s[24:25], v[4:5]
	v_cmpx_gt_i64_e64 s[24:25], v[4:5]
	s_cbranch_execz .LBB4_15
; %bb.14:                               ;   in Loop: Header=BB4_13 Depth=2
	global_load_u8 v8, v[2:3], off
.LBB4_15:                               ;   in Loop: Header=BB4_13 Depth=2
	s_or_b32 exec_lo, exec_lo, s5
	s_waitcnt vmcnt(0)
	v_and_b32_e32 v12, s84, v7
	s_delay_alu instid0(VALU_DEP_1) | instskip(NEXT) | instid1(VALU_DEP_1)
	v_and_b32_e32 v12, 0xff, v12
	v_cmp_eq_u32_e64 s4, s85, v12
	s_delay_alu instid0(VALU_DEP_1) | instskip(SKIP_1) | instid1(SALU_CYCLE_1)
	s_cmp_lg_u32 s4, 0
	s_cselect_b32 s5, -1, 0
	s_and_b32 s5, s2, s5
	s_delay_alu instid0(SALU_CYCLE_1)
	s_and_saveexec_b32 s10, s5
	s_cbranch_execz .LBB4_19
; %bb.16:                               ;   in Loop: Header=BB4_13 Depth=2
	s_mov_b32 s13, exec_lo
	s_bcnt1_i32_b32 s11, s4
	v_mbcnt_lo_u32_b32 v9, s13, 0
	s_mov_b32 s12, exec_lo
                                        ; implicit-def: $vgpr12
	s_delay_alu instid0(VALU_DEP_1)
	v_cmpx_eq_u32_e32 0, v9
	s_cbranch_execz .LBB4_18
; %bb.17:                               ;   in Loop: Header=BB4_13 Depth=2
	s_bcnt1_i32_b32 s5, s13
	s_delay_alu instid0(SALU_CYCLE_1) | instskip(NEXT) | instid1(SALU_CYCLE_1)
	s_mul_i32 s5, s11, s5
	v_mov_b32_e32 v12, s5
	ds_add_rtn_u32 v12, v13, v12 offset:5136
.LBB4_18:                               ;   in Loop: Header=BB4_13 Depth=2
	s_or_b32 exec_lo, exec_lo, s12
	s_waitcnt lgkmcnt(0)
	v_readfirstlane_b32 s5, v12
	s_delay_alu instid0(VALU_DEP_1)
	v_mad_u32_u24 v9, s11, v9, s5
.LBB4_19:                               ;   in Loop: Header=BB4_13 Depth=2
	s_or_b32 exec_lo, exec_lo, s10
	ds_bpermute_b32 v9, v13, v9
	s_and_b32 s5, exec_lo, vcc_lo
	s_delay_alu instid0(SALU_CYCLE_1)
	s_or_b32 s8, s5, s8
	s_and_saveexec_b32 s5, s4
	s_cbranch_execz .LBB4_12
; %bb.20:                               ;   in Loop: Header=BB4_13 Depth=2
	v_and_b32_e32 v12, s4, v31
	s_waitcnt lgkmcnt(0)
	s_delay_alu instid0(VALU_DEP_1)
	v_bcnt_u32_b32 v9, v12, v9
	ds_store_b8 v9, v7
	s_branch .LBB4_12
.LBB4_21:                               ;   in Loop: Header=BB4_8 Depth=1
	s_mov_b32 s6, -1
	s_mov_b32 s4, 0
	s_branch .LBB4_25
.LBB4_22:                               ;   in Loop: Header=BB4_8 Depth=1
	s_or_b32 exec_lo, exec_lo, s8
	s_waitcnt lgkmcnt(0)
	s_barrier
	buffer_gl0_inv
	s_and_saveexec_b32 s4, s0
	s_cbranch_execz .LBB4_24
; %bb.23:                               ;   in Loop: Header=BB4_8 Depth=1
	ds_load_b32 v2, v13 offset:5136
	s_waitcnt lgkmcnt(0)
	v_ashrrev_i32_e32 v3, 31, v2
	ds_store_b64 v13, v[2:3] offset:5120
.LBB4_24:                               ;   in Loop: Header=BB4_8 Depth=1
	s_or_b32 exec_lo, exec_lo, s4
	s_waitcnt lgkmcnt(0)
	s_mov_b32 s4, -1
	s_barrier
.LBB4_25:                               ;   in Loop: Header=BB4_8 Depth=1
                                        ; implicit-def: $sgpr52_sgpr53
.LBB4_26:                               ;   in Loop: Header=BB4_8 Depth=1
	s_and_b32 vcc_lo, exec_lo, s6
	s_cbranch_vccz .LBB4_37
; %bb.27:                               ;   in Loop: Header=BB4_8 Depth=1
	v_mov_b32_e32 v6, 0
	s_and_saveexec_b32 s4, s1
	s_cbranch_execz .LBB4_29
; %bb.28:                               ;   in Loop: Header=BB4_8 Depth=1
	global_load_u8 v6, v[10:11], off
.LBB4_29:                               ;   in Loop: Header=BB4_8 Depth=1
	s_or_b32 exec_lo, exec_lo, s4
	s_and_saveexec_b32 s5, s1
	s_cbranch_execz .LBB4_34
; %bb.30:                               ;   in Loop: Header=BB4_8 Depth=1
	global_load_u16 v8, v13, s[48:49]
	s_mov_b32 s9, 0
	s_waitcnt vmcnt(0)
	v_readfirstlane_b32 s4, v8
	v_and_b32_e32 v8, 0xffff, v8
	s_delay_alu instid0(VALU_DEP_2) | instskip(NEXT) | instid1(SALU_CYCLE_1)
	s_and_b32 s6, 0xffff, s4
	v_add_nc_u32_e32 v7, s6, v0
	s_mul_i32 s4, s31, s6
	s_mul_hi_u32 s7, s30, s6
	s_mul_i32 s8, s30, s6
	s_add_i32 s7, s7, s4
	v_mad_u64_u32 v[2:3], null, s30, v7, s[42:43]
	s_delay_alu instid0(VALU_DEP_1) | instskip(SKIP_1) | instid1(VALU_DEP_2)
	v_mad_u64_u32 v[4:5], null, s31, v7, v[3:4]
	v_mov_b32_e32 v7, v0
	v_mov_b32_e32 v3, v4
	v_dual_mov_b32 v5, v1 :: v_dual_mov_b32 v4, v0
	s_branch .LBB4_32
	.p2align	6
.LBB4_31:                               ;   in Loop: Header=BB4_32 Depth=2
	s_or_b32 exec_lo, exec_lo, s10
	s_delay_alu instid0(SALU_CYCLE_1)
	s_and_b32 s4, exec_lo, vcc_lo
	v_add_co_u32 v2, vcc_lo, v2, s8
	ds_store_b8 v7, v6
	s_waitcnt vmcnt(0)
	v_dual_mov_b32 v6, v9 :: v_dual_add_nc_u32 v7, s6, v7
	v_add_co_ci_u32_e32 v3, vcc_lo, s7, v3, vcc_lo
	s_or_b32 s9, s4, s9
	s_delay_alu instid0(SALU_CYCLE_1)
	s_and_not1_b32 exec_lo, exec_lo, s9
	s_cbranch_execz .LBB4_34
.LBB4_32:                               ;   Parent Loop BB4_8 Depth=1
                                        ; =>  This Inner Loop Header: Depth=2
	s_delay_alu instid0(VALU_DEP_1) | instskip(NEXT) | instid1(VALU_DEP_2)
	v_add_co_u32 v4, vcc_lo, v4, v8
	v_add_co_ci_u32_e32 v5, vcc_lo, 0, v5, vcc_lo
	v_mov_b32_e32 v9, 0
	s_mov_b32 s10, exec_lo
	s_delay_alu instid0(VALU_DEP_2)
	v_cmp_le_i64_e32 vcc_lo, s[24:25], v[4:5]
	v_cmpx_gt_i64_e64 s[24:25], v[4:5]
	s_cbranch_execz .LBB4_31
; %bb.33:                               ;   in Loop: Header=BB4_32 Depth=2
	global_load_u8 v9, v[2:3], off
	s_branch .LBB4_31
.LBB4_34:                               ;   in Loop: Header=BB4_8 Depth=1
	s_or_b32 exec_lo, exec_lo, s5
	s_waitcnt vmcnt(0) lgkmcnt(0)
	s_barrier
	buffer_gl0_inv
	s_and_saveexec_b32 s4, s0
	s_cbranch_execz .LBB4_36
; %bb.35:                               ;   in Loop: Header=BB4_8 Depth=1
	v_dual_mov_b32 v2, s24 :: v_dual_mov_b32 v3, s25
	ds_store_b64 v13, v[2:3] offset:5120
.LBB4_36:                               ;   in Loop: Header=BB4_8 Depth=1
	s_or_b32 exec_lo, exec_lo, s4
	s_mov_b32 s4, -1
	s_waitcnt lgkmcnt(0)
	s_barrier
                                        ; implicit-def: $sgpr52_sgpr53
.LBB4_37:                               ;   in Loop: Header=BB4_8 Depth=1
	s_and_b32 vcc_lo, exec_lo, s4
	s_cbranch_vccz .LBB4_39
; %bb.38:                               ;   in Loop: Header=BB4_8 Depth=1
	buffer_gl0_inv
	ds_load_b64 v[2:3], v13 offset:5120
	s_waitcnt lgkmcnt(0)
	v_readfirstlane_b32 s52, v2
.LBB4_39:                               ;   in Loop: Header=BB4_8 Depth=1
	s_delay_alu instid0(VALU_DEP_1)
	s_cmp_lt_i32 s52, 1
	s_cbranch_scc0 .LBB4_54
; %bb.40:                               ;   in Loop: Header=BB4_8 Depth=1
	global_load_u16 v2, v13, s[48:49]
	s_mov_b32 s5, s25
	s_waitcnt vmcnt(0)
	v_readfirstlane_b32 s4, v2
	s_delay_alu instid0(VALU_DEP_1)
	s_and_b32 s44, s4, 0xffff
	s_mov_b32 s4, s45
	s_lshl_b32 s46, s44, 2
	s_cmp_lg_u64 s[4:5], 0
	s_cbranch_scc0 .LBB4_74
; %bb.41:                               ;   in Loop: Header=BB4_8 Depth=1
	v_cvt_f32_u32_e32 v2, s46
	s_sub_u32 s6, 0, s46
	s_subb_u32 s7, 0, 0
	s_delay_alu instid0(VALU_DEP_1) | instskip(NEXT) | instid1(VALU_DEP_1)
	v_fmac_f32_e32 v2, 0x4f800000, v36
	v_rcp_f32_e32 v2, v2
	s_waitcnt_depctr 0xfff
	v_mul_f32_e32 v2, 0x5f7ffffc, v2
	s_delay_alu instid0(VALU_DEP_1) | instskip(NEXT) | instid1(VALU_DEP_1)
	v_mul_f32_e32 v3, 0x2f800000, v2
	v_trunc_f32_e32 v3, v3
	s_delay_alu instid0(VALU_DEP_1) | instskip(SKIP_1) | instid1(VALU_DEP_2)
	v_fmac_f32_e32 v2, 0xcf800000, v3
	v_cvt_u32_f32_e32 v3, v3
	v_cvt_u32_f32_e32 v2, v2
	s_delay_alu instid0(VALU_DEP_2) | instskip(NEXT) | instid1(VALU_DEP_2)
	v_readfirstlane_b32 s4, v3
	v_readfirstlane_b32 s5, v2
	s_delay_alu instid0(VALU_DEP_2) | instskip(NEXT) | instid1(VALU_DEP_1)
	s_mul_i32 s8, s6, s4
	s_mul_hi_u32 s10, s6, s5
	s_mul_i32 s9, s7, s5
	s_add_i32 s8, s10, s8
	s_mul_i32 s11, s6, s5
	s_add_i32 s8, s8, s9
	s_mul_hi_u32 s10, s5, s11
	s_mul_hi_u32 s12, s4, s11
	s_mul_i32 s9, s4, s11
	s_mul_hi_u32 s11, s5, s8
	s_mul_i32 s5, s5, s8
	s_mul_hi_u32 s13, s4, s8
	s_add_u32 s5, s10, s5
	s_addc_u32 s10, 0, s11
	s_add_u32 s5, s5, s9
	s_mul_i32 s8, s4, s8
	s_addc_u32 s5, s10, s12
	s_addc_u32 s9, s13, 0
	s_add_u32 s5, s5, s8
	s_addc_u32 s8, 0, s9
	v_add_co_u32 v2, s5, v2, s5
	s_delay_alu instid0(VALU_DEP_1) | instskip(SKIP_1) | instid1(VALU_DEP_1)
	s_cmp_lg_u32 s5, 0
	s_addc_u32 s4, s4, s8
	v_readfirstlane_b32 s5, v2
	s_mul_i32 s8, s6, s4
	s_delay_alu instid0(VALU_DEP_1)
	s_mul_hi_u32 s9, s6, s5
	s_mul_i32 s7, s7, s5
	s_add_i32 s8, s9, s8
	s_mul_i32 s6, s6, s5
	s_add_i32 s8, s8, s7
	s_mul_hi_u32 s9, s4, s6
	s_mul_i32 s10, s4, s6
	s_mul_hi_u32 s6, s5, s6
	s_mul_hi_u32 s11, s5, s8
	s_mul_i32 s5, s5, s8
	s_mul_hi_u32 s7, s4, s8
	s_add_u32 s5, s6, s5
	s_addc_u32 s6, 0, s11
	s_add_u32 s5, s5, s10
	s_mul_i32 s8, s4, s8
	s_addc_u32 s5, s6, s9
	s_addc_u32 s6, s7, 0
	s_add_u32 s5, s5, s8
	s_addc_u32 s6, 0, s6
	v_add_co_u32 v2, s5, v2, s5
	s_delay_alu instid0(VALU_DEP_1) | instskip(SKIP_2) | instid1(VALU_DEP_1)
	s_cmp_lg_u32 s5, 0
	s_addc_u32 s8, s4, s6
	s_ashr_i32 s6, s25, 31
	v_readfirstlane_b32 s9, v2
	s_add_u32 s4, s24, s6
	s_mov_b32 s7, s6
	s_addc_u32 s5, s25, s6
	s_delay_alu instid0(SALU_CYCLE_1) | instskip(NEXT) | instid1(SALU_CYCLE_1)
	s_xor_b64 s[4:5], s[4:5], s[6:7]
	s_mul_i32 s10, s4, s8
	s_mul_hi_u32 s11, s4, s9
	s_mul_hi_u32 s7, s4, s8
	;; [unrolled: 1-line block ×3, first 2 shown]
	s_mul_i32 s9, s5, s9
	s_add_u32 s10, s11, s10
	s_addc_u32 s7, 0, s7
	s_mul_hi_u32 s12, s5, s8
	s_add_u32 s9, s10, s9
	s_mul_i32 s8, s5, s8
	s_addc_u32 s7, s7, s13
	s_addc_u32 s9, s12, 0
	s_add_u32 s7, s7, s8
	s_addc_u32 s8, 0, s9
	s_mul_hi_u32 s9, s46, s7
	s_mul_i32 s7, s46, s7
	s_mul_i32 s8, s46, s8
	v_sub_co_u32 v2, s4, s4, s7
	s_add_i32 s9, s9, s8
	s_cmp_lg_u32 s4, 0
	s_delay_alu instid0(VALU_DEP_1) | instskip(SKIP_2) | instid1(VALU_DEP_1)
	v_sub_co_u32 v3, s4, v2, s46
	s_subb_u32 s5, s5, s9
	s_cmp_lg_u32 s4, 0
	v_cmp_le_u32_e32 vcc_lo, s46, v3
	v_sub_co_u32 v4, s4, v3, s46
	s_subb_u32 s7, s5, 0
	s_cmp_lg_u32 s4, 0
	v_cndmask_b32_e64 v5, 0, -1, vcc_lo
	s_subb_u32 s4, s7, 0
	s_cmp_eq_u32 s7, 0
	v_mov_b32_e32 v7, s4
	s_cselect_b32 vcc_lo, -1, 0
	s_cmp_eq_u32 s5, 0
	v_cndmask_b32_e32 v5, -1, v5, vcc_lo
	v_cmp_le_u32_e32 vcc_lo, s46, v2
	s_cselect_b32 s4, -1, 0
	v_cndmask_b32_e64 v6, 0, -1, vcc_lo
	s_delay_alu instid0(VALU_DEP_3) | instskip(NEXT) | instid1(VALU_DEP_2)
	v_cmp_ne_u32_e32 vcc_lo, 0, v5
	v_cndmask_b32_e64 v5, -1, v6, s4
	v_cndmask_b32_e32 v3, v3, v4, vcc_lo
	v_cndmask_b32_e32 v6, s7, v7, vcc_lo
	s_delay_alu instid0(VALU_DEP_3) | instskip(NEXT) | instid1(VALU_DEP_3)
	v_cmp_ne_u32_e32 vcc_lo, 0, v5
	v_cndmask_b32_e32 v2, v2, v3, vcc_lo
	s_delay_alu instid0(VALU_DEP_3) | instskip(NEXT) | instid1(VALU_DEP_2)
	v_cndmask_b32_e32 v4, s5, v6, vcc_lo
	v_xor_b32_e32 v2, s6, v2
	s_delay_alu instid0(VALU_DEP_2) | instskip(NEXT) | instid1(VALU_DEP_2)
	v_xor_b32_e32 v3, s6, v4
	v_sub_co_u32 v23, vcc_lo, v2, s6
	s_delay_alu instid0(VALU_DEP_2)
	v_subrev_co_ci_u32_e32 v24, vcc_lo, s6, v3, vcc_lo
	s_cbranch_execnz .LBB4_43
.LBB4_42:                               ;   in Loop: Header=BB4_8 Depth=1
	v_cvt_f32_u32_e32 v2, s46
	s_sub_i32 s4, 0, s46
	s_delay_alu instid0(VALU_DEP_1) | instskip(SKIP_2) | instid1(VALU_DEP_1)
	v_rcp_iflag_f32_e32 v2, v2
	s_waitcnt_depctr 0xfff
	v_mul_f32_e32 v2, 0x4f7ffffe, v2
	v_cvt_u32_f32_e32 v2, v2
	s_delay_alu instid0(VALU_DEP_1) | instskip(NEXT) | instid1(VALU_DEP_1)
	v_mul_lo_u32 v3, s4, v2
	v_mul_hi_u32 v3, v2, v3
	s_delay_alu instid0(VALU_DEP_1) | instskip(NEXT) | instid1(VALU_DEP_1)
	v_add_nc_u32_e32 v2, v2, v3
	v_mul_hi_u32 v2, s24, v2
	s_delay_alu instid0(VALU_DEP_1) | instskip(NEXT) | instid1(VALU_DEP_1)
	v_mul_lo_u32 v2, v2, s46
	v_sub_nc_u32_e32 v2, s24, v2
	s_delay_alu instid0(VALU_DEP_1) | instskip(SKIP_1) | instid1(VALU_DEP_2)
	v_subrev_nc_u32_e32 v3, s46, v2
	v_cmp_le_u32_e32 vcc_lo, s46, v2
	v_cndmask_b32_e32 v2, v2, v3, vcc_lo
	s_delay_alu instid0(VALU_DEP_1) | instskip(SKIP_1) | instid1(VALU_DEP_2)
	v_subrev_nc_u32_e32 v3, s46, v2
	v_cmp_le_u32_e32 vcc_lo, s46, v2
	v_cndmask_b32_e32 v12, v2, v3, vcc_lo
	s_delay_alu instid0(VALU_DEP_1)
	v_dual_mov_b32 v24, v13 :: v_dual_mov_b32 v23, v12
.LBB4_43:                               ;   in Loop: Header=BB4_8 Depth=1
	v_mov_b32_e32 v2, 0
	v_mov_b32_e32 v3, 0
	s_delay_alu instid0(VALU_DEP_3) | instskip(NEXT) | instid1(VALU_DEP_4)
	v_sub_co_u32 v25, vcc_lo, s24, v23
	v_sub_co_ci_u32_e32 v26, vcc_lo, s25, v24, vcc_lo
	s_delay_alu instid0(VALU_DEP_3)
	v_dual_mov_b32 v5, v3 :: v_dual_mov_b32 v4, v2
	v_dual_mov_b32 v7, v3 :: v_dual_mov_b32 v6, v2
	;; [unrolled: 1-line block ×3, first 2 shown]
	s_mov_b64 s[54:55], 0
	s_mov_b32 s53, exec_lo
	v_cmpx_gt_i64_e64 v[25:26], v[14:15]
	s_cbranch_execz .LBB4_47
; %bb.44:                               ;   in Loop: Header=BB4_8 Depth=1
	v_dual_mov_b32 v28, v15 :: v_dual_mov_b32 v27, v14
	s_mul_i32 s4, s51, s44
	s_mul_hi_u32 s5, s50, s44
	s_and_b32 s86, s75, 0xfe
	s_add_i32 s87, s5, s4
	s_mul_i32 s88, s50, s44
	s_mov_b32 s89, 0
	s_mov_b64 s[56:57], s[42:43]
	s_mov_b64 s[58:59], 0
	s_mov_b64 s[60:61], 0
	s_mov_b64 s[62:63], 0
.LBB4_45:                               ;   Parent Loop BB4_8 Depth=1
                                        ; =>  This Inner Loop Header: Depth=2
	v_add_co_u32 v2, vcc_lo, s56, v21
	v_add_co_ci_u32_e32 v3, vcc_lo, s57, v22, vcc_lo
	v_add_co_u32 v4, vcc_lo, s56, v20
	v_add_co_ci_u32_e32 v5, vcc_lo, s57, v32, vcc_lo
	v_add_co_u32 v6, vcc_lo, s56, v18
	v_add_co_ci_u32_e32 v7, vcc_lo, s57, v19, vcc_lo
	v_add_co_u32 v8, vcc_lo, s56, v16
	v_add_co_ci_u32_e32 v9, vcc_lo, s57, v17, vcc_lo
	s_clause 0x3
	global_load_u8 v2, v[2:3], off
	global_load_u8 v3, v[4:5], off
	;; [unrolled: 1-line block ×4, first 2 shown]
	v_add_co_u32 v27, vcc_lo, v27, s46
	v_add_co_ci_u32_e32 v28, vcc_lo, 0, v28, vcc_lo
	s_delay_alu instid0(VALU_DEP_1)
	v_cmp_ge_i64_e32 vcc_lo, v[27:28], v[25:26]
	s_waitcnt vmcnt(3)
	v_and_b32_e32 v6, s84, v2
	v_bfe_u32 v2, v2, s86, 2
	s_waitcnt vmcnt(2)
	v_and_b32_e32 v7, s84, v3
	v_bfe_u32 v3, v3, s86, 2
	;; [unrolled: 3-line block ×3, first 2 shown]
	v_cmp_eq_u32_e64 s4, s85, v6
	v_cmp_eq_u32_e64 s8, 0, v2
	s_waitcnt vmcnt(0)
	v_and_b32_e32 v9, s84, v5
	v_bfe_u32 v5, v5, s86, 2
	v_cmp_eq_u32_e64 s5, s85, v7
	v_cmp_eq_u32_e64 s9, 0, v3
	;; [unrolled: 1-line block ×4, first 2 shown]
	s_and_b32 s8, s4, s8
	v_cmp_eq_u32_e64 s7, s85, v9
	v_cmp_eq_u32_e64 s11, 0, v5
	;; [unrolled: 1-line block ×5, first 2 shown]
	v_cndmask_b32_e64 v2, 0, 1, s8
	s_and_b32 s8, s5, s9
	v_cmp_eq_u32_e64 s13, 1, v3
	v_cmp_eq_u32_e64 s17, 2, v3
	v_cmp_eq_u32_e64 s21, 3, v3
	v_cndmask_b32_e64 v3, 0, 1, s8
	s_and_b32 s8, s6, s10
	v_cmp_eq_u32_e64 s14, 1, v4
	v_cmp_eq_u32_e64 s18, 2, v4
	v_cmp_eq_u32_e64 s22, 3, v4
	;; [unrolled: 5-line block ×3, first 2 shown]
	v_cndmask_b32_e64 v5, 0, 1, s8
	v_cmp_ne_u32_e64 s8, 0, v2
	v_cmp_ne_u32_e64 s9, 0, v3
	;; [unrolled: 1-line block ×3, first 2 shown]
	s_delay_alu instid0(VALU_DEP_4) | instskip(NEXT) | instid1(VALU_DEP_4)
	v_cmp_ne_u32_e64 s11, 0, v5
	s_bcnt1_i32_b32 s8, s8
	s_delay_alu instid0(VALU_DEP_3) | instskip(NEXT) | instid1(VALU_DEP_2)
	s_bcnt1_i32_b32 s9, s9
	s_bcnt1_i32_b32 s10, s10
	s_add_i32 s8, s9, s8
	s_bcnt1_i32_b32 s11, s11
	s_add_i32 s8, s8, s10
	s_delay_alu instid0(SALU_CYCLE_1) | instskip(NEXT) | instid1(SALU_CYCLE_1)
	s_add_i32 s8, s8, s11
	s_add_u32 s62, s62, s8
	s_addc_u32 s63, s63, 0
	s_and_b32 s8, s4, s12
	v_mov_b32_e32 v2, s62
	v_cndmask_b32_e64 v4, 0, 1, s8
	s_and_b32 s8, s5, s13
	v_mov_b32_e32 v3, s63
	v_cndmask_b32_e64 v5, 0, 1, s8
	s_and_b32 s8, s6, s14
	s_delay_alu instid0(SALU_CYCLE_1) | instskip(SKIP_1) | instid1(VALU_DEP_2)
	v_cndmask_b32_e64 v6, 0, 1, s8
	s_and_b32 s8, s7, s15
	v_cmp_ne_u32_e64 s9, 0, v5
	v_cndmask_b32_e64 v7, 0, 1, s8
	v_cmp_ne_u32_e64 s8, 0, v4
	v_cmp_ne_u32_e64 s10, 0, v6
	s_delay_alu instid0(VALU_DEP_4) | instskip(NEXT) | instid1(VALU_DEP_3)
	s_bcnt1_i32_b32 s9, s9
	v_cmp_ne_u32_e64 s11, 0, v7
	s_delay_alu instid0(VALU_DEP_3) | instskip(NEXT) | instid1(VALU_DEP_2)
	s_bcnt1_i32_b32 s8, s8
	s_bcnt1_i32_b32 s10, s10
	s_add_i32 s8, s9, s8
	s_delay_alu instid0(VALU_DEP_1) | instskip(SKIP_1) | instid1(SALU_CYCLE_1)
	s_bcnt1_i32_b32 s11, s11
	s_add_i32 s8, s8, s10
	s_add_i32 s8, s8, s11
	s_delay_alu instid0(SALU_CYCLE_1) | instskip(SKIP_2) | instid1(SALU_CYCLE_1)
	s_add_u32 s60, s60, s8
	s_addc_u32 s61, s61, 0
	s_and_b32 s8, s4, s16
	v_cndmask_b32_e64 v4, 0, 1, s8
	s_and_b32 s8, s5, s17
	s_delay_alu instid0(SALU_CYCLE_1) | instskip(SKIP_1) | instid1(SALU_CYCLE_1)
	v_cndmask_b32_e64 v5, 0, 1, s8
	s_and_b32 s8, s6, s18
	v_cndmask_b32_e64 v6, 0, 1, s8
	s_and_b32 s8, s7, s19
	s_delay_alu instid0(VALU_DEP_2) | instskip(SKIP_3) | instid1(VALU_DEP_4)
	v_cmp_ne_u32_e64 s9, 0, v5
	v_cndmask_b32_e64 v7, 0, 1, s8
	v_cmp_ne_u32_e64 s8, 0, v4
	v_cmp_ne_u32_e64 s10, 0, v6
	s_bcnt1_i32_b32 s9, s9
	s_delay_alu instid0(VALU_DEP_3) | instskip(NEXT) | instid1(VALU_DEP_3)
	v_cmp_ne_u32_e64 s11, 0, v7
	s_bcnt1_i32_b32 s8, s8
	s_delay_alu instid0(VALU_DEP_2) | instskip(SKIP_1) | instid1(VALU_DEP_1)
	s_bcnt1_i32_b32 s10, s10
	s_add_i32 s8, s9, s8
	s_bcnt1_i32_b32 s11, s11
	s_add_i32 s8, s8, s10
	s_delay_alu instid0(SALU_CYCLE_1) | instskip(NEXT) | instid1(SALU_CYCLE_1)
	s_add_i32 s8, s8, s11
	s_add_u32 s58, s58, s8
	s_addc_u32 s59, s59, 0
	s_and_b32 s4, s4, s20
	s_delay_alu instid0(SALU_CYCLE_1) | instskip(SKIP_1) | instid1(SALU_CYCLE_1)
	v_cndmask_b32_e64 v4, 0, 1, s4
	s_and_b32 s4, s5, s21
	v_cndmask_b32_e64 v5, 0, 1, s4
	s_and_b32 s4, s6, s22
	s_delay_alu instid0(SALU_CYCLE_1) | instskip(SKIP_1) | instid1(VALU_DEP_2)
	v_cndmask_b32_e64 v6, 0, 1, s4
	s_and_b32 s4, s7, s23
	v_cmp_ne_u32_e64 s5, 0, v5
	v_cndmask_b32_e64 v7, 0, 1, s4
	v_cmp_ne_u32_e64 s4, 0, v4
	v_mov_b32_e32 v4, s60
	v_cmp_ne_u32_e64 s6, 0, v6
	s_bcnt1_i32_b32 s5, s5
	v_cmp_ne_u32_e64 s7, 0, v7
	s_bcnt1_i32_b32 s4, s4
	v_mov_b32_e32 v5, s61
	s_bcnt1_i32_b32 s6, s6
	s_add_i32 s4, s5, s4
	s_bcnt1_i32_b32 s5, s7
	s_add_i32 s4, s4, s6
	v_dual_mov_b32 v6, s58 :: v_dual_mov_b32 v7, s59
	s_add_i32 s4, s4, s5
	s_delay_alu instid0(SALU_CYCLE_1) | instskip(SKIP_1) | instid1(SALU_CYCLE_1)
	s_add_u32 s54, s54, s4
	s_addc_u32 s55, s55, 0
	v_dual_mov_b32 v8, s54 :: v_dual_mov_b32 v9, s55
	s_add_u32 s56, s56, s88
	s_addc_u32 s57, s57, s87
	s_or_b32 s89, vcc_lo, s89
	s_delay_alu instid0(SALU_CYCLE_1)
	s_and_not1_b32 exec_lo, exec_lo, s89
	s_cbranch_execnz .LBB4_45
; %bb.46:                               ;   in Loop: Header=BB4_8 Depth=1
	s_or_b32 exec_lo, exec_lo, s89
.LBB4_47:                               ;   in Loop: Header=BB4_8 Depth=1
	s_delay_alu instid0(SALU_CYCLE_1) | instskip(SKIP_3) | instid1(VALU_DEP_2)
	s_or_b32 exec_lo, exec_lo, s53
	v_add_co_u32 v25, vcc_lo, v25, v0
	v_add_co_ci_u32_e32 v26, vcc_lo, 0, v26, vcc_lo
	v_mov_b32_e32 v12, 0
	v_cmp_gt_i64_e32 vcc_lo, s[24:25], v[25:26]
	s_and_saveexec_b32 s4, vcc_lo
	s_cbranch_execz .LBB4_49
; %bb.48:                               ;   in Loop: Header=BB4_8 Depth=1
	v_mad_u64_u32 v[27:28], null, v25, s30, s[42:43]
	v_mul_lo_u32 v12, v25, s31
	v_mul_lo_u32 v38, v26, s30
	s_delay_alu instid0(VALU_DEP_1)
	v_add3_u32 v28, v38, v28, v12
	global_load_u8 v12, v[27:28], off
.LBB4_49:                               ;   in Loop: Header=BB4_8 Depth=1
	s_or_b32 exec_lo, exec_lo, s4
	s_and_saveexec_b32 s7, vcc_lo
	s_cbranch_execz .LBB4_56
; %bb.50:                               ;   in Loop: Header=BB4_8 Depth=1
	v_add_co_u32 v27, vcc_lo, v33, s44
	v_add_co_ci_u32_e32 v28, vcc_lo, 0, v34, vcc_lo
	s_mul_i32 s4, s31, s44
	s_delay_alu instid0(VALU_DEP_2) | instskip(NEXT) | instid1(VALU_DEP_2)
	v_sub_co_u32 v27, vcc_lo, v27, v23
	v_sub_co_ci_u32_e32 v23, vcc_lo, v28, v24, vcc_lo
	s_mul_hi_u32 s5, s30, s44
	s_delay_alu instid0(VALU_DEP_2) | instskip(SKIP_1) | instid1(VALU_DEP_2)
	v_mul_lo_u32 v38, s31, v27
	s_and_b32 s8, s75, 0xfe
	v_mul_lo_u32 v28, s30, v23
	v_mad_u64_u32 v[23:24], null, s30, v27, s[42:43]
	s_add_i32 s9, s5, s4
	s_mul_i32 s10, s30, s44
	s_mov_b32 s11, 0
	s_delay_alu instid0(VALU_DEP_1)
	v_add3_u32 v24, v38, v24, v28
	s_branch .LBB4_52
.LBB4_51:                               ;   in Loop: Header=BB4_52 Depth=2
	s_or_b32 exec_lo, exec_lo, s5
	s_waitcnt vmcnt(0)
	v_and_b32_e32 v12, 0xff, v12
	s_and_b32 s6, exec_lo, vcc_lo
	s_delay_alu instid0(SALU_CYCLE_1) | instskip(NEXT) | instid1(VALU_DEP_1)
	s_or_b32 s11, s6, s11
	v_and_b32_e32 v28, s84, v12
	v_bfe_u32 v12, v12, s8, 2
	s_delay_alu instid0(VALU_DEP_2) | instskip(NEXT) | instid1(VALU_DEP_2)
	v_cmp_eq_u32_e64 s4, s85, v28
	v_cmp_eq_u32_e64 s5, 0, v12
	v_cmp_eq_u32_e32 vcc_lo, 1, v12
	v_cmp_eq_u32_e64 s6, 2, v12
	s_delay_alu instid0(VALU_DEP_3) | instskip(NEXT) | instid1(SALU_CYCLE_1)
	s_and_b32 s5, s4, s5
	v_cndmask_b32_e64 v28, 0, 1, s5
	s_and_b32 s5, s4, vcc_lo
	v_cmp_eq_u32_e32 vcc_lo, 3, v12
	v_cndmask_b32_e64 v38, 0, 1, s5
	s_and_b32 s5, s4, s6
	s_delay_alu instid0(SALU_CYCLE_1) | instskip(SKIP_1) | instid1(VALU_DEP_3)
	v_cndmask_b32_e64 v12, 0, 1, s5
	v_cmp_ne_u32_e64 s5, 0, v28
	v_cmp_ne_u32_e64 s6, 0, v38
	s_and_b32 s4, s4, vcc_lo
	s_delay_alu instid0(SALU_CYCLE_1) | instskip(NEXT) | instid1(VALU_DEP_3)
	v_cndmask_b32_e64 v28, 0, 1, s4
	s_bcnt1_i32_b32 s4, s5
	v_cmp_ne_u32_e32 vcc_lo, 0, v12
	v_add_co_u32 v2, s4, v2, s4
	s_bcnt1_i32_b32 s5, s6
	v_add_co_ci_u32_e64 v3, s4, 0, v3, s4
	v_add_co_u32 v4, s4, v4, s5
	s_delay_alu instid0(VALU_DEP_1) | instskip(SKIP_3) | instid1(VALU_DEP_1)
	v_add_co_ci_u32_e64 v5, s4, 0, v5, s4
	s_bcnt1_i32_b32 s4, vcc_lo
	v_cmp_ne_u32_e32 vcc_lo, 0, v28
	v_add_co_u32 v6, s4, v6, s4
	v_add_co_ci_u32_e64 v7, s4, 0, v7, s4
	s_bcnt1_i32_b32 s4, vcc_lo
	v_mov_b32_e32 v12, v27
	v_add_co_u32 v8, vcc_lo, v8, s4
	v_add_co_ci_u32_e32 v9, vcc_lo, 0, v9, vcc_lo
	v_add_co_u32 v23, vcc_lo, v23, s10
	v_add_co_ci_u32_e32 v24, vcc_lo, s9, v24, vcc_lo
	s_and_not1_b32 exec_lo, exec_lo, s11
	s_cbranch_execz .LBB4_55
.LBB4_52:                               ;   Parent Loop BB4_8 Depth=1
                                        ; =>  This Inner Loop Header: Depth=2
	v_add_co_u32 v25, vcc_lo, v25, s44
	v_add_co_ci_u32_e32 v26, vcc_lo, 0, v26, vcc_lo
	v_mov_b32_e32 v27, 0
	s_mov_b32 s5, exec_lo
	s_delay_alu instid0(VALU_DEP_2)
	v_cmp_le_i64_e32 vcc_lo, s[24:25], v[25:26]
	v_cmpx_gt_i64_e64 s[24:25], v[25:26]
	s_cbranch_execz .LBB4_51
; %bb.53:                               ;   in Loop: Header=BB4_52 Depth=2
	global_load_u8 v27, v[23:24], off
	s_branch .LBB4_51
.LBB4_54:                               ;   in Loop: Header=BB4_8 Depth=1
                                        ; implicit-def: $vgpr8_vgpr9
                                        ; implicit-def: $vgpr4_vgpr5
	s_cbranch_execnz .LBB4_57
	s_branch .LBB4_66
.LBB4_55:                               ;   in Loop: Header=BB4_8 Depth=1
	s_or_b32 exec_lo, exec_lo, s11
.LBB4_56:                               ;   in Loop: Header=BB4_8 Depth=1
	s_delay_alu instid0(SALU_CYCLE_1)
	s_or_b32 exec_lo, exec_lo, s7
	s_branch .LBB4_66
.LBB4_57:                               ;   in Loop: Header=BB4_8 Depth=1
	global_load_u16 v12, v13, s[48:49]
	s_mov_b64 s[54:55], 0
	s_mov_b32 s53, exec_lo
	s_waitcnt vmcnt(0)
	v_readfirstlane_b32 s4, v12
	s_delay_alu instid0(VALU_DEP_1) | instskip(NEXT) | instid1(SALU_CYCLE_1)
	s_and_b32 s4, 0xffff, s4
	s_lshl_b32 s46, s4, 2
	s_delay_alu instid0(SALU_CYCLE_1) | instskip(SKIP_1) | instid1(VALU_DEP_1)
	v_cvt_f32_u32_e32 v2, s46
	s_sub_i32 s5, 0, s46
	v_rcp_iflag_f32_e32 v2, v2
	s_waitcnt_depctr 0xfff
	v_mul_f32_e32 v2, 0x4f7ffffe, v2
	s_delay_alu instid0(VALU_DEP_1) | instskip(NEXT) | instid1(VALU_DEP_1)
	v_cvt_u32_f32_e32 v2, v2
	v_readfirstlane_b32 s4, v2
	v_mov_b32_e32 v2, 0
	v_mov_b32_e32 v3, 0
	s_delay_alu instid0(VALU_DEP_3) | instskip(NEXT) | instid1(VALU_DEP_1)
	s_mul_i32 s5, s5, s4
	v_dual_mov_b32 v5, v3 :: v_dual_mov_b32 v4, v2
	s_mul_hi_u32 s5, s4, s5
	v_dual_mov_b32 v7, v3 :: v_dual_mov_b32 v6, v2
	s_add_i32 s4, s4, s5
	v_dual_mov_b32 v9, v3 :: v_dual_mov_b32 v8, v2
	s_mul_hi_u32 s4, s52, s4
	s_delay_alu instid0(SALU_CYCLE_1) | instskip(NEXT) | instid1(SALU_CYCLE_1)
	s_mul_i32 s4, s4, s46
	s_sub_i32 s4, s52, s4
	s_delay_alu instid0(SALU_CYCLE_1) | instskip(SKIP_2) | instid1(SALU_CYCLE_1)
	s_sub_i32 s5, s4, s46
	s_cmp_ge_u32 s4, s46
	s_cselect_b32 s4, s5, s4
	s_sub_i32 s5, s4, s46
	s_cmp_ge_u32 s4, s46
	s_cselect_b32 s4, s5, s4
	s_delay_alu instid0(SALU_CYCLE_1) | instskip(NEXT) | instid1(SALU_CYCLE_1)
	s_sub_i32 s44, s52, s4
	v_cmpx_gt_u32_e64 s44, v14
	s_cbranch_execz .LBB4_61
; %bb.58:                               ;   in Loop: Header=BB4_8 Depth=1
	v_dual_mov_b32 v25, v14 :: v_dual_mov_b32 v24, v15
	v_mov_b32_e32 v23, v14
	s_and_b32 s63, s75, 0xfe
	s_mov_b32 s62, 0
	s_mov_b64 s[56:57], 0
	s_mov_b64 s[58:59], 0
	;; [unrolled: 1-line block ×3, first 2 shown]
.LBB4_59:                               ;   Parent Loop BB4_8 Depth=1
                                        ; =>  This Inner Loop Header: Depth=2
	ds_load_b32 v2, v25
	v_add_co_u32 v23, vcc_lo, v23, s46
	v_add_co_ci_u32_e32 v24, vcc_lo, 0, v24, vcc_lo
	s_delay_alu instid0(VALU_DEP_1)
	v_cmp_le_u64_e32 vcc_lo, s[44:45], v[23:24]
	s_waitcnt lgkmcnt(0)
	v_and_b32_e32 v3, 0xff, v2
	v_bfe_u32 v4, v2, 8, 8
	v_bfe_u32 v5, v2, 16, 8
	v_lshrrev_b32_e32 v2, 24, v2
	s_delay_alu instid0(VALU_DEP_4)
	v_and_b32_e32 v6, s84, v3
	v_bfe_u32 v3, v3, s63, 2
	v_and_b32_e32 v7, s84, v4
	v_bfe_u32 v4, v4, s63, 2
	;; [unrolled: 2-line block ×3, first 2 shown]
	v_cmp_eq_u32_e64 s4, s85, v6
	v_cmp_eq_u32_e64 s8, 0, v3
	v_and_b32_e32 v9, s84, v2
	v_bfe_u32 v2, v2, s63, 2
	v_cmp_eq_u32_e64 s5, s85, v7
	v_cmp_eq_u32_e64 s9, 0, v4
	;; [unrolled: 1-line block ×4, first 2 shown]
	s_and_b32 s8, s4, s8
	v_cmp_eq_u32_e64 s7, s85, v9
	v_cmp_eq_u32_e64 s11, 0, v2
	;; [unrolled: 1-line block ×5, first 2 shown]
	v_cndmask_b32_e64 v2, 0, 1, s8
	s_and_b32 s8, s5, s9
	v_cmp_eq_u32_e64 s12, 1, v3
	v_cmp_eq_u32_e64 s16, 2, v3
	v_cmp_eq_u32_e64 s20, 3, v3
	v_cndmask_b32_e64 v3, 0, 1, s8
	s_and_b32 s8, s6, s10
	v_cmp_eq_u32_e64 s13, 1, v4
	v_cmp_eq_u32_e64 s17, 2, v4
	v_cmp_eq_u32_e64 s21, 3, v4
	;; [unrolled: 5-line block ×3, first 2 shown]
	v_cndmask_b32_e64 v5, 0, 1, s8
	v_cmp_ne_u32_e64 s8, 0, v2
	v_cmp_ne_u32_e64 s9, 0, v3
	;; [unrolled: 1-line block ×3, first 2 shown]
	s_delay_alu instid0(VALU_DEP_4) | instskip(NEXT) | instid1(VALU_DEP_4)
	v_cmp_ne_u32_e64 s11, 0, v5
	s_bcnt1_i32_b32 s8, s8
	s_delay_alu instid0(VALU_DEP_3) | instskip(NEXT) | instid1(VALU_DEP_2)
	s_bcnt1_i32_b32 s9, s9
	s_bcnt1_i32_b32 s10, s10
	s_add_i32 s8, s9, s8
	s_bcnt1_i32_b32 s11, s11
	s_add_i32 s8, s8, s10
	s_delay_alu instid0(SALU_CYCLE_1) | instskip(NEXT) | instid1(SALU_CYCLE_1)
	s_add_i32 s8, s8, s11
	s_add_u32 s60, s60, s8
	s_addc_u32 s61, s61, 0
	s_and_b32 s8, s4, s12
	v_add_nc_u32_e32 v25, s46, v25
	v_cndmask_b32_e64 v2, 0, 1, s8
	s_and_b32 s8, s5, s13
	s_delay_alu instid0(SALU_CYCLE_1) | instskip(SKIP_1) | instid1(SALU_CYCLE_1)
	v_cndmask_b32_e64 v3, 0, 1, s8
	s_and_b32 s8, s6, s14
	v_cndmask_b32_e64 v4, 0, 1, s8
	s_and_b32 s8, s7, s15
	s_delay_alu instid0(VALU_DEP_2) | instskip(SKIP_3) | instid1(VALU_DEP_4)
	v_cmp_ne_u32_e64 s9, 0, v3
	v_cndmask_b32_e64 v5, 0, 1, s8
	v_cmp_ne_u32_e64 s8, 0, v2
	v_cmp_ne_u32_e64 s10, 0, v4
	s_bcnt1_i32_b32 s9, s9
	s_delay_alu instid0(VALU_DEP_3) | instskip(NEXT) | instid1(VALU_DEP_3)
	v_cmp_ne_u32_e64 s11, 0, v5
	s_bcnt1_i32_b32 s8, s8
	s_delay_alu instid0(VALU_DEP_2) | instskip(SKIP_1) | instid1(VALU_DEP_1)
	s_bcnt1_i32_b32 s10, s10
	s_add_i32 s8, s9, s8
	s_bcnt1_i32_b32 s11, s11
	s_add_i32 s8, s8, s10
	s_delay_alu instid0(SALU_CYCLE_1) | instskip(NEXT) | instid1(SALU_CYCLE_1)
	s_add_i32 s8, s8, s11
	s_add_u32 s58, s58, s8
	s_addc_u32 s59, s59, 0
	s_and_b32 s8, s4, s16
	s_delay_alu instid0(SALU_CYCLE_1) | instskip(SKIP_1) | instid1(SALU_CYCLE_1)
	v_cndmask_b32_e64 v2, 0, 1, s8
	s_and_b32 s8, s5, s17
	v_cndmask_b32_e64 v3, 0, 1, s8
	s_and_b32 s8, s6, s18
	s_delay_alu instid0(SALU_CYCLE_1) | instskip(SKIP_1) | instid1(VALU_DEP_2)
	v_cndmask_b32_e64 v4, 0, 1, s8
	s_and_b32 s8, s7, s19
	v_cmp_ne_u32_e64 s9, 0, v3
	v_cndmask_b32_e64 v5, 0, 1, s8
	v_cmp_ne_u32_e64 s8, 0, v2
	v_cmp_ne_u32_e64 s10, 0, v4
	s_delay_alu instid0(VALU_DEP_4) | instskip(NEXT) | instid1(VALU_DEP_3)
	s_bcnt1_i32_b32 s9, s9
	v_cmp_ne_u32_e64 s11, 0, v5
	s_delay_alu instid0(VALU_DEP_3) | instskip(NEXT) | instid1(VALU_DEP_2)
	s_bcnt1_i32_b32 s8, s8
	s_bcnt1_i32_b32 s10, s10
	s_add_i32 s8, s9, s8
	s_delay_alu instid0(VALU_DEP_1) | instskip(SKIP_1) | instid1(SALU_CYCLE_1)
	s_bcnt1_i32_b32 s11, s11
	s_add_i32 s8, s8, s10
	s_add_i32 s8, s8, s11
	s_delay_alu instid0(SALU_CYCLE_1)
	s_add_u32 s56, s56, s8
	s_addc_u32 s57, s57, 0
	s_and_b32 s4, s4, s20
	v_mov_b32_e32 v6, s56
	v_cndmask_b32_e64 v2, 0, 1, s4
	s_and_b32 s4, s5, s21
	v_mov_b32_e32 v7, s57
	v_cndmask_b32_e64 v3, 0, 1, s4
	s_and_b32 s4, s6, s22
	s_delay_alu instid0(SALU_CYCLE_1) | instskip(SKIP_1) | instid1(VALU_DEP_2)
	v_cndmask_b32_e64 v4, 0, 1, s4
	s_and_b32 s4, s7, s23
	v_cmp_ne_u32_e64 s5, 0, v3
	v_cndmask_b32_e64 v5, 0, 1, s4
	v_cmp_ne_u32_e64 s4, 0, v2
	v_mov_b32_e32 v2, s60
	v_cmp_ne_u32_e64 s6, 0, v4
	s_bcnt1_i32_b32 s5, s5
	v_cmp_ne_u32_e64 s7, 0, v5
	s_bcnt1_i32_b32 s4, s4
	v_mov_b32_e32 v4, s58
	s_bcnt1_i32_b32 s6, s6
	s_add_i32 s4, s5, s4
	s_bcnt1_i32_b32 s5, s7
	s_add_i32 s4, s4, s6
	v_mov_b32_e32 v3, s61
	s_add_i32 s4, s4, s5
	v_mov_b32_e32 v5, s59
	s_add_u32 s54, s54, s4
	s_addc_u32 s55, s55, 0
	s_delay_alu instid0(SALU_CYCLE_1) | instskip(SKIP_1) | instid1(SALU_CYCLE_1)
	v_dual_mov_b32 v8, s54 :: v_dual_mov_b32 v9, s55
	s_or_b32 s62, vcc_lo, s62
	s_and_not1_b32 exec_lo, exec_lo, s62
	s_cbranch_execnz .LBB4_59
; %bb.60:                               ;   in Loop: Header=BB4_8 Depth=1
	s_or_b32 exec_lo, exec_lo, s62
.LBB4_61:                               ;   in Loop: Header=BB4_8 Depth=1
	s_delay_alu instid0(SALU_CYCLE_1) | instskip(SKIP_3) | instid1(VALU_DEP_1)
	s_or_b32 exec_lo, exec_lo, s53
	v_and_b32_e32 v25, 0xffff, v12
	v_add_nc_u32_e32 v12, s44, v0
	s_mov_b32 s9, exec_lo
	v_cmpx_gt_u32_e64 s52, v12
	s_cbranch_execz .LBB4_65
; %bb.62:                               ;   in Loop: Header=BB4_8 Depth=1
	v_dual_mov_b32 v24, v13 :: v_dual_mov_b32 v23, v12
	s_mov_b32 s11, 0
	s_and_b32 s10, s52, 0x7fffffff
	s_and_b32 s13, s75, 0xfe
	s_mov_b32 s12, s11
.LBB4_63:                               ;   Parent Loop BB4_8 Depth=1
                                        ; =>  This Inner Loop Header: Depth=2
	ds_load_u8 v26, v12
	v_add_co_u32 v23, vcc_lo, v23, v25
	v_add_co_ci_u32_e32 v24, vcc_lo, 0, v24, vcc_lo
	v_add_nc_u32_e32 v12, v12, v25
	s_delay_alu instid0(VALU_DEP_2) | instskip(SKIP_3) | instid1(VALU_DEP_2)
	v_cmp_le_u64_e32 vcc_lo, s[10:11], v[23:24]
	s_waitcnt lgkmcnt(0)
	v_and_b32_e32 v27, s84, v26
	v_bfe_u32 v26, v26, s13, 2
	v_cmp_eq_u32_e64 s4, s85, v27
	s_delay_alu instid0(VALU_DEP_2) | instskip(SKIP_3) | instid1(VALU_DEP_4)
	v_cmp_eq_u32_e64 s5, 0, v26
	v_cmp_eq_u32_e64 s6, 1, v26
	;; [unrolled: 1-line block ×4, first 2 shown]
	s_and_b32 s5, s4, s5
	s_delay_alu instid0(SALU_CYCLE_1) | instskip(SKIP_1) | instid1(SALU_CYCLE_1)
	v_cndmask_b32_e64 v26, 0, 1, s5
	s_and_b32 s5, s4, s6
	v_cndmask_b32_e64 v27, 0, 1, s5
	s_and_b32 s5, s4, s7
	s_and_b32 s4, s4, s8
	v_cndmask_b32_e64 v28, 0, 1, s5
	v_cndmask_b32_e64 v38, 0, 1, s4
	v_cmp_ne_u32_e64 s4, 0, v26
	v_cmp_ne_u32_e64 s5, 0, v27
	s_delay_alu instid0(VALU_DEP_4) | instskip(NEXT) | instid1(VALU_DEP_4)
	v_cmp_ne_u32_e64 s6, 0, v28
	v_cmp_ne_u32_e64 s7, 0, v38
	s_delay_alu instid0(VALU_DEP_4) | instskip(NEXT) | instid1(VALU_DEP_3)
	s_bcnt1_i32_b32 s4, s4
	s_bcnt1_i32_b32 s5, s5
	v_add_co_u32 v2, s4, v2, s4
	s_delay_alu instid0(VALU_DEP_1)
	v_add_co_ci_u32_e64 v3, s4, 0, v3, s4
	v_add_co_u32 v4, s4, v4, s5
	s_bcnt1_i32_b32 s6, s6
	v_add_co_ci_u32_e64 v5, s4, 0, v5, s4
	v_add_co_u32 v6, s4, v6, s6
	s_bcnt1_i32_b32 s7, s7
	v_add_co_ci_u32_e64 v7, s4, 0, v7, s4
	v_add_co_u32 v8, s4, v8, s7
	s_delay_alu instid0(VALU_DEP_1) | instskip(SKIP_1) | instid1(SALU_CYCLE_1)
	v_add_co_ci_u32_e64 v9, s4, 0, v9, s4
	s_or_b32 s12, vcc_lo, s12
	s_and_not1_b32 exec_lo, exec_lo, s12
	s_cbranch_execnz .LBB4_63
; %bb.64:                               ;   in Loop: Header=BB4_8 Depth=1
	s_or_b32 exec_lo, exec_lo, s12
.LBB4_65:                               ;   in Loop: Header=BB4_8 Depth=1
	s_delay_alu instid0(SALU_CYCLE_1)
	s_or_b32 exec_lo, exec_lo, s9
.LBB4_66:                               ;   in Loop: Header=BB4_8 Depth=1
	s_lshl_b32 s4, s80, 7
	s_and_saveexec_b32 s5, s2
	s_cbranch_execz .LBB4_68
; %bb.67:                               ;   in Loop: Header=BB4_8 Depth=1
	s_waitcnt vmcnt(0)
	v_or_b32_e32 v12, s4, v30
	s_delay_alu instid0(VALU_DEP_1)
	v_lshlrev_b32_e32 v12, 3, v12
	ds_store_b128 v12, v[2:5] offset:3072
	ds_store_b128 v12, v[6:9] offset:3088
.LBB4_68:                               ;   in Loop: Header=BB4_8 Depth=1
	s_or_b32 exec_lo, exec_lo, s5
	s_waitcnt vmcnt(0) lgkmcnt(0)
	s_barrier
	buffer_gl0_inv
	s_and_saveexec_b32 s5, s65
	s_cbranch_execz .LBB4_79
; %bb.69:                               ;   in Loop: Header=BB4_8 Depth=1
	v_mov_b32_e32 v2, 0
	v_mov_b32_e32 v3, 0
	s_and_not1_b32 vcc_lo, exec_lo, s67
	s_cbranch_vccnz .LBB4_78
; %bb.70:                               ;   in Loop: Header=BB4_8 Depth=1
	v_mov_b32_e32 v2, 0
	v_mov_b32_e32 v3, 0
	s_and_not1_b32 vcc_lo, exec_lo, s72
	s_cbranch_vccnz .LBB4_75
; %bb.71:                               ;   in Loop: Header=BB4_8 Depth=1
	v_lshl_add_u32 v4, s80, 10, v35
	s_mov_b32 s6, 0
	s_set_inst_prefetch_distance 0x1
	.p2align	6
.LBB4_72:                               ;   Parent Loop BB4_8 Depth=1
                                        ; =>  This Inner Loop Header: Depth=2
	ds_load_2addr_b64 v[5:8], v4 offset1:4
	ds_load_2addr_b64 v[23:26], v4 offset0:8 offset1:12
	ds_load_2addr_b64 v[38:41], v4 offset0:16 offset1:20
	s_add_i32 s6, s6, 8
	s_delay_alu instid0(SALU_CYCLE_1) | instskip(SKIP_3) | instid1(VALU_DEP_2)
	s_cmp_eq_u32 s73, s6
	s_waitcnt lgkmcnt(2)
	v_add_co_u32 v2, vcc_lo, v5, v2
	v_add_co_ci_u32_e32 v3, vcc_lo, v6, v3, vcc_lo
	v_add_co_u32 v2, vcc_lo, v7, v2
	s_delay_alu instid0(VALU_DEP_2)
	v_add_co_ci_u32_e32 v3, vcc_lo, v8, v3, vcc_lo
	ds_load_2addr_b64 v[5:8], v4 offset0:24 offset1:28
	s_waitcnt lgkmcnt(2)
	v_add_co_u32 v2, vcc_lo, v23, v2
	v_add_co_ci_u32_e32 v3, vcc_lo, v24, v3, vcc_lo
	v_add_nc_u32_e32 v4, 0x100, v4
	s_delay_alu instid0(VALU_DEP_3) | instskip(NEXT) | instid1(VALU_DEP_3)
	v_add_co_u32 v2, vcc_lo, v25, v2
	v_add_co_ci_u32_e32 v3, vcc_lo, v26, v3, vcc_lo
	s_waitcnt lgkmcnt(1)
	s_delay_alu instid0(VALU_DEP_2) | instskip(NEXT) | instid1(VALU_DEP_2)
	v_add_co_u32 v2, vcc_lo, v38, v2
	v_add_co_ci_u32_e32 v3, vcc_lo, v39, v3, vcc_lo
	s_delay_alu instid0(VALU_DEP_2) | instskip(NEXT) | instid1(VALU_DEP_2)
	v_add_co_u32 v2, vcc_lo, v40, v2
	v_add_co_ci_u32_e32 v3, vcc_lo, v41, v3, vcc_lo
	s_waitcnt lgkmcnt(0)
	s_delay_alu instid0(VALU_DEP_2) | instskip(NEXT) | instid1(VALU_DEP_2)
	v_add_co_u32 v2, vcc_lo, v5, v2
	v_add_co_ci_u32_e32 v3, vcc_lo, v6, v3, vcc_lo
	s_delay_alu instid0(VALU_DEP_2) | instskip(NEXT) | instid1(VALU_DEP_2)
	v_add_co_u32 v2, vcc_lo, v7, v2
	v_add_co_ci_u32_e32 v3, vcc_lo, v8, v3, vcc_lo
	s_cbranch_scc0 .LBB4_72
; %bb.73:                               ;   in Loop: Header=BB4_8 Depth=1
	s_set_inst_prefetch_distance 0x2
	s_mov_b32 s6, s73
	s_and_not1_b32 vcc_lo, exec_lo, s74
	s_cbranch_vccz .LBB4_76
	s_branch .LBB4_78
.LBB4_74:                               ;   in Loop: Header=BB4_8 Depth=1
                                        ; implicit-def: $vgpr23_vgpr24
	s_branch .LBB4_42
.LBB4_75:                               ;   in Loop: Header=BB4_8 Depth=1
	s_mov_b32 s6, 0
	s_and_not1_b32 vcc_lo, exec_lo, s74
	s_cbranch_vccnz .LBB4_78
.LBB4_76:                               ;   in Loop: Header=BB4_8 Depth=1
	s_lshl_b32 s7, s80, 10
	s_lshl_b32 s6, s6, 5
	s_delay_alu instid0(SALU_CYCLE_1)
	v_add3_u32 v4, s7, s6, v35
	s_mov_b32 s6, s71
.LBB4_77:                               ;   Parent Loop BB4_8 Depth=1
                                        ; =>  This Inner Loop Header: Depth=2
	ds_load_b64 v[5:6], v4
	v_add_nc_u32_e32 v4, 32, v4
	s_add_i32 s6, s6, -1
	s_delay_alu instid0(SALU_CYCLE_1)
	s_cmp_lg_u32 s6, 0
	s_waitcnt lgkmcnt(0)
	v_add_co_u32 v2, vcc_lo, v5, v2
	v_add_co_ci_u32_e32 v3, vcc_lo, v6, v3, vcc_lo
	s_cbranch_scc1 .LBB4_77
.LBB4_78:                               ;   in Loop: Header=BB4_8 Depth=1
	v_add_lshl_u32 v4, s4, v29, 3
	ds_store_b64 v4, v[2:3] offset:3072
.LBB4_79:                               ;   in Loop: Header=BB4_8 Depth=1
	s_or_b32 exec_lo, exec_lo, s5
	s_lshl_b32 s4, s4, 3
	s_waitcnt lgkmcnt(0)
	v_mov_b32_e32 v6, s4
	s_barrier
	buffer_gl0_inv
	s_and_b32 s17, s75, 0xfe
	s_mov_b32 s19, -1
	ds_load_b128 v[2:5], v6 offset:3072
	ds_load_b128 v[6:9], v6 offset:3088
	s_lshl_b32 s16, 3, s17
	s_delay_alu instid0(SALU_CYCLE_1)
	s_not_b32 s18, s16
	s_waitcnt lgkmcnt(1)
	v_readfirstlane_b32 s13, v3
	v_readfirstlane_b32 s12, v2
	;; [unrolled: 1-line block ×4, first 2 shown]
	s_waitcnt lgkmcnt(0)
	v_readfirstlane_b32 s8, v6
	v_readfirstlane_b32 s9, v7
	s_cmp_eq_u64 s[12:13], 1
	v_readfirstlane_b32 s6, v8
	s_cselect_b32 s4, -1, 0
	s_cmp_eq_u64 s[26:27], 1
	v_readfirstlane_b32 s7, v9
	s_cselect_b32 s5, -1, 0
	s_delay_alu instid0(SALU_CYCLE_1) | instskip(NEXT) | instid1(SALU_CYCLE_1)
	s_and_b32 s20, s4, s5
	s_and_b32 vcc_lo, exec_lo, s20
	s_cbranch_vccz .LBB4_93
; %bb.80:                               ;   in Loop: Header=BB4_8 Depth=1
	ds_load_b64 v[2:3], v13 offset:5120
	s_waitcnt lgkmcnt(0)
	s_barrier
	buffer_gl0_inv
	v_readfirstlane_b32 s14, v2
	v_readfirstlane_b32 s15, v3
	s_and_saveexec_b32 s4, s3
	s_cbranch_execz .LBB4_82
; %bb.81:                               ;   in Loop: Header=BB4_8 Depth=1
	ds_store_b8 v0, v13 offset:3072
.LBB4_82:                               ;   in Loop: Header=BB4_8 Depth=1
	s_or_b32 exec_lo, exec_lo, s4
	s_delay_alu instid0(VALU_DEP_1)
	v_cmp_lt_i64_e64 s4, s[14:15], 1
	s_and_b32 s85, s85, s18
	s_or_b32 s84, s84, s16
	s_waitcnt lgkmcnt(0)
	s_barrier
	buffer_gl0_inv
	s_and_b32 vcc_lo, exec_lo, s4
	s_cbranch_vccz .LBB4_94
; %bb.83:                               ;   in Loop: Header=BB4_8 Depth=1
	s_mov_b32 s46, s45
	s_delay_alu instid0(SALU_CYCLE_1)
	s_cmp_lg_u64 s[46:47], 0
	s_cbranch_scc0 .LBB4_137
; %bb.84:                               ;   in Loop: Header=BB4_8 Depth=1
	v_cvt_f32_u32_e32 v2, s33
	s_sub_u32 s21, 0, s33
	s_subb_u32 s22, 0, 0
	s_delay_alu instid0(VALU_DEP_1) | instskip(NEXT) | instid1(VALU_DEP_1)
	v_fmac_f32_e32 v2, 0x4f800000, v36
	v_rcp_f32_e32 v2, v2
	s_waitcnt_depctr 0xfff
	v_mul_f32_e32 v2, 0x5f7ffffc, v2
	s_delay_alu instid0(VALU_DEP_1) | instskip(NEXT) | instid1(VALU_DEP_1)
	v_mul_f32_e32 v3, 0x2f800000, v2
	v_trunc_f32_e32 v3, v3
	s_delay_alu instid0(VALU_DEP_1) | instskip(SKIP_1) | instid1(VALU_DEP_2)
	v_fmac_f32_e32 v2, 0xcf800000, v3
	v_cvt_u32_f32_e32 v3, v3
	v_cvt_u32_f32_e32 v2, v2
	s_delay_alu instid0(VALU_DEP_2) | instskip(NEXT) | instid1(VALU_DEP_2)
	v_readfirstlane_b32 s4, v3
	v_readfirstlane_b32 s5, v2
	s_delay_alu instid0(VALU_DEP_2) | instskip(NEXT) | instid1(VALU_DEP_1)
	s_mul_i32 s23, s21, s4
	s_mul_hi_u32 s46, s21, s5
	s_mul_i32 s44, s22, s5
	s_add_i32 s23, s46, s23
	s_mul_i32 s52, s21, s5
	s_add_i32 s23, s23, s44
	s_mul_hi_u32 s46, s5, s52
	s_mul_hi_u32 s53, s4, s52
	s_mul_i32 s44, s4, s52
	s_mul_hi_u32 s52, s5, s23
	s_mul_i32 s5, s5, s23
	s_mul_hi_u32 s54, s4, s23
	s_add_u32 s5, s46, s5
	s_addc_u32 s46, 0, s52
	s_add_u32 s5, s5, s44
	s_mul_i32 s23, s4, s23
	s_addc_u32 s5, s46, s53
	s_addc_u32 s44, s54, 0
	s_add_u32 s5, s5, s23
	s_addc_u32 s23, 0, s44
	v_add_co_u32 v2, s5, v2, s5
	s_delay_alu instid0(VALU_DEP_1) | instskip(SKIP_1) | instid1(VALU_DEP_1)
	s_cmp_lg_u32 s5, 0
	s_addc_u32 s4, s4, s23
	v_readfirstlane_b32 s5, v2
	s_mul_i32 s23, s21, s4
	s_delay_alu instid0(VALU_DEP_1)
	s_mul_hi_u32 s44, s21, s5
	s_mul_i32 s22, s22, s5
	s_add_i32 s23, s44, s23
	s_mul_i32 s21, s21, s5
	s_add_i32 s23, s23, s22
	s_mul_hi_u32 s44, s4, s21
	s_mul_i32 s46, s4, s21
	s_mul_hi_u32 s21, s5, s21
	s_mul_hi_u32 s52, s5, s23
	s_mul_i32 s5, s5, s23
	s_mul_hi_u32 s22, s4, s23
	s_add_u32 s5, s21, s5
	s_addc_u32 s21, 0, s52
	s_add_u32 s5, s5, s46
	s_mul_i32 s23, s4, s23
	s_addc_u32 s5, s21, s44
	s_addc_u32 s21, s22, 0
	s_add_u32 s5, s5, s23
	s_addc_u32 s21, 0, s21
	v_add_co_u32 v2, s5, v2, s5
	s_delay_alu instid0(VALU_DEP_1) | instskip(SKIP_2) | instid1(VALU_DEP_1)
	s_cmp_lg_u32 s5, 0
	s_addc_u32 s21, s4, s21
	s_ashr_i32 s22, s47, 31
	v_readfirstlane_b32 s44, v2
	s_add_u32 s4, s70, s22
	s_mov_b32 s23, s22
	s_addc_u32 s5, s47, s22
	s_delay_alu instid0(SALU_CYCLE_1) | instskip(NEXT) | instid1(SALU_CYCLE_1)
	s_xor_b64 s[4:5], s[4:5], s[22:23]
	s_mul_i32 s46, s4, s21
	s_mul_hi_u32 s52, s4, s44
	s_mul_hi_u32 s23, s4, s21
	s_mul_hi_u32 s54, s5, s44
	s_mul_i32 s44, s5, s44
	s_add_u32 s46, s52, s46
	s_addc_u32 s23, 0, s23
	s_mul_hi_u32 s53, s5, s21
	s_add_u32 s44, s46, s44
	s_mul_i32 s21, s5, s21
	s_addc_u32 s23, s23, s54
	s_addc_u32 s44, s53, 0
	s_add_u32 s21, s23, s21
	s_addc_u32 s23, 0, s44
	s_mul_hi_u32 s44, s33, s21
	s_mul_i32 s21, s33, s21
	s_mul_i32 s23, s33, s23
	v_sub_co_u32 v2, s4, s4, s21
	s_add_i32 s44, s44, s23
	s_cmp_lg_u32 s4, 0
	s_delay_alu instid0(VALU_DEP_1) | instskip(SKIP_2) | instid1(VALU_DEP_1)
	v_sub_co_u32 v3, s4, v2, s33
	s_subb_u32 s5, s5, s44
	s_cmp_lg_u32 s4, 0
	v_cmp_le_u32_e32 vcc_lo, s33, v3
	v_sub_co_u32 v4, s4, v3, s33
	s_subb_u32 s21, s5, 0
	s_cmp_lg_u32 s4, 0
	v_cndmask_b32_e64 v5, 0, -1, vcc_lo
	s_subb_u32 s4, s21, 0
	s_cmp_eq_u32 s21, 0
	v_mov_b32_e32 v7, s4
	s_cselect_b32 vcc_lo, -1, 0
	s_cmp_eq_u32 s5, 0
	v_cndmask_b32_e32 v5, -1, v5, vcc_lo
	v_cmp_le_u32_e32 vcc_lo, s33, v2
	s_cselect_b32 s4, -1, 0
	v_cndmask_b32_e64 v6, 0, -1, vcc_lo
	s_delay_alu instid0(VALU_DEP_3) | instskip(NEXT) | instid1(VALU_DEP_2)
	v_cmp_ne_u32_e32 vcc_lo, 0, v5
	v_cndmask_b32_e64 v5, -1, v6, s4
	v_cndmask_b32_e32 v3, v3, v4, vcc_lo
	v_cndmask_b32_e32 v6, s21, v7, vcc_lo
	s_delay_alu instid0(VALU_DEP_3) | instskip(NEXT) | instid1(VALU_DEP_3)
	v_cmp_ne_u32_e32 vcc_lo, 0, v5
	v_cndmask_b32_e32 v2, v2, v3, vcc_lo
	s_delay_alu instid0(VALU_DEP_3) | instskip(NEXT) | instid1(VALU_DEP_2)
	v_cndmask_b32_e32 v4, s5, v6, vcc_lo
	v_xor_b32_e32 v2, s22, v2
	s_delay_alu instid0(VALU_DEP_2) | instskip(NEXT) | instid1(VALU_DEP_2)
	v_xor_b32_e32 v3, s22, v4
	v_sub_co_u32 v2, vcc_lo, v2, s22
	s_delay_alu instid0(VALU_DEP_2)
	v_subrev_co_ci_u32_e32 v3, vcc_lo, s22, v3, vcc_lo
	s_cbranch_execnz .LBB4_86
.LBB4_85:                               ;   in Loop: Header=BB4_8 Depth=1
	v_cvt_f32_u32_e32 v2, s33
	s_sub_i32 s4, 0, s33
	s_delay_alu instid0(VALU_DEP_1) | instskip(SKIP_2) | instid1(VALU_DEP_1)
	v_rcp_iflag_f32_e32 v2, v2
	s_waitcnt_depctr 0xfff
	v_mul_f32_e32 v2, 0x4f7ffffe, v2
	v_cvt_u32_f32_e32 v2, v2
	s_delay_alu instid0(VALU_DEP_1) | instskip(NEXT) | instid1(VALU_DEP_1)
	v_mul_lo_u32 v3, s4, v2
	v_mul_hi_u32 v3, v2, v3
	s_delay_alu instid0(VALU_DEP_1) | instskip(NEXT) | instid1(VALU_DEP_1)
	v_add_nc_u32_e32 v2, v2, v3
	v_mul_hi_u32 v2, s70, v2
	s_delay_alu instid0(VALU_DEP_1) | instskip(NEXT) | instid1(VALU_DEP_1)
	v_mul_lo_u32 v2, v2, s33
	v_sub_nc_u32_e32 v2, s70, v2
	s_delay_alu instid0(VALU_DEP_1) | instskip(SKIP_1) | instid1(VALU_DEP_2)
	v_subrev_nc_u32_e32 v3, s33, v2
	v_cmp_le_u32_e32 vcc_lo, s33, v2
	v_cndmask_b32_e32 v2, v2, v3, vcc_lo
	s_delay_alu instid0(VALU_DEP_1) | instskip(SKIP_1) | instid1(VALU_DEP_2)
	v_subrev_nc_u32_e32 v3, s33, v2
	v_cmp_le_u32_e32 vcc_lo, s33, v2
	v_cndmask_b32_e32 v12, v2, v3, vcc_lo
	s_delay_alu instid0(VALU_DEP_1)
	v_dual_mov_b32 v2, v12 :: v_dual_mov_b32 v3, v13
.LBB4_86:                               ;   in Loop: Header=BB4_8 Depth=1
	s_delay_alu instid0(VALU_DEP_1) | instskip(NEXT) | instid1(VALU_DEP_2)
	v_sub_co_u32 v2, vcc_lo, s70, v2
	v_sub_co_ci_u32_e32 v3, vcc_lo, s47, v3, vcc_lo
	s_mov_b32 s4, 0
	s_mov_b32 s5, exec_lo
                                        ; implicit-def: $vgpr37
	s_delay_alu instid0(VALU_DEP_1)
	v_cmpx_gt_i64_e64 v[2:3], v[0:1]
	s_cbranch_execz .LBB4_96
; %bb.87:                               ;   in Loop: Header=BB4_8 Depth=1
	v_dual_mov_b32 v4, v10 :: v_dual_mov_b32 v5, v11
	v_dual_mov_b32 v7, v1 :: v_dual_mov_b32 v6, v0
	s_mov_b32 s21, 0
                                        ; implicit-def: $sgpr22
	s_set_inst_prefetch_distance 0x1
	s_branch .LBB4_89
	.p2align	6
.LBB4_88:                               ;   in Loop: Header=BB4_89 Depth=2
	s_or_b32 exec_lo, exec_lo, s4
	s_waitcnt lgkmcnt(0)
	s_barrier
	buffer_gl0_inv
	ds_load_u16 v8, v13 offset:3072
	v_add_co_u32 v6, vcc_lo, v6, s33
	v_add_co_ci_u32_e32 v7, vcc_lo, 0, v7, vcc_lo
	s_waitcnt lgkmcnt(0)
	s_barrier
	buffer_gl0_inv
	v_cmp_ge_i64_e32 vcc_lo, v[6:7], v[2:3]
	v_and_b32_e32 v9, 0xff, v8
	s_delay_alu instid0(VALU_DEP_1) | instskip(NEXT) | instid1(VALU_DEP_1)
	v_cmp_ne_u16_e64 s4, 0, v9
	s_or_b32 s23, s4, vcc_lo
	v_add_co_u32 v4, vcc_lo, v4, s64
	s_and_b32 s23, exec_lo, s23
	v_add_co_ci_u32_e32 v5, vcc_lo, s35, v5, vcc_lo
	s_or_b32 s21, s23, s21
	s_and_not1_b32 s22, s22, exec_lo
	s_and_b32 s4, s4, exec_lo
	s_delay_alu instid0(SALU_CYCLE_1)
	s_or_b32 s22, s22, s4
	s_and_not1_b32 exec_lo, exec_lo, s21
	s_cbranch_execz .LBB4_95
.LBB4_89:                               ;   Parent Loop BB4_8 Depth=1
                                        ; =>  This Inner Loop Header: Depth=2
	s_delay_alu instid0(VALU_DEP_1)
	v_cmp_gt_i64_e32 vcc_lo, s[24:25], v[6:7]
	v_mov_b32_e32 v8, 0
	s_and_saveexec_b32 s4, vcc_lo
	s_cbranch_execz .LBB4_91
; %bb.90:                               ;   in Loop: Header=BB4_89 Depth=2
	global_load_u8 v8, v[4:5], off
.LBB4_91:                               ;   in Loop: Header=BB4_89 Depth=2
	s_or_b32 exec_lo, exec_lo, s4
	s_waitcnt vmcnt(0)
	v_and_b32_e32 v9, s84, v8
	s_delay_alu instid0(VALU_DEP_1) | instskip(NEXT) | instid1(VALU_DEP_1)
	v_and_b32_e32 v9, 0xff, v9
	v_cmp_eq_u32_e64 s4, s85, v9
	s_delay_alu instid0(VALU_DEP_1) | instskip(NEXT) | instid1(SALU_CYCLE_1)
	s_and_b32 s23, vcc_lo, s4
	s_and_saveexec_b32 s4, s23
	s_cbranch_execz .LBB4_88
; %bb.92:                               ;   in Loop: Header=BB4_89 Depth=2
	v_lshlrev_b16 v8, 8, v8
	s_delay_alu instid0(VALU_DEP_1)
	v_or_b32_e32 v8, 1, v8
	ds_store_b16 v13, v8 offset:3072
	s_branch .LBB4_88
.LBB4_93:                               ;   in Loop: Header=BB4_8 Depth=1
	s_mov_b32 s4, -1
                                        ; implicit-def: $sgpr5
                                        ; implicit-def: $sgpr22
                                        ; implicit-def: $sgpr21
	s_branch .LBB4_109
.LBB4_94:                               ;   in Loop: Header=BB4_8 Depth=1
	s_mov_b32 s5, -1
	s_mov_b32 s4, 0
                                        ; implicit-def: $sgpr21
                                        ; implicit-def: $vgpr37
	s_mov_b32 s22, s5
	s_cbranch_execnz .LBB4_97
	s_branch .LBB4_109
.LBB4_95:                               ;   in Loop: Header=BB4_8 Depth=1
	s_set_inst_prefetch_distance 0x2
	s_or_b32 exec_lo, exec_lo, s21
	v_lshrrev_b16 v37, 8, v8
	s_and_b32 s4, s22, exec_lo
.LBB4_96:                               ;   in Loop: Header=BB4_8 Depth=1
	s_or_b32 exec_lo, exec_lo, s5
	s_mov_b32 s21, -1
	s_mov_b32 s5, 0
	s_delay_alu instid0(SALU_CYCLE_1)
	s_mov_b32 s22, s5
	s_branch .LBB4_109
.LBB4_97:                               ;   in Loop: Header=BB4_8 Depth=1
	s_add_u32 s21, s68, s14
	s_addc_u32 s5, s69, s15
	s_mov_b32 s4, s45
	s_delay_alu instid0(SALU_CYCLE_1)
	s_cmp_lg_u64 s[4:5], 0
	s_cbranch_scc0 .LBB4_138
; %bb.98:                               ;   in Loop: Header=BB4_8 Depth=1
	v_cvt_f32_u32_e32 v2, s33
	s_sub_u32 s23, 0, s33
	s_subb_u32 s44, 0, 0
	s_delay_alu instid0(VALU_DEP_1) | instskip(NEXT) | instid1(VALU_DEP_1)
	v_fmac_f32_e32 v2, 0x4f800000, v36
	v_rcp_f32_e32 v2, v2
	s_waitcnt_depctr 0xfff
	v_mul_f32_e32 v2, 0x5f7ffffc, v2
	s_delay_alu instid0(VALU_DEP_1) | instskip(NEXT) | instid1(VALU_DEP_1)
	v_mul_f32_e32 v3, 0x2f800000, v2
	v_trunc_f32_e32 v3, v3
	s_delay_alu instid0(VALU_DEP_1) | instskip(SKIP_1) | instid1(VALU_DEP_2)
	v_fmac_f32_e32 v2, 0xcf800000, v3
	v_cvt_u32_f32_e32 v3, v3
	v_cvt_u32_f32_e32 v2, v2
	s_delay_alu instid0(VALU_DEP_2) | instskip(NEXT) | instid1(VALU_DEP_2)
	v_readfirstlane_b32 s4, v3
	v_readfirstlane_b32 s22, v2
	s_delay_alu instid0(VALU_DEP_2) | instskip(NEXT) | instid1(VALU_DEP_1)
	s_mul_i32 s46, s23, s4
	s_mul_hi_u32 s53, s23, s22
	s_mul_i32 s52, s44, s22
	s_add_i32 s46, s53, s46
	s_mul_i32 s54, s23, s22
	s_add_i32 s46, s46, s52
	s_mul_hi_u32 s53, s22, s54
	s_mul_hi_u32 s55, s4, s54
	s_mul_i32 s52, s4, s54
	s_mul_hi_u32 s54, s22, s46
	s_mul_i32 s22, s22, s46
	s_mul_hi_u32 s56, s4, s46
	s_add_u32 s22, s53, s22
	s_addc_u32 s53, 0, s54
	s_add_u32 s22, s22, s52
	s_mul_i32 s46, s4, s46
	s_addc_u32 s22, s53, s55
	s_addc_u32 s52, s56, 0
	s_add_u32 s22, s22, s46
	s_addc_u32 s46, 0, s52
	v_add_co_u32 v2, s22, v2, s22
	s_delay_alu instid0(VALU_DEP_1) | instskip(SKIP_1) | instid1(VALU_DEP_1)
	s_cmp_lg_u32 s22, 0
	s_addc_u32 s4, s4, s46
	v_readfirstlane_b32 s22, v2
	s_mul_i32 s46, s23, s4
	s_delay_alu instid0(VALU_DEP_1)
	s_mul_hi_u32 s52, s23, s22
	s_mul_i32 s44, s44, s22
	s_add_i32 s46, s52, s46
	s_mul_i32 s23, s23, s22
	s_add_i32 s46, s46, s44
	s_mul_hi_u32 s52, s4, s23
	s_mul_i32 s53, s4, s23
	s_mul_hi_u32 s23, s22, s23
	s_mul_hi_u32 s54, s22, s46
	s_mul_i32 s22, s22, s46
	s_mul_hi_u32 s44, s4, s46
	s_add_u32 s22, s23, s22
	s_addc_u32 s23, 0, s54
	s_add_u32 s22, s22, s53
	s_mul_i32 s46, s4, s46
	s_addc_u32 s22, s23, s52
	s_addc_u32 s23, s44, 0
	s_add_u32 s22, s22, s46
	s_addc_u32 s23, 0, s23
	v_add_co_u32 v2, s22, v2, s22
	s_delay_alu instid0(VALU_DEP_1) | instskip(SKIP_2) | instid1(VALU_DEP_1)
	s_cmp_lg_u32 s22, 0
	s_addc_u32 s4, s4, s23
	s_ashr_i32 s22, s5, 31
	v_readfirstlane_b32 s44, v2
	s_add_u32 s52, s21, s22
	s_mov_b32 s23, s22
	s_addc_u32 s53, s5, s22
	s_delay_alu instid0(SALU_CYCLE_1) | instskip(NEXT) | instid1(SALU_CYCLE_1)
	s_xor_b64 s[52:53], s[52:53], s[22:23]
	s_mul_i32 s46, s52, s4
	s_mul_hi_u32 s54, s52, s44
	s_mul_hi_u32 s23, s52, s4
	;; [unrolled: 1-line block ×3, first 2 shown]
	s_mul_i32 s44, s53, s44
	s_add_u32 s46, s54, s46
	s_addc_u32 s23, 0, s23
	s_mul_hi_u32 s55, s53, s4
	s_add_u32 s44, s46, s44
	s_mul_i32 s4, s53, s4
	s_addc_u32 s23, s23, s56
	s_addc_u32 s44, s55, 0
	s_add_u32 s4, s23, s4
	s_addc_u32 s23, 0, s44
	s_mul_hi_u32 s44, s33, s4
	s_mul_i32 s4, s33, s4
	s_mul_i32 s23, s33, s23
	v_sub_co_u32 v2, s4, s52, s4
	s_add_i32 s44, s44, s23
	s_cmp_lg_u32 s4, 0
	s_delay_alu instid0(VALU_DEP_1) | instskip(SKIP_2) | instid1(VALU_DEP_1)
	v_sub_co_u32 v3, s4, v2, s33
	s_subb_u32 s23, s53, s44
	s_cmp_lg_u32 s4, 0
	v_cmp_le_u32_e32 vcc_lo, s33, v3
	v_sub_co_u32 v4, s4, v3, s33
	s_subb_u32 s44, s23, 0
	s_cmp_lg_u32 s4, 0
	v_cndmask_b32_e64 v5, 0, -1, vcc_lo
	s_subb_u32 s4, s44, 0
	s_cmp_eq_u32 s44, 0
	v_mov_b32_e32 v7, s4
	s_cselect_b32 vcc_lo, -1, 0
	s_cmp_eq_u32 s23, 0
	v_cndmask_b32_e32 v5, -1, v5, vcc_lo
	v_cmp_le_u32_e32 vcc_lo, s33, v2
	s_cselect_b32 s4, -1, 0
	v_cndmask_b32_e64 v6, 0, -1, vcc_lo
	s_delay_alu instid0(VALU_DEP_3) | instskip(NEXT) | instid1(VALU_DEP_2)
	v_cmp_ne_u32_e32 vcc_lo, 0, v5
	v_cndmask_b32_e64 v5, -1, v6, s4
	v_cndmask_b32_e32 v3, v3, v4, vcc_lo
	v_cndmask_b32_e32 v6, s44, v7, vcc_lo
	s_delay_alu instid0(VALU_DEP_3) | instskip(NEXT) | instid1(VALU_DEP_3)
	v_cmp_ne_u32_e32 vcc_lo, 0, v5
	v_cndmask_b32_e32 v2, v2, v3, vcc_lo
	s_delay_alu instid0(VALU_DEP_3) | instskip(NEXT) | instid1(VALU_DEP_2)
	v_cndmask_b32_e32 v4, s23, v6, vcc_lo
	v_xor_b32_e32 v2, s22, v2
	s_delay_alu instid0(VALU_DEP_2) | instskip(NEXT) | instid1(VALU_DEP_2)
	v_xor_b32_e32 v3, s22, v4
	v_sub_co_u32 v2, vcc_lo, v2, s22
	s_delay_alu instid0(VALU_DEP_2)
	v_subrev_co_ci_u32_e32 v3, vcc_lo, s22, v3, vcc_lo
	s_cbranch_execnz .LBB4_100
.LBB4_99:                               ;   in Loop: Header=BB4_8 Depth=1
	v_cvt_f32_u32_e32 v2, s33
	s_sub_i32 s4, 0, s33
	s_delay_alu instid0(VALU_DEP_1) | instskip(SKIP_2) | instid1(VALU_DEP_1)
	v_rcp_iflag_f32_e32 v2, v2
	s_waitcnt_depctr 0xfff
	v_mul_f32_e32 v2, 0x4f7ffffe, v2
	v_cvt_u32_f32_e32 v2, v2
	s_delay_alu instid0(VALU_DEP_1) | instskip(NEXT) | instid1(VALU_DEP_1)
	v_mul_lo_u32 v3, s4, v2
	v_mul_hi_u32 v3, v2, v3
	s_delay_alu instid0(VALU_DEP_1) | instskip(NEXT) | instid1(VALU_DEP_1)
	v_add_nc_u32_e32 v2, v2, v3
	v_mul_hi_u32 v2, s21, v2
	s_delay_alu instid0(VALU_DEP_1) | instskip(NEXT) | instid1(VALU_DEP_1)
	v_mul_lo_u32 v2, v2, s33
	v_sub_nc_u32_e32 v2, s21, v2
	s_delay_alu instid0(VALU_DEP_1) | instskip(SKIP_1) | instid1(VALU_DEP_2)
	v_subrev_nc_u32_e32 v3, s33, v2
	v_cmp_le_u32_e32 vcc_lo, s33, v2
	v_cndmask_b32_e32 v2, v2, v3, vcc_lo
	s_delay_alu instid0(VALU_DEP_1) | instskip(SKIP_1) | instid1(VALU_DEP_2)
	v_subrev_nc_u32_e32 v3, s33, v2
	v_cmp_le_u32_e32 vcc_lo, s33, v2
	v_cndmask_b32_e32 v12, v2, v3, vcc_lo
	s_delay_alu instid0(VALU_DEP_1)
	v_dual_mov_b32 v2, v12 :: v_dual_mov_b32 v3, v13
.LBB4_100:                              ;   in Loop: Header=BB4_8 Depth=1
	s_delay_alu instid0(VALU_DEP_1) | instskip(NEXT) | instid1(VALU_DEP_2)
	v_sub_co_u32 v2, vcc_lo, s21, v2
	v_sub_co_ci_u32_e32 v3, vcc_lo, s5, v3, vcc_lo
	s_mov_b32 s4, 0
	s_mov_b32 s5, exec_lo
                                        ; implicit-def: $vgpr37
	s_delay_alu instid0(VALU_DEP_1)
	v_cmpx_gt_i64_e64 v[2:3], v[0:1]
	s_cbranch_execz .LBB4_108
; %bb.101:                              ;   in Loop: Header=BB4_8 Depth=1
	v_dual_mov_b32 v6, v0 :: v_dual_mov_b32 v5, v1
	v_mov_b32_e32 v4, v0
	s_mov_b32 s21, 0
                                        ; implicit-def: $sgpr22
	s_set_inst_prefetch_distance 0x1
	s_branch .LBB4_103
	.p2align	6
.LBB4_102:                              ;   in Loop: Header=BB4_103 Depth=2
	s_or_b32 exec_lo, exec_lo, s4
	s_waitcnt lgkmcnt(0)
	s_barrier
	buffer_gl0_inv
	ds_load_u16 v7, v13 offset:3072
	v_add_co_u32 v4, vcc_lo, v4, s33
	v_add_co_ci_u32_e32 v5, vcc_lo, 0, v5, vcc_lo
	v_add_nc_u32_e32 v6, s33, v6
	s_waitcnt lgkmcnt(0)
	s_barrier
	s_delay_alu instid0(VALU_DEP_2) | instskip(SKIP_2) | instid1(VALU_DEP_1)
	v_cmp_ge_i64_e32 vcc_lo, v[4:5], v[2:3]
	buffer_gl0_inv
	v_and_b32_e32 v8, 0xff, v7
	v_cmp_ne_u16_e64 s4, 0, v8
	s_delay_alu instid0(VALU_DEP_1) | instskip(NEXT) | instid1(SALU_CYCLE_1)
	s_or_b32 s23, s4, vcc_lo
	s_and_b32 s23, exec_lo, s23
	s_delay_alu instid0(SALU_CYCLE_1) | instskip(SKIP_2) | instid1(SALU_CYCLE_1)
	s_or_b32 s21, s23, s21
	s_and_not1_b32 s22, s22, exec_lo
	s_and_b32 s4, s4, exec_lo
	s_or_b32 s22, s22, s4
	s_and_not1_b32 exec_lo, exec_lo, s21
	s_cbranch_execz .LBB4_107
.LBB4_103:                              ;   Parent Loop BB4_8 Depth=1
                                        ; =>  This Inner Loop Header: Depth=2
	s_delay_alu instid0(VALU_DEP_1)
	v_cmp_gt_i64_e32 vcc_lo, s[14:15], v[4:5]
	v_mov_b32_e32 v7, 0
	s_and_saveexec_b32 s4, vcc_lo
	s_cbranch_execz .LBB4_105
; %bb.104:                              ;   in Loop: Header=BB4_103 Depth=2
	ds_load_u8 v7, v6
.LBB4_105:                              ;   in Loop: Header=BB4_103 Depth=2
	s_or_b32 exec_lo, exec_lo, s4
	s_waitcnt lgkmcnt(0)
	v_and_b32_e32 v8, s84, v7
	s_delay_alu instid0(VALU_DEP_1) | instskip(NEXT) | instid1(VALU_DEP_1)
	v_and_b32_e32 v8, 0xff, v8
	v_cmp_eq_u32_e64 s4, s85, v8
	s_delay_alu instid0(VALU_DEP_1) | instskip(NEXT) | instid1(SALU_CYCLE_1)
	s_and_b32 s23, vcc_lo, s4
	s_and_saveexec_b32 s4, s23
	s_cbranch_execz .LBB4_102
; %bb.106:                              ;   in Loop: Header=BB4_103 Depth=2
	v_lshlrev_b16 v7, 8, v7
	s_delay_alu instid0(VALU_DEP_1)
	v_or_b32_e32 v7, 1, v7
	ds_store_b16 v13, v7 offset:3072
	s_branch .LBB4_102
.LBB4_107:                              ;   in Loop: Header=BB4_8 Depth=1
	s_set_inst_prefetch_distance 0x2
	s_or_b32 exec_lo, exec_lo, s21
	v_lshrrev_b16 v37, 8, v7
	s_and_b32 s4, s22, exec_lo
.LBB4_108:                              ;   in Loop: Header=BB4_8 Depth=1
	s_or_b32 exec_lo, exec_lo, s5
	s_mov_b32 s22, -1
	s_mov_b32 s5, 0
	s_mov_b32 s21, 0
.LBB4_109:                              ;   in Loop: Header=BB4_8 Depth=1
	s_and_not1_b32 s14, s81, exec_lo
	s_and_b32 s5, s5, exec_lo
	s_and_not1_b32 s15, s82, exec_lo
	s_or_b32 s81, s14, s5
	s_and_not1_b32 s5, s83, exec_lo
	s_and_b32 s14, s22, exec_lo
	s_and_b32 s21, s21, exec_lo
	s_or_b32 s83, s5, s14
	s_or_b32 s82, s15, s21
	s_and_saveexec_b32 s14, s4
	s_cbranch_execz .LBB4_7
; %bb.110:                              ;   in Loop: Header=BB4_8 Depth=1
	s_xor_b32 s4, s20, -1
	s_mov_b32 s46, 1
	s_and_not1_b32 vcc_lo, exec_lo, s4
	s_cbranch_vccnz .LBB4_121
; %bb.111:                              ;   in Loop: Header=BB4_8 Depth=1
	v_cmp_gt_i64_e64 s4, s[26:27], s[12:13]
                                        ; implicit-def: $sgpr46
                                        ; implicit-def: $sgpr5
                                        ; implicit-def: $sgpr15
	s_delay_alu instid0(VALU_DEP_1)
	s_and_b32 vcc_lo, exec_lo, s4
	s_mov_b32 s4, -1
	s_cbranch_vccnz .LBB4_117
; %bb.112:                              ;   in Loop: Header=BB4_8 Depth=1
	ds_load_b64 v[2:3], v13 offset:5120
	s_waitcnt lgkmcnt(0)
	v_cmp_ne_u64_e32 vcc_lo, 0, v[2:3]
	s_cbranch_vccnz .LBB4_116
; %bb.113:                              ;   in Loop: Header=BB4_8 Depth=1
	s_and_saveexec_b32 s4, s0
	s_cbranch_execz .LBB4_115
; %bb.114:                              ;   in Loop: Header=BB4_8 Depth=1
	v_dual_mov_b32 v2, s12 :: v_dual_mov_b32 v3, s13
	ds_store_b64 v13, v[2:3] offset:5128
.LBB4_115:                              ;   in Loop: Header=BB4_8 Depth=1
	s_or_b32 exec_lo, exec_lo, s4
	s_waitcnt lgkmcnt(0)
	s_barrier
	buffer_gl0_inv
.LBB4_116:                              ;   in Loop: Header=BB4_8 Depth=1
	s_and_b32 s5, s85, s18
	s_or_b32 s15, s84, s16
	s_mov_b32 s4, 0
	s_mov_b32 s46, 8
.LBB4_117:                              ;   in Loop: Header=BB4_8 Depth=1
	s_and_not1_b32 vcc_lo, exec_lo, s4
	s_cbranch_vccnz .LBB4_119
; %bb.118:                              ;   in Loop: Header=BB4_8 Depth=1
	s_sub_u32 s26, s26, s12
	s_subb_u32 s27, s27, s13
	s_mov_b32 s4, -1
	s_mov_b32 s46, 0
	s_mov_b32 s5, s85
	;; [unrolled: 1-line block ×3, first 2 shown]
.LBB4_119:                              ;   in Loop: Header=BB4_8 Depth=1
	s_delay_alu instid0(SALU_CYCLE_1)
	s_mov_b32 s84, s15
	s_mov_b32 s85, s5
	s_and_b32 vcc_lo, exec_lo, s4
	s_mov_b32 s15, -1
	s_cbranch_vccnz .LBB4_122
.LBB4_120:                              ;   in Loop: Header=BB4_8 Depth=1
	s_mov_b32 s5, -1
                                        ; implicit-def: $sgpr19
                                        ; implicit-def: $sgpr21
                                        ; implicit-def: $sgpr20
	s_delay_alu instid0(SALU_CYCLE_1) | instskip(NEXT) | instid1(SALU_CYCLE_1)
	s_and_saveexec_b32 s4, s5
	s_xor_b32 s4, exec_lo, s4
	s_cbranch_execz .LBB4_6
	s_branch .LBB4_262
.LBB4_121:                              ;   in Loop: Header=BB4_8 Depth=1
	s_mov_b64 s[26:27], 1
	s_mov_b32 s15, -1
	s_branch .LBB4_120
.LBB4_122:                              ;   in Loop: Header=BB4_8 Depth=1
	s_cmp_eq_u64 s[10:11], 1
	s_cselect_b32 s4, -1, 0
	s_cmp_eq_u64 s[26:27], 1
	s_cselect_b32 s5, -1, 0
	s_delay_alu instid0(SALU_CYCLE_1)
	s_and_b32 s22, s4, s5
	s_mov_b32 s4, -1
	s_and_b32 vcc_lo, exec_lo, s22
	s_cbranch_vccz .LBB4_136
; %bb.123:                              ;   in Loop: Header=BB4_8 Depth=1
	ds_load_b64 v[2:3], v13 offset:5120
	s_waitcnt lgkmcnt(0)
	s_barrier
	buffer_gl0_inv
	v_readfirstlane_b32 s12, v2
	v_readfirstlane_b32 s13, v3
	s_and_saveexec_b32 s4, s3
	s_cbranch_execz .LBB4_125
; %bb.124:                              ;   in Loop: Header=BB4_8 Depth=1
	ds_store_b8 v0, v13 offset:3072
.LBB4_125:                              ;   in Loop: Header=BB4_8 Depth=1
	s_or_b32 exec_lo, exec_lo, s4
	s_delay_alu instid0(VALU_DEP_1)
	v_cmp_gt_i64_e64 s19, s[12:13], 0
	s_lshl_b32 s4, 1, s17
	s_and_b32 s5, s85, s18
	s_or_b32 s84, s84, s16
	s_or_b32 s85, s5, s4
	s_waitcnt lgkmcnt(0)
	s_and_b32 vcc_lo, exec_lo, s19
	s_barrier
	buffer_gl0_inv
	s_cbranch_vccnz .LBB4_139
; %bb.126:                              ;   in Loop: Header=BB4_8 Depth=1
	s_mov_b32 s46, s45
	s_delay_alu instid0(SALU_CYCLE_1)
	s_cmp_lg_u64 s[46:47], 0
	s_cbranch_scc0 .LBB4_182
; %bb.127:                              ;   in Loop: Header=BB4_8 Depth=1
	v_cvt_f32_u32_e32 v2, s33
	s_sub_u32 s19, 0, s33
	s_subb_u32 s20, 0, 0
	s_delay_alu instid0(VALU_DEP_1) | instskip(NEXT) | instid1(VALU_DEP_1)
	v_fmac_f32_e32 v2, 0x4f800000, v36
	v_rcp_f32_e32 v2, v2
	s_waitcnt_depctr 0xfff
	v_mul_f32_e32 v2, 0x5f7ffffc, v2
	s_delay_alu instid0(VALU_DEP_1) | instskip(NEXT) | instid1(VALU_DEP_1)
	v_mul_f32_e32 v3, 0x2f800000, v2
	v_trunc_f32_e32 v3, v3
	s_delay_alu instid0(VALU_DEP_1) | instskip(SKIP_1) | instid1(VALU_DEP_2)
	v_fmac_f32_e32 v2, 0xcf800000, v3
	v_cvt_u32_f32_e32 v3, v3
	v_cvt_u32_f32_e32 v2, v2
	s_delay_alu instid0(VALU_DEP_2) | instskip(NEXT) | instid1(VALU_DEP_2)
	v_readfirstlane_b32 s4, v3
	v_readfirstlane_b32 s5, v2
	s_delay_alu instid0(VALU_DEP_2) | instskip(NEXT) | instid1(VALU_DEP_1)
	s_mul_i32 s21, s19, s4
	s_mul_hi_u32 s44, s19, s5
	s_mul_i32 s23, s20, s5
	s_add_i32 s21, s44, s21
	s_mul_i32 s46, s19, s5
	s_add_i32 s21, s21, s23
	s_mul_hi_u32 s44, s5, s46
	s_mul_hi_u32 s52, s4, s46
	s_mul_i32 s23, s4, s46
	s_mul_hi_u32 s46, s5, s21
	s_mul_i32 s5, s5, s21
	s_mul_hi_u32 s53, s4, s21
	s_add_u32 s5, s44, s5
	s_addc_u32 s44, 0, s46
	s_add_u32 s5, s5, s23
	s_mul_i32 s21, s4, s21
	s_addc_u32 s5, s44, s52
	s_addc_u32 s23, s53, 0
	s_add_u32 s5, s5, s21
	s_addc_u32 s21, 0, s23
	v_add_co_u32 v2, s5, v2, s5
	s_delay_alu instid0(VALU_DEP_1) | instskip(SKIP_1) | instid1(VALU_DEP_1)
	s_cmp_lg_u32 s5, 0
	s_addc_u32 s4, s4, s21
	v_readfirstlane_b32 s5, v2
	s_mul_i32 s21, s19, s4
	s_delay_alu instid0(VALU_DEP_1)
	s_mul_hi_u32 s23, s19, s5
	s_mul_i32 s20, s20, s5
	s_add_i32 s21, s23, s21
	s_mul_i32 s19, s19, s5
	s_add_i32 s21, s21, s20
	s_mul_hi_u32 s23, s4, s19
	s_mul_i32 s44, s4, s19
	s_mul_hi_u32 s19, s5, s19
	s_mul_hi_u32 s46, s5, s21
	s_mul_i32 s5, s5, s21
	s_mul_hi_u32 s20, s4, s21
	s_add_u32 s5, s19, s5
	s_addc_u32 s19, 0, s46
	s_add_u32 s5, s5, s44
	s_mul_i32 s21, s4, s21
	s_addc_u32 s5, s19, s23
	s_addc_u32 s19, s20, 0
	s_add_u32 s5, s5, s21
	s_addc_u32 s19, 0, s19
	v_add_co_u32 v2, s5, v2, s5
	s_delay_alu instid0(VALU_DEP_1) | instskip(SKIP_2) | instid1(VALU_DEP_1)
	s_cmp_lg_u32 s5, 0
	s_addc_u32 s19, s4, s19
	s_ashr_i32 s20, s47, 31
	v_readfirstlane_b32 s23, v2
	s_add_u32 s4, s70, s20
	s_mov_b32 s21, s20
	s_addc_u32 s5, s47, s20
	s_delay_alu instid0(SALU_CYCLE_1) | instskip(NEXT) | instid1(SALU_CYCLE_1)
	s_xor_b64 s[4:5], s[4:5], s[20:21]
	s_mul_i32 s44, s4, s19
	s_mul_hi_u32 s46, s4, s23
	s_mul_hi_u32 s21, s4, s19
	;; [unrolled: 1-line block ×3, first 2 shown]
	s_mul_i32 s23, s5, s23
	s_add_u32 s44, s46, s44
	s_addc_u32 s21, 0, s21
	s_mul_hi_u32 s52, s5, s19
	s_add_u32 s23, s44, s23
	s_mul_i32 s19, s5, s19
	s_addc_u32 s21, s21, s53
	s_addc_u32 s23, s52, 0
	s_add_u32 s19, s21, s19
	s_addc_u32 s21, 0, s23
	s_mul_hi_u32 s23, s33, s19
	s_mul_i32 s19, s33, s19
	s_mul_i32 s21, s33, s21
	v_sub_co_u32 v2, s4, s4, s19
	s_add_i32 s23, s23, s21
	s_cmp_lg_u32 s4, 0
	s_delay_alu instid0(VALU_DEP_1) | instskip(SKIP_2) | instid1(VALU_DEP_1)
	v_sub_co_u32 v3, s4, v2, s33
	s_subb_u32 s5, s5, s23
	s_cmp_lg_u32 s4, 0
	v_cmp_le_u32_e32 vcc_lo, s33, v3
	v_sub_co_u32 v4, s4, v3, s33
	s_subb_u32 s19, s5, 0
	s_cmp_lg_u32 s4, 0
	v_cndmask_b32_e64 v5, 0, -1, vcc_lo
	s_subb_u32 s4, s19, 0
	s_cmp_eq_u32 s19, 0
	v_mov_b32_e32 v7, s4
	s_cselect_b32 vcc_lo, -1, 0
	s_cmp_eq_u32 s5, 0
	v_cndmask_b32_e32 v5, -1, v5, vcc_lo
	v_cmp_le_u32_e32 vcc_lo, s33, v2
	s_cselect_b32 s4, -1, 0
	v_cndmask_b32_e64 v6, 0, -1, vcc_lo
	s_delay_alu instid0(VALU_DEP_3) | instskip(NEXT) | instid1(VALU_DEP_2)
	v_cmp_ne_u32_e32 vcc_lo, 0, v5
	v_cndmask_b32_e64 v5, -1, v6, s4
	v_cndmask_b32_e32 v3, v3, v4, vcc_lo
	v_cndmask_b32_e32 v6, s19, v7, vcc_lo
	s_delay_alu instid0(VALU_DEP_3) | instskip(NEXT) | instid1(VALU_DEP_3)
	v_cmp_ne_u32_e32 vcc_lo, 0, v5
	v_cndmask_b32_e32 v2, v2, v3, vcc_lo
	s_delay_alu instid0(VALU_DEP_3) | instskip(NEXT) | instid1(VALU_DEP_2)
	v_cndmask_b32_e32 v4, s5, v6, vcc_lo
	v_xor_b32_e32 v2, s20, v2
	s_delay_alu instid0(VALU_DEP_2) | instskip(NEXT) | instid1(VALU_DEP_2)
	v_xor_b32_e32 v3, s20, v4
	v_sub_co_u32 v2, vcc_lo, v2, s20
	s_delay_alu instid0(VALU_DEP_2)
	v_subrev_co_ci_u32_e32 v3, vcc_lo, s20, v3, vcc_lo
	s_cbranch_execnz .LBB4_129
.LBB4_128:                              ;   in Loop: Header=BB4_8 Depth=1
	v_cvt_f32_u32_e32 v2, s33
	s_sub_i32 s4, 0, s33
	s_delay_alu instid0(VALU_DEP_1) | instskip(SKIP_2) | instid1(VALU_DEP_1)
	v_rcp_iflag_f32_e32 v2, v2
	s_waitcnt_depctr 0xfff
	v_mul_f32_e32 v2, 0x4f7ffffe, v2
	v_cvt_u32_f32_e32 v2, v2
	s_delay_alu instid0(VALU_DEP_1) | instskip(NEXT) | instid1(VALU_DEP_1)
	v_mul_lo_u32 v3, s4, v2
	v_mul_hi_u32 v3, v2, v3
	s_delay_alu instid0(VALU_DEP_1) | instskip(NEXT) | instid1(VALU_DEP_1)
	v_add_nc_u32_e32 v2, v2, v3
	v_mul_hi_u32 v2, s70, v2
	s_delay_alu instid0(VALU_DEP_1) | instskip(NEXT) | instid1(VALU_DEP_1)
	v_mul_lo_u32 v2, v2, s33
	v_sub_nc_u32_e32 v2, s70, v2
	s_delay_alu instid0(VALU_DEP_1) | instskip(SKIP_1) | instid1(VALU_DEP_2)
	v_subrev_nc_u32_e32 v3, s33, v2
	v_cmp_le_u32_e32 vcc_lo, s33, v2
	v_cndmask_b32_e32 v2, v2, v3, vcc_lo
	s_delay_alu instid0(VALU_DEP_1) | instskip(SKIP_1) | instid1(VALU_DEP_2)
	v_subrev_nc_u32_e32 v3, s33, v2
	v_cmp_le_u32_e32 vcc_lo, s33, v2
	v_cndmask_b32_e32 v12, v2, v3, vcc_lo
	s_delay_alu instid0(VALU_DEP_1)
	v_dual_mov_b32 v2, v12 :: v_dual_mov_b32 v3, v13
.LBB4_129:                              ;   in Loop: Header=BB4_8 Depth=1
	s_delay_alu instid0(VALU_DEP_1) | instskip(NEXT) | instid1(VALU_DEP_2)
	v_sub_co_u32 v2, vcc_lo, s70, v2
	v_sub_co_ci_u32_e32 v3, vcc_lo, s47, v3, vcc_lo
	s_mov_b32 s4, 0
	s_mov_b32 s5, exec_lo
                                        ; implicit-def: $vgpr37
	s_delay_alu instid0(VALU_DEP_1)
	v_cmpx_gt_i64_e64 v[2:3], v[0:1]
	s_cbranch_execz .LBB4_141
; %bb.130:                              ;   in Loop: Header=BB4_8 Depth=1
	v_dual_mov_b32 v4, v10 :: v_dual_mov_b32 v5, v11
	v_dual_mov_b32 v7, v1 :: v_dual_mov_b32 v6, v0
	s_mov_b32 s19, 0
                                        ; implicit-def: $sgpr20
	s_set_inst_prefetch_distance 0x1
	s_branch .LBB4_132
	.p2align	6
.LBB4_131:                              ;   in Loop: Header=BB4_132 Depth=2
	s_or_b32 exec_lo, exec_lo, s4
	s_waitcnt lgkmcnt(0)
	s_barrier
	buffer_gl0_inv
	ds_load_u16 v8, v13 offset:3072
	v_add_co_u32 v6, vcc_lo, v6, s33
	v_add_co_ci_u32_e32 v7, vcc_lo, 0, v7, vcc_lo
	s_waitcnt lgkmcnt(0)
	s_barrier
	buffer_gl0_inv
	v_cmp_ge_i64_e32 vcc_lo, v[6:7], v[2:3]
	v_and_b32_e32 v9, 0xff, v8
	s_delay_alu instid0(VALU_DEP_1) | instskip(NEXT) | instid1(VALU_DEP_1)
	v_cmp_ne_u16_e64 s4, 0, v9
	s_or_b32 s21, s4, vcc_lo
	v_add_co_u32 v4, vcc_lo, v4, s64
	s_and_b32 s21, exec_lo, s21
	v_add_co_ci_u32_e32 v5, vcc_lo, s35, v5, vcc_lo
	s_or_b32 s19, s21, s19
	s_and_not1_b32 s20, s20, exec_lo
	s_and_b32 s4, s4, exec_lo
	s_delay_alu instid0(SALU_CYCLE_1)
	s_or_b32 s20, s20, s4
	s_and_not1_b32 exec_lo, exec_lo, s19
	s_cbranch_execz .LBB4_140
.LBB4_132:                              ;   Parent Loop BB4_8 Depth=1
                                        ; =>  This Inner Loop Header: Depth=2
	s_delay_alu instid0(VALU_DEP_1)
	v_cmp_gt_i64_e32 vcc_lo, s[24:25], v[6:7]
	v_mov_b32_e32 v8, 0
	s_and_saveexec_b32 s4, vcc_lo
	s_cbranch_execz .LBB4_134
; %bb.133:                              ;   in Loop: Header=BB4_132 Depth=2
	global_load_u8 v8, v[4:5], off
.LBB4_134:                              ;   in Loop: Header=BB4_132 Depth=2
	s_or_b32 exec_lo, exec_lo, s4
	s_waitcnt vmcnt(0)
	v_and_b32_e32 v9, s84, v8
	s_delay_alu instid0(VALU_DEP_1) | instskip(NEXT) | instid1(VALU_DEP_1)
	v_and_b32_e32 v9, 0xff, v9
	v_cmp_eq_u32_e64 s4, s85, v9
	s_delay_alu instid0(VALU_DEP_1) | instskip(NEXT) | instid1(SALU_CYCLE_1)
	s_and_b32 s21, vcc_lo, s4
	s_and_saveexec_b32 s4, s21
	s_cbranch_execz .LBB4_131
; %bb.135:                              ;   in Loop: Header=BB4_132 Depth=2
	v_lshlrev_b16 v8, 8, v8
	s_delay_alu instid0(VALU_DEP_1)
	v_or_b32_e32 v8, 1, v8
	ds_store_b16 v13, v8 offset:3072
	s_branch .LBB4_131
.LBB4_136:                              ;   in Loop: Header=BB4_8 Depth=1
                                        ; implicit-def: $sgpr20
                                        ; implicit-def: $sgpr21
                                        ; implicit-def: $sgpr19
	s_branch .LBB4_154
.LBB4_137:                              ;   in Loop: Header=BB4_8 Depth=1
                                        ; implicit-def: $vgpr2_vgpr3
	s_branch .LBB4_85
.LBB4_138:                              ;   in Loop: Header=BB4_8 Depth=1
                                        ; implicit-def: $vgpr2_vgpr3
	s_branch .LBB4_99
.LBB4_139:                              ;   in Loop: Header=BB4_8 Depth=1
	s_mov_b32 s20, -1
	s_mov_b32 s4, 0
                                        ; implicit-def: $sgpr19
                                        ; implicit-def: $vgpr37
	s_mov_b32 s21, s20
	s_cbranch_execnz .LBB4_142
	s_branch .LBB4_154
.LBB4_140:                              ;   in Loop: Header=BB4_8 Depth=1
	s_set_inst_prefetch_distance 0x2
	s_or_b32 exec_lo, exec_lo, s19
	v_lshrrev_b16 v37, 8, v8
	s_and_b32 s4, s20, exec_lo
.LBB4_141:                              ;   in Loop: Header=BB4_8 Depth=1
	s_or_b32 exec_lo, exec_lo, s5
	s_mov_b32 s19, -1
	s_mov_b32 s20, 0
	s_delay_alu instid0(SALU_CYCLE_1)
	s_mov_b32 s21, s20
	s_branch .LBB4_154
.LBB4_142:                              ;   in Loop: Header=BB4_8 Depth=1
	s_add_u32 s19, s68, s12
	s_addc_u32 s5, s69, s13
	s_mov_b32 s4, s45
	s_delay_alu instid0(SALU_CYCLE_1)
	s_cmp_lg_u64 s[4:5], 0
	s_cbranch_scc0 .LBB4_183
; %bb.143:                              ;   in Loop: Header=BB4_8 Depth=1
	v_cvt_f32_u32_e32 v2, s33
	s_sub_u32 s21, 0, s33
	s_subb_u32 s23, 0, 0
	s_delay_alu instid0(VALU_DEP_1) | instskip(NEXT) | instid1(VALU_DEP_1)
	v_fmac_f32_e32 v2, 0x4f800000, v36
	v_rcp_f32_e32 v2, v2
	s_waitcnt_depctr 0xfff
	v_mul_f32_e32 v2, 0x5f7ffffc, v2
	s_delay_alu instid0(VALU_DEP_1) | instskip(NEXT) | instid1(VALU_DEP_1)
	v_mul_f32_e32 v3, 0x2f800000, v2
	v_trunc_f32_e32 v3, v3
	s_delay_alu instid0(VALU_DEP_1) | instskip(SKIP_1) | instid1(VALU_DEP_2)
	v_fmac_f32_e32 v2, 0xcf800000, v3
	v_cvt_u32_f32_e32 v3, v3
	v_cvt_u32_f32_e32 v2, v2
	s_delay_alu instid0(VALU_DEP_2) | instskip(NEXT) | instid1(VALU_DEP_2)
	v_readfirstlane_b32 s4, v3
	v_readfirstlane_b32 s20, v2
	s_delay_alu instid0(VALU_DEP_2) | instskip(NEXT) | instid1(VALU_DEP_1)
	s_mul_i32 s44, s21, s4
	s_mul_hi_u32 s52, s21, s20
	s_mul_i32 s46, s23, s20
	s_add_i32 s44, s52, s44
	s_mul_i32 s53, s21, s20
	s_add_i32 s44, s44, s46
	s_mul_hi_u32 s52, s20, s53
	s_mul_hi_u32 s54, s4, s53
	s_mul_i32 s46, s4, s53
	s_mul_hi_u32 s53, s20, s44
	s_mul_i32 s20, s20, s44
	s_mul_hi_u32 s55, s4, s44
	s_add_u32 s20, s52, s20
	s_addc_u32 s52, 0, s53
	s_add_u32 s20, s20, s46
	s_mul_i32 s44, s4, s44
	s_addc_u32 s20, s52, s54
	s_addc_u32 s46, s55, 0
	s_add_u32 s20, s20, s44
	s_addc_u32 s44, 0, s46
	v_add_co_u32 v2, s20, v2, s20
	s_delay_alu instid0(VALU_DEP_1) | instskip(SKIP_1) | instid1(VALU_DEP_1)
	s_cmp_lg_u32 s20, 0
	s_addc_u32 s4, s4, s44
	v_readfirstlane_b32 s20, v2
	s_mul_i32 s44, s21, s4
	s_delay_alu instid0(VALU_DEP_1)
	s_mul_hi_u32 s46, s21, s20
	s_mul_i32 s23, s23, s20
	s_add_i32 s44, s46, s44
	s_mul_i32 s21, s21, s20
	s_add_i32 s44, s44, s23
	s_mul_hi_u32 s46, s4, s21
	s_mul_i32 s52, s4, s21
	s_mul_hi_u32 s21, s20, s21
	s_mul_hi_u32 s53, s20, s44
	s_mul_i32 s20, s20, s44
	s_mul_hi_u32 s23, s4, s44
	s_add_u32 s20, s21, s20
	s_addc_u32 s21, 0, s53
	s_add_u32 s20, s20, s52
	s_mul_i32 s44, s4, s44
	s_addc_u32 s20, s21, s46
	s_addc_u32 s21, s23, 0
	s_add_u32 s20, s20, s44
	s_addc_u32 s21, 0, s21
	v_add_co_u32 v2, s20, v2, s20
	s_delay_alu instid0(VALU_DEP_1) | instskip(SKIP_2) | instid1(VALU_DEP_1)
	s_cmp_lg_u32 s20, 0
	s_addc_u32 s4, s4, s21
	s_ashr_i32 s20, s5, 31
	v_readfirstlane_b32 s23, v2
	s_add_u32 s52, s19, s20
	s_mov_b32 s21, s20
	s_addc_u32 s53, s5, s20
	s_delay_alu instid0(SALU_CYCLE_1) | instskip(NEXT) | instid1(SALU_CYCLE_1)
	s_xor_b64 s[52:53], s[52:53], s[20:21]
	s_mul_i32 s44, s52, s4
	s_mul_hi_u32 s46, s52, s23
	s_mul_hi_u32 s21, s52, s4
	s_mul_hi_u32 s55, s53, s23
	s_mul_i32 s23, s53, s23
	s_add_u32 s44, s46, s44
	s_addc_u32 s21, 0, s21
	s_mul_hi_u32 s54, s53, s4
	s_add_u32 s23, s44, s23
	s_mul_i32 s4, s53, s4
	s_addc_u32 s21, s21, s55
	s_addc_u32 s23, s54, 0
	s_add_u32 s4, s21, s4
	s_addc_u32 s21, 0, s23
	s_mul_hi_u32 s23, s33, s4
	s_mul_i32 s4, s33, s4
	s_mul_i32 s21, s33, s21
	v_sub_co_u32 v2, s4, s52, s4
	s_add_i32 s23, s23, s21
	s_cmp_lg_u32 s4, 0
	s_delay_alu instid0(VALU_DEP_1) | instskip(SKIP_2) | instid1(VALU_DEP_1)
	v_sub_co_u32 v3, s4, v2, s33
	s_subb_u32 s21, s53, s23
	s_cmp_lg_u32 s4, 0
	v_cmp_le_u32_e32 vcc_lo, s33, v3
	v_sub_co_u32 v4, s4, v3, s33
	s_subb_u32 s23, s21, 0
	s_cmp_lg_u32 s4, 0
	v_cndmask_b32_e64 v5, 0, -1, vcc_lo
	s_subb_u32 s4, s23, 0
	s_cmp_eq_u32 s23, 0
	v_mov_b32_e32 v7, s4
	s_cselect_b32 vcc_lo, -1, 0
	s_cmp_eq_u32 s21, 0
	v_cndmask_b32_e32 v5, -1, v5, vcc_lo
	v_cmp_le_u32_e32 vcc_lo, s33, v2
	s_cselect_b32 s4, -1, 0
	v_cndmask_b32_e64 v6, 0, -1, vcc_lo
	s_delay_alu instid0(VALU_DEP_3) | instskip(NEXT) | instid1(VALU_DEP_2)
	v_cmp_ne_u32_e32 vcc_lo, 0, v5
	v_cndmask_b32_e64 v5, -1, v6, s4
	v_cndmask_b32_e32 v3, v3, v4, vcc_lo
	v_cndmask_b32_e32 v6, s23, v7, vcc_lo
	s_delay_alu instid0(VALU_DEP_3) | instskip(NEXT) | instid1(VALU_DEP_3)
	v_cmp_ne_u32_e32 vcc_lo, 0, v5
	v_cndmask_b32_e32 v2, v2, v3, vcc_lo
	s_delay_alu instid0(VALU_DEP_3) | instskip(NEXT) | instid1(VALU_DEP_2)
	v_cndmask_b32_e32 v4, s21, v6, vcc_lo
	v_xor_b32_e32 v2, s20, v2
	s_delay_alu instid0(VALU_DEP_2) | instskip(NEXT) | instid1(VALU_DEP_2)
	v_xor_b32_e32 v3, s20, v4
	v_sub_co_u32 v2, vcc_lo, v2, s20
	s_delay_alu instid0(VALU_DEP_2)
	v_subrev_co_ci_u32_e32 v3, vcc_lo, s20, v3, vcc_lo
	s_cbranch_execnz .LBB4_145
.LBB4_144:                              ;   in Loop: Header=BB4_8 Depth=1
	v_cvt_f32_u32_e32 v2, s33
	s_sub_i32 s4, 0, s33
	s_delay_alu instid0(VALU_DEP_1) | instskip(SKIP_2) | instid1(VALU_DEP_1)
	v_rcp_iflag_f32_e32 v2, v2
	s_waitcnt_depctr 0xfff
	v_mul_f32_e32 v2, 0x4f7ffffe, v2
	v_cvt_u32_f32_e32 v2, v2
	s_delay_alu instid0(VALU_DEP_1) | instskip(NEXT) | instid1(VALU_DEP_1)
	v_mul_lo_u32 v3, s4, v2
	v_mul_hi_u32 v3, v2, v3
	s_delay_alu instid0(VALU_DEP_1) | instskip(NEXT) | instid1(VALU_DEP_1)
	v_add_nc_u32_e32 v2, v2, v3
	v_mul_hi_u32 v2, s19, v2
	s_delay_alu instid0(VALU_DEP_1) | instskip(NEXT) | instid1(VALU_DEP_1)
	v_mul_lo_u32 v2, v2, s33
	v_sub_nc_u32_e32 v2, s19, v2
	s_delay_alu instid0(VALU_DEP_1) | instskip(SKIP_1) | instid1(VALU_DEP_2)
	v_subrev_nc_u32_e32 v3, s33, v2
	v_cmp_le_u32_e32 vcc_lo, s33, v2
	v_cndmask_b32_e32 v2, v2, v3, vcc_lo
	s_delay_alu instid0(VALU_DEP_1) | instskip(SKIP_1) | instid1(VALU_DEP_2)
	v_subrev_nc_u32_e32 v3, s33, v2
	v_cmp_le_u32_e32 vcc_lo, s33, v2
	v_cndmask_b32_e32 v12, v2, v3, vcc_lo
	s_delay_alu instid0(VALU_DEP_1)
	v_dual_mov_b32 v2, v12 :: v_dual_mov_b32 v3, v13
.LBB4_145:                              ;   in Loop: Header=BB4_8 Depth=1
	s_delay_alu instid0(VALU_DEP_1) | instskip(NEXT) | instid1(VALU_DEP_2)
	v_sub_co_u32 v2, vcc_lo, s19, v2
	v_sub_co_ci_u32_e32 v3, vcc_lo, s5, v3, vcc_lo
	s_mov_b32 s4, 0
	s_mov_b32 s5, exec_lo
                                        ; implicit-def: $vgpr37
	s_delay_alu instid0(VALU_DEP_1)
	v_cmpx_gt_i64_e64 v[2:3], v[0:1]
	s_cbranch_execz .LBB4_153
; %bb.146:                              ;   in Loop: Header=BB4_8 Depth=1
	v_dual_mov_b32 v6, v0 :: v_dual_mov_b32 v5, v1
	v_mov_b32_e32 v4, v0
	s_mov_b32 s19, 0
                                        ; implicit-def: $sgpr20
	s_set_inst_prefetch_distance 0x1
	s_branch .LBB4_148
	.p2align	6
.LBB4_147:                              ;   in Loop: Header=BB4_148 Depth=2
	s_or_b32 exec_lo, exec_lo, s4
	s_waitcnt lgkmcnt(0)
	s_barrier
	buffer_gl0_inv
	ds_load_u16 v7, v13 offset:3072
	v_add_co_u32 v4, vcc_lo, v4, s33
	v_add_co_ci_u32_e32 v5, vcc_lo, 0, v5, vcc_lo
	v_add_nc_u32_e32 v6, s33, v6
	s_waitcnt lgkmcnt(0)
	s_barrier
	s_delay_alu instid0(VALU_DEP_2) | instskip(SKIP_2) | instid1(VALU_DEP_1)
	v_cmp_ge_i64_e32 vcc_lo, v[4:5], v[2:3]
	buffer_gl0_inv
	v_and_b32_e32 v8, 0xff, v7
	v_cmp_ne_u16_e64 s4, 0, v8
	s_delay_alu instid0(VALU_DEP_1) | instskip(NEXT) | instid1(SALU_CYCLE_1)
	s_or_b32 s21, s4, vcc_lo
	s_and_b32 s21, exec_lo, s21
	s_delay_alu instid0(SALU_CYCLE_1) | instskip(SKIP_2) | instid1(SALU_CYCLE_1)
	s_or_b32 s19, s21, s19
	s_and_not1_b32 s20, s20, exec_lo
	s_and_b32 s4, s4, exec_lo
	s_or_b32 s20, s20, s4
	s_and_not1_b32 exec_lo, exec_lo, s19
	s_cbranch_execz .LBB4_152
.LBB4_148:                              ;   Parent Loop BB4_8 Depth=1
                                        ; =>  This Inner Loop Header: Depth=2
	s_delay_alu instid0(VALU_DEP_1)
	v_cmp_gt_i64_e32 vcc_lo, s[12:13], v[4:5]
	v_mov_b32_e32 v7, 0
	s_and_saveexec_b32 s4, vcc_lo
	s_cbranch_execz .LBB4_150
; %bb.149:                              ;   in Loop: Header=BB4_148 Depth=2
	ds_load_u8 v7, v6
.LBB4_150:                              ;   in Loop: Header=BB4_148 Depth=2
	s_or_b32 exec_lo, exec_lo, s4
	s_waitcnt lgkmcnt(0)
	v_and_b32_e32 v8, s84, v7
	s_delay_alu instid0(VALU_DEP_1) | instskip(NEXT) | instid1(VALU_DEP_1)
	v_and_b32_e32 v8, 0xff, v8
	v_cmp_eq_u32_e64 s4, s85, v8
	s_delay_alu instid0(VALU_DEP_1) | instskip(NEXT) | instid1(SALU_CYCLE_1)
	s_and_b32 s21, vcc_lo, s4
	s_and_saveexec_b32 s4, s21
	s_cbranch_execz .LBB4_147
; %bb.151:                              ;   in Loop: Header=BB4_148 Depth=2
	v_lshlrev_b16 v7, 8, v7
	s_delay_alu instid0(VALU_DEP_1)
	v_or_b32_e32 v7, 1, v7
	ds_store_b16 v13, v7 offset:3072
	s_branch .LBB4_147
.LBB4_152:                              ;   in Loop: Header=BB4_8 Depth=1
	s_set_inst_prefetch_distance 0x2
	s_or_b32 exec_lo, exec_lo, s19
	v_lshrrev_b16 v37, 8, v7
	s_and_b32 s4, s20, exec_lo
.LBB4_153:                              ;   in Loop: Header=BB4_8 Depth=1
	s_or_b32 exec_lo, exec_lo, s5
	s_mov_b32 s21, -1
	s_mov_b32 s20, 0
	s_mov_b32 s19, 0
.LBB4_154:                              ;   in Loop: Header=BB4_8 Depth=1
	s_mov_b32 s5, 0
                                        ; implicit-def: $sgpr46
	s_and_saveexec_b32 s12, s4
	s_cbranch_execz .LBB4_261
; %bb.155:                              ;   in Loop: Header=BB4_8 Depth=1
	s_xor_b32 s4, s22, -1
	s_mov_b32 s46, 1
	s_and_not1_b32 vcc_lo, exec_lo, s4
	s_cbranch_vccnz .LBB4_166
; %bb.156:                              ;   in Loop: Header=BB4_8 Depth=1
	v_cmp_gt_i64_e64 s4, s[26:27], s[10:11]
                                        ; implicit-def: $sgpr46
                                        ; implicit-def: $sgpr5
                                        ; implicit-def: $sgpr13
	s_delay_alu instid0(VALU_DEP_1)
	s_and_b32 vcc_lo, exec_lo, s4
	s_mov_b32 s4, -1
	s_cbranch_vccnz .LBB4_162
; %bb.157:                              ;   in Loop: Header=BB4_8 Depth=1
	ds_load_b64 v[2:3], v13 offset:5120
	s_waitcnt lgkmcnt(0)
	v_cmp_ne_u64_e32 vcc_lo, 0, v[2:3]
	s_cbranch_vccnz .LBB4_161
; %bb.158:                              ;   in Loop: Header=BB4_8 Depth=1
	s_and_saveexec_b32 s4, s0
	s_cbranch_execz .LBB4_160
; %bb.159:                              ;   in Loop: Header=BB4_8 Depth=1
	v_dual_mov_b32 v2, s10 :: v_dual_mov_b32 v3, s11
	ds_store_b64 v13, v[2:3] offset:5128
.LBB4_160:                              ;   in Loop: Header=BB4_8 Depth=1
	s_or_b32 exec_lo, exec_lo, s4
	s_waitcnt lgkmcnt(0)
	s_barrier
	buffer_gl0_inv
.LBB4_161:                              ;   in Loop: Header=BB4_8 Depth=1
	s_lshl_b32 s4, 1, s17
	s_and_b32 s5, s85, s18
	s_or_b32 s13, s84, s16
	s_or_b32 s5, s5, s4
	s_mov_b32 s4, 0
	s_mov_b32 s46, 8
.LBB4_162:                              ;   in Loop: Header=BB4_8 Depth=1
	s_and_not1_b32 vcc_lo, exec_lo, s4
	s_cbranch_vccnz .LBB4_164
; %bb.163:                              ;   in Loop: Header=BB4_8 Depth=1
	s_sub_u32 s26, s26, s10
	s_subb_u32 s27, s27, s11
	s_mov_b32 s4, -1
	s_mov_b32 s46, 0
	s_mov_b32 s5, s85
	;; [unrolled: 1-line block ×3, first 2 shown]
.LBB4_164:                              ;   in Loop: Header=BB4_8 Depth=1
	s_delay_alu instid0(SALU_CYCLE_1)
	s_mov_b32 s84, s13
	s_mov_b32 s85, s5
	s_and_not1_b32 vcc_lo, exec_lo, s4
	s_mov_b32 s5, -1
	s_cbranch_vccz .LBB4_167
.LBB4_165:                              ;   in Loop: Header=BB4_8 Depth=1
                                        ; implicit-def: $sgpr22
                                        ; implicit-def: $sgpr23
                                        ; implicit-def: $sgpr13
	s_branch .LBB4_260
.LBB4_166:                              ;   in Loop: Header=BB4_8 Depth=1
	s_mov_b64 s[26:27], 1
	s_mov_b32 s5, -1
	s_cbranch_execnz .LBB4_165
.LBB4_167:                              ;   in Loop: Header=BB4_8 Depth=1
	s_cmp_eq_u64 s[8:9], 1
	s_cselect_b32 s4, -1, 0
	s_cmp_eq_u64 s[26:27], 1
	s_cselect_b32 s5, -1, 0
	s_delay_alu instid0(SALU_CYCLE_1)
	s_and_b32 s44, s4, s5
	s_mov_b32 s4, -1
	s_and_b32 vcc_lo, exec_lo, s44
	s_cbranch_vccz .LBB4_181
; %bb.168:                              ;   in Loop: Header=BB4_8 Depth=1
	ds_load_b64 v[2:3], v13 offset:5120
	s_waitcnt lgkmcnt(0)
	s_barrier
	buffer_gl0_inv
	v_readfirstlane_b32 s10, v2
	v_readfirstlane_b32 s11, v3
	s_and_saveexec_b32 s4, s3
	s_cbranch_execz .LBB4_170
; %bb.169:                              ;   in Loop: Header=BB4_8 Depth=1
	ds_store_b8 v0, v13 offset:3072
.LBB4_170:                              ;   in Loop: Header=BB4_8 Depth=1
	s_or_b32 exec_lo, exec_lo, s4
	s_delay_alu instid0(VALU_DEP_1)
	v_cmp_gt_i64_e64 s13, s[10:11], 0
	s_lshl_b32 s4, 2, s17
	s_and_b32 s5, s85, s18
	s_or_b32 s84, s84, s16
	s_or_b32 s85, s5, s4
	s_waitcnt lgkmcnt(0)
	s_and_b32 vcc_lo, exec_lo, s13
	s_barrier
	buffer_gl0_inv
	s_cbranch_vccnz .LBB4_184
; %bb.171:                              ;   in Loop: Header=BB4_8 Depth=1
	s_mov_b32 s46, s45
	s_delay_alu instid0(SALU_CYCLE_1)
	s_cmp_lg_u64 s[46:47], 0
	s_cbranch_scc0 .LBB4_227
; %bb.172:                              ;   in Loop: Header=BB4_8 Depth=1
	v_cvt_f32_u32_e32 v2, s33
	s_sub_u32 s13, 0, s33
	s_subb_u32 s22, 0, 0
	s_delay_alu instid0(VALU_DEP_1) | instskip(NEXT) | instid1(VALU_DEP_1)
	v_fmac_f32_e32 v2, 0x4f800000, v36
	v_rcp_f32_e32 v2, v2
	s_waitcnt_depctr 0xfff
	v_mul_f32_e32 v2, 0x5f7ffffc, v2
	s_delay_alu instid0(VALU_DEP_1) | instskip(NEXT) | instid1(VALU_DEP_1)
	v_mul_f32_e32 v3, 0x2f800000, v2
	v_trunc_f32_e32 v3, v3
	s_delay_alu instid0(VALU_DEP_1) | instskip(SKIP_1) | instid1(VALU_DEP_2)
	v_fmac_f32_e32 v2, 0xcf800000, v3
	v_cvt_u32_f32_e32 v3, v3
	v_cvt_u32_f32_e32 v2, v2
	s_delay_alu instid0(VALU_DEP_2) | instskip(NEXT) | instid1(VALU_DEP_2)
	v_readfirstlane_b32 s4, v3
	v_readfirstlane_b32 s5, v2
	s_delay_alu instid0(VALU_DEP_2) | instskip(NEXT) | instid1(VALU_DEP_1)
	s_mul_i32 s23, s13, s4
	s_mul_hi_u32 s52, s13, s5
	s_mul_i32 s46, s22, s5
	s_add_i32 s23, s52, s23
	s_mul_i32 s53, s13, s5
	s_add_i32 s23, s23, s46
	s_mul_hi_u32 s52, s5, s53
	s_mul_hi_u32 s54, s4, s53
	s_mul_i32 s46, s4, s53
	s_mul_hi_u32 s53, s5, s23
	s_mul_i32 s5, s5, s23
	s_mul_hi_u32 s55, s4, s23
	s_add_u32 s5, s52, s5
	s_addc_u32 s52, 0, s53
	s_add_u32 s5, s5, s46
	s_mul_i32 s23, s4, s23
	s_addc_u32 s5, s52, s54
	s_addc_u32 s46, s55, 0
	s_add_u32 s5, s5, s23
	s_addc_u32 s23, 0, s46
	v_add_co_u32 v2, s5, v2, s5
	s_delay_alu instid0(VALU_DEP_1) | instskip(SKIP_1) | instid1(VALU_DEP_1)
	s_cmp_lg_u32 s5, 0
	s_addc_u32 s4, s4, s23
	v_readfirstlane_b32 s5, v2
	s_mul_i32 s23, s13, s4
	s_delay_alu instid0(VALU_DEP_1)
	s_mul_hi_u32 s46, s13, s5
	s_mul_i32 s22, s22, s5
	s_add_i32 s23, s46, s23
	s_mul_i32 s13, s13, s5
	s_add_i32 s23, s23, s22
	s_mul_hi_u32 s46, s4, s13
	s_mul_i32 s52, s4, s13
	s_mul_hi_u32 s13, s5, s13
	s_mul_hi_u32 s53, s5, s23
	s_mul_i32 s5, s5, s23
	s_mul_hi_u32 s22, s4, s23
	s_add_u32 s5, s13, s5
	s_addc_u32 s13, 0, s53
	s_add_u32 s5, s5, s52
	s_mul_i32 s23, s4, s23
	s_addc_u32 s5, s13, s46
	s_addc_u32 s13, s22, 0
	s_add_u32 s5, s5, s23
	s_addc_u32 s13, 0, s13
	v_add_co_u32 v2, s5, v2, s5
	s_delay_alu instid0(VALU_DEP_1) | instskip(SKIP_2) | instid1(VALU_DEP_1)
	s_cmp_lg_u32 s5, 0
	s_addc_u32 s13, s4, s13
	s_ashr_i32 s22, s47, 31
	v_readfirstlane_b32 s46, v2
	s_add_u32 s4, s70, s22
	s_mov_b32 s23, s22
	s_addc_u32 s5, s47, s22
	s_delay_alu instid0(SALU_CYCLE_1) | instskip(NEXT) | instid1(SALU_CYCLE_1)
	s_xor_b64 s[4:5], s[4:5], s[22:23]
	s_mul_i32 s52, s4, s13
	s_mul_hi_u32 s53, s4, s46
	s_mul_hi_u32 s23, s4, s13
	;; [unrolled: 1-line block ×3, first 2 shown]
	s_mul_i32 s46, s5, s46
	s_add_u32 s52, s53, s52
	s_addc_u32 s23, 0, s23
	s_mul_hi_u32 s54, s5, s13
	s_add_u32 s46, s52, s46
	s_mul_i32 s13, s5, s13
	s_addc_u32 s23, s23, s55
	s_addc_u32 s46, s54, 0
	s_add_u32 s13, s23, s13
	s_addc_u32 s23, 0, s46
	s_mul_hi_u32 s46, s33, s13
	s_mul_i32 s13, s33, s13
	s_mul_i32 s23, s33, s23
	v_sub_co_u32 v2, s4, s4, s13
	s_add_i32 s46, s46, s23
	s_cmp_lg_u32 s4, 0
	s_delay_alu instid0(VALU_DEP_1) | instskip(SKIP_2) | instid1(VALU_DEP_1)
	v_sub_co_u32 v3, s4, v2, s33
	s_subb_u32 s5, s5, s46
	s_cmp_lg_u32 s4, 0
	v_cmp_le_u32_e32 vcc_lo, s33, v3
	v_sub_co_u32 v4, s4, v3, s33
	s_subb_u32 s13, s5, 0
	s_cmp_lg_u32 s4, 0
	v_cndmask_b32_e64 v5, 0, -1, vcc_lo
	s_subb_u32 s4, s13, 0
	s_cmp_eq_u32 s13, 0
	v_mov_b32_e32 v7, s4
	s_cselect_b32 vcc_lo, -1, 0
	s_cmp_eq_u32 s5, 0
	v_cndmask_b32_e32 v5, -1, v5, vcc_lo
	v_cmp_le_u32_e32 vcc_lo, s33, v2
	s_cselect_b32 s4, -1, 0
	v_cndmask_b32_e64 v6, 0, -1, vcc_lo
	s_delay_alu instid0(VALU_DEP_3) | instskip(NEXT) | instid1(VALU_DEP_2)
	v_cmp_ne_u32_e32 vcc_lo, 0, v5
	v_cndmask_b32_e64 v5, -1, v6, s4
	v_cndmask_b32_e32 v3, v3, v4, vcc_lo
	v_cndmask_b32_e32 v6, s13, v7, vcc_lo
	s_delay_alu instid0(VALU_DEP_3) | instskip(NEXT) | instid1(VALU_DEP_3)
	v_cmp_ne_u32_e32 vcc_lo, 0, v5
	v_cndmask_b32_e32 v2, v2, v3, vcc_lo
	s_delay_alu instid0(VALU_DEP_3) | instskip(NEXT) | instid1(VALU_DEP_2)
	v_cndmask_b32_e32 v4, s5, v6, vcc_lo
	v_xor_b32_e32 v2, s22, v2
	s_delay_alu instid0(VALU_DEP_2) | instskip(NEXT) | instid1(VALU_DEP_2)
	v_xor_b32_e32 v3, s22, v4
	v_sub_co_u32 v2, vcc_lo, v2, s22
	s_delay_alu instid0(VALU_DEP_2)
	v_subrev_co_ci_u32_e32 v3, vcc_lo, s22, v3, vcc_lo
	s_cbranch_execnz .LBB4_174
.LBB4_173:                              ;   in Loop: Header=BB4_8 Depth=1
	v_cvt_f32_u32_e32 v2, s33
	s_sub_i32 s4, 0, s33
	s_delay_alu instid0(VALU_DEP_1) | instskip(SKIP_2) | instid1(VALU_DEP_1)
	v_rcp_iflag_f32_e32 v2, v2
	s_waitcnt_depctr 0xfff
	v_mul_f32_e32 v2, 0x4f7ffffe, v2
	v_cvt_u32_f32_e32 v2, v2
	s_delay_alu instid0(VALU_DEP_1) | instskip(NEXT) | instid1(VALU_DEP_1)
	v_mul_lo_u32 v3, s4, v2
	v_mul_hi_u32 v3, v2, v3
	s_delay_alu instid0(VALU_DEP_1) | instskip(NEXT) | instid1(VALU_DEP_1)
	v_add_nc_u32_e32 v2, v2, v3
	v_mul_hi_u32 v2, s70, v2
	s_delay_alu instid0(VALU_DEP_1) | instskip(NEXT) | instid1(VALU_DEP_1)
	v_mul_lo_u32 v2, v2, s33
	v_sub_nc_u32_e32 v2, s70, v2
	s_delay_alu instid0(VALU_DEP_1) | instskip(SKIP_1) | instid1(VALU_DEP_2)
	v_subrev_nc_u32_e32 v3, s33, v2
	v_cmp_le_u32_e32 vcc_lo, s33, v2
	v_cndmask_b32_e32 v2, v2, v3, vcc_lo
	s_delay_alu instid0(VALU_DEP_1) | instskip(SKIP_1) | instid1(VALU_DEP_2)
	v_subrev_nc_u32_e32 v3, s33, v2
	v_cmp_le_u32_e32 vcc_lo, s33, v2
	v_cndmask_b32_e32 v12, v2, v3, vcc_lo
	s_delay_alu instid0(VALU_DEP_1)
	v_dual_mov_b32 v2, v12 :: v_dual_mov_b32 v3, v13
.LBB4_174:                              ;   in Loop: Header=BB4_8 Depth=1
	s_delay_alu instid0(VALU_DEP_1) | instskip(NEXT) | instid1(VALU_DEP_2)
	v_sub_co_u32 v2, vcc_lo, s70, v2
	v_sub_co_ci_u32_e32 v3, vcc_lo, s47, v3, vcc_lo
	s_mov_b32 s4, 0
	s_mov_b32 s5, exec_lo
                                        ; implicit-def: $vgpr37
	s_delay_alu instid0(VALU_DEP_1)
	v_cmpx_gt_i64_e64 v[2:3], v[0:1]
	s_cbranch_execz .LBB4_186
; %bb.175:                              ;   in Loop: Header=BB4_8 Depth=1
	v_dual_mov_b32 v4, v10 :: v_dual_mov_b32 v5, v11
	v_dual_mov_b32 v7, v1 :: v_dual_mov_b32 v6, v0
	s_mov_b32 s13, 0
                                        ; implicit-def: $sgpr22
	s_set_inst_prefetch_distance 0x1
	s_branch .LBB4_177
	.p2align	6
.LBB4_176:                              ;   in Loop: Header=BB4_177 Depth=2
	s_or_b32 exec_lo, exec_lo, s4
	s_waitcnt lgkmcnt(0)
	s_barrier
	buffer_gl0_inv
	ds_load_u16 v8, v13 offset:3072
	v_add_co_u32 v6, vcc_lo, v6, s33
	v_add_co_ci_u32_e32 v7, vcc_lo, 0, v7, vcc_lo
	s_waitcnt lgkmcnt(0)
	s_barrier
	buffer_gl0_inv
	v_cmp_ge_i64_e32 vcc_lo, v[6:7], v[2:3]
	v_and_b32_e32 v9, 0xff, v8
	s_delay_alu instid0(VALU_DEP_1) | instskip(NEXT) | instid1(VALU_DEP_1)
	v_cmp_ne_u16_e64 s4, 0, v9
	s_or_b32 s23, s4, vcc_lo
	v_add_co_u32 v4, vcc_lo, v4, s64
	s_and_b32 s23, exec_lo, s23
	v_add_co_ci_u32_e32 v5, vcc_lo, s35, v5, vcc_lo
	s_or_b32 s13, s23, s13
	s_and_not1_b32 s22, s22, exec_lo
	s_and_b32 s4, s4, exec_lo
	s_delay_alu instid0(SALU_CYCLE_1)
	s_or_b32 s22, s22, s4
	s_and_not1_b32 exec_lo, exec_lo, s13
	s_cbranch_execz .LBB4_185
.LBB4_177:                              ;   Parent Loop BB4_8 Depth=1
                                        ; =>  This Inner Loop Header: Depth=2
	s_delay_alu instid0(VALU_DEP_1)
	v_cmp_gt_i64_e32 vcc_lo, s[24:25], v[6:7]
	v_mov_b32_e32 v8, 0
	s_and_saveexec_b32 s4, vcc_lo
	s_cbranch_execz .LBB4_179
; %bb.178:                              ;   in Loop: Header=BB4_177 Depth=2
	global_load_u8 v8, v[4:5], off
.LBB4_179:                              ;   in Loop: Header=BB4_177 Depth=2
	s_or_b32 exec_lo, exec_lo, s4
	s_waitcnt vmcnt(0)
	v_and_b32_e32 v9, s84, v8
	s_delay_alu instid0(VALU_DEP_1) | instskip(NEXT) | instid1(VALU_DEP_1)
	v_and_b32_e32 v9, 0xff, v9
	v_cmp_eq_u32_e64 s4, s85, v9
	s_delay_alu instid0(VALU_DEP_1) | instskip(NEXT) | instid1(SALU_CYCLE_1)
	s_and_b32 s23, vcc_lo, s4
	s_and_saveexec_b32 s4, s23
	s_cbranch_execz .LBB4_176
; %bb.180:                              ;   in Loop: Header=BB4_177 Depth=2
	v_lshlrev_b16 v8, 8, v8
	s_delay_alu instid0(VALU_DEP_1)
	v_or_b32_e32 v8, 1, v8
	ds_store_b16 v13, v8 offset:3072
	s_branch .LBB4_176
.LBB4_181:                              ;   in Loop: Header=BB4_8 Depth=1
                                        ; implicit-def: $sgpr13
                                        ; implicit-def: $sgpr23
                                        ; implicit-def: $sgpr22
	s_branch .LBB4_199
.LBB4_182:                              ;   in Loop: Header=BB4_8 Depth=1
                                        ; implicit-def: $vgpr2_vgpr3
	s_branch .LBB4_128
.LBB4_183:                              ;   in Loop: Header=BB4_8 Depth=1
                                        ; implicit-def: $vgpr2_vgpr3
	s_branch .LBB4_144
.LBB4_184:                              ;   in Loop: Header=BB4_8 Depth=1
	s_mov_b32 s13, -1
	s_mov_b32 s4, 0
                                        ; implicit-def: $sgpr22
                                        ; implicit-def: $vgpr37
	s_mov_b32 s23, s13
	s_cbranch_execnz .LBB4_187
	s_branch .LBB4_199
.LBB4_185:                              ;   in Loop: Header=BB4_8 Depth=1
	s_set_inst_prefetch_distance 0x2
	s_or_b32 exec_lo, exec_lo, s13
	v_lshrrev_b16 v37, 8, v8
	s_and_b32 s4, s22, exec_lo
.LBB4_186:                              ;   in Loop: Header=BB4_8 Depth=1
	s_or_b32 exec_lo, exec_lo, s5
	s_mov_b32 s22, -1
	s_mov_b32 s13, 0
	s_delay_alu instid0(SALU_CYCLE_1)
	s_mov_b32 s23, s13
	s_branch .LBB4_199
.LBB4_187:                              ;   in Loop: Header=BB4_8 Depth=1
	s_add_u32 s13, s68, s10
	s_addc_u32 s5, s69, s11
	s_mov_b32 s4, s45
	s_delay_alu instid0(SALU_CYCLE_1)
	s_cmp_lg_u64 s[4:5], 0
	s_cbranch_scc0 .LBB4_228
; %bb.188:                              ;   in Loop: Header=BB4_8 Depth=1
	v_cvt_f32_u32_e32 v2, s33
	s_sub_u32 s23, 0, s33
	s_subb_u32 s46, 0, 0
	s_delay_alu instid0(VALU_DEP_1) | instskip(NEXT) | instid1(VALU_DEP_1)
	v_fmac_f32_e32 v2, 0x4f800000, v36
	v_rcp_f32_e32 v2, v2
	s_waitcnt_depctr 0xfff
	v_mul_f32_e32 v2, 0x5f7ffffc, v2
	s_delay_alu instid0(VALU_DEP_1) | instskip(NEXT) | instid1(VALU_DEP_1)
	v_mul_f32_e32 v3, 0x2f800000, v2
	v_trunc_f32_e32 v3, v3
	s_delay_alu instid0(VALU_DEP_1) | instskip(SKIP_1) | instid1(VALU_DEP_2)
	v_fmac_f32_e32 v2, 0xcf800000, v3
	v_cvt_u32_f32_e32 v3, v3
	v_cvt_u32_f32_e32 v2, v2
	s_delay_alu instid0(VALU_DEP_2) | instskip(NEXT) | instid1(VALU_DEP_2)
	v_readfirstlane_b32 s4, v3
	v_readfirstlane_b32 s22, v2
	s_delay_alu instid0(VALU_DEP_2) | instskip(NEXT) | instid1(VALU_DEP_1)
	s_mul_i32 s52, s23, s4
	s_mul_hi_u32 s54, s23, s22
	s_mul_i32 s53, s46, s22
	s_add_i32 s52, s54, s52
	s_mul_i32 s55, s23, s22
	s_add_i32 s52, s52, s53
	s_mul_hi_u32 s54, s22, s55
	s_mul_hi_u32 s56, s4, s55
	s_mul_i32 s53, s4, s55
	s_mul_hi_u32 s55, s22, s52
	s_mul_i32 s22, s22, s52
	s_mul_hi_u32 s57, s4, s52
	s_add_u32 s22, s54, s22
	s_addc_u32 s54, 0, s55
	s_add_u32 s22, s22, s53
	s_mul_i32 s52, s4, s52
	s_addc_u32 s22, s54, s56
	s_addc_u32 s53, s57, 0
	s_add_u32 s22, s22, s52
	s_addc_u32 s52, 0, s53
	v_add_co_u32 v2, s22, v2, s22
	s_delay_alu instid0(VALU_DEP_1) | instskip(SKIP_1) | instid1(VALU_DEP_1)
	s_cmp_lg_u32 s22, 0
	s_addc_u32 s4, s4, s52
	v_readfirstlane_b32 s22, v2
	s_mul_i32 s52, s23, s4
	s_delay_alu instid0(VALU_DEP_1)
	s_mul_hi_u32 s53, s23, s22
	s_mul_i32 s46, s46, s22
	s_add_i32 s52, s53, s52
	s_mul_i32 s23, s23, s22
	s_add_i32 s52, s52, s46
	s_mul_hi_u32 s53, s4, s23
	s_mul_i32 s54, s4, s23
	s_mul_hi_u32 s23, s22, s23
	s_mul_hi_u32 s55, s22, s52
	s_mul_i32 s22, s22, s52
	s_mul_hi_u32 s46, s4, s52
	s_add_u32 s22, s23, s22
	s_addc_u32 s23, 0, s55
	s_add_u32 s22, s22, s54
	s_mul_i32 s52, s4, s52
	s_addc_u32 s22, s23, s53
	s_addc_u32 s23, s46, 0
	s_add_u32 s22, s22, s52
	s_addc_u32 s23, 0, s23
	v_add_co_u32 v2, s22, v2, s22
	s_delay_alu instid0(VALU_DEP_1) | instskip(SKIP_2) | instid1(VALU_DEP_1)
	s_cmp_lg_u32 s22, 0
	s_addc_u32 s4, s4, s23
	s_ashr_i32 s22, s5, 31
	v_readfirstlane_b32 s46, v2
	s_add_u32 s52, s13, s22
	s_mov_b32 s23, s22
	s_addc_u32 s53, s5, s22
	s_delay_alu instid0(SALU_CYCLE_1) | instskip(NEXT) | instid1(SALU_CYCLE_1)
	s_xor_b64 s[52:53], s[52:53], s[22:23]
	s_mul_i32 s54, s52, s4
	s_mul_hi_u32 s55, s52, s46
	s_mul_hi_u32 s23, s52, s4
	;; [unrolled: 1-line block ×3, first 2 shown]
	s_mul_i32 s46, s53, s46
	s_add_u32 s54, s55, s54
	s_addc_u32 s23, 0, s23
	s_mul_hi_u32 s56, s53, s4
	s_add_u32 s46, s54, s46
	s_mul_i32 s4, s53, s4
	s_addc_u32 s23, s23, s57
	s_addc_u32 s46, s56, 0
	s_add_u32 s4, s23, s4
	s_addc_u32 s23, 0, s46
	s_mul_hi_u32 s46, s33, s4
	s_mul_i32 s4, s33, s4
	s_mul_i32 s23, s33, s23
	v_sub_co_u32 v2, s4, s52, s4
	s_add_i32 s46, s46, s23
	s_cmp_lg_u32 s4, 0
	s_delay_alu instid0(VALU_DEP_1) | instskip(SKIP_2) | instid1(VALU_DEP_1)
	v_sub_co_u32 v3, s4, v2, s33
	s_subb_u32 s23, s53, s46
	s_cmp_lg_u32 s4, 0
	v_cmp_le_u32_e32 vcc_lo, s33, v3
	v_sub_co_u32 v4, s4, v3, s33
	s_subb_u32 s46, s23, 0
	s_cmp_lg_u32 s4, 0
	v_cndmask_b32_e64 v5, 0, -1, vcc_lo
	s_subb_u32 s4, s46, 0
	s_cmp_eq_u32 s46, 0
	v_mov_b32_e32 v7, s4
	s_cselect_b32 vcc_lo, -1, 0
	s_cmp_eq_u32 s23, 0
	v_cndmask_b32_e32 v5, -1, v5, vcc_lo
	v_cmp_le_u32_e32 vcc_lo, s33, v2
	s_cselect_b32 s4, -1, 0
	v_cndmask_b32_e64 v6, 0, -1, vcc_lo
	s_delay_alu instid0(VALU_DEP_3) | instskip(NEXT) | instid1(VALU_DEP_2)
	v_cmp_ne_u32_e32 vcc_lo, 0, v5
	v_cndmask_b32_e64 v5, -1, v6, s4
	v_cndmask_b32_e32 v3, v3, v4, vcc_lo
	v_cndmask_b32_e32 v6, s46, v7, vcc_lo
	s_delay_alu instid0(VALU_DEP_3) | instskip(NEXT) | instid1(VALU_DEP_3)
	v_cmp_ne_u32_e32 vcc_lo, 0, v5
	v_cndmask_b32_e32 v2, v2, v3, vcc_lo
	s_delay_alu instid0(VALU_DEP_3) | instskip(NEXT) | instid1(VALU_DEP_2)
	v_cndmask_b32_e32 v4, s23, v6, vcc_lo
	v_xor_b32_e32 v2, s22, v2
	s_delay_alu instid0(VALU_DEP_2) | instskip(NEXT) | instid1(VALU_DEP_2)
	v_xor_b32_e32 v3, s22, v4
	v_sub_co_u32 v2, vcc_lo, v2, s22
	s_delay_alu instid0(VALU_DEP_2)
	v_subrev_co_ci_u32_e32 v3, vcc_lo, s22, v3, vcc_lo
	s_cbranch_execnz .LBB4_190
.LBB4_189:                              ;   in Loop: Header=BB4_8 Depth=1
	v_cvt_f32_u32_e32 v2, s33
	s_sub_i32 s4, 0, s33
	s_delay_alu instid0(VALU_DEP_1) | instskip(SKIP_2) | instid1(VALU_DEP_1)
	v_rcp_iflag_f32_e32 v2, v2
	s_waitcnt_depctr 0xfff
	v_mul_f32_e32 v2, 0x4f7ffffe, v2
	v_cvt_u32_f32_e32 v2, v2
	s_delay_alu instid0(VALU_DEP_1) | instskip(NEXT) | instid1(VALU_DEP_1)
	v_mul_lo_u32 v3, s4, v2
	v_mul_hi_u32 v3, v2, v3
	s_delay_alu instid0(VALU_DEP_1) | instskip(NEXT) | instid1(VALU_DEP_1)
	v_add_nc_u32_e32 v2, v2, v3
	v_mul_hi_u32 v2, s13, v2
	s_delay_alu instid0(VALU_DEP_1) | instskip(NEXT) | instid1(VALU_DEP_1)
	v_mul_lo_u32 v2, v2, s33
	v_sub_nc_u32_e32 v2, s13, v2
	s_delay_alu instid0(VALU_DEP_1) | instskip(SKIP_1) | instid1(VALU_DEP_2)
	v_subrev_nc_u32_e32 v3, s33, v2
	v_cmp_le_u32_e32 vcc_lo, s33, v2
	v_cndmask_b32_e32 v2, v2, v3, vcc_lo
	s_delay_alu instid0(VALU_DEP_1) | instskip(SKIP_1) | instid1(VALU_DEP_2)
	v_subrev_nc_u32_e32 v3, s33, v2
	v_cmp_le_u32_e32 vcc_lo, s33, v2
	v_cndmask_b32_e32 v12, v2, v3, vcc_lo
	s_delay_alu instid0(VALU_DEP_1)
	v_dual_mov_b32 v2, v12 :: v_dual_mov_b32 v3, v13
.LBB4_190:                              ;   in Loop: Header=BB4_8 Depth=1
	s_delay_alu instid0(VALU_DEP_1) | instskip(NEXT) | instid1(VALU_DEP_2)
	v_sub_co_u32 v2, vcc_lo, s13, v2
	v_sub_co_ci_u32_e32 v3, vcc_lo, s5, v3, vcc_lo
	s_mov_b32 s4, 0
	s_mov_b32 s5, exec_lo
                                        ; implicit-def: $vgpr37
	s_delay_alu instid0(VALU_DEP_1)
	v_cmpx_gt_i64_e64 v[2:3], v[0:1]
	s_cbranch_execz .LBB4_198
; %bb.191:                              ;   in Loop: Header=BB4_8 Depth=1
	v_dual_mov_b32 v6, v0 :: v_dual_mov_b32 v5, v1
	v_mov_b32_e32 v4, v0
	s_mov_b32 s13, 0
                                        ; implicit-def: $sgpr22
	s_set_inst_prefetch_distance 0x1
	s_branch .LBB4_193
	.p2align	6
.LBB4_192:                              ;   in Loop: Header=BB4_193 Depth=2
	s_or_b32 exec_lo, exec_lo, s4
	s_waitcnt lgkmcnt(0)
	s_barrier
	buffer_gl0_inv
	ds_load_u16 v7, v13 offset:3072
	v_add_co_u32 v4, vcc_lo, v4, s33
	v_add_co_ci_u32_e32 v5, vcc_lo, 0, v5, vcc_lo
	v_add_nc_u32_e32 v6, s33, v6
	s_waitcnt lgkmcnt(0)
	s_barrier
	s_delay_alu instid0(VALU_DEP_2) | instskip(SKIP_2) | instid1(VALU_DEP_1)
	v_cmp_ge_i64_e32 vcc_lo, v[4:5], v[2:3]
	buffer_gl0_inv
	v_and_b32_e32 v8, 0xff, v7
	v_cmp_ne_u16_e64 s4, 0, v8
	s_delay_alu instid0(VALU_DEP_1) | instskip(NEXT) | instid1(SALU_CYCLE_1)
	s_or_b32 s23, s4, vcc_lo
	s_and_b32 s23, exec_lo, s23
	s_delay_alu instid0(SALU_CYCLE_1) | instskip(SKIP_2) | instid1(SALU_CYCLE_1)
	s_or_b32 s13, s23, s13
	s_and_not1_b32 s22, s22, exec_lo
	s_and_b32 s4, s4, exec_lo
	s_or_b32 s22, s22, s4
	s_and_not1_b32 exec_lo, exec_lo, s13
	s_cbranch_execz .LBB4_197
.LBB4_193:                              ;   Parent Loop BB4_8 Depth=1
                                        ; =>  This Inner Loop Header: Depth=2
	s_delay_alu instid0(VALU_DEP_1)
	v_cmp_gt_i64_e32 vcc_lo, s[10:11], v[4:5]
	v_mov_b32_e32 v7, 0
	s_and_saveexec_b32 s4, vcc_lo
	s_cbranch_execz .LBB4_195
; %bb.194:                              ;   in Loop: Header=BB4_193 Depth=2
	ds_load_u8 v7, v6
.LBB4_195:                              ;   in Loop: Header=BB4_193 Depth=2
	s_or_b32 exec_lo, exec_lo, s4
	s_waitcnt lgkmcnt(0)
	v_and_b32_e32 v8, s84, v7
	s_delay_alu instid0(VALU_DEP_1) | instskip(NEXT) | instid1(VALU_DEP_1)
	v_and_b32_e32 v8, 0xff, v8
	v_cmp_eq_u32_e64 s4, s85, v8
	s_delay_alu instid0(VALU_DEP_1) | instskip(NEXT) | instid1(SALU_CYCLE_1)
	s_and_b32 s23, vcc_lo, s4
	s_and_saveexec_b32 s4, s23
	s_cbranch_execz .LBB4_192
; %bb.196:                              ;   in Loop: Header=BB4_193 Depth=2
	v_lshlrev_b16 v7, 8, v7
	s_delay_alu instid0(VALU_DEP_1)
	v_or_b32_e32 v7, 1, v7
	ds_store_b16 v13, v7 offset:3072
	s_branch .LBB4_192
.LBB4_197:                              ;   in Loop: Header=BB4_8 Depth=1
	s_set_inst_prefetch_distance 0x2
	s_or_b32 exec_lo, exec_lo, s13
	v_lshrrev_b16 v37, 8, v7
	s_and_b32 s4, s22, exec_lo
.LBB4_198:                              ;   in Loop: Header=BB4_8 Depth=1
	s_or_b32 exec_lo, exec_lo, s5
	s_mov_b32 s23, -1
	s_mov_b32 s13, 0
	s_mov_b32 s22, 0
.LBB4_199:                              ;   in Loop: Header=BB4_8 Depth=1
	s_mov_b32 s5, 0
                                        ; implicit-def: $sgpr46
	s_and_saveexec_b32 s10, s4
	s_cbranch_execz .LBB4_259
; %bb.200:                              ;   in Loop: Header=BB4_8 Depth=1
	s_xor_b32 s4, s44, -1
	s_mov_b32 s46, 1
	s_and_not1_b32 vcc_lo, exec_lo, s4
	s_cbranch_vccnz .LBB4_211
; %bb.201:                              ;   in Loop: Header=BB4_8 Depth=1
	v_cmp_gt_i64_e64 s4, s[26:27], s[8:9]
                                        ; implicit-def: $sgpr46
                                        ; implicit-def: $sgpr5
                                        ; implicit-def: $sgpr11
	s_delay_alu instid0(VALU_DEP_1)
	s_and_b32 vcc_lo, exec_lo, s4
	s_mov_b32 s4, -1
	s_cbranch_vccnz .LBB4_207
; %bb.202:                              ;   in Loop: Header=BB4_8 Depth=1
	ds_load_b64 v[2:3], v13 offset:5120
	s_waitcnt lgkmcnt(0)
	v_cmp_ne_u64_e32 vcc_lo, 0, v[2:3]
	s_cbranch_vccnz .LBB4_206
; %bb.203:                              ;   in Loop: Header=BB4_8 Depth=1
	s_and_saveexec_b32 s4, s0
	s_cbranch_execz .LBB4_205
; %bb.204:                              ;   in Loop: Header=BB4_8 Depth=1
	v_dual_mov_b32 v2, s8 :: v_dual_mov_b32 v3, s9
	ds_store_b64 v13, v[2:3] offset:5128
.LBB4_205:                              ;   in Loop: Header=BB4_8 Depth=1
	s_or_b32 exec_lo, exec_lo, s4
	s_waitcnt lgkmcnt(0)
	s_barrier
	buffer_gl0_inv
.LBB4_206:                              ;   in Loop: Header=BB4_8 Depth=1
	s_lshl_b32 s4, 2, s17
	s_and_b32 s5, s85, s18
	s_or_b32 s11, s84, s16
	s_or_b32 s5, s5, s4
	s_mov_b32 s4, 0
	s_mov_b32 s46, 8
.LBB4_207:                              ;   in Loop: Header=BB4_8 Depth=1
	s_and_not1_b32 vcc_lo, exec_lo, s4
	s_cbranch_vccnz .LBB4_209
; %bb.208:                              ;   in Loop: Header=BB4_8 Depth=1
	s_sub_u32 s26, s26, s8
	s_subb_u32 s27, s27, s9
	s_mov_b32 s4, -1
	s_mov_b32 s46, 0
	s_mov_b32 s5, s85
	;; [unrolled: 1-line block ×3, first 2 shown]
.LBB4_209:                              ;   in Loop: Header=BB4_8 Depth=1
	s_delay_alu instid0(SALU_CYCLE_1)
	s_mov_b32 s84, s11
	s_mov_b32 s85, s5
	s_and_not1_b32 vcc_lo, exec_lo, s4
	s_mov_b32 s9, -1
	s_cbranch_vccz .LBB4_212
.LBB4_210:                              ;   in Loop: Header=BB4_8 Depth=1
                                        ; implicit-def: $sgpr17
                                        ; implicit-def: $sgpr44
                                        ; implicit-def: $sgpr18
	s_branch .LBB4_258
.LBB4_211:                              ;   in Loop: Header=BB4_8 Depth=1
	s_mov_b64 s[26:27], 1
	s_mov_b32 s9, -1
	s_cbranch_execnz .LBB4_210
.LBB4_212:                              ;   in Loop: Header=BB4_8 Depth=1
	s_cmp_eq_u64 s[6:7], 1
	s_mov_b32 s52, -1
	s_cselect_b32 s4, -1, 0
	s_cmp_eq_u64 s[26:27], 1
	s_cselect_b32 s5, -1, 0
	s_delay_alu instid0(SALU_CYCLE_1) | instskip(NEXT) | instid1(SALU_CYCLE_1)
	s_and_b32 s11, s4, s5
	s_and_b32 vcc_lo, exec_lo, s11
	s_cbranch_vccz .LBB4_226
; %bb.213:                              ;   in Loop: Header=BB4_8 Depth=1
	ds_load_b64 v[2:3], v13 offset:5120
	s_waitcnt lgkmcnt(0)
	s_barrier
	buffer_gl0_inv
	v_readfirstlane_b32 s8, v2
	v_readfirstlane_b32 s9, v3
	s_and_saveexec_b32 s4, s3
	s_cbranch_execz .LBB4_215
; %bb.214:                              ;   in Loop: Header=BB4_8 Depth=1
	ds_store_b8 v0, v13 offset:3072
.LBB4_215:                              ;   in Loop: Header=BB4_8 Depth=1
	s_or_b32 exec_lo, exec_lo, s4
	s_delay_alu instid0(VALU_DEP_1)
	v_cmp_gt_i64_e64 s4, s[8:9], 0
	s_or_b32 s85, s85, s16
	s_or_b32 s84, s84, s16
	s_waitcnt lgkmcnt(0)
	s_barrier
	buffer_gl0_inv
	s_and_b32 vcc_lo, exec_lo, s4
	s_cbranch_vccnz .LBB4_229
; %bb.216:                              ;   in Loop: Header=BB4_8 Depth=1
	s_mov_b32 s46, s45
	s_delay_alu instid0(SALU_CYCLE_1)
	s_cmp_lg_u64 s[46:47], 0
	s_cbranch_scc0 .LBB4_264
; %bb.217:                              ;   in Loop: Header=BB4_8 Depth=1
	v_cvt_f32_u32_e32 v2, s33
	s_sub_u32 s17, 0, s33
	s_subb_u32 s18, 0, 0
	s_delay_alu instid0(VALU_DEP_1) | instskip(NEXT) | instid1(VALU_DEP_1)
	v_fmac_f32_e32 v2, 0x4f800000, v36
	v_rcp_f32_e32 v2, v2
	s_waitcnt_depctr 0xfff
	v_mul_f32_e32 v2, 0x5f7ffffc, v2
	s_delay_alu instid0(VALU_DEP_1) | instskip(NEXT) | instid1(VALU_DEP_1)
	v_mul_f32_e32 v3, 0x2f800000, v2
	v_trunc_f32_e32 v3, v3
	s_delay_alu instid0(VALU_DEP_1) | instskip(SKIP_1) | instid1(VALU_DEP_2)
	v_fmac_f32_e32 v2, 0xcf800000, v3
	v_cvt_u32_f32_e32 v3, v3
	v_cvt_u32_f32_e32 v2, v2
	s_delay_alu instid0(VALU_DEP_2) | instskip(NEXT) | instid1(VALU_DEP_2)
	v_readfirstlane_b32 s4, v3
	v_readfirstlane_b32 s5, v2
	s_delay_alu instid0(VALU_DEP_2) | instskip(NEXT) | instid1(VALU_DEP_1)
	s_mul_i32 s44, s17, s4
	s_mul_hi_u32 s52, s17, s5
	s_mul_i32 s46, s18, s5
	s_add_i32 s44, s52, s44
	s_mul_i32 s53, s17, s5
	s_add_i32 s44, s44, s46
	s_mul_hi_u32 s52, s5, s53
	s_mul_hi_u32 s54, s4, s53
	s_mul_i32 s46, s4, s53
	s_mul_hi_u32 s53, s5, s44
	s_mul_i32 s5, s5, s44
	s_mul_hi_u32 s55, s4, s44
	s_add_u32 s5, s52, s5
	s_addc_u32 s52, 0, s53
	s_add_u32 s5, s5, s46
	s_mul_i32 s44, s4, s44
	s_addc_u32 s5, s52, s54
	s_addc_u32 s46, s55, 0
	s_add_u32 s5, s5, s44
	s_addc_u32 s44, 0, s46
	v_add_co_u32 v2, s5, v2, s5
	s_delay_alu instid0(VALU_DEP_1) | instskip(SKIP_1) | instid1(VALU_DEP_1)
	s_cmp_lg_u32 s5, 0
	s_addc_u32 s4, s4, s44
	v_readfirstlane_b32 s5, v2
	s_mul_i32 s44, s17, s4
	s_delay_alu instid0(VALU_DEP_1)
	s_mul_hi_u32 s46, s17, s5
	s_mul_i32 s18, s18, s5
	s_add_i32 s44, s46, s44
	s_mul_i32 s17, s17, s5
	s_add_i32 s44, s44, s18
	s_mul_hi_u32 s46, s4, s17
	s_mul_i32 s52, s4, s17
	s_mul_hi_u32 s17, s5, s17
	s_mul_hi_u32 s53, s5, s44
	s_mul_i32 s5, s5, s44
	s_mul_hi_u32 s18, s4, s44
	s_add_u32 s5, s17, s5
	s_addc_u32 s17, 0, s53
	s_add_u32 s5, s5, s52
	s_mul_i32 s44, s4, s44
	s_addc_u32 s5, s17, s46
	s_addc_u32 s17, s18, 0
	s_add_u32 s5, s5, s44
	s_addc_u32 s17, 0, s17
	v_add_co_u32 v2, s5, v2, s5
	s_delay_alu instid0(VALU_DEP_1) | instskip(SKIP_2) | instid1(VALU_DEP_1)
	s_cmp_lg_u32 s5, 0
	s_addc_u32 s17, s4, s17
	s_ashr_i32 s52, s47, 31
	v_readfirstlane_b32 s18, v2
	s_add_u32 s4, s70, s52
	s_mov_b32 s53, s52
	s_addc_u32 s5, s47, s52
	s_delay_alu instid0(SALU_CYCLE_1) | instskip(NEXT) | instid1(SALU_CYCLE_1)
	s_xor_b64 s[4:5], s[4:5], s[52:53]
	s_mul_i32 s46, s4, s17
	s_mul_hi_u32 s53, s4, s18
	s_mul_hi_u32 s44, s4, s17
	;; [unrolled: 1-line block ×3, first 2 shown]
	s_mul_i32 s18, s5, s18
	s_add_u32 s46, s53, s46
	s_addc_u32 s44, 0, s44
	s_mul_hi_u32 s54, s5, s17
	s_add_u32 s18, s46, s18
	s_mul_i32 s17, s5, s17
	s_addc_u32 s18, s44, s55
	s_addc_u32 s44, s54, 0
	s_add_u32 s17, s18, s17
	s_addc_u32 s18, 0, s44
	s_mul_hi_u32 s44, s33, s17
	s_mul_i32 s17, s33, s17
	s_mul_i32 s18, s33, s18
	v_sub_co_u32 v2, s4, s4, s17
	s_add_i32 s44, s44, s18
	s_cmp_lg_u32 s4, 0
	s_delay_alu instid0(VALU_DEP_1) | instskip(SKIP_2) | instid1(VALU_DEP_1)
	v_sub_co_u32 v3, s4, v2, s33
	s_subb_u32 s5, s5, s44
	s_cmp_lg_u32 s4, 0
	v_cmp_le_u32_e32 vcc_lo, s33, v3
	v_sub_co_u32 v4, s4, v3, s33
	s_subb_u32 s17, s5, 0
	s_cmp_lg_u32 s4, 0
	v_cndmask_b32_e64 v5, 0, -1, vcc_lo
	s_subb_u32 s4, s17, 0
	s_cmp_eq_u32 s17, 0
	v_mov_b32_e32 v7, s4
	s_cselect_b32 vcc_lo, -1, 0
	s_cmp_eq_u32 s5, 0
	v_cndmask_b32_e32 v5, -1, v5, vcc_lo
	v_cmp_le_u32_e32 vcc_lo, s33, v2
	s_cselect_b32 s4, -1, 0
	v_cndmask_b32_e64 v6, 0, -1, vcc_lo
	s_delay_alu instid0(VALU_DEP_3) | instskip(NEXT) | instid1(VALU_DEP_2)
	v_cmp_ne_u32_e32 vcc_lo, 0, v5
	v_cndmask_b32_e64 v5, -1, v6, s4
	v_cndmask_b32_e32 v3, v3, v4, vcc_lo
	v_cndmask_b32_e32 v6, s17, v7, vcc_lo
	s_delay_alu instid0(VALU_DEP_3) | instskip(NEXT) | instid1(VALU_DEP_3)
	v_cmp_ne_u32_e32 vcc_lo, 0, v5
	v_cndmask_b32_e32 v2, v2, v3, vcc_lo
	s_delay_alu instid0(VALU_DEP_3) | instskip(NEXT) | instid1(VALU_DEP_2)
	v_cndmask_b32_e32 v4, s5, v6, vcc_lo
	v_xor_b32_e32 v2, s52, v2
	s_delay_alu instid0(VALU_DEP_2) | instskip(NEXT) | instid1(VALU_DEP_2)
	v_xor_b32_e32 v3, s52, v4
	v_sub_co_u32 v2, vcc_lo, v2, s52
	s_delay_alu instid0(VALU_DEP_2)
	v_subrev_co_ci_u32_e32 v3, vcc_lo, s52, v3, vcc_lo
	s_cbranch_execnz .LBB4_219
.LBB4_218:                              ;   in Loop: Header=BB4_8 Depth=1
	v_cvt_f32_u32_e32 v2, s33
	s_sub_i32 s4, 0, s33
	s_delay_alu instid0(VALU_DEP_1) | instskip(SKIP_2) | instid1(VALU_DEP_1)
	v_rcp_iflag_f32_e32 v2, v2
	s_waitcnt_depctr 0xfff
	v_mul_f32_e32 v2, 0x4f7ffffe, v2
	v_cvt_u32_f32_e32 v2, v2
	s_delay_alu instid0(VALU_DEP_1) | instskip(NEXT) | instid1(VALU_DEP_1)
	v_mul_lo_u32 v3, s4, v2
	v_mul_hi_u32 v3, v2, v3
	s_delay_alu instid0(VALU_DEP_1) | instskip(NEXT) | instid1(VALU_DEP_1)
	v_add_nc_u32_e32 v2, v2, v3
	v_mul_hi_u32 v2, s70, v2
	s_delay_alu instid0(VALU_DEP_1) | instskip(NEXT) | instid1(VALU_DEP_1)
	v_mul_lo_u32 v2, v2, s33
	v_sub_nc_u32_e32 v2, s70, v2
	s_delay_alu instid0(VALU_DEP_1) | instskip(SKIP_1) | instid1(VALU_DEP_2)
	v_subrev_nc_u32_e32 v3, s33, v2
	v_cmp_le_u32_e32 vcc_lo, s33, v2
	v_cndmask_b32_e32 v2, v2, v3, vcc_lo
	s_delay_alu instid0(VALU_DEP_1) | instskip(SKIP_1) | instid1(VALU_DEP_2)
	v_subrev_nc_u32_e32 v3, s33, v2
	v_cmp_le_u32_e32 vcc_lo, s33, v2
	v_cndmask_b32_e32 v12, v2, v3, vcc_lo
	s_delay_alu instid0(VALU_DEP_1)
	v_dual_mov_b32 v2, v12 :: v_dual_mov_b32 v3, v13
.LBB4_219:                              ;   in Loop: Header=BB4_8 Depth=1
	s_delay_alu instid0(VALU_DEP_1) | instskip(NEXT) | instid1(VALU_DEP_2)
	v_sub_co_u32 v2, vcc_lo, s70, v2
	v_sub_co_ci_u32_e32 v3, vcc_lo, s47, v3, vcc_lo
	s_mov_b32 s52, 0
	s_mov_b32 s5, exec_lo
                                        ; implicit-def: $vgpr37
	s_delay_alu instid0(VALU_DEP_1)
	v_cmpx_gt_i64_e64 v[2:3], v[0:1]
	s_cbranch_execz .LBB4_231
; %bb.220:                              ;   in Loop: Header=BB4_8 Depth=1
	v_dual_mov_b32 v4, v10 :: v_dual_mov_b32 v5, v11
	v_dual_mov_b32 v7, v1 :: v_dual_mov_b32 v6, v0
	s_mov_b32 s17, 0
                                        ; implicit-def: $sgpr18
	s_set_inst_prefetch_distance 0x1
	s_branch .LBB4_222
	.p2align	6
.LBB4_221:                              ;   in Loop: Header=BB4_222 Depth=2
	s_or_b32 exec_lo, exec_lo, s4
	s_waitcnt lgkmcnt(0)
	s_barrier
	buffer_gl0_inv
	ds_load_u16 v8, v13 offset:3072
	v_add_co_u32 v6, vcc_lo, v6, s33
	v_add_co_ci_u32_e32 v7, vcc_lo, 0, v7, vcc_lo
	s_waitcnt lgkmcnt(0)
	s_barrier
	buffer_gl0_inv
	v_cmp_ge_i64_e32 vcc_lo, v[6:7], v[2:3]
	v_and_b32_e32 v9, 0xff, v8
	s_delay_alu instid0(VALU_DEP_1) | instskip(NEXT) | instid1(VALU_DEP_1)
	v_cmp_ne_u16_e64 s4, 0, v9
	s_or_b32 s44, s4, vcc_lo
	v_add_co_u32 v4, vcc_lo, v4, s64
	s_and_b32 s44, exec_lo, s44
	v_add_co_ci_u32_e32 v5, vcc_lo, s35, v5, vcc_lo
	s_or_b32 s17, s44, s17
	s_and_not1_b32 s18, s18, exec_lo
	s_and_b32 s4, s4, exec_lo
	s_delay_alu instid0(SALU_CYCLE_1)
	s_or_b32 s18, s18, s4
	s_and_not1_b32 exec_lo, exec_lo, s17
	s_cbranch_execz .LBB4_230
.LBB4_222:                              ;   Parent Loop BB4_8 Depth=1
                                        ; =>  This Inner Loop Header: Depth=2
	s_delay_alu instid0(VALU_DEP_1)
	v_cmp_gt_i64_e32 vcc_lo, s[24:25], v[6:7]
	v_mov_b32_e32 v8, 0
	s_and_saveexec_b32 s4, vcc_lo
	s_cbranch_execz .LBB4_224
; %bb.223:                              ;   in Loop: Header=BB4_222 Depth=2
	global_load_u8 v8, v[4:5], off
.LBB4_224:                              ;   in Loop: Header=BB4_222 Depth=2
	s_or_b32 exec_lo, exec_lo, s4
	s_waitcnt vmcnt(0)
	v_and_b32_e32 v9, s84, v8
	s_delay_alu instid0(VALU_DEP_1) | instskip(NEXT) | instid1(VALU_DEP_1)
	v_and_b32_e32 v9, 0xff, v9
	v_cmp_eq_u32_e64 s4, s85, v9
	s_delay_alu instid0(VALU_DEP_1) | instskip(NEXT) | instid1(SALU_CYCLE_1)
	s_and_b32 s44, vcc_lo, s4
	s_and_saveexec_b32 s4, s44
	s_cbranch_execz .LBB4_221
; %bb.225:                              ;   in Loop: Header=BB4_222 Depth=2
	v_lshlrev_b16 v8, 8, v8
	s_delay_alu instid0(VALU_DEP_1)
	v_or_b32_e32 v8, 1, v8
	ds_store_b16 v13, v8 offset:3072
	s_branch .LBB4_221
.LBB4_226:                              ;   in Loop: Header=BB4_8 Depth=1
                                        ; implicit-def: $sgpr17
                                        ; implicit-def: $sgpr44
                                        ; implicit-def: $sgpr18
	s_branch .LBB4_244
.LBB4_227:                              ;   in Loop: Header=BB4_8 Depth=1
                                        ; implicit-def: $vgpr2_vgpr3
	s_branch .LBB4_173
.LBB4_228:                              ;   in Loop: Header=BB4_8 Depth=1
                                        ; implicit-def: $vgpr2_vgpr3
	s_branch .LBB4_189
.LBB4_229:                              ;   in Loop: Header=BB4_8 Depth=1
	s_mov_b32 s17, -1
	s_mov_b32 s52, 0
                                        ; implicit-def: $sgpr18
                                        ; implicit-def: $vgpr37
	s_mov_b32 s44, s17
	s_cbranch_execnz .LBB4_232
	s_branch .LBB4_244
.LBB4_230:                              ;   in Loop: Header=BB4_8 Depth=1
	s_set_inst_prefetch_distance 0x2
	s_or_b32 exec_lo, exec_lo, s17
	v_lshrrev_b16 v37, 8, v8
	s_and_b32 s52, s18, exec_lo
.LBB4_231:                              ;   in Loop: Header=BB4_8 Depth=1
	s_or_b32 exec_lo, exec_lo, s5
	s_mov_b32 s18, -1
	s_mov_b32 s17, 0
	s_delay_alu instid0(SALU_CYCLE_1)
	s_mov_b32 s44, s17
	s_branch .LBB4_244
.LBB4_232:                              ;   in Loop: Header=BB4_8 Depth=1
	s_add_u32 s17, s68, s8
	s_addc_u32 s5, s69, s9
	s_mov_b32 s4, s45
	s_delay_alu instid0(SALU_CYCLE_1)
	s_cmp_lg_u64 s[4:5], 0
	s_cbranch_scc0 .LBB4_265
; %bb.233:                              ;   in Loop: Header=BB4_8 Depth=1
	v_cvt_f32_u32_e32 v2, s33
	s_sub_u32 s44, 0, s33
	s_subb_u32 s46, 0, 0
	s_delay_alu instid0(VALU_DEP_1) | instskip(NEXT) | instid1(VALU_DEP_1)
	v_fmac_f32_e32 v2, 0x4f800000, v36
	v_rcp_f32_e32 v2, v2
	s_waitcnt_depctr 0xfff
	v_mul_f32_e32 v2, 0x5f7ffffc, v2
	s_delay_alu instid0(VALU_DEP_1) | instskip(NEXT) | instid1(VALU_DEP_1)
	v_mul_f32_e32 v3, 0x2f800000, v2
	v_trunc_f32_e32 v3, v3
	s_delay_alu instid0(VALU_DEP_1) | instskip(SKIP_1) | instid1(VALU_DEP_2)
	v_fmac_f32_e32 v2, 0xcf800000, v3
	v_cvt_u32_f32_e32 v3, v3
	v_cvt_u32_f32_e32 v2, v2
	s_delay_alu instid0(VALU_DEP_2) | instskip(NEXT) | instid1(VALU_DEP_2)
	v_readfirstlane_b32 s4, v3
	v_readfirstlane_b32 s18, v2
	s_delay_alu instid0(VALU_DEP_2) | instskip(NEXT) | instid1(VALU_DEP_1)
	s_mul_i32 s52, s44, s4
	s_mul_hi_u32 s54, s44, s18
	s_mul_i32 s53, s46, s18
	s_add_i32 s52, s54, s52
	s_mul_i32 s55, s44, s18
	s_add_i32 s52, s52, s53
	s_mul_hi_u32 s54, s18, s55
	s_mul_hi_u32 s56, s4, s55
	s_mul_i32 s53, s4, s55
	s_mul_hi_u32 s55, s18, s52
	s_mul_i32 s18, s18, s52
	s_mul_hi_u32 s57, s4, s52
	s_add_u32 s18, s54, s18
	s_addc_u32 s54, 0, s55
	s_add_u32 s18, s18, s53
	s_mul_i32 s52, s4, s52
	s_addc_u32 s18, s54, s56
	s_addc_u32 s53, s57, 0
	s_add_u32 s18, s18, s52
	s_addc_u32 s52, 0, s53
	v_add_co_u32 v2, s18, v2, s18
	s_delay_alu instid0(VALU_DEP_1) | instskip(SKIP_1) | instid1(VALU_DEP_1)
	s_cmp_lg_u32 s18, 0
	s_addc_u32 s4, s4, s52
	v_readfirstlane_b32 s18, v2
	s_mul_i32 s52, s44, s4
	s_delay_alu instid0(VALU_DEP_1)
	s_mul_hi_u32 s53, s44, s18
	s_mul_i32 s46, s46, s18
	s_add_i32 s52, s53, s52
	s_mul_i32 s44, s44, s18
	s_add_i32 s52, s52, s46
	s_mul_hi_u32 s53, s4, s44
	s_mul_i32 s54, s4, s44
	s_mul_hi_u32 s44, s18, s44
	s_mul_hi_u32 s55, s18, s52
	s_mul_i32 s18, s18, s52
	s_mul_hi_u32 s46, s4, s52
	s_add_u32 s18, s44, s18
	s_addc_u32 s44, 0, s55
	s_add_u32 s18, s18, s54
	s_mul_i32 s52, s4, s52
	s_addc_u32 s18, s44, s53
	s_addc_u32 s44, s46, 0
	s_add_u32 s18, s18, s52
	s_addc_u32 s44, 0, s44
	v_add_co_u32 v2, s18, v2, s18
	s_delay_alu instid0(VALU_DEP_1) | instskip(SKIP_2) | instid1(VALU_DEP_1)
	s_cmp_lg_u32 s18, 0
	s_addc_u32 s4, s4, s44
	s_ashr_i32 s52, s5, 31
	v_readfirstlane_b32 s18, v2
	s_add_u32 s54, s17, s52
	s_mov_b32 s53, s52
	s_addc_u32 s55, s5, s52
	s_delay_alu instid0(SALU_CYCLE_1) | instskip(NEXT) | instid1(SALU_CYCLE_1)
	s_xor_b64 s[54:55], s[54:55], s[52:53]
	s_mul_i32 s46, s54, s4
	s_mul_hi_u32 s53, s54, s18
	s_mul_hi_u32 s44, s54, s4
	;; [unrolled: 1-line block ×3, first 2 shown]
	s_mul_i32 s18, s55, s18
	s_add_u32 s46, s53, s46
	s_addc_u32 s44, 0, s44
	s_mul_hi_u32 s56, s55, s4
	s_add_u32 s18, s46, s18
	s_mul_i32 s4, s55, s4
	s_addc_u32 s18, s44, s57
	s_addc_u32 s44, s56, 0
	s_add_u32 s4, s18, s4
	s_addc_u32 s18, 0, s44
	s_mul_hi_u32 s44, s33, s4
	s_mul_i32 s4, s33, s4
	s_mul_i32 s18, s33, s18
	v_sub_co_u32 v2, s4, s54, s4
	s_add_i32 s44, s44, s18
	s_cmp_lg_u32 s4, 0
	s_delay_alu instid0(VALU_DEP_1) | instskip(SKIP_2) | instid1(VALU_DEP_1)
	v_sub_co_u32 v3, s4, v2, s33
	s_subb_u32 s18, s55, s44
	s_cmp_lg_u32 s4, 0
	v_cmp_le_u32_e32 vcc_lo, s33, v3
	v_sub_co_u32 v4, s4, v3, s33
	s_subb_u32 s44, s18, 0
	s_cmp_lg_u32 s4, 0
	v_cndmask_b32_e64 v5, 0, -1, vcc_lo
	s_subb_u32 s4, s44, 0
	s_cmp_eq_u32 s44, 0
	v_mov_b32_e32 v7, s4
	s_cselect_b32 vcc_lo, -1, 0
	s_cmp_eq_u32 s18, 0
	v_cndmask_b32_e32 v5, -1, v5, vcc_lo
	v_cmp_le_u32_e32 vcc_lo, s33, v2
	s_cselect_b32 s4, -1, 0
	v_cndmask_b32_e64 v6, 0, -1, vcc_lo
	s_delay_alu instid0(VALU_DEP_3) | instskip(NEXT) | instid1(VALU_DEP_2)
	v_cmp_ne_u32_e32 vcc_lo, 0, v5
	v_cndmask_b32_e64 v5, -1, v6, s4
	v_cndmask_b32_e32 v3, v3, v4, vcc_lo
	v_cndmask_b32_e32 v6, s44, v7, vcc_lo
	s_delay_alu instid0(VALU_DEP_3) | instskip(NEXT) | instid1(VALU_DEP_3)
	v_cmp_ne_u32_e32 vcc_lo, 0, v5
	v_cndmask_b32_e32 v2, v2, v3, vcc_lo
	s_delay_alu instid0(VALU_DEP_3) | instskip(NEXT) | instid1(VALU_DEP_2)
	v_cndmask_b32_e32 v4, s18, v6, vcc_lo
	v_xor_b32_e32 v2, s52, v2
	s_delay_alu instid0(VALU_DEP_2) | instskip(NEXT) | instid1(VALU_DEP_2)
	v_xor_b32_e32 v3, s52, v4
	v_sub_co_u32 v2, vcc_lo, v2, s52
	s_delay_alu instid0(VALU_DEP_2)
	v_subrev_co_ci_u32_e32 v3, vcc_lo, s52, v3, vcc_lo
	s_cbranch_execnz .LBB4_235
.LBB4_234:                              ;   in Loop: Header=BB4_8 Depth=1
	v_cvt_f32_u32_e32 v2, s33
	s_sub_i32 s4, 0, s33
	s_delay_alu instid0(VALU_DEP_1) | instskip(SKIP_2) | instid1(VALU_DEP_1)
	v_rcp_iflag_f32_e32 v2, v2
	s_waitcnt_depctr 0xfff
	v_mul_f32_e32 v2, 0x4f7ffffe, v2
	v_cvt_u32_f32_e32 v2, v2
	s_delay_alu instid0(VALU_DEP_1) | instskip(NEXT) | instid1(VALU_DEP_1)
	v_mul_lo_u32 v3, s4, v2
	v_mul_hi_u32 v3, v2, v3
	s_delay_alu instid0(VALU_DEP_1) | instskip(NEXT) | instid1(VALU_DEP_1)
	v_add_nc_u32_e32 v2, v2, v3
	v_mul_hi_u32 v2, s17, v2
	s_delay_alu instid0(VALU_DEP_1) | instskip(NEXT) | instid1(VALU_DEP_1)
	v_mul_lo_u32 v2, v2, s33
	v_sub_nc_u32_e32 v2, s17, v2
	s_delay_alu instid0(VALU_DEP_1) | instskip(SKIP_1) | instid1(VALU_DEP_2)
	v_subrev_nc_u32_e32 v3, s33, v2
	v_cmp_le_u32_e32 vcc_lo, s33, v2
	v_cndmask_b32_e32 v2, v2, v3, vcc_lo
	s_delay_alu instid0(VALU_DEP_1) | instskip(SKIP_1) | instid1(VALU_DEP_2)
	v_subrev_nc_u32_e32 v3, s33, v2
	v_cmp_le_u32_e32 vcc_lo, s33, v2
	v_cndmask_b32_e32 v12, v2, v3, vcc_lo
	s_delay_alu instid0(VALU_DEP_1)
	v_dual_mov_b32 v2, v12 :: v_dual_mov_b32 v3, v13
.LBB4_235:                              ;   in Loop: Header=BB4_8 Depth=1
	s_delay_alu instid0(VALU_DEP_1) | instskip(NEXT) | instid1(VALU_DEP_2)
	v_sub_co_u32 v2, vcc_lo, s17, v2
	v_sub_co_ci_u32_e32 v3, vcc_lo, s5, v3, vcc_lo
	s_mov_b32 s52, 0
	s_mov_b32 s5, exec_lo
                                        ; implicit-def: $vgpr37
	s_delay_alu instid0(VALU_DEP_1)
	v_cmpx_gt_i64_e64 v[2:3], v[0:1]
	s_cbranch_execz .LBB4_243
; %bb.236:                              ;   in Loop: Header=BB4_8 Depth=1
	v_dual_mov_b32 v6, v0 :: v_dual_mov_b32 v5, v1
	v_mov_b32_e32 v4, v0
	s_mov_b32 s17, 0
                                        ; implicit-def: $sgpr18
	s_set_inst_prefetch_distance 0x1
	s_branch .LBB4_238
	.p2align	6
.LBB4_237:                              ;   in Loop: Header=BB4_238 Depth=2
	s_or_b32 exec_lo, exec_lo, s4
	s_waitcnt lgkmcnt(0)
	s_barrier
	buffer_gl0_inv
	ds_load_u16 v7, v13 offset:3072
	v_add_co_u32 v4, vcc_lo, v4, s33
	v_add_co_ci_u32_e32 v5, vcc_lo, 0, v5, vcc_lo
	v_add_nc_u32_e32 v6, s33, v6
	s_waitcnt lgkmcnt(0)
	s_barrier
	s_delay_alu instid0(VALU_DEP_2) | instskip(SKIP_2) | instid1(VALU_DEP_1)
	v_cmp_ge_i64_e32 vcc_lo, v[4:5], v[2:3]
	buffer_gl0_inv
	v_and_b32_e32 v8, 0xff, v7
	v_cmp_ne_u16_e64 s4, 0, v8
	s_delay_alu instid0(VALU_DEP_1) | instskip(NEXT) | instid1(SALU_CYCLE_1)
	s_or_b32 s44, s4, vcc_lo
	s_and_b32 s44, exec_lo, s44
	s_delay_alu instid0(SALU_CYCLE_1) | instskip(SKIP_2) | instid1(SALU_CYCLE_1)
	s_or_b32 s17, s44, s17
	s_and_not1_b32 s18, s18, exec_lo
	s_and_b32 s4, s4, exec_lo
	s_or_b32 s18, s18, s4
	s_and_not1_b32 exec_lo, exec_lo, s17
	s_cbranch_execz .LBB4_242
.LBB4_238:                              ;   Parent Loop BB4_8 Depth=1
                                        ; =>  This Inner Loop Header: Depth=2
	s_delay_alu instid0(VALU_DEP_1)
	v_cmp_gt_i64_e32 vcc_lo, s[8:9], v[4:5]
	v_mov_b32_e32 v7, 0
	s_and_saveexec_b32 s4, vcc_lo
	s_cbranch_execz .LBB4_240
; %bb.239:                              ;   in Loop: Header=BB4_238 Depth=2
	ds_load_u8 v7, v6
.LBB4_240:                              ;   in Loop: Header=BB4_238 Depth=2
	s_or_b32 exec_lo, exec_lo, s4
	s_waitcnt lgkmcnt(0)
	v_and_b32_e32 v8, s84, v7
	s_delay_alu instid0(VALU_DEP_1) | instskip(NEXT) | instid1(VALU_DEP_1)
	v_and_b32_e32 v8, 0xff, v8
	v_cmp_eq_u32_e64 s4, s85, v8
	s_delay_alu instid0(VALU_DEP_1) | instskip(NEXT) | instid1(SALU_CYCLE_1)
	s_and_b32 s44, vcc_lo, s4
	s_and_saveexec_b32 s4, s44
	s_cbranch_execz .LBB4_237
; %bb.241:                              ;   in Loop: Header=BB4_238 Depth=2
	v_lshlrev_b16 v7, 8, v7
	s_delay_alu instid0(VALU_DEP_1)
	v_or_b32_e32 v7, 1, v7
	ds_store_b16 v13, v7 offset:3072
	s_branch .LBB4_237
.LBB4_242:                              ;   in Loop: Header=BB4_8 Depth=1
	s_set_inst_prefetch_distance 0x2
	s_or_b32 exec_lo, exec_lo, s17
	v_lshrrev_b16 v37, 8, v7
	s_and_b32 s52, s18, exec_lo
.LBB4_243:                              ;   in Loop: Header=BB4_8 Depth=1
	s_or_b32 exec_lo, exec_lo, s5
	s_mov_b32 s44, -1
	s_mov_b32 s17, 0
	s_mov_b32 s18, 0
.LBB4_244:                              ;   in Loop: Header=BB4_8 Depth=1
	s_mov_b32 s9, 0
                                        ; implicit-def: $sgpr46
                                        ; implicit-def: $sgpr4_sgpr5
	s_and_saveexec_b32 s8, s52
	s_cbranch_execz .LBB4_257
; %bb.245:                              ;   in Loop: Header=BB4_8 Depth=1
	s_xor_b32 s9, s11, -1
	s_mov_b64 s[4:5], 1
	s_and_not1_b32 vcc_lo, exec_lo, s9
	s_mov_b32 s46, 1
	s_cbranch_vccnz .LBB4_256
; %bb.246:                              ;   in Loop: Header=BB4_8 Depth=1
	v_cmp_gt_i64_e64 s4, s[26:27], s[6:7]
	s_delay_alu instid0(VALU_DEP_1)
	s_and_b32 vcc_lo, exec_lo, s4
	s_cbranch_vccnz .LBB4_252
; %bb.247:                              ;   in Loop: Header=BB4_8 Depth=1
	ds_load_b64 v[2:3], v13 offset:5120
	s_waitcnt lgkmcnt(0)
	v_cmp_ne_u64_e32 vcc_lo, 0, v[2:3]
	s_cbranch_vccnz .LBB4_251
; %bb.248:                              ;   in Loop: Header=BB4_8 Depth=1
	s_and_saveexec_b32 s4, s0
	s_cbranch_execz .LBB4_250
; %bb.249:                              ;   in Loop: Header=BB4_8 Depth=1
	v_dual_mov_b32 v2, s6 :: v_dual_mov_b32 v3, s7
	ds_store_b64 v13, v[2:3] offset:5128
.LBB4_250:                              ;   in Loop: Header=BB4_8 Depth=1
	s_or_b32 exec_lo, exec_lo, s4
	s_waitcnt lgkmcnt(0)
	s_barrier
	buffer_gl0_inv
.LBB4_251:                              ;   in Loop: Header=BB4_8 Depth=1
	s_or_b32 s9, s85, s16
	s_or_b32 s11, s84, s16
	s_mov_b32 s4, 0
	s_mov_b32 s46, 8
	s_branch .LBB4_253
.LBB4_252:                              ;   in Loop: Header=BB4_8 Depth=1
	s_mov_b32 s4, -1
                                        ; implicit-def: $sgpr46
                                        ; implicit-def: $sgpr9
                                        ; implicit-def: $sgpr11
.LBB4_253:                              ;   in Loop: Header=BB4_8 Depth=1
	s_delay_alu instid0(SALU_CYCLE_1)
	s_and_not1_b32 vcc_lo, exec_lo, s4
	s_cbranch_vccnz .LBB4_255
; %bb.254:                              ;   in Loop: Header=BB4_8 Depth=1
	s_sub_u32 s26, s26, s6
	s_subb_u32 s27, s27, s7
	s_mov_b32 s46, 8
	s_mov_b32 s9, s85
	;; [unrolled: 1-line block ×3, first 2 shown]
.LBB4_255:                              ;   in Loop: Header=BB4_8 Depth=1
	s_mov_b64 s[4:5], s[26:27]
	s_mov_b32 s85, s9
	s_mov_b32 s84, s11
.LBB4_256:                              ;   in Loop: Header=BB4_8 Depth=1
	s_mov_b32 s9, exec_lo
.LBB4_257:                              ;   in Loop: Header=BB4_8 Depth=1
	s_or_b32 exec_lo, exec_lo, s8
	s_mov_b64 s[26:27], s[4:5]
.LBB4_258:                              ;   in Loop: Header=BB4_8 Depth=1
	s_and_not1_b32 s4, s13, exec_lo
	s_and_b32 s5, s17, exec_lo
	s_and_not1_b32 s6, s22, exec_lo
	s_or_b32 s13, s4, s5
	s_and_not1_b32 s4, s23, exec_lo
	s_and_b32 s5, s44, exec_lo
	s_and_b32 s7, s18, exec_lo
	s_or_b32 s23, s4, s5
	s_or_b32 s22, s6, s7
	s_and_b32 s5, s9, exec_lo
.LBB4_259:                              ;   in Loop: Header=BB4_8 Depth=1
	s_or_b32 exec_lo, exec_lo, s10
.LBB4_260:                              ;   in Loop: Header=BB4_8 Depth=1
	s_delay_alu instid0(SALU_CYCLE_1)
	s_and_not1_b32 s4, s20, exec_lo
	s_and_b32 s6, s13, exec_lo
	s_and_not1_b32 s7, s19, exec_lo
	s_or_b32 s20, s4, s6
	s_and_not1_b32 s4, s21, exec_lo
	s_and_b32 s6, s23, exec_lo
	s_and_b32 s8, s22, exec_lo
	s_or_b32 s21, s4, s6
	s_or_b32 s19, s7, s8
	s_and_b32 s5, s5, exec_lo
.LBB4_261:                              ;   in Loop: Header=BB4_8 Depth=1
	s_or_b32 exec_lo, exec_lo, s12
	s_and_saveexec_b32 s4, s5
	s_delay_alu instid0(SALU_CYCLE_1)
	s_xor_b32 s4, exec_lo, s4
	s_cbranch_execz .LBB4_6
.LBB4_262:                              ;   in Loop: Header=BB4_8 Depth=1
	s_and_b32 s5, s46, -9
	s_delay_alu instid0(SALU_CYCLE_1)
	s_cmp_eq_u32 s5, 0
	s_cbranch_scc1 .LBB4_4
; %bb.263:                              ;   in Loop: Header=BB4_8 Depth=1
	s_mov_b32 s5, -1
	s_mov_b32 s6, -1
                                        ; implicit-def: $sgpr84
                                        ; implicit-def: $sgpr75
                                        ; implicit-def: $sgpr80
	s_branch .LBB4_5
.LBB4_264:                              ;   in Loop: Header=BB4_8 Depth=1
                                        ; implicit-def: $vgpr2_vgpr3
	s_branch .LBB4_218
.LBB4_265:                              ;   in Loop: Header=BB4_8 Depth=1
                                        ; implicit-def: $vgpr2_vgpr3
	s_branch .LBB4_234
.LBB4_266:
	s_or_b32 exec_lo, exec_lo, s76
	s_xor_b32 s5, s79, -1
	s_xor_b32 s2, s77, -1
	;; [unrolled: 1-line block ×3, first 2 shown]
	s_mov_b32 s3, 0
	s_and_saveexec_b32 s6, s2
	s_delay_alu instid0(SALU_CYCLE_1)
	s_xor_b32 s2, exec_lo, s6
	s_cbranch_execz .LBB4_289
; %bb.267:
	s_and_saveexec_b32 s3, s5
	s_delay_alu instid0(SALU_CYCLE_1)
	s_xor_b32 s3, exec_lo, s3
	s_cbranch_execz .LBB4_287
; %bb.268:
	s_and_saveexec_b32 s5, s4
	s_delay_alu instid0(SALU_CYCLE_1)
	s_xor_b32 s4, exec_lo, s5
; %bb.269:
	v_mov_b32_e32 v37, v2
; %bb.270:
	s_or_b32 exec_lo, exec_lo, s4
	s_and_saveexec_b32 s4, s0
	s_cbranch_execz .LBB4_272
; %bb.271:
	v_dual_mov_b32 v2, 0 :: v_dual_mov_b32 v3, s24
	ds_store_b32 v2, v3 offset:5140
.LBB4_272:
	s_or_b32 exec_lo, exec_lo, s4
	s_waitcnt lgkmcnt(0)
	s_barrier
	buffer_gl0_inv
	s_and_saveexec_b32 s4, s1
	s_cbranch_execz .LBB4_284
; %bb.273:
	v_mov_b32_e32 v2, 0
	v_and_b32_e32 v6, 0xff, v37
	s_mov_b32 s5, 0
                                        ; implicit-def: $sgpr6
                                        ; implicit-def: $sgpr7
                                        ; implicit-def: $sgpr8
	ds_load_b32 v4, v2 offset:5140
	s_waitcnt lgkmcnt(0)
	v_ashrrev_i32_e32 v5, 31, v4
	s_set_inst_prefetch_distance 0x1
	s_branch .LBB4_276
	.p2align	6
.LBB4_274:                              ;   in Loop: Header=BB4_276 Depth=1
	s_or_b32 exec_lo, exec_lo, s11
	s_delay_alu instid0(SALU_CYCLE_1)
	s_and_not1_b32 s8, s8, exec_lo
	s_and_b32 s10, s10, exec_lo
	s_and_not1_b32 s7, s7, exec_lo
	s_and_b32 s1, s1, exec_lo
	s_or_b32 s8, s8, s10
	s_or_b32 s7, s7, s1
.LBB4_275:                              ;   in Loop: Header=BB4_276 Depth=1
	s_or_b32 exec_lo, exec_lo, s9
	s_delay_alu instid0(SALU_CYCLE_1) | instskip(NEXT) | instid1(SALU_CYCLE_1)
	s_and_b32 s1, exec_lo, s7
	s_or_b32 s5, s1, s5
	s_and_not1_b32 s1, s6, exec_lo
	s_and_b32 s6, s8, exec_lo
	s_delay_alu instid0(SALU_CYCLE_1)
	s_or_b32 s6, s1, s6
	s_and_not1_b32 exec_lo, exec_lo, s5
	s_cbranch_execz .LBB4_279
.LBB4_276:                              ; =>This Inner Loop Header: Depth=1
	v_dual_mov_b32 v3, v1 :: v_dual_mov_b32 v2, v0
	s_or_b32 s8, s8, exec_lo
	s_or_b32 s7, s7, exec_lo
	s_mov_b32 s9, exec_lo
                                        ; implicit-def: $vgpr0_vgpr1
	s_delay_alu instid0(VALU_DEP_1)
	v_cmpx_lt_i64_e64 v[2:3], v[4:5]
	s_cbranch_execz .LBB4_275
; %bb.277:                              ;   in Loop: Header=BB4_276 Depth=1
	global_load_u8 v0, v[10:11], off
	s_mov_b32 s1, -1
	s_mov_b32 s10, 0
	s_waitcnt vmcnt(0)
	v_cmp_ne_u16_e32 vcc_lo, v0, v6
                                        ; implicit-def: $vgpr0_vgpr1
	s_and_saveexec_b32 s11, vcc_lo
	s_cbranch_execz .LBB4_274
; %bb.278:                              ;   in Loop: Header=BB4_276 Depth=1
	v_add_co_u32 v0, vcc_lo, v2, s33
	v_add_co_ci_u32_e32 v1, vcc_lo, 0, v3, vcc_lo
	v_add_co_u32 v10, s1, v10, s64
	s_delay_alu instid0(VALU_DEP_1) | instskip(NEXT) | instid1(VALU_DEP_3)
	v_add_co_ci_u32_e64 v11, s1, s35, v11, s1
	v_cmp_le_i64_e32 vcc_lo, s[24:25], v[0:1]
	s_mov_b32 s10, exec_lo
	s_or_not1_b32 s1, vcc_lo, exec_lo
	s_branch .LBB4_274
.LBB4_279:
	s_set_inst_prefetch_distance 0x2
	s_or_b32 exec_lo, exec_lo, s5
	s_xor_b32 s1, s6, -1
	s_delay_alu instid0(SALU_CYCLE_1) | instskip(NEXT) | instid1(SALU_CYCLE_1)
	s_and_saveexec_b32 s5, s1
	s_xor_b32 s5, exec_lo, s5
	s_cbranch_execz .LBB4_284
; %bb.280:
	s_mov_b32 s5, exec_lo
	s_brev_b32 s1, -2
.LBB4_281:                              ; =>This Inner Loop Header: Depth=1
	s_ctz_i32_b32 s6, s5
	s_delay_alu instid0(SALU_CYCLE_1) | instskip(SKIP_1) | instid1(SALU_CYCLE_1)
	v_readlane_b32 s7, v2, s6
	s_lshl_b32 s6, 1, s6
	s_and_not1_b32 s5, s5, s6
	s_delay_alu instid0(VALU_DEP_1)
	s_min_i32 s1, s1, s7
	s_cmp_lg_u32 s5, 0
	s_cbranch_scc1 .LBB4_281
; %bb.282:
	v_mbcnt_lo_u32_b32 v0, exec_lo, 0
	s_mov_b32 s5, exec_lo
	s_delay_alu instid0(VALU_DEP_1)
	v_cmpx_eq_u32_e32 0, v0
	s_xor_b32 s5, exec_lo, s5
	s_cbranch_execz .LBB4_284
; %bb.283:
	v_dual_mov_b32 v0, 0 :: v_dual_mov_b32 v1, s1
	ds_min_i32 v0, v1 offset:5140
.LBB4_284:
	s_or_b32 exec_lo, exec_lo, s4
	s_waitcnt lgkmcnt(0)
	s_barrier
	buffer_gl0_inv
	s_and_saveexec_b32 s1, s0
	s_cbranch_execz .LBB4_286
; %bb.285:
	v_mov_b32_e32 v2, 0
	s_mul_i32 s0, s41, s34
	s_mul_hi_u32 s5, s40, s34
	s_mul_i32 s7, s39, s34
	s_mul_hi_u32 s8, s38, s34
	ds_load_b32 v0, v2 offset:5140
	s_mul_i32 s6, s40, s34
	s_mul_i32 s4, s38, s34
	s_add_i32 s0, s5, s0
	s_add_i32 s5, s8, s7
	s_add_u32 s6, s36, s6
	s_addc_u32 s7, s37, s0
	s_lshl_b64 s[4:5], s[4:5], 3
	s_delay_alu instid0(SALU_CYCLE_1)
	s_add_u32 s4, s28, s4
	s_addc_u32 s5, s29, s5
	s_waitcnt lgkmcnt(0)
	v_ashrrev_i32_e32 v1, 31, v0
	s_clause 0x1
	global_store_b64 v2, v[0:1], s[4:5]
	global_store_b8 v2, v37, s[6:7]
.LBB4_286:
	s_or_b32 exec_lo, exec_lo, s1
.LBB4_287:
	s_or_saveexec_b32 s0, s3
	s_mov_b32 s1, 0
	s_xor_b32 exec_lo, exec_lo, s0
	s_cbranch_execnz .LBB4_295
.LBB4_288:
	s_or_b32 exec_lo, exec_lo, s0
	s_delay_alu instid0(SALU_CYCLE_1)
	s_and_b32 s3, s1, exec_lo
.LBB4_289:
	s_and_not1_saveexec_b32 s0, s2
	s_cbranch_execnz .LBB4_293
; %bb.290:
	s_or_b32 exec_lo, exec_lo, s0
	s_and_saveexec_b32 s0, s3
.LBB4_291:
	; divergent unreachable
.LBB4_292:
	s_nop 0
	s_sendmsg sendmsg(MSG_DEALLOC_VGPRS)
	s_endpgm
.LBB4_293:
	s_cbranch_execnz .LBB4_297
; %bb.294:
	s_or_b32 s3, s3, exec_lo
	s_or_b32 exec_lo, exec_lo, s0
	s_and_saveexec_b32 s0, s3
	s_cbranch_execnz .LBB4_291
	s_branch .LBB4_292
.LBB4_295:
	s_cbranch_execnz .LBB4_299
; %bb.296:
	s_mov_b32 s1, exec_lo
	s_branch .LBB4_288
.LBB4_297:
	s_trap 2
	s_sendmsg_rtn_b32 s0, sendmsg(MSG_RTN_GET_DOORBELL)
	s_mov_b32 ttmp2, m0
	s_waitcnt lgkmcnt(0)
	s_and_b32 s0, s0, 0x3ff
	s_delay_alu instid0(SALU_CYCLE_1) | instskip(NEXT) | instid1(SALU_CYCLE_1)
	s_bitset1_b32 s0, 10
	s_mov_b32 m0, s0
	s_sendmsg sendmsg(MSG_INTERRUPT)
	s_mov_b32 m0, ttmp2
.LBB4_298:                              ; =>This Inner Loop Header: Depth=1
	s_sethalt 5
	s_branch .LBB4_298
.LBB4_299:
	s_trap 2
	s_sendmsg_rtn_b32 s0, sendmsg(MSG_RTN_GET_DOORBELL)
	s_mov_b32 ttmp2, m0
	s_waitcnt lgkmcnt(0)
	s_and_b32 s0, s0, 0x3ff
	s_delay_alu instid0(SALU_CYCLE_1) | instskip(NEXT) | instid1(SALU_CYCLE_1)
	s_bitset1_b32 s0, 10
	s_mov_b32 m0, s0
	s_sendmsg sendmsg(MSG_INTERRUPT)
	s_mov_b32 m0, ttmp2
.LBB4_300:                              ; =>This Inner Loop Header: Depth=1
	s_sethalt 5
	s_branch .LBB4_300
	.section	.rodata,"a",@progbits
	.p2align	6, 0x0
	.amdhsa_kernel _ZN2at6native12_GLOBAL__N_114gatherKthValueIhlLi1EEEvNS_4cuda6detail10TensorInfoIKT_T0_EES8_S8_S8_S8_NS5_IS6_S8_EENS5_IlS8_EE
		.amdhsa_group_segment_fixed_size 5144
		.amdhsa_private_segment_fixed_size 0
		.amdhsa_kernarg_size 1536
		.amdhsa_user_sgpr_count 13
		.amdhsa_user_sgpr_dispatch_ptr 0
		.amdhsa_user_sgpr_queue_ptr 0
		.amdhsa_user_sgpr_kernarg_segment_ptr 1
		.amdhsa_user_sgpr_dispatch_id 0
		.amdhsa_user_sgpr_private_segment_size 0
		.amdhsa_wavefront_size32 1
		.amdhsa_uses_dynamic_stack 0
		.amdhsa_enable_private_segment 0
		.amdhsa_system_sgpr_workgroup_id_x 1
		.amdhsa_system_sgpr_workgroup_id_y 1
		.amdhsa_system_sgpr_workgroup_id_z 1
		.amdhsa_system_sgpr_workgroup_info 0
		.amdhsa_system_vgpr_workitem_id 0
		.amdhsa_next_free_vgpr 42
		.amdhsa_next_free_sgpr 90
		.amdhsa_reserve_vcc 1
		.amdhsa_float_round_mode_32 0
		.amdhsa_float_round_mode_16_64 0
		.amdhsa_float_denorm_mode_32 3
		.amdhsa_float_denorm_mode_16_64 3
		.amdhsa_dx10_clamp 1
		.amdhsa_ieee_mode 1
		.amdhsa_fp16_overflow 0
		.amdhsa_workgroup_processor_mode 1
		.amdhsa_memory_ordered 1
		.amdhsa_forward_progress 0
		.amdhsa_shared_vgpr_count 0
		.amdhsa_exception_fp_ieee_invalid_op 0
		.amdhsa_exception_fp_denorm_src 0
		.amdhsa_exception_fp_ieee_div_zero 0
		.amdhsa_exception_fp_ieee_overflow 0
		.amdhsa_exception_fp_ieee_underflow 0
		.amdhsa_exception_fp_ieee_inexact 0
		.amdhsa_exception_int_div_zero 0
	.end_amdhsa_kernel
	.section	.text._ZN2at6native12_GLOBAL__N_114gatherKthValueIhlLi1EEEvNS_4cuda6detail10TensorInfoIKT_T0_EES8_S8_S8_S8_NS5_IS6_S8_EENS5_IlS8_EE,"axG",@progbits,_ZN2at6native12_GLOBAL__N_114gatherKthValueIhlLi1EEEvNS_4cuda6detail10TensorInfoIKT_T0_EES8_S8_S8_S8_NS5_IS6_S8_EENS5_IlS8_EE,comdat
.Lfunc_end4:
	.size	_ZN2at6native12_GLOBAL__N_114gatherKthValueIhlLi1EEEvNS_4cuda6detail10TensorInfoIKT_T0_EES8_S8_S8_S8_NS5_IS6_S8_EENS5_IlS8_EE, .Lfunc_end4-_ZN2at6native12_GLOBAL__N_114gatherKthValueIhlLi1EEEvNS_4cuda6detail10TensorInfoIKT_T0_EES8_S8_S8_S8_NS5_IS6_S8_EENS5_IlS8_EE
                                        ; -- End function
	.section	.AMDGPU.csdata,"",@progbits
; Kernel info:
; codeLenInByte = 16996
; NumSgprs: 92
; NumVgprs: 42
; ScratchSize: 0
; MemoryBound: 0
; FloatMode: 240
; IeeeMode: 1
; LDSByteSize: 5144 bytes/workgroup (compile time only)
; SGPRBlocks: 11
; VGPRBlocks: 5
; NumSGPRsForWavesPerEU: 92
; NumVGPRsForWavesPerEU: 42
; Occupancy: 16
; WaveLimiterHint : 1
; COMPUTE_PGM_RSRC2:SCRATCH_EN: 0
; COMPUTE_PGM_RSRC2:USER_SGPR: 13
; COMPUTE_PGM_RSRC2:TRAP_HANDLER: 0
; COMPUTE_PGM_RSRC2:TGID_X_EN: 1
; COMPUTE_PGM_RSRC2:TGID_Y_EN: 1
; COMPUTE_PGM_RSRC2:TGID_Z_EN: 1
; COMPUTE_PGM_RSRC2:TIDIG_COMP_CNT: 0
	.section	.text._ZN2at6native12_GLOBAL__N_114gatherKthValueIhlLi2EEEvNS_4cuda6detail10TensorInfoIKT_T0_EES8_S8_S8_S8_NS5_IS6_S8_EENS5_IlS8_EE,"axG",@progbits,_ZN2at6native12_GLOBAL__N_114gatherKthValueIhlLi2EEEvNS_4cuda6detail10TensorInfoIKT_T0_EES8_S8_S8_S8_NS5_IS6_S8_EENS5_IlS8_EE,comdat
	.globl	_ZN2at6native12_GLOBAL__N_114gatherKthValueIhlLi2EEEvNS_4cuda6detail10TensorInfoIKT_T0_EES8_S8_S8_S8_NS5_IS6_S8_EENS5_IlS8_EE ; -- Begin function _ZN2at6native12_GLOBAL__N_114gatherKthValueIhlLi2EEEvNS_4cuda6detail10TensorInfoIKT_T0_EES8_S8_S8_S8_NS5_IS6_S8_EENS5_IlS8_EE
	.p2align	8
	.type	_ZN2at6native12_GLOBAL__N_114gatherKthValueIhlLi2EEEvNS_4cuda6detail10TensorInfoIKT_T0_EES8_S8_S8_S8_NS5_IS6_S8_EENS5_IlS8_EE,@function
_ZN2at6native12_GLOBAL__N_114gatherKthValueIhlLi2EEEvNS_4cuda6detail10TensorInfoIKT_T0_EES8_S8_S8_S8_NS5_IS6_S8_EENS5_IlS8_EE: ; @_ZN2at6native12_GLOBAL__N_114gatherKthValueIhlLi2EEEvNS_4cuda6detail10TensorInfoIKT_T0_EES8_S8_S8_S8_NS5_IS6_S8_EENS5_IlS8_EE
; %bb.0:
	s_clause 0x1
	s_load_b64 s[10:11], s[0:1], 0x500
	s_load_b256 s[24:31], s[0:1], 0x1a0
	s_add_u32 s8, s0, 0x500
	s_addc_u32 s9, s1, 0
	s_mov_b32 s35, 0
	s_waitcnt lgkmcnt(0)
	s_mul_i32 s2, s11, s15
	s_delay_alu instid0(SALU_CYCLE_1) | instskip(NEXT) | instid1(SALU_CYCLE_1)
	s_add_i32 s2, s2, s14
	s_mul_i32 s2, s2, s10
	s_delay_alu instid0(SALU_CYCLE_1) | instskip(NEXT) | instid1(SALU_CYCLE_1)
	s_add_i32 s34, s2, s13
	v_cmp_ge_i64_e64 s2, s[34:35], s[28:29]
	s_delay_alu instid0(VALU_DEP_1)
	s_and_b32 vcc_lo, exec_lo, s2
	s_cbranch_vccnz .LBB5_304
; %bb.1:
	s_clause 0x1
	s_load_b64 s[14:15], s[0:1], 0x10
	s_load_b64 s[28:29], s[0:1], 0x1d0
	s_mov_b32 s2, s35
	s_waitcnt lgkmcnt(0)
	s_mov_b32 s3, s15
	s_delay_alu instid0(SALU_CYCLE_1)
	s_cmp_lg_u64 s[2:3], 0
	s_cbranch_scc0 .LBB5_288
; %bb.2:
	s_ashr_i32 s2, s15, 31
	s_delay_alu instid0(SALU_CYCLE_1) | instskip(SKIP_2) | instid1(SALU_CYCLE_1)
	s_add_u32 s4, s14, s2
	s_mov_b32 s3, s2
	s_addc_u32 s5, s15, s2
	s_xor_b64 s[4:5], s[4:5], s[2:3]
	s_delay_alu instid0(SALU_CYCLE_1) | instskip(SKIP_3) | instid1(VALU_DEP_1)
	v_cvt_f32_u32_e32 v1, s4
	v_cvt_f32_u32_e32 v2, s5
	s_sub_u32 s11, 0, s4
	s_subb_u32 s12, 0, s5
	v_fmamk_f32 v1, v2, 0x4f800000, v1
	s_delay_alu instid0(VALU_DEP_1) | instskip(SKIP_2) | instid1(VALU_DEP_1)
	v_rcp_f32_e32 v1, v1
	s_waitcnt_depctr 0xfff
	v_mul_f32_e32 v1, 0x5f7ffffc, v1
	v_mul_f32_e32 v2, 0x2f800000, v1
	s_delay_alu instid0(VALU_DEP_1) | instskip(NEXT) | instid1(VALU_DEP_1)
	v_trunc_f32_e32 v2, v2
	v_fmamk_f32 v1, v2, 0xcf800000, v1
	v_cvt_u32_f32_e32 v2, v2
	s_delay_alu instid0(VALU_DEP_2) | instskip(NEXT) | instid1(VALU_DEP_2)
	v_cvt_u32_f32_e32 v1, v1
	v_readfirstlane_b32 s6, v2
	s_delay_alu instid0(VALU_DEP_2) | instskip(NEXT) | instid1(VALU_DEP_2)
	v_readfirstlane_b32 s7, v1
	s_mul_i32 s16, s11, s6
	s_delay_alu instid0(VALU_DEP_1)
	s_mul_hi_u32 s18, s11, s7
	s_mul_i32 s17, s12, s7
	s_add_i32 s16, s18, s16
	s_mul_i32 s19, s11, s7
	s_add_i32 s16, s16, s17
	s_mul_hi_u32 s18, s7, s19
	s_mul_hi_u32 s20, s6, s19
	s_mul_i32 s17, s6, s19
	s_mul_hi_u32 s19, s7, s16
	s_mul_i32 s7, s7, s16
	s_mul_hi_u32 s21, s6, s16
	s_add_u32 s7, s18, s7
	s_addc_u32 s18, 0, s19
	s_add_u32 s7, s7, s17
	s_mul_i32 s16, s6, s16
	s_addc_u32 s7, s18, s20
	s_addc_u32 s17, s21, 0
	s_add_u32 s7, s7, s16
	s_addc_u32 s16, 0, s17
	v_add_co_u32 v1, s7, v1, s7
	s_delay_alu instid0(VALU_DEP_1) | instskip(SKIP_1) | instid1(VALU_DEP_1)
	s_cmp_lg_u32 s7, 0
	s_addc_u32 s6, s6, s16
	v_readfirstlane_b32 s7, v1
	s_mul_i32 s16, s11, s6
	s_delay_alu instid0(VALU_DEP_1)
	s_mul_hi_u32 s17, s11, s7
	s_mul_i32 s12, s12, s7
	s_add_i32 s16, s17, s16
	s_mul_i32 s11, s11, s7
	s_add_i32 s16, s16, s12
	s_mul_hi_u32 s17, s6, s11
	s_mul_i32 s18, s6, s11
	s_mul_hi_u32 s11, s7, s11
	s_mul_hi_u32 s19, s7, s16
	s_mul_i32 s7, s7, s16
	s_mul_hi_u32 s12, s6, s16
	s_add_u32 s7, s11, s7
	s_addc_u32 s11, 0, s19
	s_add_u32 s7, s7, s18
	s_mul_i32 s16, s6, s16
	s_addc_u32 s7, s11, s17
	s_addc_u32 s11, s12, 0
	s_add_u32 s7, s7, s16
	s_addc_u32 s11, 0, s11
	v_add_co_u32 v1, s7, v1, s7
	s_delay_alu instid0(VALU_DEP_1) | instskip(SKIP_2) | instid1(VALU_DEP_1)
	s_cmp_lg_u32 s7, 0
	s_addc_u32 s11, s6, s11
	s_ashr_i32 s6, 0, 31
	v_readfirstlane_b32 s12, v1
	s_add_u32 s16, s34, s6
	s_mov_b32 s7, s6
	s_addc_u32 s17, 0, s6
	s_delay_alu instid0(SALU_CYCLE_1) | instskip(NEXT) | instid1(SALU_CYCLE_1)
	s_xor_b64 s[16:17], s[16:17], s[6:7]
	s_mul_i32 s19, s16, s11
	s_mul_hi_u32 s20, s16, s12
	s_mul_hi_u32 s18, s16, s11
	;; [unrolled: 1-line block ×3, first 2 shown]
	s_mul_i32 s12, s17, s12
	s_add_u32 s19, s20, s19
	s_addc_u32 s18, 0, s18
	s_mul_hi_u32 s21, s17, s11
	s_add_u32 s12, s19, s12
	s_mul_i32 s11, s17, s11
	s_addc_u32 s12, s18, s22
	s_addc_u32 s18, s21, 0
	s_add_u32 s11, s12, s11
	s_addc_u32 s12, 0, s18
	s_mul_i32 s21, s4, s11
	s_mul_hi_u32 s18, s4, s11
	s_mul_i32 s20, s4, s12
	v_sub_co_u32 v1, s16, s16, s21
	s_mul_i32 s19, s5, s11
	s_add_i32 s18, s18, s20
	s_delay_alu instid0(SALU_CYCLE_1) | instskip(NEXT) | instid1(VALU_DEP_1)
	s_add_i32 s18, s18, s19
	v_sub_co_u32 v2, s20, v1, s4
	s_sub_i32 s19, s17, s18
	s_cmp_lg_u32 s16, 0
	s_subb_u32 s19, s19, s5
	s_cmp_lg_u32 s20, 0
	v_readfirstlane_b32 s20, v2
	s_subb_u32 s19, s19, 0
	s_delay_alu instid0(SALU_CYCLE_1) | instskip(SKIP_1) | instid1(VALU_DEP_1)
	s_cmp_ge_u32 s19, s5
	s_cselect_b32 s21, -1, 0
	s_cmp_ge_u32 s20, s4
	s_cselect_b32 s20, -1, 0
	s_cmp_eq_u32 s19, s5
	s_cselect_b32 s19, s20, s21
	s_add_u32 s20, s11, 1
	s_addc_u32 s21, s12, 0
	s_add_u32 s22, s11, 2
	s_addc_u32 s23, s12, 0
	s_cmp_lg_u32 s19, 0
	s_cselect_b32 s19, s22, s20
	s_cselect_b32 s20, s23, s21
	s_cmp_lg_u32 s16, 0
	v_readfirstlane_b32 s16, v1
	s_subb_u32 s17, s17, s18
	s_delay_alu instid0(SALU_CYCLE_1) | instskip(SKIP_1) | instid1(VALU_DEP_1)
	s_cmp_ge_u32 s17, s5
	s_cselect_b32 s18, -1, 0
	s_cmp_ge_u32 s16, s4
	s_cselect_b32 s4, -1, 0
	s_cmp_eq_u32 s17, s5
	s_cselect_b32 s4, s4, s18
	s_delay_alu instid0(SALU_CYCLE_1) | instskip(SKIP_3) | instid1(SALU_CYCLE_1)
	s_cmp_lg_u32 s4, 0
	s_cselect_b32 s5, s20, s12
	s_cselect_b32 s4, s19, s11
	s_xor_b64 s[6:7], s[6:7], s[2:3]
	s_xor_b64 s[4:5], s[4:5], s[6:7]
	s_delay_alu instid0(SALU_CYCLE_1)
	s_sub_u32 s16, s4, s6
	s_subb_u32 s17, s5, s7
	s_cbranch_execnz .LBB5_4
.LBB5_3:
	v_cvt_f32_u32_e32 v1, s14
	s_sub_i32 s3, 0, s14
	s_mov_b32 s17, 0
	s_delay_alu instid0(VALU_DEP_1) | instskip(SKIP_2) | instid1(VALU_DEP_1)
	v_rcp_iflag_f32_e32 v1, v1
	s_waitcnt_depctr 0xfff
	v_mul_f32_e32 v1, 0x4f7ffffe, v1
	v_cvt_u32_f32_e32 v1, v1
	s_delay_alu instid0(VALU_DEP_1) | instskip(NEXT) | instid1(VALU_DEP_1)
	v_readfirstlane_b32 s2, v1
	s_mul_i32 s3, s3, s2
	s_delay_alu instid0(SALU_CYCLE_1) | instskip(NEXT) | instid1(SALU_CYCLE_1)
	s_mul_hi_u32 s3, s2, s3
	s_add_i32 s2, s2, s3
	s_delay_alu instid0(SALU_CYCLE_1) | instskip(NEXT) | instid1(SALU_CYCLE_1)
	s_mul_hi_u32 s2, s34, s2
	s_mul_i32 s3, s2, s14
	s_add_i32 s4, s2, 1
	s_sub_i32 s3, s34, s3
	s_delay_alu instid0(SALU_CYCLE_1)
	s_sub_i32 s5, s3, s14
	s_cmp_ge_u32 s3, s14
	s_cselect_b32 s2, s4, s2
	s_cselect_b32 s3, s5, s3
	s_add_i32 s4, s2, 1
	s_cmp_ge_u32 s3, s14
	s_cselect_b32 s16, s4, s2
.LBB5_4:
	s_load_b64 s[44:45], s[0:1], 0x370
	s_mov_b32 s2, 0
	s_mov_b32 s3, s29
	s_delay_alu instid0(SALU_CYCLE_1)
	s_cmp_lg_u64 s[2:3], 0
	s_cbranch_scc0 .LBB5_289
; %bb.5:
	s_ashr_i32 s4, s29, 31
	s_delay_alu instid0(SALU_CYCLE_1) | instskip(SKIP_2) | instid1(SALU_CYCLE_1)
	s_add_u32 s6, s28, s4
	s_mov_b32 s5, s4
	s_addc_u32 s7, s29, s4
	s_xor_b64 s[6:7], s[6:7], s[4:5]
	s_delay_alu instid0(SALU_CYCLE_1) | instskip(SKIP_3) | instid1(VALU_DEP_1)
	v_cvt_f32_u32_e32 v1, s6
	v_cvt_f32_u32_e32 v2, s7
	s_sub_u32 s12, 0, s6
	s_subb_u32 s18, 0, s7
	v_fmamk_f32 v1, v2, 0x4f800000, v1
	s_delay_alu instid0(VALU_DEP_1) | instskip(SKIP_2) | instid1(VALU_DEP_1)
	v_rcp_f32_e32 v1, v1
	s_waitcnt_depctr 0xfff
	v_mul_f32_e32 v1, 0x5f7ffffc, v1
	v_mul_f32_e32 v2, 0x2f800000, v1
	s_delay_alu instid0(VALU_DEP_1) | instskip(NEXT) | instid1(VALU_DEP_1)
	v_trunc_f32_e32 v2, v2
	v_fmamk_f32 v1, v2, 0xcf800000, v1
	v_cvt_u32_f32_e32 v2, v2
	s_delay_alu instid0(VALU_DEP_2) | instskip(NEXT) | instid1(VALU_DEP_2)
	v_cvt_u32_f32_e32 v1, v1
	v_readfirstlane_b32 s3, v2
	s_delay_alu instid0(VALU_DEP_2) | instskip(NEXT) | instid1(VALU_DEP_2)
	v_readfirstlane_b32 s11, v1
	s_mul_i32 s19, s12, s3
	s_delay_alu instid0(VALU_DEP_1)
	s_mul_hi_u32 s21, s12, s11
	s_mul_i32 s20, s18, s11
	s_add_i32 s19, s21, s19
	s_mul_i32 s22, s12, s11
	s_add_i32 s19, s19, s20
	s_mul_hi_u32 s21, s11, s22
	s_mul_hi_u32 s23, s3, s22
	s_mul_i32 s20, s3, s22
	s_mul_hi_u32 s22, s11, s19
	s_mul_i32 s11, s11, s19
	s_mul_hi_u32 s33, s3, s19
	s_add_u32 s11, s21, s11
	s_addc_u32 s21, 0, s22
	s_add_u32 s11, s11, s20
	s_mul_i32 s19, s3, s19
	s_addc_u32 s11, s21, s23
	s_addc_u32 s20, s33, 0
	s_add_u32 s11, s11, s19
	s_addc_u32 s19, 0, s20
	v_add_co_u32 v1, s11, v1, s11
	s_delay_alu instid0(VALU_DEP_1) | instskip(SKIP_1) | instid1(VALU_DEP_1)
	s_cmp_lg_u32 s11, 0
	s_addc_u32 s3, s3, s19
	v_readfirstlane_b32 s11, v1
	s_mul_i32 s19, s12, s3
	s_delay_alu instid0(VALU_DEP_1)
	s_mul_hi_u32 s20, s12, s11
	s_mul_i32 s18, s18, s11
	s_add_i32 s19, s20, s19
	s_mul_i32 s12, s12, s11
	s_add_i32 s19, s19, s18
	s_mul_hi_u32 s20, s3, s12
	s_mul_i32 s21, s3, s12
	s_mul_hi_u32 s12, s11, s12
	s_mul_hi_u32 s22, s11, s19
	s_mul_i32 s11, s11, s19
	s_mul_hi_u32 s18, s3, s19
	s_add_u32 s11, s12, s11
	s_addc_u32 s12, 0, s22
	s_add_u32 s11, s11, s21
	s_mul_i32 s19, s3, s19
	s_addc_u32 s11, s12, s20
	s_addc_u32 s12, s18, 0
	s_add_u32 s11, s11, s19
	s_addc_u32 s12, 0, s12
	v_add_co_u32 v1, s11, v1, s11
	s_delay_alu instid0(VALU_DEP_1) | instskip(SKIP_2) | instid1(VALU_DEP_1)
	s_cmp_lg_u32 s11, 0
	s_addc_u32 s3, s3, s12
	s_ashr_i32 s18, 0, 31
	v_readfirstlane_b32 s11, v1
	s_add_u32 s20, s34, s18
	s_mov_b32 s19, s18
	s_addc_u32 s21, 0, s18
	s_delay_alu instid0(SALU_CYCLE_1) | instskip(NEXT) | instid1(SALU_CYCLE_1)
	s_xor_b64 s[20:21], s[20:21], s[18:19]
	s_mul_i32 s22, s20, s3
	s_mul_hi_u32 s23, s20, s11
	s_mul_hi_u32 s12, s20, s3
	;; [unrolled: 1-line block ×3, first 2 shown]
	s_mul_i32 s11, s21, s11
	s_add_u32 s22, s23, s22
	s_addc_u32 s12, 0, s12
	s_mul_hi_u32 s33, s21, s3
	s_add_u32 s11, s22, s11
	s_mul_i32 s3, s21, s3
	s_addc_u32 s11, s12, s35
	s_addc_u32 s12, s33, 0
	s_add_u32 s3, s11, s3
	s_addc_u32 s11, 0, s12
	s_mul_i32 s33, s6, s3
	s_mul_hi_u32 s12, s6, s3
	s_mul_i32 s23, s6, s11
	v_sub_co_u32 v1, s20, s20, s33
	s_mul_i32 s22, s7, s3
	s_add_i32 s12, s12, s23
	s_delay_alu instid0(SALU_CYCLE_1) | instskip(NEXT) | instid1(VALU_DEP_1)
	s_add_i32 s12, s12, s22
	v_sub_co_u32 v2, s23, v1, s6
	s_sub_i32 s22, s21, s12
	s_cmp_lg_u32 s20, 0
	s_subb_u32 s22, s22, s7
	s_cmp_lg_u32 s23, 0
	v_readfirstlane_b32 s23, v2
	s_subb_u32 s22, s22, 0
	s_delay_alu instid0(SALU_CYCLE_1) | instskip(SKIP_1) | instid1(VALU_DEP_1)
	s_cmp_ge_u32 s22, s7
	s_cselect_b32 s33, -1, 0
	s_cmp_ge_u32 s23, s6
	s_cselect_b32 s23, -1, 0
	s_cmp_eq_u32 s22, s7
	s_cselect_b32 s22, s23, s33
	s_add_u32 s23, s3, 1
	s_addc_u32 s33, s11, 0
	s_add_u32 s35, s3, 2
	s_addc_u32 s36, s11, 0
	s_cmp_lg_u32 s22, 0
	s_cselect_b32 s22, s35, s23
	s_cselect_b32 s23, s36, s33
	s_cmp_lg_u32 s20, 0
	v_readfirstlane_b32 s20, v1
	s_subb_u32 s12, s21, s12
	s_delay_alu instid0(SALU_CYCLE_1) | instskip(SKIP_1) | instid1(VALU_DEP_1)
	s_cmp_ge_u32 s12, s7
	s_cselect_b32 s21, -1, 0
	s_cmp_ge_u32 s20, s6
	s_cselect_b32 s6, -1, 0
	s_cmp_eq_u32 s12, s7
	s_cselect_b32 s6, s6, s21
	s_delay_alu instid0(SALU_CYCLE_1) | instskip(SKIP_3) | instid1(SALU_CYCLE_1)
	s_cmp_lg_u32 s6, 0
	s_cselect_b32 s7, s23, s11
	s_cselect_b32 s6, s22, s3
	s_xor_b64 s[4:5], s[18:19], s[4:5]
	s_xor_b64 s[6:7], s[6:7], s[4:5]
	s_delay_alu instid0(SALU_CYCLE_1)
	s_sub_u32 s46, s6, s4
	s_subb_u32 s47, s7, s5
	s_and_not1_b32 vcc_lo, exec_lo, s2
	s_cbranch_vccnz .LBB5_7
.LBB5_6:
	v_cvt_f32_u32_e32 v1, s28
	s_sub_i32 s3, 0, s28
	s_mov_b32 s47, 0
	s_delay_alu instid0(VALU_DEP_1) | instskip(SKIP_2) | instid1(VALU_DEP_1)
	v_rcp_iflag_f32_e32 v1, v1
	s_waitcnt_depctr 0xfff
	v_mul_f32_e32 v1, 0x4f7ffffe, v1
	v_cvt_u32_f32_e32 v1, v1
	s_delay_alu instid0(VALU_DEP_1) | instskip(NEXT) | instid1(VALU_DEP_1)
	v_readfirstlane_b32 s2, v1
	s_mul_i32 s3, s3, s2
	s_delay_alu instid0(SALU_CYCLE_1) | instskip(NEXT) | instid1(SALU_CYCLE_1)
	s_mul_hi_u32 s3, s2, s3
	s_add_i32 s2, s2, s3
	s_delay_alu instid0(SALU_CYCLE_1) | instskip(NEXT) | instid1(SALU_CYCLE_1)
	s_mul_hi_u32 s2, s34, s2
	s_mul_i32 s3, s2, s28
	s_add_i32 s4, s2, 1
	s_sub_i32 s3, s34, s3
	s_delay_alu instid0(SALU_CYCLE_1)
	s_sub_i32 s5, s3, s28
	s_cmp_ge_u32 s3, s28
	s_cselect_b32 s2, s4, s2
	s_cselect_b32 s3, s5, s3
	s_add_i32 s4, s2, 1
	s_cmp_ge_u32 s3, s28
	s_cselect_b32 s46, s4, s2
.LBB5_7:
	s_mov_b32 s2, 0
	s_waitcnt lgkmcnt(0)
	s_mov_b32 s3, s45
	s_delay_alu instid0(SALU_CYCLE_1)
	s_cmp_lg_u64 s[2:3], 0
	s_cbranch_scc0 .LBB5_290
; %bb.8:
	s_ashr_i32 s4, s45, 31
	s_delay_alu instid0(SALU_CYCLE_1) | instskip(SKIP_2) | instid1(SALU_CYCLE_1)
	s_add_u32 s6, s44, s4
	s_mov_b32 s5, s4
	s_addc_u32 s7, s45, s4
	s_xor_b64 s[6:7], s[6:7], s[4:5]
	s_delay_alu instid0(SALU_CYCLE_1) | instskip(SKIP_3) | instid1(VALU_DEP_1)
	v_cvt_f32_u32_e32 v1, s6
	v_cvt_f32_u32_e32 v2, s7
	s_sub_u32 s12, 0, s6
	s_subb_u32 s18, 0, s7
	v_fmamk_f32 v1, v2, 0x4f800000, v1
	s_delay_alu instid0(VALU_DEP_1) | instskip(SKIP_2) | instid1(VALU_DEP_1)
	v_rcp_f32_e32 v1, v1
	s_waitcnt_depctr 0xfff
	v_mul_f32_e32 v1, 0x5f7ffffc, v1
	v_mul_f32_e32 v2, 0x2f800000, v1
	s_delay_alu instid0(VALU_DEP_1) | instskip(NEXT) | instid1(VALU_DEP_1)
	v_trunc_f32_e32 v2, v2
	v_fmamk_f32 v1, v2, 0xcf800000, v1
	v_cvt_u32_f32_e32 v2, v2
	s_delay_alu instid0(VALU_DEP_2) | instskip(NEXT) | instid1(VALU_DEP_2)
	v_cvt_u32_f32_e32 v1, v1
	v_readfirstlane_b32 s3, v2
	s_delay_alu instid0(VALU_DEP_2) | instskip(NEXT) | instid1(VALU_DEP_2)
	v_readfirstlane_b32 s11, v1
	s_mul_i32 s19, s12, s3
	s_delay_alu instid0(VALU_DEP_1)
	s_mul_hi_u32 s21, s12, s11
	s_mul_i32 s20, s18, s11
	s_add_i32 s19, s21, s19
	s_mul_i32 s22, s12, s11
	s_add_i32 s19, s19, s20
	s_mul_hi_u32 s21, s11, s22
	s_mul_hi_u32 s23, s3, s22
	s_mul_i32 s20, s3, s22
	s_mul_hi_u32 s22, s11, s19
	s_mul_i32 s11, s11, s19
	s_mul_hi_u32 s33, s3, s19
	s_add_u32 s11, s21, s11
	s_addc_u32 s21, 0, s22
	s_add_u32 s11, s11, s20
	s_mul_i32 s19, s3, s19
	s_addc_u32 s11, s21, s23
	s_addc_u32 s20, s33, 0
	s_add_u32 s11, s11, s19
	s_addc_u32 s19, 0, s20
	v_add_co_u32 v1, s11, v1, s11
	s_delay_alu instid0(VALU_DEP_1) | instskip(SKIP_1) | instid1(VALU_DEP_1)
	s_cmp_lg_u32 s11, 0
	s_addc_u32 s3, s3, s19
	v_readfirstlane_b32 s11, v1
	s_mul_i32 s19, s12, s3
	s_delay_alu instid0(VALU_DEP_1)
	s_mul_hi_u32 s20, s12, s11
	s_mul_i32 s18, s18, s11
	s_add_i32 s19, s20, s19
	s_mul_i32 s12, s12, s11
	s_add_i32 s19, s19, s18
	s_mul_hi_u32 s20, s3, s12
	s_mul_i32 s21, s3, s12
	s_mul_hi_u32 s12, s11, s12
	s_mul_hi_u32 s22, s11, s19
	s_mul_i32 s11, s11, s19
	s_mul_hi_u32 s18, s3, s19
	s_add_u32 s11, s12, s11
	s_addc_u32 s12, 0, s22
	s_add_u32 s11, s11, s21
	s_mul_i32 s19, s3, s19
	s_addc_u32 s11, s12, s20
	s_addc_u32 s12, s18, 0
	s_add_u32 s11, s11, s19
	s_addc_u32 s12, 0, s12
	v_add_co_u32 v1, s11, v1, s11
	s_delay_alu instid0(VALU_DEP_1) | instskip(SKIP_2) | instid1(VALU_DEP_1)
	s_cmp_lg_u32 s11, 0
	s_addc_u32 s3, s3, s12
	s_ashr_i32 s18, 0, 31
	v_readfirstlane_b32 s11, v1
	s_add_u32 s20, s34, s18
	s_mov_b32 s19, s18
	s_addc_u32 s21, 0, s18
	s_delay_alu instid0(SALU_CYCLE_1) | instskip(NEXT) | instid1(SALU_CYCLE_1)
	s_xor_b64 s[20:21], s[20:21], s[18:19]
	s_mul_i32 s22, s20, s3
	s_mul_hi_u32 s23, s20, s11
	s_mul_hi_u32 s12, s20, s3
	;; [unrolled: 1-line block ×3, first 2 shown]
	s_mul_i32 s11, s21, s11
	s_add_u32 s22, s23, s22
	s_addc_u32 s12, 0, s12
	s_mul_hi_u32 s33, s21, s3
	s_add_u32 s11, s22, s11
	s_mul_i32 s3, s21, s3
	s_addc_u32 s11, s12, s35
	s_addc_u32 s12, s33, 0
	s_add_u32 s3, s11, s3
	s_addc_u32 s11, 0, s12
	s_mul_i32 s33, s6, s3
	s_mul_hi_u32 s12, s6, s3
	s_mul_i32 s23, s6, s11
	v_sub_co_u32 v1, s20, s20, s33
	s_mul_i32 s22, s7, s3
	s_add_i32 s12, s12, s23
	s_delay_alu instid0(SALU_CYCLE_1) | instskip(NEXT) | instid1(VALU_DEP_1)
	s_add_i32 s12, s12, s22
	v_sub_co_u32 v2, s23, v1, s6
	s_sub_i32 s22, s21, s12
	s_cmp_lg_u32 s20, 0
	s_subb_u32 s22, s22, s7
	s_cmp_lg_u32 s23, 0
	v_readfirstlane_b32 s23, v2
	s_subb_u32 s22, s22, 0
	s_delay_alu instid0(SALU_CYCLE_1) | instskip(SKIP_1) | instid1(VALU_DEP_1)
	s_cmp_ge_u32 s22, s7
	s_cselect_b32 s33, -1, 0
	s_cmp_ge_u32 s23, s6
	s_cselect_b32 s23, -1, 0
	s_cmp_eq_u32 s22, s7
	s_cselect_b32 s22, s23, s33
	s_add_u32 s23, s3, 1
	s_addc_u32 s33, s11, 0
	s_add_u32 s35, s3, 2
	s_addc_u32 s36, s11, 0
	s_cmp_lg_u32 s22, 0
	s_cselect_b32 s22, s35, s23
	s_cselect_b32 s23, s36, s33
	s_cmp_lg_u32 s20, 0
	v_readfirstlane_b32 s20, v1
	s_subb_u32 s12, s21, s12
	s_delay_alu instid0(SALU_CYCLE_1) | instskip(SKIP_1) | instid1(VALU_DEP_1)
	s_cmp_ge_u32 s12, s7
	s_cselect_b32 s21, -1, 0
	s_cmp_ge_u32 s20, s6
	s_cselect_b32 s6, -1, 0
	s_cmp_eq_u32 s12, s7
	s_cselect_b32 s6, s6, s21
	s_delay_alu instid0(SALU_CYCLE_1) | instskip(SKIP_3) | instid1(SALU_CYCLE_1)
	s_cmp_lg_u32 s6, 0
	s_cselect_b32 s7, s23, s11
	s_cselect_b32 s6, s22, s3
	s_xor_b64 s[4:5], s[18:19], s[4:5]
	s_xor_b64 s[6:7], s[6:7], s[4:5]
	s_delay_alu instid0(SALU_CYCLE_1)
	s_sub_u32 s48, s6, s4
	s_subb_u32 s49, s7, s5
	s_load_b64 s[18:19], s[0:1], 0x0
	s_and_not1_b32 vcc_lo, exec_lo, s2
	s_cbranch_vccnz .LBB5_10
.LBB5_9:
	v_cvt_f32_u32_e32 v1, s44
	s_sub_i32 s3, 0, s44
	s_mov_b32 s49, 0
	s_delay_alu instid0(VALU_DEP_1) | instskip(SKIP_2) | instid1(VALU_DEP_1)
	v_rcp_iflag_f32_e32 v1, v1
	s_waitcnt_depctr 0xfff
	v_mul_f32_e32 v1, 0x4f7ffffe, v1
	v_cvt_u32_f32_e32 v1, v1
	s_delay_alu instid0(VALU_DEP_1) | instskip(NEXT) | instid1(VALU_DEP_1)
	v_readfirstlane_b32 s2, v1
	s_mul_i32 s3, s3, s2
	s_delay_alu instid0(SALU_CYCLE_1) | instskip(NEXT) | instid1(SALU_CYCLE_1)
	s_mul_hi_u32 s3, s2, s3
	s_add_i32 s2, s2, s3
	s_delay_alu instid0(SALU_CYCLE_1) | instskip(NEXT) | instid1(SALU_CYCLE_1)
	s_mul_hi_u32 s2, s34, s2
	s_mul_i32 s3, s2, s44
	s_add_i32 s4, s2, 1
	s_sub_i32 s3, s34, s3
	s_delay_alu instid0(SALU_CYCLE_1)
	s_sub_i32 s5, s3, s44
	s_cmp_ge_u32 s3, s44
	s_cselect_b32 s2, s4, s2
	s_cselect_b32 s3, s5, s3
	s_add_i32 s4, s2, 1
	s_cmp_ge_u32 s3, s44
	s_cselect_b32 s48, s4, s2
.LBB5_10:
	s_clause 0x2
	s_load_b64 s[50:51], s[0:1], 0x360
	s_load_b64 s[52:53], s[0:1], 0x1c0
	s_load_b128 s[4:7], s[0:1], 0xd0
	v_cmp_eq_u32_e64 s2, 0, v0
	s_mov_b32 s55, 0
	s_delay_alu instid0(VALU_DEP_1)
	s_and_saveexec_b32 s3, s2
	s_cbranch_execz .LBB5_12
; %bb.11:
	v_dual_mov_b32 v1, 0 :: v_dual_mov_b32 v4, s25
	s_delay_alu instid0(VALU_DEP_1)
	v_dual_mov_b32 v3, s24 :: v_dual_mov_b32 v2, v1
	ds_store_b32 v1, v1 offset:5136
	ds_store_b128 v1, v[1:4] offset:5120
.LBB5_12:
	s_or_b32 exec_lo, exec_lo, s3
	v_mad_u64_u32 v[2:3], null, v0, s30, 0
	s_mul_i32 s3, s16, s15
	s_mul_hi_u32 s11, s16, s14
	s_mul_i32 s12, s16, s14
	s_add_i32 s3, s11, s3
	s_mul_i32 s11, s17, s14
	s_clause 0x1
	s_load_b128 s[36:39], s[0:1], 0x430
	s_load_b128 s[40:43], s[0:1], 0x290
	s_add_i32 s3, s3, s11
	s_sub_u32 s11, s34, s12
	v_dual_mov_b32 v1, v3 :: v_dual_lshlrev_b32 v14, 2, v0
	s_waitcnt lgkmcnt(0)
	s_mul_i32 s7, s11, s7
	s_mul_hi_u32 s12, s11, s6
	s_subb_u32 s3, 0, s3
	s_add_i32 s7, s12, s7
	s_mul_i32 s3, s3, s6
	s_mul_i32 s0, s16, s5
	s_mul_hi_u32 s1, s16, s4
	s_add_i32 s7, s7, s3
	s_add_i32 s0, s1, s0
	s_mul_i32 s1, s17, s4
	s_mul_i32 s3, s16, s4
	s_barrier
	buffer_gl0_inv
	s_load_b32 s4, s[8:9], 0xc
	v_or_b32_e32 v9, 3, v14
	v_or_b32_e32 v12, 2, v14
	v_mbcnt_lo_u32_b32 v31, -1, 0
	v_mad_u64_u32 v[3:4], null, v0, s31, v[1:2]
	s_delay_alu instid0(VALU_DEP_4) | instskip(NEXT) | instid1(VALU_DEP_4)
	v_mad_u64_u32 v[16:17], null, s30, v9, 0
	v_mad_u64_u32 v[18:19], null, s30, v12, 0
	s_delay_alu instid0(VALU_DEP_4) | instskip(SKIP_4) | instid1(VALU_DEP_2)
	v_lshlrev_b64 v[4:5], v31, -1
	s_mul_i32 s11, s11, s6
	v_mad_u64_u32 v[20:21], null, s30, v14, s[30:31]
	s_add_i32 s0, s0, s1
	s_add_u32 s1, s3, s11
	v_not_b32_e32 v33, v4
	s_delay_alu instid0(VALU_DEP_4)
	v_dual_mov_b32 v4, v17 :: v_dual_mov_b32 v5, v19
	s_addc_u32 s3, s0, s7
	v_cmp_gt_u32_e32 vcc_lo, 32, v0
	v_cmp_gt_i32_e64 s0, 4, v31
	v_lshrrev_b32_e32 v6, 3, v0
	v_mad_u64_u32 v[7:8], null, s31, v9, v[4:5]
	s_add_u32 s56, s18, s1
	s_addc_u32 s57, s19, s3
	s_waitcnt lgkmcnt(0)
	s_and_b32 s33, s4, 0xffff
	v_dual_mov_b32 v13, 0 :: v_dual_and_b32 v32, 0x7c, v6
	s_and_b32 s75, vcc_lo, s0
	s_bfe_u32 s5, s4, 0xb0005
	v_dual_mov_b32 v6, v21 :: v_dual_mov_b32 v17, v7
	s_add_u32 s78, s33, -1
	s_addc_u32 s79, 0, -1
	s_add_u32 s80, s78, s24
	s_addc_u32 s59, s79, s25
	s_cmp_lt_u32 s13, s10
	v_mad_u64_u32 v[8:9], null, s31, v12, v[5:6]
	v_mad_u64_u32 v[4:5], null, s31, v14, v[6:7]
	v_cmp_gt_u16_e64 s77, s4, 31
	s_cselect_b32 s4, 12, 18
	v_mov_b32_e32 v1, v13
	s_add_u32 s60, s8, s4
	s_addc_u32 s61, s9, 0
	s_add_i32 s4, s5, -1
	s_delay_alu instid0(VALU_DEP_3)
	v_mov_b32_e32 v34, v4
	s_bfe_u32 s81, s33, 0x30005
	v_add_co_u32 v10, vcc_lo, s56, v2
	s_cmp_gt_u32 s4, 6
	v_add_co_u32 v35, s4, s24, v0
	v_cmp_lt_i64_e64 s76, 0xc00, s[24:25]
	v_cmp_gt_i64_e64 s0, s[24:25], v[0:1]
	v_lshlrev_b64 v[21:22], 2, v[2:3]
	v_cmp_eq_u32_e64 s1, 0, v31
	v_cmp_gt_u32_e64 s3, 2, v0
	v_add_co_ci_u32_e32 v11, vcc_lo, s57, v3, vcc_lo
	v_mov_b32_e32 v15, v13
	s_cselect_b32 s82, -1, 0
	s_and_b32 s83, s5, 0x7f8
	v_mov_b32_e32 v19, v8
	v_add_co_ci_u32_e64 v36, null, s25, 0, s4
	v_lshl_or_b32 v37, v31, 3, 0xc00
	v_cvt_f32_ubyte0_e32 v38, 0
	v_mov_b32_e32 v39, 0
	s_cmp_lg_u32 s81, 0
	s_mul_i32 s4, s31, s33
	s_mul_hi_u32 s5, s30, s33
	s_mov_b32 s85, 6
	s_cselect_b32 s84, -1, 0
	s_lshl_b64 s[62:63], s[30:31], 2
	s_add_i32 s35, s5, s4
	s_mul_i32 s74, s30, s33
	s_mov_b32 s86, 0
	s_mov_b32 s90, 0
	;; [unrolled: 1-line block ×4, first 2 shown]
                                        ; implicit-def: $sgpr87
                                        ; implicit-def: $sgpr89
                                        ; implicit-def: $sgpr88
                                        ; implicit-def: $sgpr92
                                        ; implicit-def: $sgpr93
                                        ; implicit-def: $sgpr91
	s_branch .LBB5_17
.LBB5_13:                               ;   in Loop: Header=BB5_17 Depth=1
	s_xor_b32 s90, s90, 1
	s_add_i32 s7, s85, -2
	s_cmp_eq_u32 s85, 0
	s_mov_b32 s5, 0
	s_cselect_b32 s6, -1, 0
	s_mov_b32 s85, s7
.LBB5_14:                               ;   in Loop: Header=BB5_17 Depth=1
	s_and_not1_b32 s7, s20, exec_lo
	s_and_b32 s5, s5, exec_lo
	s_and_not1_b32 s21, s21, exec_lo
	s_or_b32 s20, s7, s5
	s_and_not1_b32 s19, s19, exec_lo
	s_or_not1_b32 s15, s6, exec_lo
.LBB5_15:                               ;   in Loop: Header=BB5_17 Depth=1
	s_or_b32 exec_lo, exec_lo, s4
	s_delay_alu instid0(SALU_CYCLE_1)
	s_and_not1_b32 s4, s91, exec_lo
	s_and_b32 s5, s20, exec_lo
	s_and_not1_b32 s6, s92, exec_lo
	s_or_b32 s91, s4, s5
	s_and_not1_b32 s4, s93, exec_lo
	s_and_b32 s5, s21, exec_lo
	s_and_b32 s7, s19, exec_lo
	s_or_b32 s93, s4, s5
	s_or_b32 s92, s6, s7
	s_or_not1_b32 s19, s15, exec_lo
.LBB5_16:                               ;   in Loop: Header=BB5_17 Depth=1
	s_or_b32 exec_lo, exec_lo, s14
	s_delay_alu instid0(SALU_CYCLE_1)
	s_and_b32 s4, exec_lo, s19
	v_mov_b32_e32 v2, s95
	s_or_b32 s86, s4, s86
	s_and_not1_b32 s4, s88, exec_lo
	s_and_b32 s5, s91, exec_lo
	s_and_not1_b32 s6, s87, exec_lo
	s_or_b32 s88, s4, s5
	s_and_not1_b32 s4, s89, exec_lo
	s_and_b32 s5, s93, exec_lo
	s_and_b32 s7, s92, exec_lo
	s_or_b32 s89, s4, s5
	s_or_b32 s87, s6, s7
	s_and_not1_b32 exec_lo, exec_lo, s86
	s_cbranch_execz .LBB5_275
.LBB5_17:                               ; =>This Loop Header: Depth=1
                                        ;     Child Loop BB5_22 Depth 2
                                        ;     Child Loop BB5_41 Depth 2
	;; [unrolled: 1-line block ×16, first 2 shown]
	ds_load_b128 v[2:5], v13 offset:5120
	s_waitcnt lgkmcnt(0)
	v_readfirstlane_b32 s65, v3
	v_readfirstlane_b32 s64, v2
	s_delay_alu instid0(VALU_DEP_1) | instskip(NEXT) | instid1(VALU_DEP_1)
	v_cmp_gt_i64_e64 s4, s[64:65], 0
	s_and_b32 vcc_lo, exec_lo, s4
	s_cbranch_vccnz .LBB5_48
; %bb.18:                               ;   in Loop: Header=BB5_17 Depth=1
	s_and_b32 vcc_lo, exec_lo, s76
	s_cbranch_vccz .LBB5_30
; %bb.19:                               ;   in Loop: Header=BB5_17 Depth=1
	v_cmp_gt_i64_e32 vcc_lo, 0xc01, v[4:5]
	s_mov_b32 s6, 0
	s_mov_b32 s4, 0
	s_cbranch_vccz .LBB5_35
; %bb.20:                               ;   in Loop: Header=BB5_17 Depth=1
	global_load_u16 v6, v13, s[60:61]
	global_load_u8 v7, v[10:11], off
	s_mov_b32 s8, 0
	s_waitcnt vmcnt(1)
	v_readfirstlane_b32 s4, v6
	v_and_b32_e32 v6, 0xffff, v6
	s_delay_alu instid0(VALU_DEP_2) | instskip(NEXT) | instid1(SALU_CYCLE_1)
	s_and_b32 s4, 0xffff, s4
	v_add_nc_u32_e32 v8, s4, v0
	s_mul_i32 s5, s31, s4
	s_mul_hi_u32 s7, s30, s4
	s_mul_i32 s9, s30, s4
	s_add_i32 s7, s7, s5
	v_mad_u64_u32 v[2:3], null, s30, v8, s[56:57]
	s_delay_alu instid0(VALU_DEP_1) | instskip(NEXT) | instid1(VALU_DEP_1)
	v_mad_u64_u32 v[4:5], null, s31, v8, v[3:4]
	v_mov_b32_e32 v3, v4
	v_dual_mov_b32 v5, v1 :: v_dual_mov_b32 v4, v0
	s_branch .LBB5_22
.LBB5_21:                               ;   in Loop: Header=BB5_22 Depth=2
	s_or_b32 exec_lo, exec_lo, s5
	v_add_co_u32 v2, vcc_lo, v2, s9
	v_add_co_ci_u32_e32 v3, vcc_lo, s7, v3, vcc_lo
	v_mov_b32_e32 v7, v8
	s_and_not1_b32 exec_lo, exec_lo, s8
	s_cbranch_execz .LBB5_31
.LBB5_22:                               ;   Parent Loop BB5_17 Depth=1
                                        ; =>  This Inner Loop Header: Depth=2
	s_delay_alu instid0(VALU_DEP_1) | instskip(NEXT) | instid1(VALU_DEP_2)
	v_add_co_u32 v4, vcc_lo, v4, v6
	v_add_co_ci_u32_e32 v5, vcc_lo, 0, v5, vcc_lo
	s_waitcnt lgkmcnt(0)
	v_dual_mov_b32 v9, 0 :: v_dual_mov_b32 v8, 0
	s_mov_b32 s5, exec_lo
	s_delay_alu instid0(VALU_DEP_2)
	v_cmp_le_i64_e32 vcc_lo, s[24:25], v[4:5]
	v_cmpx_gt_i64_e64 s[24:25], v[4:5]
	s_cbranch_execz .LBB5_24
; %bb.23:                               ;   in Loop: Header=BB5_22 Depth=2
	global_load_u8 v8, v[2:3], off
.LBB5_24:                               ;   in Loop: Header=BB5_22 Depth=2
	s_or_b32 exec_lo, exec_lo, s5
	s_waitcnt vmcnt(0)
	v_and_b32_e32 v12, s94, v7
	s_delay_alu instid0(VALU_DEP_1) | instskip(NEXT) | instid1(VALU_DEP_1)
	v_and_b32_e32 v12, 0xff, v12
	v_cmp_eq_u32_e64 s4, s95, v12
	s_delay_alu instid0(VALU_DEP_1) | instskip(SKIP_1) | instid1(SALU_CYCLE_1)
	s_cmp_lg_u32 s4, 0
	s_cselect_b32 s5, -1, 0
	s_and_b32 s5, s1, s5
	s_delay_alu instid0(SALU_CYCLE_1)
	s_and_saveexec_b32 s10, s5
	s_cbranch_execz .LBB5_28
; %bb.25:                               ;   in Loop: Header=BB5_22 Depth=2
	s_mov_b32 s13, exec_lo
	s_bcnt1_i32_b32 s11, s4
	v_mbcnt_lo_u32_b32 v9, s13, 0
	s_mov_b32 s12, exec_lo
                                        ; implicit-def: $vgpr12
	s_delay_alu instid0(VALU_DEP_1)
	v_cmpx_eq_u32_e32 0, v9
	s_cbranch_execz .LBB5_27
; %bb.26:                               ;   in Loop: Header=BB5_22 Depth=2
	s_bcnt1_i32_b32 s5, s13
	s_delay_alu instid0(SALU_CYCLE_1) | instskip(NEXT) | instid1(SALU_CYCLE_1)
	s_mul_i32 s5, s11, s5
	v_mov_b32_e32 v12, s5
	ds_add_rtn_u32 v12, v13, v12 offset:5136
.LBB5_27:                               ;   in Loop: Header=BB5_22 Depth=2
	s_or_b32 exec_lo, exec_lo, s12
	s_waitcnt lgkmcnt(0)
	v_readfirstlane_b32 s5, v12
	s_delay_alu instid0(VALU_DEP_1)
	v_mad_u32_u24 v9, s11, v9, s5
.LBB5_28:                               ;   in Loop: Header=BB5_22 Depth=2
	s_or_b32 exec_lo, exec_lo, s10
	ds_bpermute_b32 v9, v13, v9
	s_and_b32 s5, exec_lo, vcc_lo
	s_delay_alu instid0(SALU_CYCLE_1)
	s_or_b32 s8, s5, s8
	s_and_saveexec_b32 s5, s4
	s_cbranch_execz .LBB5_21
; %bb.29:                               ;   in Loop: Header=BB5_22 Depth=2
	v_and_b32_e32 v12, s4, v33
	s_waitcnt lgkmcnt(0)
	s_delay_alu instid0(VALU_DEP_1)
	v_bcnt_u32_b32 v9, v12, v9
	ds_store_b8 v9, v7
	s_branch .LBB5_21
.LBB5_30:                               ;   in Loop: Header=BB5_17 Depth=1
	s_mov_b32 s6, -1
	s_mov_b32 s4, 0
	s_branch .LBB5_34
.LBB5_31:                               ;   in Loop: Header=BB5_17 Depth=1
	s_or_b32 exec_lo, exec_lo, s8
	s_waitcnt lgkmcnt(0)
	s_barrier
	buffer_gl0_inv
	s_and_saveexec_b32 s4, s2
	s_cbranch_execz .LBB5_33
; %bb.32:                               ;   in Loop: Header=BB5_17 Depth=1
	ds_load_b32 v2, v13 offset:5136
	s_waitcnt lgkmcnt(0)
	v_ashrrev_i32_e32 v3, 31, v2
	ds_store_b64 v13, v[2:3] offset:5120
.LBB5_33:                               ;   in Loop: Header=BB5_17 Depth=1
	s_or_b32 exec_lo, exec_lo, s4
	s_waitcnt lgkmcnt(0)
	s_mov_b32 s4, -1
	s_barrier
.LBB5_34:                               ;   in Loop: Header=BB5_17 Depth=1
                                        ; implicit-def: $sgpr64_sgpr65
.LBB5_35:                               ;   in Loop: Header=BB5_17 Depth=1
	s_and_b32 vcc_lo, exec_lo, s6
	s_cbranch_vccz .LBB5_46
; %bb.36:                               ;   in Loop: Header=BB5_17 Depth=1
	v_mov_b32_e32 v6, 0
	s_and_saveexec_b32 s4, s0
	s_cbranch_execz .LBB5_38
; %bb.37:                               ;   in Loop: Header=BB5_17 Depth=1
	global_load_u8 v6, v[10:11], off
.LBB5_38:                               ;   in Loop: Header=BB5_17 Depth=1
	s_or_b32 exec_lo, exec_lo, s4
	s_and_saveexec_b32 s5, s0
	s_cbranch_execz .LBB5_43
; %bb.39:                               ;   in Loop: Header=BB5_17 Depth=1
	global_load_u16 v8, v13, s[60:61]
	s_mov_b32 s9, 0
	s_waitcnt vmcnt(0)
	v_readfirstlane_b32 s4, v8
	v_and_b32_e32 v8, 0xffff, v8
	s_delay_alu instid0(VALU_DEP_2) | instskip(NEXT) | instid1(SALU_CYCLE_1)
	s_and_b32 s6, 0xffff, s4
	v_add_nc_u32_e32 v7, s6, v0
	s_mul_i32 s4, s31, s6
	s_mul_hi_u32 s7, s30, s6
	s_mul_i32 s8, s30, s6
	s_add_i32 s7, s7, s4
	v_mad_u64_u32 v[2:3], null, s30, v7, s[56:57]
	s_delay_alu instid0(VALU_DEP_1) | instskip(SKIP_1) | instid1(VALU_DEP_2)
	v_mad_u64_u32 v[4:5], null, s31, v7, v[3:4]
	v_mov_b32_e32 v7, v0
	v_mov_b32_e32 v3, v4
	v_dual_mov_b32 v5, v1 :: v_dual_mov_b32 v4, v0
	s_branch .LBB5_41
	.p2align	6
.LBB5_40:                               ;   in Loop: Header=BB5_41 Depth=2
	s_or_b32 exec_lo, exec_lo, s10
	s_delay_alu instid0(SALU_CYCLE_1)
	s_and_b32 s4, exec_lo, vcc_lo
	v_add_co_u32 v2, vcc_lo, v2, s8
	ds_store_b8 v7, v6
	s_waitcnt vmcnt(0)
	v_dual_mov_b32 v6, v9 :: v_dual_add_nc_u32 v7, s6, v7
	v_add_co_ci_u32_e32 v3, vcc_lo, s7, v3, vcc_lo
	s_or_b32 s9, s4, s9
	s_delay_alu instid0(SALU_CYCLE_1)
	s_and_not1_b32 exec_lo, exec_lo, s9
	s_cbranch_execz .LBB5_43
.LBB5_41:                               ;   Parent Loop BB5_17 Depth=1
                                        ; =>  This Inner Loop Header: Depth=2
	s_delay_alu instid0(VALU_DEP_1) | instskip(NEXT) | instid1(VALU_DEP_2)
	v_add_co_u32 v4, vcc_lo, v4, v8
	v_add_co_ci_u32_e32 v5, vcc_lo, 0, v5, vcc_lo
	v_mov_b32_e32 v9, 0
	s_mov_b32 s10, exec_lo
	s_delay_alu instid0(VALU_DEP_2)
	v_cmp_le_i64_e32 vcc_lo, s[24:25], v[4:5]
	v_cmpx_gt_i64_e64 s[24:25], v[4:5]
	s_cbranch_execz .LBB5_40
; %bb.42:                               ;   in Loop: Header=BB5_41 Depth=2
	global_load_u8 v9, v[2:3], off
	s_branch .LBB5_40
.LBB5_43:                               ;   in Loop: Header=BB5_17 Depth=1
	s_or_b32 exec_lo, exec_lo, s5
	s_waitcnt vmcnt(0) lgkmcnt(0)
	s_barrier
	buffer_gl0_inv
	s_and_saveexec_b32 s4, s2
	s_cbranch_execz .LBB5_45
; %bb.44:                               ;   in Loop: Header=BB5_17 Depth=1
	v_dual_mov_b32 v2, s24 :: v_dual_mov_b32 v3, s25
	ds_store_b64 v13, v[2:3] offset:5120
.LBB5_45:                               ;   in Loop: Header=BB5_17 Depth=1
	s_or_b32 exec_lo, exec_lo, s4
	s_mov_b32 s4, -1
	s_waitcnt lgkmcnt(0)
	s_barrier
                                        ; implicit-def: $sgpr64_sgpr65
.LBB5_46:                               ;   in Loop: Header=BB5_17 Depth=1
	s_and_b32 vcc_lo, exec_lo, s4
	s_cbranch_vccz .LBB5_48
; %bb.47:                               ;   in Loop: Header=BB5_17 Depth=1
	buffer_gl0_inv
	ds_load_b64 v[2:3], v13 offset:5120
	s_waitcnt lgkmcnt(0)
	v_readfirstlane_b32 s64, v2
.LBB5_48:                               ;   in Loop: Header=BB5_17 Depth=1
	s_delay_alu instid0(VALU_DEP_1)
	s_cmp_lt_i32 s64, 1
	s_cbranch_scc0 .LBB5_63
; %bb.49:                               ;   in Loop: Header=BB5_17 Depth=1
	global_load_u16 v4, v13, s[60:61]
	s_mov_b32 s5, s25
	s_waitcnt vmcnt(0)
	v_readfirstlane_b32 s4, v4
	s_delay_alu instid0(VALU_DEP_1)
	s_and_b32 s6, 0xffff, s4
	s_mov_b32 s4, s55
	s_lshl_b32 s54, s6, 2
	s_cmp_lg_u64 s[4:5], 0
	s_cbranch_scc0 .LBB5_83
; %bb.50:                               ;   in Loop: Header=BB5_17 Depth=1
	v_cvt_f32_u32_e32 v2, s54
	s_sub_u32 s6, 0, s54
	s_subb_u32 s7, 0, 0
	s_delay_alu instid0(VALU_DEP_1) | instskip(NEXT) | instid1(VALU_DEP_1)
	v_fmac_f32_e32 v2, 0x4f800000, v38
	v_rcp_f32_e32 v2, v2
	s_waitcnt_depctr 0xfff
	v_mul_f32_e32 v2, 0x5f7ffffc, v2
	s_delay_alu instid0(VALU_DEP_1) | instskip(NEXT) | instid1(VALU_DEP_1)
	v_mul_f32_e32 v3, 0x2f800000, v2
	v_trunc_f32_e32 v3, v3
	s_delay_alu instid0(VALU_DEP_1) | instskip(SKIP_1) | instid1(VALU_DEP_2)
	v_fmac_f32_e32 v2, 0xcf800000, v3
	v_cvt_u32_f32_e32 v3, v3
	v_cvt_u32_f32_e32 v2, v2
	s_delay_alu instid0(VALU_DEP_2) | instskip(NEXT) | instid1(VALU_DEP_2)
	v_readfirstlane_b32 s4, v3
	v_readfirstlane_b32 s5, v2
	s_delay_alu instid0(VALU_DEP_2) | instskip(NEXT) | instid1(VALU_DEP_1)
	s_mul_i32 s8, s6, s4
	s_mul_hi_u32 s10, s6, s5
	s_mul_i32 s9, s7, s5
	s_add_i32 s8, s10, s8
	s_mul_i32 s11, s6, s5
	s_add_i32 s8, s8, s9
	s_mul_hi_u32 s10, s5, s11
	s_mul_hi_u32 s12, s4, s11
	s_mul_i32 s9, s4, s11
	s_mul_hi_u32 s11, s5, s8
	s_mul_i32 s5, s5, s8
	s_mul_hi_u32 s13, s4, s8
	s_add_u32 s5, s10, s5
	s_addc_u32 s10, 0, s11
	s_add_u32 s5, s5, s9
	s_mul_i32 s8, s4, s8
	s_addc_u32 s5, s10, s12
	s_addc_u32 s9, s13, 0
	s_add_u32 s5, s5, s8
	s_addc_u32 s8, 0, s9
	v_add_co_u32 v2, s5, v2, s5
	s_delay_alu instid0(VALU_DEP_1) | instskip(SKIP_1) | instid1(VALU_DEP_1)
	s_cmp_lg_u32 s5, 0
	s_addc_u32 s4, s4, s8
	v_readfirstlane_b32 s5, v2
	s_mul_i32 s8, s6, s4
	s_delay_alu instid0(VALU_DEP_1)
	s_mul_hi_u32 s9, s6, s5
	s_mul_i32 s7, s7, s5
	s_add_i32 s8, s9, s8
	s_mul_i32 s6, s6, s5
	s_add_i32 s8, s8, s7
	s_mul_hi_u32 s9, s4, s6
	s_mul_i32 s10, s4, s6
	s_mul_hi_u32 s6, s5, s6
	s_mul_hi_u32 s11, s5, s8
	s_mul_i32 s5, s5, s8
	s_mul_hi_u32 s7, s4, s8
	s_add_u32 s5, s6, s5
	s_addc_u32 s6, 0, s11
	s_add_u32 s5, s5, s10
	s_mul_i32 s8, s4, s8
	s_addc_u32 s5, s6, s9
	s_addc_u32 s6, s7, 0
	s_add_u32 s5, s5, s8
	s_addc_u32 s6, 0, s6
	v_add_co_u32 v2, s5, v2, s5
	s_delay_alu instid0(VALU_DEP_1) | instskip(SKIP_2) | instid1(VALU_DEP_1)
	s_cmp_lg_u32 s5, 0
	s_addc_u32 s8, s4, s6
	s_ashr_i32 s6, s25, 31
	v_readfirstlane_b32 s9, v2
	s_add_u32 s4, s24, s6
	s_mov_b32 s7, s6
	s_addc_u32 s5, s25, s6
	s_delay_alu instid0(SALU_CYCLE_1) | instskip(NEXT) | instid1(SALU_CYCLE_1)
	s_xor_b64 s[4:5], s[4:5], s[6:7]
	s_mul_i32 s10, s4, s8
	s_mul_hi_u32 s11, s4, s9
	s_mul_hi_u32 s7, s4, s8
	;; [unrolled: 1-line block ×3, first 2 shown]
	s_mul_i32 s9, s5, s9
	s_add_u32 s10, s11, s10
	s_addc_u32 s7, 0, s7
	s_mul_hi_u32 s12, s5, s8
	s_add_u32 s9, s10, s9
	s_mul_i32 s8, s5, s8
	s_addc_u32 s7, s7, s13
	s_addc_u32 s9, s12, 0
	s_add_u32 s7, s7, s8
	s_addc_u32 s8, 0, s9
	s_mul_hi_u32 s9, s54, s7
	s_mul_i32 s7, s54, s7
	s_mul_i32 s8, s54, s8
	v_sub_co_u32 v2, s4, s4, s7
	s_add_i32 s9, s9, s8
	s_cmp_lg_u32 s4, 0
	s_delay_alu instid0(VALU_DEP_1) | instskip(SKIP_2) | instid1(VALU_DEP_1)
	v_sub_co_u32 v3, s4, v2, s54
	s_subb_u32 s5, s5, s9
	s_cmp_lg_u32 s4, 0
	v_cmp_le_u32_e32 vcc_lo, s54, v3
	v_sub_co_u32 v5, s4, v3, s54
	s_subb_u32 s7, s5, 0
	s_cmp_lg_u32 s4, 0
	v_cndmask_b32_e64 v6, 0, -1, vcc_lo
	s_subb_u32 s4, s7, 0
	s_cmp_eq_u32 s7, 0
	v_mov_b32_e32 v8, s4
	s_cselect_b32 vcc_lo, -1, 0
	s_cmp_eq_u32 s5, 0
	v_cndmask_b32_e32 v6, -1, v6, vcc_lo
	v_cmp_le_u32_e32 vcc_lo, s54, v2
	s_cselect_b32 s4, -1, 0
	v_cndmask_b32_e64 v7, 0, -1, vcc_lo
	s_delay_alu instid0(VALU_DEP_3) | instskip(NEXT) | instid1(VALU_DEP_2)
	v_cmp_ne_u32_e32 vcc_lo, 0, v6
	v_cndmask_b32_e64 v6, -1, v7, s4
	v_cndmask_b32_e32 v7, s7, v8, vcc_lo
	v_cndmask_b32_e32 v3, v3, v5, vcc_lo
	s_delay_alu instid0(VALU_DEP_3) | instskip(NEXT) | instid1(VALU_DEP_2)
	v_cmp_ne_u32_e32 vcc_lo, 0, v6
	v_cndmask_b32_e32 v2, v2, v3, vcc_lo
	s_delay_alu instid0(VALU_DEP_4) | instskip(NEXT) | instid1(VALU_DEP_2)
	v_cndmask_b32_e32 v5, s5, v7, vcc_lo
	v_xor_b32_e32 v2, s6, v2
	s_delay_alu instid0(VALU_DEP_2) | instskip(NEXT) | instid1(VALU_DEP_2)
	v_xor_b32_e32 v3, s6, v5
	v_sub_co_u32 v23, vcc_lo, v2, s6
	s_delay_alu instid0(VALU_DEP_2)
	v_subrev_co_ci_u32_e32 v24, vcc_lo, s6, v3, vcc_lo
	s_cbranch_execnz .LBB5_52
.LBB5_51:                               ;   in Loop: Header=BB5_17 Depth=1
	v_cvt_f32_u32_e32 v2, s54
	s_sub_i32 s4, 0, s54
	s_delay_alu instid0(VALU_DEP_1) | instskip(SKIP_2) | instid1(VALU_DEP_1)
	v_rcp_iflag_f32_e32 v2, v2
	s_waitcnt_depctr 0xfff
	v_mul_f32_e32 v2, 0x4f7ffffe, v2
	v_cvt_u32_f32_e32 v2, v2
	s_delay_alu instid0(VALU_DEP_1) | instskip(NEXT) | instid1(VALU_DEP_1)
	v_mul_lo_u32 v3, s4, v2
	v_mul_hi_u32 v3, v2, v3
	s_delay_alu instid0(VALU_DEP_1) | instskip(NEXT) | instid1(VALU_DEP_1)
	v_add_nc_u32_e32 v2, v2, v3
	v_mul_hi_u32 v2, s24, v2
	s_delay_alu instid0(VALU_DEP_1) | instskip(NEXT) | instid1(VALU_DEP_1)
	v_mul_lo_u32 v2, v2, s54
	v_sub_nc_u32_e32 v2, s24, v2
	s_delay_alu instid0(VALU_DEP_1) | instskip(SKIP_1) | instid1(VALU_DEP_2)
	v_subrev_nc_u32_e32 v3, s54, v2
	v_cmp_le_u32_e32 vcc_lo, s54, v2
	v_cndmask_b32_e32 v2, v2, v3, vcc_lo
	s_delay_alu instid0(VALU_DEP_1) | instskip(SKIP_1) | instid1(VALU_DEP_2)
	v_subrev_nc_u32_e32 v3, s54, v2
	v_cmp_le_u32_e32 vcc_lo, s54, v2
	v_cndmask_b32_e32 v12, v2, v3, vcc_lo
	s_delay_alu instid0(VALU_DEP_1)
	v_dual_mov_b32 v24, v13 :: v_dual_mov_b32 v23, v12
.LBB5_52:                               ;   in Loop: Header=BB5_17 Depth=1
	v_mov_b32_e32 v2, 0
	v_dual_mov_b32 v3, 0 :: v_dual_and_b32 v12, 0xffff, v4
	s_delay_alu instid0(VALU_DEP_3) | instskip(NEXT) | instid1(VALU_DEP_4)
	v_sub_co_u32 v25, vcc_lo, s24, v23
	v_sub_co_ci_u32_e32 v26, vcc_lo, s25, v24, vcc_lo
	s_delay_alu instid0(VALU_DEP_3)
	v_dual_mov_b32 v5, v3 :: v_dual_mov_b32 v4, v2
	v_dual_mov_b32 v7, v3 :: v_dual_mov_b32 v6, v2
	;; [unrolled: 1-line block ×3, first 2 shown]
	s_mov_b64 s[66:67], 0
	s_mov_b32 s58, exec_lo
	v_cmpx_gt_i64_e64 v[25:26], v[14:15]
	s_cbranch_execz .LBB5_56
; %bb.53:                               ;   in Loop: Header=BB5_17 Depth=1
	v_mul_lo_u32 v2, s63, v12
	v_mul_hi_u32 v3, s62, v12
	v_mul_lo_u32 v40, s62, v12
	v_dual_mov_b32 v27, s56 :: v_dual_mov_b32 v28, s57
	v_dual_mov_b32 v30, v15 :: v_dual_mov_b32 v29, v14
	s_and_b32 s65, s85, 0xfe
	s_mov_b32 s96, 0
	s_delay_alu instid0(VALU_DEP_4)
	v_add_nc_u32_e32 v41, v3, v2
	s_mov_b64 s[68:69], 0
	s_mov_b64 s[70:71], 0
	s_mov_b64 s[72:73], 0
.LBB5_54:                               ;   Parent Loop BB5_17 Depth=1
                                        ; =>  This Inner Loop Header: Depth=2
	v_add_co_u32 v2, vcc_lo, v27, v21
	v_add_co_ci_u32_e32 v3, vcc_lo, v28, v22, vcc_lo
	v_add_co_u32 v4, vcc_lo, v27, v20
	v_add_co_ci_u32_e32 v5, vcc_lo, v28, v34, vcc_lo
	;; [unrolled: 2-line block ×4, first 2 shown]
	s_clause 0x3
	global_load_u8 v2, v[2:3], off
	global_load_u8 v3, v[4:5], off
	;; [unrolled: 1-line block ×4, first 2 shown]
	v_add_co_u32 v29, vcc_lo, v29, s54
	v_add_co_ci_u32_e32 v30, vcc_lo, 0, v30, vcc_lo
	v_add_co_u32 v27, vcc_lo, v27, v40
	v_add_co_ci_u32_e32 v28, vcc_lo, v28, v41, vcc_lo
	s_delay_alu instid0(VALU_DEP_3)
	v_cmp_ge_i64_e32 vcc_lo, v[29:30], v[25:26]
	s_waitcnt vmcnt(3)
	v_and_b32_e32 v6, s94, v2
	v_bfe_u32 v2, v2, s65, 2
	s_waitcnt vmcnt(2)
	v_and_b32_e32 v7, s94, v3
	v_bfe_u32 v3, v3, s65, 2
	;; [unrolled: 3-line block ×3, first 2 shown]
	v_cmp_eq_u32_e64 s4, s95, v6
	v_cmp_eq_u32_e64 s8, 0, v2
	s_waitcnt vmcnt(0)
	v_and_b32_e32 v9, s94, v5
	v_bfe_u32 v5, v5, s65, 2
	v_cmp_eq_u32_e64 s5, s95, v7
	v_cmp_eq_u32_e64 s9, 0, v3
	;; [unrolled: 1-line block ×4, first 2 shown]
	s_and_b32 s8, s4, s8
	v_cmp_eq_u32_e64 s7, s95, v9
	v_cmp_eq_u32_e64 s11, 0, v5
	;; [unrolled: 1-line block ×5, first 2 shown]
	v_cndmask_b32_e64 v2, 0, 1, s8
	s_and_b32 s8, s5, s9
	v_cmp_eq_u32_e64 s13, 1, v3
	v_cmp_eq_u32_e64 s17, 2, v3
	v_cmp_eq_u32_e64 s21, 3, v3
	v_cndmask_b32_e64 v3, 0, 1, s8
	s_and_b32 s8, s6, s10
	v_cmp_eq_u32_e64 s14, 1, v4
	v_cmp_eq_u32_e64 s18, 2, v4
	v_cmp_eq_u32_e64 s22, 3, v4
	;; [unrolled: 5-line block ×3, first 2 shown]
	v_cndmask_b32_e64 v5, 0, 1, s8
	v_cmp_ne_u32_e64 s8, 0, v2
	v_cmp_ne_u32_e64 s9, 0, v3
	v_cmp_ne_u32_e64 s10, 0, v4
	s_delay_alu instid0(VALU_DEP_4) | instskip(NEXT) | instid1(VALU_DEP_4)
	v_cmp_ne_u32_e64 s11, 0, v5
	s_bcnt1_i32_b32 s8, s8
	s_delay_alu instid0(VALU_DEP_3) | instskip(NEXT) | instid1(VALU_DEP_2)
	s_bcnt1_i32_b32 s9, s9
	s_bcnt1_i32_b32 s10, s10
	s_add_i32 s8, s9, s8
	s_bcnt1_i32_b32 s11, s11
	s_add_i32 s8, s8, s10
	s_delay_alu instid0(SALU_CYCLE_1) | instskip(NEXT) | instid1(SALU_CYCLE_1)
	s_add_i32 s8, s8, s11
	s_add_u32 s72, s72, s8
	s_addc_u32 s73, s73, 0
	s_and_b32 s8, s4, s12
	s_delay_alu instid0(SALU_CYCLE_1) | instskip(SKIP_1) | instid1(SALU_CYCLE_1)
	v_cndmask_b32_e64 v2, 0, 1, s8
	s_and_b32 s8, s5, s13
	v_cndmask_b32_e64 v3, 0, 1, s8
	s_and_b32 s8, s6, s14
	s_delay_alu instid0(SALU_CYCLE_1) | instskip(SKIP_1) | instid1(VALU_DEP_2)
	v_cndmask_b32_e64 v4, 0, 1, s8
	s_and_b32 s8, s7, s15
	v_cmp_ne_u32_e64 s9, 0, v3
	v_cndmask_b32_e64 v5, 0, 1, s8
	v_cmp_ne_u32_e64 s8, 0, v2
	v_cmp_ne_u32_e64 s10, 0, v4
	s_delay_alu instid0(VALU_DEP_4) | instskip(NEXT) | instid1(VALU_DEP_3)
	s_bcnt1_i32_b32 s9, s9
	v_cmp_ne_u32_e64 s11, 0, v5
	s_delay_alu instid0(VALU_DEP_3) | instskip(NEXT) | instid1(VALU_DEP_2)
	s_bcnt1_i32_b32 s8, s8
	s_bcnt1_i32_b32 s10, s10
	s_add_i32 s8, s9, s8
	s_delay_alu instid0(VALU_DEP_1) | instskip(SKIP_1) | instid1(SALU_CYCLE_1)
	s_bcnt1_i32_b32 s11, s11
	s_add_i32 s8, s8, s10
	s_add_i32 s8, s8, s11
	s_delay_alu instid0(SALU_CYCLE_1) | instskip(SKIP_2) | instid1(SALU_CYCLE_1)
	s_add_u32 s70, s70, s8
	s_addc_u32 s71, s71, 0
	s_and_b32 s8, s4, s16
	v_cndmask_b32_e64 v2, 0, 1, s8
	s_and_b32 s8, s5, s17
	s_delay_alu instid0(SALU_CYCLE_1) | instskip(SKIP_1) | instid1(SALU_CYCLE_1)
	v_cndmask_b32_e64 v3, 0, 1, s8
	s_and_b32 s8, s6, s18
	v_cndmask_b32_e64 v4, 0, 1, s8
	s_and_b32 s8, s7, s19
	s_delay_alu instid0(VALU_DEP_2) | instskip(SKIP_3) | instid1(VALU_DEP_4)
	v_cmp_ne_u32_e64 s9, 0, v3
	v_cndmask_b32_e64 v5, 0, 1, s8
	v_cmp_ne_u32_e64 s8, 0, v2
	v_cmp_ne_u32_e64 s10, 0, v4
	s_bcnt1_i32_b32 s9, s9
	s_delay_alu instid0(VALU_DEP_3) | instskip(NEXT) | instid1(VALU_DEP_3)
	v_cmp_ne_u32_e64 s11, 0, v5
	s_bcnt1_i32_b32 s8, s8
	s_delay_alu instid0(VALU_DEP_2) | instskip(SKIP_1) | instid1(VALU_DEP_1)
	s_bcnt1_i32_b32 s10, s10
	s_add_i32 s8, s9, s8
	s_bcnt1_i32_b32 s11, s11
	s_add_i32 s8, s8, s10
	s_delay_alu instid0(SALU_CYCLE_1) | instskip(NEXT) | instid1(SALU_CYCLE_1)
	s_add_i32 s8, s8, s11
	s_add_u32 s68, s68, s8
	s_addc_u32 s69, s69, 0
	s_and_b32 s4, s4, s20
	v_dual_mov_b32 v6, s68 :: v_dual_mov_b32 v7, s69
	v_cndmask_b32_e64 v2, 0, 1, s4
	s_and_b32 s4, s5, s21
	s_delay_alu instid0(SALU_CYCLE_1) | instskip(SKIP_1) | instid1(SALU_CYCLE_1)
	v_cndmask_b32_e64 v3, 0, 1, s4
	s_and_b32 s4, s6, s22
	v_cndmask_b32_e64 v4, 0, 1, s4
	s_and_b32 s4, s7, s23
	s_delay_alu instid0(VALU_DEP_2)
	v_cmp_ne_u32_e64 s5, 0, v3
	v_cndmask_b32_e64 v5, 0, 1, s4
	v_cmp_ne_u32_e64 s4, 0, v2
	v_cmp_ne_u32_e64 s6, 0, v4
	v_mov_b32_e32 v2, s72
	s_bcnt1_i32_b32 s5, s5
	v_cmp_ne_u32_e64 s7, 0, v5
	s_bcnt1_i32_b32 s4, s4
	s_bcnt1_i32_b32 s6, s6
	s_add_i32 s4, s5, s4
	v_mov_b32_e32 v4, s70
	s_bcnt1_i32_b32 s5, s7
	s_add_i32 s4, s4, s6
	v_mov_b32_e32 v3, s73
	s_add_i32 s4, s4, s5
	v_mov_b32_e32 v5, s71
	s_add_u32 s66, s66, s4
	s_addc_u32 s67, s67, 0
	s_delay_alu instid0(SALU_CYCLE_1) | instskip(SKIP_1) | instid1(SALU_CYCLE_1)
	v_dual_mov_b32 v8, s66 :: v_dual_mov_b32 v9, s67
	s_or_b32 s96, vcc_lo, s96
	s_and_not1_b32 exec_lo, exec_lo, s96
	s_cbranch_execnz .LBB5_54
; %bb.55:                               ;   in Loop: Header=BB5_17 Depth=1
	s_or_b32 exec_lo, exec_lo, s96
.LBB5_56:                               ;   in Loop: Header=BB5_17 Depth=1
	s_delay_alu instid0(SALU_CYCLE_1) | instskip(SKIP_3) | instid1(VALU_DEP_2)
	s_or_b32 exec_lo, exec_lo, s58
	v_add_co_u32 v25, vcc_lo, v25, v0
	v_add_co_ci_u32_e32 v26, vcc_lo, 0, v26, vcc_lo
	v_mov_b32_e32 v29, 0
	v_cmp_gt_i64_e32 vcc_lo, s[24:25], v[25:26]
	s_and_saveexec_b32 s4, vcc_lo
	s_cbranch_execz .LBB5_58
; %bb.57:                               ;   in Loop: Header=BB5_17 Depth=1
	v_mad_u64_u32 v[27:28], null, v25, s30, s[56:57]
	v_mul_lo_u32 v29, v25, s31
	v_mul_lo_u32 v30, v26, s30
	s_delay_alu instid0(VALU_DEP_1)
	v_add3_u32 v28, v30, v28, v29
	global_load_u8 v29, v[27:28], off
.LBB5_58:                               ;   in Loop: Header=BB5_17 Depth=1
	s_or_b32 exec_lo, exec_lo, s4
	s_and_saveexec_b32 s7, vcc_lo
	s_cbranch_execz .LBB5_65
; %bb.59:                               ;   in Loop: Header=BB5_17 Depth=1
	v_add_co_u32 v27, vcc_lo, v35, v12
	v_add_co_ci_u32_e32 v28, vcc_lo, 0, v36, vcc_lo
	v_mul_lo_u32 v40, s31, v12
	s_delay_alu instid0(VALU_DEP_3) | instskip(NEXT) | instid1(VALU_DEP_3)
	v_sub_co_u32 v27, vcc_lo, v27, v23
	v_sub_co_ci_u32_e32 v23, vcc_lo, v28, v24, vcc_lo
	v_mul_hi_u32 v41, s30, v12
	s_delay_alu instid0(VALU_DEP_3) | instskip(SKIP_1) | instid1(VALU_DEP_3)
	v_mul_lo_u32 v30, s31, v27
	s_and_b32 s9, s85, 0xfe
	v_mul_lo_u32 v28, s30, v23
	v_mad_u64_u32 v[23:24], null, s30, v27, s[56:57]
	v_mul_lo_u32 v27, s30, v12
	s_mov_b32 s8, 0
	s_delay_alu instid0(VALU_DEP_2)
	v_add3_u32 v24, v30, v24, v28
	v_add_nc_u32_e32 v28, v41, v40
	s_branch .LBB5_61
.LBB5_60:                               ;   in Loop: Header=BB5_61 Depth=2
	s_or_b32 exec_lo, exec_lo, s5
	s_waitcnt vmcnt(0)
	v_and_b32_e32 v29, 0xff, v29
	s_and_b32 s6, exec_lo, vcc_lo
	s_delay_alu instid0(SALU_CYCLE_1) | instskip(NEXT) | instid1(VALU_DEP_1)
	s_or_b32 s8, s6, s8
	v_and_b32_e32 v40, s94, v29
	v_bfe_u32 v29, v29, s9, 2
	s_delay_alu instid0(VALU_DEP_2) | instskip(NEXT) | instid1(VALU_DEP_2)
	v_cmp_eq_u32_e64 s4, s95, v40
	v_cmp_eq_u32_e64 s5, 0, v29
	v_cmp_eq_u32_e32 vcc_lo, 1, v29
	v_cmp_eq_u32_e64 s6, 2, v29
	s_delay_alu instid0(VALU_DEP_3) | instskip(NEXT) | instid1(SALU_CYCLE_1)
	s_and_b32 s5, s4, s5
	v_cndmask_b32_e64 v40, 0, 1, s5
	s_and_b32 s5, s4, vcc_lo
	v_cmp_eq_u32_e32 vcc_lo, 3, v29
	v_cndmask_b32_e64 v41, 0, 1, s5
	s_and_b32 s5, s4, s6
	s_delay_alu instid0(SALU_CYCLE_1) | instskip(SKIP_1) | instid1(VALU_DEP_3)
	v_cndmask_b32_e64 v29, 0, 1, s5
	v_cmp_ne_u32_e64 s5, 0, v40
	v_cmp_ne_u32_e64 s6, 0, v41
	s_and_b32 s4, s4, vcc_lo
	s_delay_alu instid0(SALU_CYCLE_1) | instskip(NEXT) | instid1(VALU_DEP_3)
	v_cndmask_b32_e64 v40, 0, 1, s4
	s_bcnt1_i32_b32 s4, s5
	v_cmp_ne_u32_e32 vcc_lo, 0, v29
	v_mov_b32_e32 v29, v30
	v_add_co_u32 v2, s4, v2, s4
	s_bcnt1_i32_b32 s5, s6
	v_add_co_ci_u32_e64 v3, s4, 0, v3, s4
	v_add_co_u32 v4, s4, v4, s5
	s_delay_alu instid0(VALU_DEP_1) | instskip(SKIP_3) | instid1(VALU_DEP_1)
	v_add_co_ci_u32_e64 v5, s4, 0, v5, s4
	s_bcnt1_i32_b32 s4, vcc_lo
	v_cmp_ne_u32_e32 vcc_lo, 0, v40
	v_add_co_u32 v6, s4, v6, s4
	v_add_co_ci_u32_e64 v7, s4, 0, v7, s4
	s_bcnt1_i32_b32 s4, vcc_lo
	s_delay_alu instid0(SALU_CYCLE_1)
	v_add_co_u32 v8, vcc_lo, v8, s4
	v_add_co_ci_u32_e32 v9, vcc_lo, 0, v9, vcc_lo
	v_add_co_u32 v23, vcc_lo, v23, v27
	v_add_co_ci_u32_e32 v24, vcc_lo, v24, v28, vcc_lo
	s_and_not1_b32 exec_lo, exec_lo, s8
	s_cbranch_execz .LBB5_64
.LBB5_61:                               ;   Parent Loop BB5_17 Depth=1
                                        ; =>  This Inner Loop Header: Depth=2
	v_add_co_u32 v25, vcc_lo, v25, v12
	v_add_co_ci_u32_e32 v26, vcc_lo, 0, v26, vcc_lo
	v_mov_b32_e32 v30, 0
	s_mov_b32 s5, exec_lo
	s_delay_alu instid0(VALU_DEP_2)
	v_cmp_le_i64_e32 vcc_lo, s[24:25], v[25:26]
	v_cmpx_gt_i64_e64 s[24:25], v[25:26]
	s_cbranch_execz .LBB5_60
; %bb.62:                               ;   in Loop: Header=BB5_61 Depth=2
	global_load_u8 v30, v[23:24], off
	s_branch .LBB5_60
.LBB5_63:                               ;   in Loop: Header=BB5_17 Depth=1
                                        ; implicit-def: $vgpr8_vgpr9
                                        ; implicit-def: $vgpr4_vgpr5
	s_cbranch_execnz .LBB5_66
	s_branch .LBB5_75
.LBB5_64:                               ;   in Loop: Header=BB5_17 Depth=1
	s_or_b32 exec_lo, exec_lo, s8
.LBB5_65:                               ;   in Loop: Header=BB5_17 Depth=1
	s_delay_alu instid0(SALU_CYCLE_1)
	s_or_b32 exec_lo, exec_lo, s7
	s_branch .LBB5_75
.LBB5_66:                               ;   in Loop: Header=BB5_17 Depth=1
	global_load_u16 v12, v13, s[60:61]
	s_mov_b64 s[66:67], 0
	s_mov_b32 s65, exec_lo
	s_waitcnt vmcnt(0)
	v_readfirstlane_b32 s4, v12
	s_delay_alu instid0(VALU_DEP_1) | instskip(NEXT) | instid1(SALU_CYCLE_1)
	s_and_b32 s4, 0xffff, s4
	s_lshl_b32 s58, s4, 2
	s_delay_alu instid0(SALU_CYCLE_1) | instskip(SKIP_1) | instid1(VALU_DEP_1)
	v_cvt_f32_u32_e32 v2, s58
	s_sub_i32 s5, 0, s58
	v_rcp_iflag_f32_e32 v2, v2
	s_waitcnt_depctr 0xfff
	v_mul_f32_e32 v2, 0x4f7ffffe, v2
	s_delay_alu instid0(VALU_DEP_1) | instskip(NEXT) | instid1(VALU_DEP_1)
	v_cvt_u32_f32_e32 v2, v2
	v_readfirstlane_b32 s4, v2
	v_mov_b32_e32 v2, 0
	v_mov_b32_e32 v3, 0
	s_delay_alu instid0(VALU_DEP_3) | instskip(NEXT) | instid1(VALU_DEP_1)
	s_mul_i32 s5, s5, s4
	v_dual_mov_b32 v5, v3 :: v_dual_mov_b32 v4, v2
	s_mul_hi_u32 s5, s4, s5
	v_dual_mov_b32 v7, v3 :: v_dual_mov_b32 v6, v2
	s_add_i32 s4, s4, s5
	v_dual_mov_b32 v9, v3 :: v_dual_mov_b32 v8, v2
	s_mul_hi_u32 s4, s64, s4
	s_delay_alu instid0(SALU_CYCLE_1) | instskip(NEXT) | instid1(SALU_CYCLE_1)
	s_mul_i32 s4, s4, s58
	s_sub_i32 s4, s64, s4
	s_delay_alu instid0(SALU_CYCLE_1) | instskip(SKIP_2) | instid1(SALU_CYCLE_1)
	s_sub_i32 s5, s4, s58
	s_cmp_ge_u32 s4, s58
	s_cselect_b32 s4, s5, s4
	s_sub_i32 s5, s4, s58
	s_cmp_ge_u32 s4, s58
	s_cselect_b32 s4, s5, s4
	s_delay_alu instid0(SALU_CYCLE_1) | instskip(NEXT) | instid1(SALU_CYCLE_1)
	s_sub_i32 s54, s64, s4
	v_cmpx_gt_u32_e64 s54, v14
	s_cbranch_execz .LBB5_70
; %bb.67:                               ;   in Loop: Header=BB5_17 Depth=1
	v_dual_mov_b32 v25, v14 :: v_dual_mov_b32 v24, v15
	v_mov_b32_e32 v23, v14
	s_and_b32 s97, s85, 0xfe
	s_mov_b32 s96, 0
	s_mov_b64 s[68:69], 0
	s_mov_b64 s[70:71], 0
	;; [unrolled: 1-line block ×3, first 2 shown]
.LBB5_68:                               ;   Parent Loop BB5_17 Depth=1
                                        ; =>  This Inner Loop Header: Depth=2
	ds_load_b32 v2, v25
	v_add_co_u32 v23, vcc_lo, v23, s58
	v_add_co_ci_u32_e32 v24, vcc_lo, 0, v24, vcc_lo
	s_delay_alu instid0(VALU_DEP_1)
	v_cmp_le_u64_e32 vcc_lo, s[54:55], v[23:24]
	s_waitcnt lgkmcnt(0)
	v_and_b32_e32 v3, 0xff, v2
	v_bfe_u32 v4, v2, 8, 8
	v_bfe_u32 v5, v2, 16, 8
	v_lshrrev_b32_e32 v2, 24, v2
	s_delay_alu instid0(VALU_DEP_4)
	v_and_b32_e32 v6, s94, v3
	v_bfe_u32 v3, v3, s97, 2
	v_and_b32_e32 v7, s94, v4
	v_bfe_u32 v4, v4, s97, 2
	;; [unrolled: 2-line block ×3, first 2 shown]
	v_cmp_eq_u32_e64 s4, s95, v6
	v_cmp_eq_u32_e64 s8, 0, v3
	v_and_b32_e32 v9, s94, v2
	v_bfe_u32 v2, v2, s97, 2
	v_cmp_eq_u32_e64 s5, s95, v7
	v_cmp_eq_u32_e64 s9, 0, v4
	;; [unrolled: 1-line block ×4, first 2 shown]
	s_and_b32 s8, s4, s8
	v_cmp_eq_u32_e64 s7, s95, v9
	v_cmp_eq_u32_e64 s11, 0, v2
	;; [unrolled: 1-line block ×5, first 2 shown]
	v_cndmask_b32_e64 v2, 0, 1, s8
	s_and_b32 s8, s5, s9
	v_cmp_eq_u32_e64 s12, 1, v3
	v_cmp_eq_u32_e64 s16, 2, v3
	v_cmp_eq_u32_e64 s20, 3, v3
	v_cndmask_b32_e64 v3, 0, 1, s8
	s_and_b32 s8, s6, s10
	v_cmp_eq_u32_e64 s13, 1, v4
	v_cmp_eq_u32_e64 s17, 2, v4
	v_cmp_eq_u32_e64 s21, 3, v4
	v_cndmask_b32_e64 v4, 0, 1, s8
	s_and_b32 s8, s7, s11
	v_cmp_eq_u32_e64 s14, 1, v5
	v_cmp_eq_u32_e64 s18, 2, v5
	v_cmp_eq_u32_e64 s22, 3, v5
	v_cndmask_b32_e64 v5, 0, 1, s8
	v_cmp_ne_u32_e64 s8, 0, v2
	v_cmp_ne_u32_e64 s9, 0, v3
	;; [unrolled: 1-line block ×3, first 2 shown]
	s_delay_alu instid0(VALU_DEP_4) | instskip(NEXT) | instid1(VALU_DEP_4)
	v_cmp_ne_u32_e64 s11, 0, v5
	s_bcnt1_i32_b32 s8, s8
	s_delay_alu instid0(VALU_DEP_3) | instskip(NEXT) | instid1(VALU_DEP_2)
	s_bcnt1_i32_b32 s9, s9
	s_bcnt1_i32_b32 s10, s10
	s_add_i32 s8, s9, s8
	s_bcnt1_i32_b32 s11, s11
	s_add_i32 s8, s8, s10
	s_delay_alu instid0(SALU_CYCLE_1) | instskip(NEXT) | instid1(SALU_CYCLE_1)
	s_add_i32 s8, s8, s11
	s_add_u32 s72, s72, s8
	s_addc_u32 s73, s73, 0
	s_and_b32 s8, s4, s12
	v_add_nc_u32_e32 v25, s58, v25
	v_cndmask_b32_e64 v2, 0, 1, s8
	s_and_b32 s8, s5, s13
	s_delay_alu instid0(SALU_CYCLE_1) | instskip(SKIP_1) | instid1(SALU_CYCLE_1)
	v_cndmask_b32_e64 v3, 0, 1, s8
	s_and_b32 s8, s6, s14
	v_cndmask_b32_e64 v4, 0, 1, s8
	s_and_b32 s8, s7, s15
	s_delay_alu instid0(VALU_DEP_2) | instskip(SKIP_3) | instid1(VALU_DEP_4)
	v_cmp_ne_u32_e64 s9, 0, v3
	v_cndmask_b32_e64 v5, 0, 1, s8
	v_cmp_ne_u32_e64 s8, 0, v2
	v_cmp_ne_u32_e64 s10, 0, v4
	s_bcnt1_i32_b32 s9, s9
	s_delay_alu instid0(VALU_DEP_3) | instskip(NEXT) | instid1(VALU_DEP_3)
	v_cmp_ne_u32_e64 s11, 0, v5
	s_bcnt1_i32_b32 s8, s8
	s_delay_alu instid0(VALU_DEP_2) | instskip(SKIP_1) | instid1(VALU_DEP_1)
	s_bcnt1_i32_b32 s10, s10
	s_add_i32 s8, s9, s8
	s_bcnt1_i32_b32 s11, s11
	s_add_i32 s8, s8, s10
	s_delay_alu instid0(SALU_CYCLE_1) | instskip(NEXT) | instid1(SALU_CYCLE_1)
	s_add_i32 s8, s8, s11
	s_add_u32 s70, s70, s8
	s_addc_u32 s71, s71, 0
	s_and_b32 s8, s4, s16
	s_delay_alu instid0(SALU_CYCLE_1) | instskip(SKIP_1) | instid1(SALU_CYCLE_1)
	v_cndmask_b32_e64 v2, 0, 1, s8
	s_and_b32 s8, s5, s17
	v_cndmask_b32_e64 v3, 0, 1, s8
	s_and_b32 s8, s6, s18
	s_delay_alu instid0(SALU_CYCLE_1) | instskip(SKIP_1) | instid1(VALU_DEP_2)
	v_cndmask_b32_e64 v4, 0, 1, s8
	s_and_b32 s8, s7, s19
	v_cmp_ne_u32_e64 s9, 0, v3
	v_cndmask_b32_e64 v5, 0, 1, s8
	v_cmp_ne_u32_e64 s8, 0, v2
	v_cmp_ne_u32_e64 s10, 0, v4
	s_delay_alu instid0(VALU_DEP_4) | instskip(NEXT) | instid1(VALU_DEP_3)
	s_bcnt1_i32_b32 s9, s9
	v_cmp_ne_u32_e64 s11, 0, v5
	s_delay_alu instid0(VALU_DEP_3) | instskip(NEXT) | instid1(VALU_DEP_2)
	s_bcnt1_i32_b32 s8, s8
	s_bcnt1_i32_b32 s10, s10
	s_add_i32 s8, s9, s8
	s_delay_alu instid0(VALU_DEP_1) | instskip(SKIP_1) | instid1(SALU_CYCLE_1)
	s_bcnt1_i32_b32 s11, s11
	s_add_i32 s8, s8, s10
	s_add_i32 s8, s8, s11
	s_delay_alu instid0(SALU_CYCLE_1)
	s_add_u32 s68, s68, s8
	s_addc_u32 s69, s69, 0
	s_and_b32 s4, s4, s20
	v_mov_b32_e32 v6, s68
	v_cndmask_b32_e64 v2, 0, 1, s4
	s_and_b32 s4, s5, s21
	v_mov_b32_e32 v7, s69
	v_cndmask_b32_e64 v3, 0, 1, s4
	s_and_b32 s4, s6, s22
	s_delay_alu instid0(SALU_CYCLE_1) | instskip(SKIP_1) | instid1(VALU_DEP_2)
	v_cndmask_b32_e64 v4, 0, 1, s4
	s_and_b32 s4, s7, s23
	v_cmp_ne_u32_e64 s5, 0, v3
	v_cndmask_b32_e64 v5, 0, 1, s4
	v_cmp_ne_u32_e64 s4, 0, v2
	v_mov_b32_e32 v2, s72
	v_cmp_ne_u32_e64 s6, 0, v4
	s_bcnt1_i32_b32 s5, s5
	v_cmp_ne_u32_e64 s7, 0, v5
	s_bcnt1_i32_b32 s4, s4
	v_mov_b32_e32 v4, s70
	s_bcnt1_i32_b32 s6, s6
	s_add_i32 s4, s5, s4
	s_bcnt1_i32_b32 s5, s7
	s_add_i32 s4, s4, s6
	v_mov_b32_e32 v3, s73
	s_add_i32 s4, s4, s5
	v_mov_b32_e32 v5, s71
	s_add_u32 s66, s66, s4
	s_addc_u32 s67, s67, 0
	s_delay_alu instid0(SALU_CYCLE_1) | instskip(SKIP_1) | instid1(SALU_CYCLE_1)
	v_dual_mov_b32 v8, s66 :: v_dual_mov_b32 v9, s67
	s_or_b32 s96, vcc_lo, s96
	s_and_not1_b32 exec_lo, exec_lo, s96
	s_cbranch_execnz .LBB5_68
; %bb.69:                               ;   in Loop: Header=BB5_17 Depth=1
	s_or_b32 exec_lo, exec_lo, s96
.LBB5_70:                               ;   in Loop: Header=BB5_17 Depth=1
	s_delay_alu instid0(SALU_CYCLE_1) | instskip(SKIP_3) | instid1(VALU_DEP_1)
	s_or_b32 exec_lo, exec_lo, s65
	v_and_b32_e32 v25, 0xffff, v12
	v_add_nc_u32_e32 v12, s54, v0
	s_mov_b32 s9, exec_lo
	v_cmpx_gt_u32_e64 s64, v12
	s_cbranch_execz .LBB5_74
; %bb.71:                               ;   in Loop: Header=BB5_17 Depth=1
	v_dual_mov_b32 v24, v13 :: v_dual_mov_b32 v23, v12
	s_mov_b32 s11, 0
	s_and_b32 s10, s64, 0x7fffffff
	s_and_b32 s13, s85, 0xfe
	s_mov_b32 s12, s11
.LBB5_72:                               ;   Parent Loop BB5_17 Depth=1
                                        ; =>  This Inner Loop Header: Depth=2
	ds_load_u8 v26, v12
	v_add_co_u32 v23, vcc_lo, v23, v25
	v_add_co_ci_u32_e32 v24, vcc_lo, 0, v24, vcc_lo
	v_add_nc_u32_e32 v12, v12, v25
	s_delay_alu instid0(VALU_DEP_2) | instskip(SKIP_3) | instid1(VALU_DEP_2)
	v_cmp_le_u64_e32 vcc_lo, s[10:11], v[23:24]
	s_waitcnt lgkmcnt(0)
	v_and_b32_e32 v27, s94, v26
	v_bfe_u32 v26, v26, s13, 2
	v_cmp_eq_u32_e64 s4, s95, v27
	s_delay_alu instid0(VALU_DEP_2) | instskip(SKIP_3) | instid1(VALU_DEP_4)
	v_cmp_eq_u32_e64 s5, 0, v26
	v_cmp_eq_u32_e64 s6, 1, v26
	;; [unrolled: 1-line block ×4, first 2 shown]
	s_and_b32 s5, s4, s5
	s_delay_alu instid0(SALU_CYCLE_1) | instskip(SKIP_1) | instid1(SALU_CYCLE_1)
	v_cndmask_b32_e64 v26, 0, 1, s5
	s_and_b32 s5, s4, s6
	v_cndmask_b32_e64 v27, 0, 1, s5
	s_and_b32 s5, s4, s7
	s_and_b32 s4, s4, s8
	v_cndmask_b32_e64 v28, 0, 1, s5
	v_cndmask_b32_e64 v29, 0, 1, s4
	v_cmp_ne_u32_e64 s4, 0, v26
	v_cmp_ne_u32_e64 s5, 0, v27
	s_delay_alu instid0(VALU_DEP_4) | instskip(NEXT) | instid1(VALU_DEP_4)
	v_cmp_ne_u32_e64 s6, 0, v28
	v_cmp_ne_u32_e64 s7, 0, v29
	s_delay_alu instid0(VALU_DEP_4) | instskip(NEXT) | instid1(VALU_DEP_3)
	s_bcnt1_i32_b32 s4, s4
	s_bcnt1_i32_b32 s5, s5
	v_add_co_u32 v2, s4, v2, s4
	s_delay_alu instid0(VALU_DEP_1)
	v_add_co_ci_u32_e64 v3, s4, 0, v3, s4
	v_add_co_u32 v4, s4, v4, s5
	s_bcnt1_i32_b32 s6, s6
	v_add_co_ci_u32_e64 v5, s4, 0, v5, s4
	v_add_co_u32 v6, s4, v6, s6
	s_bcnt1_i32_b32 s7, s7
	v_add_co_ci_u32_e64 v7, s4, 0, v7, s4
	v_add_co_u32 v8, s4, v8, s7
	s_delay_alu instid0(VALU_DEP_1) | instskip(SKIP_1) | instid1(SALU_CYCLE_1)
	v_add_co_ci_u32_e64 v9, s4, 0, v9, s4
	s_or_b32 s12, vcc_lo, s12
	s_and_not1_b32 exec_lo, exec_lo, s12
	s_cbranch_execnz .LBB5_72
; %bb.73:                               ;   in Loop: Header=BB5_17 Depth=1
	s_or_b32 exec_lo, exec_lo, s12
.LBB5_74:                               ;   in Loop: Header=BB5_17 Depth=1
	s_delay_alu instid0(SALU_CYCLE_1)
	s_or_b32 exec_lo, exec_lo, s9
.LBB5_75:                               ;   in Loop: Header=BB5_17 Depth=1
	s_lshl_b32 s4, s90, 7
	s_and_saveexec_b32 s5, s1
	s_cbranch_execz .LBB5_77
; %bb.76:                               ;   in Loop: Header=BB5_17 Depth=1
	v_or_b32_e32 v12, s4, v32
	s_delay_alu instid0(VALU_DEP_1)
	v_lshlrev_b32_e32 v12, 3, v12
	ds_store_b128 v12, v[2:5] offset:3072
	ds_store_b128 v12, v[6:9] offset:3088
.LBB5_77:                               ;   in Loop: Header=BB5_17 Depth=1
	s_or_b32 exec_lo, exec_lo, s5
	s_waitcnt vmcnt(0) lgkmcnt(0)
	s_barrier
	buffer_gl0_inv
	s_and_saveexec_b32 s5, s75
	s_cbranch_execz .LBB5_88
; %bb.78:                               ;   in Loop: Header=BB5_17 Depth=1
	v_mov_b32_e32 v2, 0
	v_mov_b32_e32 v3, 0
	s_and_not1_b32 vcc_lo, exec_lo, s77
	s_cbranch_vccnz .LBB5_87
; %bb.79:                               ;   in Loop: Header=BB5_17 Depth=1
	v_mov_b32_e32 v2, 0
	v_mov_b32_e32 v3, 0
	s_and_not1_b32 vcc_lo, exec_lo, s82
	s_cbranch_vccnz .LBB5_84
; %bb.80:                               ;   in Loop: Header=BB5_17 Depth=1
	v_lshl_add_u32 v4, s90, 10, v37
	s_mov_b32 s6, 0
	s_set_inst_prefetch_distance 0x1
	.p2align	6
.LBB5_81:                               ;   Parent Loop BB5_17 Depth=1
                                        ; =>  This Inner Loop Header: Depth=2
	ds_load_2addr_b64 v[5:8], v4 offset1:4
	ds_load_2addr_b64 v[23:26], v4 offset0:8 offset1:12
	ds_load_2addr_b64 v[27:30], v4 offset0:16 offset1:20
	s_add_i32 s6, s6, 8
	s_delay_alu instid0(SALU_CYCLE_1) | instskip(SKIP_3) | instid1(VALU_DEP_2)
	s_cmp_eq_u32 s83, s6
	s_waitcnt lgkmcnt(2)
	v_add_co_u32 v2, vcc_lo, v5, v2
	v_add_co_ci_u32_e32 v3, vcc_lo, v6, v3, vcc_lo
	v_add_co_u32 v2, vcc_lo, v7, v2
	s_delay_alu instid0(VALU_DEP_2)
	v_add_co_ci_u32_e32 v3, vcc_lo, v8, v3, vcc_lo
	ds_load_2addr_b64 v[5:8], v4 offset0:24 offset1:28
	s_waitcnt lgkmcnt(2)
	v_add_co_u32 v2, vcc_lo, v23, v2
	v_add_co_ci_u32_e32 v3, vcc_lo, v24, v3, vcc_lo
	v_add_nc_u32_e32 v4, 0x100, v4
	s_delay_alu instid0(VALU_DEP_3) | instskip(NEXT) | instid1(VALU_DEP_3)
	v_add_co_u32 v2, vcc_lo, v25, v2
	v_add_co_ci_u32_e32 v3, vcc_lo, v26, v3, vcc_lo
	s_waitcnt lgkmcnt(1)
	s_delay_alu instid0(VALU_DEP_2) | instskip(NEXT) | instid1(VALU_DEP_2)
	v_add_co_u32 v2, vcc_lo, v27, v2
	v_add_co_ci_u32_e32 v3, vcc_lo, v28, v3, vcc_lo
	s_delay_alu instid0(VALU_DEP_2) | instskip(NEXT) | instid1(VALU_DEP_2)
	v_add_co_u32 v2, vcc_lo, v29, v2
	v_add_co_ci_u32_e32 v3, vcc_lo, v30, v3, vcc_lo
	s_waitcnt lgkmcnt(0)
	s_delay_alu instid0(VALU_DEP_2) | instskip(NEXT) | instid1(VALU_DEP_2)
	v_add_co_u32 v2, vcc_lo, v5, v2
	v_add_co_ci_u32_e32 v3, vcc_lo, v6, v3, vcc_lo
	s_delay_alu instid0(VALU_DEP_2) | instskip(NEXT) | instid1(VALU_DEP_2)
	v_add_co_u32 v2, vcc_lo, v7, v2
	v_add_co_ci_u32_e32 v3, vcc_lo, v8, v3, vcc_lo
	s_cbranch_scc0 .LBB5_81
; %bb.82:                               ;   in Loop: Header=BB5_17 Depth=1
	s_set_inst_prefetch_distance 0x2
	s_mov_b32 s6, s83
	s_and_not1_b32 vcc_lo, exec_lo, s84
	s_cbranch_vccz .LBB5_85
	s_branch .LBB5_87
.LBB5_83:                               ;   in Loop: Header=BB5_17 Depth=1
                                        ; implicit-def: $vgpr23_vgpr24
	s_branch .LBB5_51
.LBB5_84:                               ;   in Loop: Header=BB5_17 Depth=1
	s_mov_b32 s6, 0
	s_and_not1_b32 vcc_lo, exec_lo, s84
	s_cbranch_vccnz .LBB5_87
.LBB5_85:                               ;   in Loop: Header=BB5_17 Depth=1
	s_lshl_b32 s7, s90, 10
	s_lshl_b32 s6, s6, 5
	s_delay_alu instid0(SALU_CYCLE_1)
	v_add3_u32 v4, s7, s6, v37
	s_mov_b32 s6, s81
.LBB5_86:                               ;   Parent Loop BB5_17 Depth=1
                                        ; =>  This Inner Loop Header: Depth=2
	ds_load_b64 v[5:6], v4
	v_add_nc_u32_e32 v4, 32, v4
	s_add_i32 s6, s6, -1
	s_delay_alu instid0(SALU_CYCLE_1)
	s_cmp_lg_u32 s6, 0
	s_waitcnt lgkmcnt(0)
	v_add_co_u32 v2, vcc_lo, v5, v2
	v_add_co_ci_u32_e32 v3, vcc_lo, v6, v3, vcc_lo
	s_cbranch_scc1 .LBB5_86
.LBB5_87:                               ;   in Loop: Header=BB5_17 Depth=1
	v_add_lshl_u32 v4, s4, v31, 3
	ds_store_b64 v4, v[2:3] offset:3072
.LBB5_88:                               ;   in Loop: Header=BB5_17 Depth=1
	s_or_b32 exec_lo, exec_lo, s5
	s_lshl_b32 s4, s4, 3
	s_waitcnt lgkmcnt(0)
	v_mov_b32_e32 v6, s4
	s_barrier
	buffer_gl0_inv
	s_and_b32 s17, s85, 0xfe
	s_mov_b32 s19, -1
	ds_load_b128 v[2:5], v6 offset:3072
	ds_load_b128 v[6:9], v6 offset:3088
	s_lshl_b32 s16, 3, s17
	s_delay_alu instid0(SALU_CYCLE_1)
	s_not_b32 s18, s16
	s_waitcnt lgkmcnt(1)
	v_readfirstlane_b32 s13, v3
	v_readfirstlane_b32 s12, v2
	;; [unrolled: 1-line block ×4, first 2 shown]
	s_waitcnt lgkmcnt(0)
	v_readfirstlane_b32 s8, v6
	v_readfirstlane_b32 s9, v7
	s_cmp_eq_u64 s[12:13], 1
	v_readfirstlane_b32 s6, v8
	s_cselect_b32 s4, -1, 0
	s_cmp_eq_u64 s[26:27], 1
	v_readfirstlane_b32 s7, v9
	s_cselect_b32 s5, -1, 0
	s_delay_alu instid0(SALU_CYCLE_1) | instskip(NEXT) | instid1(SALU_CYCLE_1)
	s_and_b32 s20, s4, s5
	s_and_b32 vcc_lo, exec_lo, s20
	s_cbranch_vccz .LBB5_102
; %bb.89:                               ;   in Loop: Header=BB5_17 Depth=1
	ds_load_b64 v[2:3], v13 offset:5120
	s_waitcnt lgkmcnt(0)
	s_barrier
	buffer_gl0_inv
	v_readfirstlane_b32 s14, v2
	v_readfirstlane_b32 s15, v3
	s_and_saveexec_b32 s4, s3
	s_cbranch_execz .LBB5_91
; %bb.90:                               ;   in Loop: Header=BB5_17 Depth=1
	ds_store_b8 v0, v13 offset:3072
.LBB5_91:                               ;   in Loop: Header=BB5_17 Depth=1
	s_or_b32 exec_lo, exec_lo, s4
	s_delay_alu instid0(VALU_DEP_1)
	v_cmp_lt_i64_e64 s4, s[14:15], 1
	s_and_b32 s95, s95, s18
	s_or_b32 s94, s94, s16
	s_waitcnt lgkmcnt(0)
	s_barrier
	buffer_gl0_inv
	s_and_b32 vcc_lo, exec_lo, s4
	s_cbranch_vccz .LBB5_103
; %bb.92:                               ;   in Loop: Header=BB5_17 Depth=1
	s_mov_b32 s58, s55
	s_delay_alu instid0(SALU_CYCLE_1)
	s_cmp_lg_u64 s[58:59], 0
	s_cbranch_scc0 .LBB5_146
; %bb.93:                               ;   in Loop: Header=BB5_17 Depth=1
	v_cvt_f32_u32_e32 v2, s33
	s_sub_u32 s21, 0, s33
	s_subb_u32 s22, 0, 0
	s_delay_alu instid0(VALU_DEP_1) | instskip(NEXT) | instid1(VALU_DEP_1)
	v_fmac_f32_e32 v2, 0x4f800000, v38
	v_rcp_f32_e32 v2, v2
	s_waitcnt_depctr 0xfff
	v_mul_f32_e32 v2, 0x5f7ffffc, v2
	s_delay_alu instid0(VALU_DEP_1) | instskip(NEXT) | instid1(VALU_DEP_1)
	v_mul_f32_e32 v3, 0x2f800000, v2
	v_trunc_f32_e32 v3, v3
	s_delay_alu instid0(VALU_DEP_1) | instskip(SKIP_1) | instid1(VALU_DEP_2)
	v_fmac_f32_e32 v2, 0xcf800000, v3
	v_cvt_u32_f32_e32 v3, v3
	v_cvt_u32_f32_e32 v2, v2
	s_delay_alu instid0(VALU_DEP_2) | instskip(NEXT) | instid1(VALU_DEP_2)
	v_readfirstlane_b32 s4, v3
	v_readfirstlane_b32 s5, v2
	s_delay_alu instid0(VALU_DEP_2) | instskip(NEXT) | instid1(VALU_DEP_1)
	s_mul_i32 s23, s21, s4
	s_mul_hi_u32 s58, s21, s5
	s_mul_i32 s54, s22, s5
	s_add_i32 s23, s58, s23
	s_mul_i32 s64, s21, s5
	s_add_i32 s23, s23, s54
	s_mul_hi_u32 s58, s5, s64
	s_mul_hi_u32 s65, s4, s64
	s_mul_i32 s54, s4, s64
	s_mul_hi_u32 s64, s5, s23
	s_mul_i32 s5, s5, s23
	s_mul_hi_u32 s66, s4, s23
	s_add_u32 s5, s58, s5
	s_addc_u32 s58, 0, s64
	s_add_u32 s5, s5, s54
	s_mul_i32 s23, s4, s23
	s_addc_u32 s5, s58, s65
	s_addc_u32 s54, s66, 0
	s_add_u32 s5, s5, s23
	s_addc_u32 s23, 0, s54
	v_add_co_u32 v2, s5, v2, s5
	s_delay_alu instid0(VALU_DEP_1) | instskip(SKIP_1) | instid1(VALU_DEP_1)
	s_cmp_lg_u32 s5, 0
	s_addc_u32 s4, s4, s23
	v_readfirstlane_b32 s5, v2
	s_mul_i32 s23, s21, s4
	s_delay_alu instid0(VALU_DEP_1)
	s_mul_hi_u32 s54, s21, s5
	s_mul_i32 s22, s22, s5
	s_add_i32 s23, s54, s23
	s_mul_i32 s21, s21, s5
	s_add_i32 s23, s23, s22
	s_mul_hi_u32 s54, s4, s21
	s_mul_i32 s58, s4, s21
	s_mul_hi_u32 s21, s5, s21
	s_mul_hi_u32 s64, s5, s23
	s_mul_i32 s5, s5, s23
	s_mul_hi_u32 s22, s4, s23
	s_add_u32 s5, s21, s5
	s_addc_u32 s21, 0, s64
	s_add_u32 s5, s5, s58
	s_mul_i32 s23, s4, s23
	s_addc_u32 s5, s21, s54
	s_addc_u32 s21, s22, 0
	s_add_u32 s5, s5, s23
	s_addc_u32 s21, 0, s21
	v_add_co_u32 v2, s5, v2, s5
	s_delay_alu instid0(VALU_DEP_1) | instskip(SKIP_2) | instid1(VALU_DEP_1)
	s_cmp_lg_u32 s5, 0
	s_addc_u32 s21, s4, s21
	s_ashr_i32 s22, s59, 31
	v_readfirstlane_b32 s54, v2
	s_add_u32 s4, s80, s22
	s_mov_b32 s23, s22
	s_addc_u32 s5, s59, s22
	s_delay_alu instid0(SALU_CYCLE_1) | instskip(NEXT) | instid1(SALU_CYCLE_1)
	s_xor_b64 s[4:5], s[4:5], s[22:23]
	s_mul_i32 s58, s4, s21
	s_mul_hi_u32 s64, s4, s54
	s_mul_hi_u32 s23, s4, s21
	;; [unrolled: 1-line block ×3, first 2 shown]
	s_mul_i32 s54, s5, s54
	s_add_u32 s58, s64, s58
	s_addc_u32 s23, 0, s23
	s_mul_hi_u32 s65, s5, s21
	s_add_u32 s54, s58, s54
	s_mul_i32 s21, s5, s21
	s_addc_u32 s23, s23, s66
	s_addc_u32 s54, s65, 0
	s_add_u32 s21, s23, s21
	s_addc_u32 s23, 0, s54
	s_mul_hi_u32 s54, s33, s21
	s_mul_i32 s21, s33, s21
	s_mul_i32 s23, s33, s23
	v_sub_co_u32 v2, s4, s4, s21
	s_add_i32 s54, s54, s23
	s_cmp_lg_u32 s4, 0
	s_delay_alu instid0(VALU_DEP_1) | instskip(SKIP_2) | instid1(VALU_DEP_1)
	v_sub_co_u32 v3, s4, v2, s33
	s_subb_u32 s5, s5, s54
	s_cmp_lg_u32 s4, 0
	v_cmp_le_u32_e32 vcc_lo, s33, v3
	v_sub_co_u32 v4, s4, v3, s33
	s_subb_u32 s21, s5, 0
	s_cmp_lg_u32 s4, 0
	v_cndmask_b32_e64 v5, 0, -1, vcc_lo
	s_subb_u32 s4, s21, 0
	s_cmp_eq_u32 s21, 0
	v_mov_b32_e32 v7, s4
	s_cselect_b32 vcc_lo, -1, 0
	s_cmp_eq_u32 s5, 0
	v_cndmask_b32_e32 v5, -1, v5, vcc_lo
	v_cmp_le_u32_e32 vcc_lo, s33, v2
	s_cselect_b32 s4, -1, 0
	v_cndmask_b32_e64 v6, 0, -1, vcc_lo
	s_delay_alu instid0(VALU_DEP_3) | instskip(NEXT) | instid1(VALU_DEP_2)
	v_cmp_ne_u32_e32 vcc_lo, 0, v5
	v_cndmask_b32_e64 v5, -1, v6, s4
	v_cndmask_b32_e32 v3, v3, v4, vcc_lo
	v_cndmask_b32_e32 v6, s21, v7, vcc_lo
	s_delay_alu instid0(VALU_DEP_3) | instskip(NEXT) | instid1(VALU_DEP_3)
	v_cmp_ne_u32_e32 vcc_lo, 0, v5
	v_cndmask_b32_e32 v2, v2, v3, vcc_lo
	s_delay_alu instid0(VALU_DEP_3) | instskip(NEXT) | instid1(VALU_DEP_2)
	v_cndmask_b32_e32 v4, s5, v6, vcc_lo
	v_xor_b32_e32 v2, s22, v2
	s_delay_alu instid0(VALU_DEP_2) | instskip(NEXT) | instid1(VALU_DEP_2)
	v_xor_b32_e32 v3, s22, v4
	v_sub_co_u32 v2, vcc_lo, v2, s22
	s_delay_alu instid0(VALU_DEP_2)
	v_subrev_co_ci_u32_e32 v3, vcc_lo, s22, v3, vcc_lo
	s_cbranch_execnz .LBB5_95
.LBB5_94:                               ;   in Loop: Header=BB5_17 Depth=1
	v_cvt_f32_u32_e32 v2, s33
	s_sub_i32 s4, 0, s33
	s_delay_alu instid0(VALU_DEP_1) | instskip(SKIP_2) | instid1(VALU_DEP_1)
	v_rcp_iflag_f32_e32 v2, v2
	s_waitcnt_depctr 0xfff
	v_mul_f32_e32 v2, 0x4f7ffffe, v2
	v_cvt_u32_f32_e32 v2, v2
	s_delay_alu instid0(VALU_DEP_1) | instskip(NEXT) | instid1(VALU_DEP_1)
	v_mul_lo_u32 v3, s4, v2
	v_mul_hi_u32 v3, v2, v3
	s_delay_alu instid0(VALU_DEP_1) | instskip(NEXT) | instid1(VALU_DEP_1)
	v_add_nc_u32_e32 v2, v2, v3
	v_mul_hi_u32 v2, s80, v2
	s_delay_alu instid0(VALU_DEP_1) | instskip(NEXT) | instid1(VALU_DEP_1)
	v_mul_lo_u32 v2, v2, s33
	v_sub_nc_u32_e32 v2, s80, v2
	s_delay_alu instid0(VALU_DEP_1) | instskip(SKIP_1) | instid1(VALU_DEP_2)
	v_subrev_nc_u32_e32 v3, s33, v2
	v_cmp_le_u32_e32 vcc_lo, s33, v2
	v_cndmask_b32_e32 v2, v2, v3, vcc_lo
	s_delay_alu instid0(VALU_DEP_1) | instskip(SKIP_1) | instid1(VALU_DEP_2)
	v_subrev_nc_u32_e32 v3, s33, v2
	v_cmp_le_u32_e32 vcc_lo, s33, v2
	v_cndmask_b32_e32 v12, v2, v3, vcc_lo
	s_delay_alu instid0(VALU_DEP_1)
	v_dual_mov_b32 v2, v12 :: v_dual_mov_b32 v3, v13
.LBB5_95:                               ;   in Loop: Header=BB5_17 Depth=1
	s_delay_alu instid0(VALU_DEP_1) | instskip(NEXT) | instid1(VALU_DEP_2)
	v_sub_co_u32 v2, vcc_lo, s80, v2
	v_sub_co_ci_u32_e32 v3, vcc_lo, s59, v3, vcc_lo
	s_mov_b32 s4, 0
	s_mov_b32 s5, exec_lo
                                        ; implicit-def: $vgpr39
	s_delay_alu instid0(VALU_DEP_1)
	v_cmpx_gt_i64_e64 v[2:3], v[0:1]
	s_cbranch_execz .LBB5_105
; %bb.96:                               ;   in Loop: Header=BB5_17 Depth=1
	v_dual_mov_b32 v4, v10 :: v_dual_mov_b32 v5, v11
	v_dual_mov_b32 v7, v1 :: v_dual_mov_b32 v6, v0
	s_mov_b32 s21, 0
                                        ; implicit-def: $sgpr22
	s_set_inst_prefetch_distance 0x1
	s_branch .LBB5_98
	.p2align	6
.LBB5_97:                               ;   in Loop: Header=BB5_98 Depth=2
	s_or_b32 exec_lo, exec_lo, s4
	s_waitcnt lgkmcnt(0)
	s_barrier
	buffer_gl0_inv
	ds_load_u16 v8, v13 offset:3072
	v_add_co_u32 v6, vcc_lo, v6, s33
	v_add_co_ci_u32_e32 v7, vcc_lo, 0, v7, vcc_lo
	s_waitcnt lgkmcnt(0)
	s_barrier
	buffer_gl0_inv
	v_cmp_ge_i64_e32 vcc_lo, v[6:7], v[2:3]
	v_and_b32_e32 v9, 0xff, v8
	s_delay_alu instid0(VALU_DEP_1) | instskip(NEXT) | instid1(VALU_DEP_1)
	v_cmp_ne_u16_e64 s4, 0, v9
	s_or_b32 s23, s4, vcc_lo
	v_add_co_u32 v4, vcc_lo, v4, s74
	s_and_b32 s23, exec_lo, s23
	v_add_co_ci_u32_e32 v5, vcc_lo, s35, v5, vcc_lo
	s_or_b32 s21, s23, s21
	s_and_not1_b32 s22, s22, exec_lo
	s_and_b32 s4, s4, exec_lo
	s_delay_alu instid0(SALU_CYCLE_1)
	s_or_b32 s22, s22, s4
	s_and_not1_b32 exec_lo, exec_lo, s21
	s_cbranch_execz .LBB5_104
.LBB5_98:                               ;   Parent Loop BB5_17 Depth=1
                                        ; =>  This Inner Loop Header: Depth=2
	s_delay_alu instid0(VALU_DEP_1)
	v_cmp_gt_i64_e32 vcc_lo, s[24:25], v[6:7]
	v_mov_b32_e32 v8, 0
	s_and_saveexec_b32 s4, vcc_lo
	s_cbranch_execz .LBB5_100
; %bb.99:                               ;   in Loop: Header=BB5_98 Depth=2
	global_load_u8 v8, v[4:5], off
.LBB5_100:                              ;   in Loop: Header=BB5_98 Depth=2
	s_or_b32 exec_lo, exec_lo, s4
	s_waitcnt vmcnt(0)
	v_and_b32_e32 v9, s94, v8
	s_delay_alu instid0(VALU_DEP_1) | instskip(NEXT) | instid1(VALU_DEP_1)
	v_and_b32_e32 v9, 0xff, v9
	v_cmp_eq_u32_e64 s4, s95, v9
	s_delay_alu instid0(VALU_DEP_1) | instskip(NEXT) | instid1(SALU_CYCLE_1)
	s_and_b32 s23, vcc_lo, s4
	s_and_saveexec_b32 s4, s23
	s_cbranch_execz .LBB5_97
; %bb.101:                              ;   in Loop: Header=BB5_98 Depth=2
	v_lshlrev_b16 v8, 8, v8
	s_delay_alu instid0(VALU_DEP_1)
	v_or_b32_e32 v8, 1, v8
	ds_store_b16 v13, v8 offset:3072
	s_branch .LBB5_97
.LBB5_102:                              ;   in Loop: Header=BB5_17 Depth=1
	s_mov_b32 s4, -1
                                        ; implicit-def: $sgpr5
                                        ; implicit-def: $sgpr22
                                        ; implicit-def: $sgpr21
	s_branch .LBB5_118
.LBB5_103:                              ;   in Loop: Header=BB5_17 Depth=1
	s_mov_b32 s5, -1
	s_mov_b32 s4, 0
                                        ; implicit-def: $sgpr21
                                        ; implicit-def: $vgpr39
	s_mov_b32 s22, s5
	s_cbranch_execnz .LBB5_106
	s_branch .LBB5_118
.LBB5_104:                              ;   in Loop: Header=BB5_17 Depth=1
	s_set_inst_prefetch_distance 0x2
	s_or_b32 exec_lo, exec_lo, s21
	v_lshrrev_b16 v39, 8, v8
	s_and_b32 s4, s22, exec_lo
.LBB5_105:                              ;   in Loop: Header=BB5_17 Depth=1
	s_or_b32 exec_lo, exec_lo, s5
	s_mov_b32 s21, -1
	s_mov_b32 s5, 0
	s_delay_alu instid0(SALU_CYCLE_1)
	s_mov_b32 s22, s5
	s_branch .LBB5_118
.LBB5_106:                              ;   in Loop: Header=BB5_17 Depth=1
	s_add_u32 s21, s78, s14
	s_addc_u32 s5, s79, s15
	s_mov_b32 s4, s55
	s_delay_alu instid0(SALU_CYCLE_1)
	s_cmp_lg_u64 s[4:5], 0
	s_cbranch_scc0 .LBB5_147
; %bb.107:                              ;   in Loop: Header=BB5_17 Depth=1
	v_cvt_f32_u32_e32 v2, s33
	s_sub_u32 s23, 0, s33
	s_subb_u32 s54, 0, 0
	s_delay_alu instid0(VALU_DEP_1) | instskip(NEXT) | instid1(VALU_DEP_1)
	v_fmac_f32_e32 v2, 0x4f800000, v38
	v_rcp_f32_e32 v2, v2
	s_waitcnt_depctr 0xfff
	v_mul_f32_e32 v2, 0x5f7ffffc, v2
	s_delay_alu instid0(VALU_DEP_1) | instskip(NEXT) | instid1(VALU_DEP_1)
	v_mul_f32_e32 v3, 0x2f800000, v2
	v_trunc_f32_e32 v3, v3
	s_delay_alu instid0(VALU_DEP_1) | instskip(SKIP_1) | instid1(VALU_DEP_2)
	v_fmac_f32_e32 v2, 0xcf800000, v3
	v_cvt_u32_f32_e32 v3, v3
	v_cvt_u32_f32_e32 v2, v2
	s_delay_alu instid0(VALU_DEP_2) | instskip(NEXT) | instid1(VALU_DEP_2)
	v_readfirstlane_b32 s4, v3
	v_readfirstlane_b32 s22, v2
	s_delay_alu instid0(VALU_DEP_2) | instskip(NEXT) | instid1(VALU_DEP_1)
	s_mul_i32 s58, s23, s4
	s_mul_hi_u32 s65, s23, s22
	s_mul_i32 s64, s54, s22
	s_add_i32 s58, s65, s58
	s_mul_i32 s66, s23, s22
	s_add_i32 s58, s58, s64
	s_mul_hi_u32 s65, s22, s66
	s_mul_hi_u32 s67, s4, s66
	s_mul_i32 s64, s4, s66
	s_mul_hi_u32 s66, s22, s58
	s_mul_i32 s22, s22, s58
	s_mul_hi_u32 s68, s4, s58
	s_add_u32 s22, s65, s22
	s_addc_u32 s65, 0, s66
	s_add_u32 s22, s22, s64
	s_mul_i32 s58, s4, s58
	s_addc_u32 s22, s65, s67
	s_addc_u32 s64, s68, 0
	s_add_u32 s22, s22, s58
	s_addc_u32 s58, 0, s64
	v_add_co_u32 v2, s22, v2, s22
	s_delay_alu instid0(VALU_DEP_1) | instskip(SKIP_1) | instid1(VALU_DEP_1)
	s_cmp_lg_u32 s22, 0
	s_addc_u32 s4, s4, s58
	v_readfirstlane_b32 s22, v2
	s_mul_i32 s58, s23, s4
	s_delay_alu instid0(VALU_DEP_1)
	s_mul_hi_u32 s64, s23, s22
	s_mul_i32 s54, s54, s22
	s_add_i32 s58, s64, s58
	s_mul_i32 s23, s23, s22
	s_add_i32 s58, s58, s54
	s_mul_hi_u32 s64, s4, s23
	s_mul_i32 s65, s4, s23
	s_mul_hi_u32 s23, s22, s23
	s_mul_hi_u32 s66, s22, s58
	s_mul_i32 s22, s22, s58
	s_mul_hi_u32 s54, s4, s58
	s_add_u32 s22, s23, s22
	s_addc_u32 s23, 0, s66
	s_add_u32 s22, s22, s65
	s_mul_i32 s58, s4, s58
	s_addc_u32 s22, s23, s64
	s_addc_u32 s23, s54, 0
	s_add_u32 s22, s22, s58
	s_addc_u32 s23, 0, s23
	v_add_co_u32 v2, s22, v2, s22
	s_delay_alu instid0(VALU_DEP_1) | instskip(SKIP_2) | instid1(VALU_DEP_1)
	s_cmp_lg_u32 s22, 0
	s_addc_u32 s4, s4, s23
	s_ashr_i32 s22, s5, 31
	v_readfirstlane_b32 s54, v2
	s_add_u32 s64, s21, s22
	s_mov_b32 s23, s22
	s_addc_u32 s65, s5, s22
	s_delay_alu instid0(SALU_CYCLE_1) | instskip(NEXT) | instid1(SALU_CYCLE_1)
	s_xor_b64 s[64:65], s[64:65], s[22:23]
	s_mul_i32 s58, s64, s4
	s_mul_hi_u32 s66, s64, s54
	s_mul_hi_u32 s23, s64, s4
	;; [unrolled: 1-line block ×3, first 2 shown]
	s_mul_i32 s54, s65, s54
	s_add_u32 s58, s66, s58
	s_addc_u32 s23, 0, s23
	s_mul_hi_u32 s67, s65, s4
	s_add_u32 s54, s58, s54
	s_mul_i32 s4, s65, s4
	s_addc_u32 s23, s23, s68
	s_addc_u32 s54, s67, 0
	s_add_u32 s4, s23, s4
	s_addc_u32 s23, 0, s54
	s_mul_hi_u32 s54, s33, s4
	s_mul_i32 s4, s33, s4
	s_mul_i32 s23, s33, s23
	v_sub_co_u32 v2, s4, s64, s4
	s_add_i32 s54, s54, s23
	s_cmp_lg_u32 s4, 0
	s_delay_alu instid0(VALU_DEP_1) | instskip(SKIP_2) | instid1(VALU_DEP_1)
	v_sub_co_u32 v3, s4, v2, s33
	s_subb_u32 s23, s65, s54
	s_cmp_lg_u32 s4, 0
	v_cmp_le_u32_e32 vcc_lo, s33, v3
	v_sub_co_u32 v4, s4, v3, s33
	s_subb_u32 s54, s23, 0
	s_cmp_lg_u32 s4, 0
	v_cndmask_b32_e64 v5, 0, -1, vcc_lo
	s_subb_u32 s4, s54, 0
	s_cmp_eq_u32 s54, 0
	v_mov_b32_e32 v7, s4
	s_cselect_b32 vcc_lo, -1, 0
	s_cmp_eq_u32 s23, 0
	v_cndmask_b32_e32 v5, -1, v5, vcc_lo
	v_cmp_le_u32_e32 vcc_lo, s33, v2
	s_cselect_b32 s4, -1, 0
	v_cndmask_b32_e64 v6, 0, -1, vcc_lo
	s_delay_alu instid0(VALU_DEP_3) | instskip(NEXT) | instid1(VALU_DEP_2)
	v_cmp_ne_u32_e32 vcc_lo, 0, v5
	v_cndmask_b32_e64 v5, -1, v6, s4
	v_cndmask_b32_e32 v3, v3, v4, vcc_lo
	v_cndmask_b32_e32 v6, s54, v7, vcc_lo
	s_delay_alu instid0(VALU_DEP_3) | instskip(NEXT) | instid1(VALU_DEP_3)
	v_cmp_ne_u32_e32 vcc_lo, 0, v5
	v_cndmask_b32_e32 v2, v2, v3, vcc_lo
	s_delay_alu instid0(VALU_DEP_3) | instskip(NEXT) | instid1(VALU_DEP_2)
	v_cndmask_b32_e32 v4, s23, v6, vcc_lo
	v_xor_b32_e32 v2, s22, v2
	s_delay_alu instid0(VALU_DEP_2) | instskip(NEXT) | instid1(VALU_DEP_2)
	v_xor_b32_e32 v3, s22, v4
	v_sub_co_u32 v2, vcc_lo, v2, s22
	s_delay_alu instid0(VALU_DEP_2)
	v_subrev_co_ci_u32_e32 v3, vcc_lo, s22, v3, vcc_lo
	s_cbranch_execnz .LBB5_109
.LBB5_108:                              ;   in Loop: Header=BB5_17 Depth=1
	v_cvt_f32_u32_e32 v2, s33
	s_sub_i32 s4, 0, s33
	s_delay_alu instid0(VALU_DEP_1) | instskip(SKIP_2) | instid1(VALU_DEP_1)
	v_rcp_iflag_f32_e32 v2, v2
	s_waitcnt_depctr 0xfff
	v_mul_f32_e32 v2, 0x4f7ffffe, v2
	v_cvt_u32_f32_e32 v2, v2
	s_delay_alu instid0(VALU_DEP_1) | instskip(NEXT) | instid1(VALU_DEP_1)
	v_mul_lo_u32 v3, s4, v2
	v_mul_hi_u32 v3, v2, v3
	s_delay_alu instid0(VALU_DEP_1) | instskip(NEXT) | instid1(VALU_DEP_1)
	v_add_nc_u32_e32 v2, v2, v3
	v_mul_hi_u32 v2, s21, v2
	s_delay_alu instid0(VALU_DEP_1) | instskip(NEXT) | instid1(VALU_DEP_1)
	v_mul_lo_u32 v2, v2, s33
	v_sub_nc_u32_e32 v2, s21, v2
	s_delay_alu instid0(VALU_DEP_1) | instskip(SKIP_1) | instid1(VALU_DEP_2)
	v_subrev_nc_u32_e32 v3, s33, v2
	v_cmp_le_u32_e32 vcc_lo, s33, v2
	v_cndmask_b32_e32 v2, v2, v3, vcc_lo
	s_delay_alu instid0(VALU_DEP_1) | instskip(SKIP_1) | instid1(VALU_DEP_2)
	v_subrev_nc_u32_e32 v3, s33, v2
	v_cmp_le_u32_e32 vcc_lo, s33, v2
	v_cndmask_b32_e32 v12, v2, v3, vcc_lo
	s_delay_alu instid0(VALU_DEP_1)
	v_dual_mov_b32 v2, v12 :: v_dual_mov_b32 v3, v13
.LBB5_109:                              ;   in Loop: Header=BB5_17 Depth=1
	s_delay_alu instid0(VALU_DEP_1) | instskip(NEXT) | instid1(VALU_DEP_2)
	v_sub_co_u32 v2, vcc_lo, s21, v2
	v_sub_co_ci_u32_e32 v3, vcc_lo, s5, v3, vcc_lo
	s_mov_b32 s4, 0
	s_mov_b32 s5, exec_lo
                                        ; implicit-def: $vgpr39
	s_delay_alu instid0(VALU_DEP_1)
	v_cmpx_gt_i64_e64 v[2:3], v[0:1]
	s_cbranch_execz .LBB5_117
; %bb.110:                              ;   in Loop: Header=BB5_17 Depth=1
	v_dual_mov_b32 v6, v0 :: v_dual_mov_b32 v5, v1
	v_mov_b32_e32 v4, v0
	s_mov_b32 s21, 0
                                        ; implicit-def: $sgpr22
	s_set_inst_prefetch_distance 0x1
	s_branch .LBB5_112
	.p2align	6
.LBB5_111:                              ;   in Loop: Header=BB5_112 Depth=2
	s_or_b32 exec_lo, exec_lo, s4
	s_waitcnt lgkmcnt(0)
	s_barrier
	buffer_gl0_inv
	ds_load_u16 v7, v13 offset:3072
	v_add_co_u32 v4, vcc_lo, v4, s33
	v_add_co_ci_u32_e32 v5, vcc_lo, 0, v5, vcc_lo
	v_add_nc_u32_e32 v6, s33, v6
	s_waitcnt lgkmcnt(0)
	s_barrier
	s_delay_alu instid0(VALU_DEP_2) | instskip(SKIP_2) | instid1(VALU_DEP_1)
	v_cmp_ge_i64_e32 vcc_lo, v[4:5], v[2:3]
	buffer_gl0_inv
	v_and_b32_e32 v8, 0xff, v7
	v_cmp_ne_u16_e64 s4, 0, v8
	s_delay_alu instid0(VALU_DEP_1) | instskip(NEXT) | instid1(SALU_CYCLE_1)
	s_or_b32 s23, s4, vcc_lo
	s_and_b32 s23, exec_lo, s23
	s_delay_alu instid0(SALU_CYCLE_1) | instskip(SKIP_2) | instid1(SALU_CYCLE_1)
	s_or_b32 s21, s23, s21
	s_and_not1_b32 s22, s22, exec_lo
	s_and_b32 s4, s4, exec_lo
	s_or_b32 s22, s22, s4
	s_and_not1_b32 exec_lo, exec_lo, s21
	s_cbranch_execz .LBB5_116
.LBB5_112:                              ;   Parent Loop BB5_17 Depth=1
                                        ; =>  This Inner Loop Header: Depth=2
	s_delay_alu instid0(VALU_DEP_1)
	v_cmp_gt_i64_e32 vcc_lo, s[14:15], v[4:5]
	v_mov_b32_e32 v7, 0
	s_and_saveexec_b32 s4, vcc_lo
	s_cbranch_execz .LBB5_114
; %bb.113:                              ;   in Loop: Header=BB5_112 Depth=2
	ds_load_u8 v7, v6
.LBB5_114:                              ;   in Loop: Header=BB5_112 Depth=2
	s_or_b32 exec_lo, exec_lo, s4
	s_waitcnt lgkmcnt(0)
	v_and_b32_e32 v8, s94, v7
	s_delay_alu instid0(VALU_DEP_1) | instskip(NEXT) | instid1(VALU_DEP_1)
	v_and_b32_e32 v8, 0xff, v8
	v_cmp_eq_u32_e64 s4, s95, v8
	s_delay_alu instid0(VALU_DEP_1) | instskip(NEXT) | instid1(SALU_CYCLE_1)
	s_and_b32 s23, vcc_lo, s4
	s_and_saveexec_b32 s4, s23
	s_cbranch_execz .LBB5_111
; %bb.115:                              ;   in Loop: Header=BB5_112 Depth=2
	v_lshlrev_b16 v7, 8, v7
	s_delay_alu instid0(VALU_DEP_1)
	v_or_b32_e32 v7, 1, v7
	ds_store_b16 v13, v7 offset:3072
	s_branch .LBB5_111
.LBB5_116:                              ;   in Loop: Header=BB5_17 Depth=1
	s_set_inst_prefetch_distance 0x2
	s_or_b32 exec_lo, exec_lo, s21
	v_lshrrev_b16 v39, 8, v7
	s_and_b32 s4, s22, exec_lo
.LBB5_117:                              ;   in Loop: Header=BB5_17 Depth=1
	s_or_b32 exec_lo, exec_lo, s5
	s_mov_b32 s22, -1
	s_mov_b32 s5, 0
	s_mov_b32 s21, 0
.LBB5_118:                              ;   in Loop: Header=BB5_17 Depth=1
	s_and_not1_b32 s14, s91, exec_lo
	s_and_b32 s5, s5, exec_lo
	s_and_not1_b32 s15, s92, exec_lo
	s_or_b32 s91, s14, s5
	s_and_not1_b32 s5, s93, exec_lo
	s_and_b32 s14, s22, exec_lo
	s_and_b32 s21, s21, exec_lo
	s_or_b32 s93, s5, s14
	s_or_b32 s92, s15, s21
	s_and_saveexec_b32 s14, s4
	s_cbranch_execz .LBB5_16
; %bb.119:                              ;   in Loop: Header=BB5_17 Depth=1
	s_xor_b32 s4, s20, -1
	s_mov_b32 s58, 1
	s_and_not1_b32 vcc_lo, exec_lo, s4
	s_cbranch_vccnz .LBB5_130
; %bb.120:                              ;   in Loop: Header=BB5_17 Depth=1
	v_cmp_gt_i64_e64 s4, s[26:27], s[12:13]
                                        ; implicit-def: $sgpr58
                                        ; implicit-def: $sgpr5
                                        ; implicit-def: $sgpr15
	s_delay_alu instid0(VALU_DEP_1)
	s_and_b32 vcc_lo, exec_lo, s4
	s_mov_b32 s4, -1
	s_cbranch_vccnz .LBB5_126
; %bb.121:                              ;   in Loop: Header=BB5_17 Depth=1
	ds_load_b64 v[2:3], v13 offset:5120
	s_waitcnt lgkmcnt(0)
	v_cmp_ne_u64_e32 vcc_lo, 0, v[2:3]
	s_cbranch_vccnz .LBB5_125
; %bb.122:                              ;   in Loop: Header=BB5_17 Depth=1
	s_and_saveexec_b32 s4, s2
	s_cbranch_execz .LBB5_124
; %bb.123:                              ;   in Loop: Header=BB5_17 Depth=1
	v_dual_mov_b32 v2, s12 :: v_dual_mov_b32 v3, s13
	ds_store_b64 v13, v[2:3] offset:5128
.LBB5_124:                              ;   in Loop: Header=BB5_17 Depth=1
	s_or_b32 exec_lo, exec_lo, s4
	s_waitcnt lgkmcnt(0)
	s_barrier
	buffer_gl0_inv
.LBB5_125:                              ;   in Loop: Header=BB5_17 Depth=1
	s_and_b32 s5, s95, s18
	s_or_b32 s15, s94, s16
	s_mov_b32 s4, 0
	s_mov_b32 s58, 8
.LBB5_126:                              ;   in Loop: Header=BB5_17 Depth=1
	s_and_not1_b32 vcc_lo, exec_lo, s4
	s_cbranch_vccnz .LBB5_128
; %bb.127:                              ;   in Loop: Header=BB5_17 Depth=1
	s_sub_u32 s26, s26, s12
	s_subb_u32 s27, s27, s13
	s_mov_b32 s4, -1
	s_mov_b32 s58, 0
	s_mov_b32 s5, s95
	s_mov_b32 s15, s94
.LBB5_128:                              ;   in Loop: Header=BB5_17 Depth=1
	s_delay_alu instid0(SALU_CYCLE_1)
	s_mov_b32 s94, s15
	s_mov_b32 s95, s5
	s_and_b32 vcc_lo, exec_lo, s4
	s_mov_b32 s15, -1
	s_cbranch_vccnz .LBB5_131
.LBB5_129:                              ;   in Loop: Header=BB5_17 Depth=1
	s_mov_b32 s5, -1
                                        ; implicit-def: $sgpr19
                                        ; implicit-def: $sgpr21
                                        ; implicit-def: $sgpr20
	s_delay_alu instid0(SALU_CYCLE_1) | instskip(NEXT) | instid1(SALU_CYCLE_1)
	s_and_saveexec_b32 s4, s5
	s_xor_b32 s4, exec_lo, s4
	s_cbranch_execz .LBB5_15
	s_branch .LBB5_271
.LBB5_130:                              ;   in Loop: Header=BB5_17 Depth=1
	s_mov_b64 s[26:27], 1
	s_mov_b32 s15, -1
	s_branch .LBB5_129
.LBB5_131:                              ;   in Loop: Header=BB5_17 Depth=1
	s_cmp_eq_u64 s[10:11], 1
	s_cselect_b32 s4, -1, 0
	s_cmp_eq_u64 s[26:27], 1
	s_cselect_b32 s5, -1, 0
	s_delay_alu instid0(SALU_CYCLE_1)
	s_and_b32 s22, s4, s5
	s_mov_b32 s4, -1
	s_and_b32 vcc_lo, exec_lo, s22
	s_cbranch_vccz .LBB5_145
; %bb.132:                              ;   in Loop: Header=BB5_17 Depth=1
	ds_load_b64 v[2:3], v13 offset:5120
	s_waitcnt lgkmcnt(0)
	s_barrier
	buffer_gl0_inv
	v_readfirstlane_b32 s12, v2
	v_readfirstlane_b32 s13, v3
	s_and_saveexec_b32 s4, s3
	s_cbranch_execz .LBB5_134
; %bb.133:                              ;   in Loop: Header=BB5_17 Depth=1
	ds_store_b8 v0, v13 offset:3072
.LBB5_134:                              ;   in Loop: Header=BB5_17 Depth=1
	s_or_b32 exec_lo, exec_lo, s4
	s_delay_alu instid0(VALU_DEP_1)
	v_cmp_gt_i64_e64 s19, s[12:13], 0
	s_lshl_b32 s4, 1, s17
	s_and_b32 s5, s95, s18
	s_or_b32 s94, s94, s16
	s_or_b32 s95, s5, s4
	s_waitcnt lgkmcnt(0)
	s_and_b32 vcc_lo, exec_lo, s19
	s_barrier
	buffer_gl0_inv
	s_cbranch_vccnz .LBB5_148
; %bb.135:                              ;   in Loop: Header=BB5_17 Depth=1
	s_mov_b32 s58, s55
	s_delay_alu instid0(SALU_CYCLE_1)
	s_cmp_lg_u64 s[58:59], 0
	s_cbranch_scc0 .LBB5_191
; %bb.136:                              ;   in Loop: Header=BB5_17 Depth=1
	v_cvt_f32_u32_e32 v2, s33
	s_sub_u32 s19, 0, s33
	s_subb_u32 s20, 0, 0
	s_delay_alu instid0(VALU_DEP_1) | instskip(NEXT) | instid1(VALU_DEP_1)
	v_fmac_f32_e32 v2, 0x4f800000, v38
	v_rcp_f32_e32 v2, v2
	s_waitcnt_depctr 0xfff
	v_mul_f32_e32 v2, 0x5f7ffffc, v2
	s_delay_alu instid0(VALU_DEP_1) | instskip(NEXT) | instid1(VALU_DEP_1)
	v_mul_f32_e32 v3, 0x2f800000, v2
	v_trunc_f32_e32 v3, v3
	s_delay_alu instid0(VALU_DEP_1) | instskip(SKIP_1) | instid1(VALU_DEP_2)
	v_fmac_f32_e32 v2, 0xcf800000, v3
	v_cvt_u32_f32_e32 v3, v3
	v_cvt_u32_f32_e32 v2, v2
	s_delay_alu instid0(VALU_DEP_2) | instskip(NEXT) | instid1(VALU_DEP_2)
	v_readfirstlane_b32 s4, v3
	v_readfirstlane_b32 s5, v2
	s_delay_alu instid0(VALU_DEP_2) | instskip(NEXT) | instid1(VALU_DEP_1)
	s_mul_i32 s21, s19, s4
	s_mul_hi_u32 s54, s19, s5
	s_mul_i32 s23, s20, s5
	s_add_i32 s21, s54, s21
	s_mul_i32 s58, s19, s5
	s_add_i32 s21, s21, s23
	s_mul_hi_u32 s54, s5, s58
	s_mul_hi_u32 s64, s4, s58
	s_mul_i32 s23, s4, s58
	s_mul_hi_u32 s58, s5, s21
	s_mul_i32 s5, s5, s21
	s_mul_hi_u32 s65, s4, s21
	s_add_u32 s5, s54, s5
	s_addc_u32 s54, 0, s58
	s_add_u32 s5, s5, s23
	s_mul_i32 s21, s4, s21
	s_addc_u32 s5, s54, s64
	s_addc_u32 s23, s65, 0
	s_add_u32 s5, s5, s21
	s_addc_u32 s21, 0, s23
	v_add_co_u32 v2, s5, v2, s5
	s_delay_alu instid0(VALU_DEP_1) | instskip(SKIP_1) | instid1(VALU_DEP_1)
	s_cmp_lg_u32 s5, 0
	s_addc_u32 s4, s4, s21
	v_readfirstlane_b32 s5, v2
	s_mul_i32 s21, s19, s4
	s_delay_alu instid0(VALU_DEP_1)
	s_mul_hi_u32 s23, s19, s5
	s_mul_i32 s20, s20, s5
	s_add_i32 s21, s23, s21
	s_mul_i32 s19, s19, s5
	s_add_i32 s21, s21, s20
	s_mul_hi_u32 s23, s4, s19
	s_mul_i32 s54, s4, s19
	s_mul_hi_u32 s19, s5, s19
	s_mul_hi_u32 s58, s5, s21
	s_mul_i32 s5, s5, s21
	s_mul_hi_u32 s20, s4, s21
	s_add_u32 s5, s19, s5
	s_addc_u32 s19, 0, s58
	s_add_u32 s5, s5, s54
	s_mul_i32 s21, s4, s21
	s_addc_u32 s5, s19, s23
	s_addc_u32 s19, s20, 0
	s_add_u32 s5, s5, s21
	s_addc_u32 s19, 0, s19
	v_add_co_u32 v2, s5, v2, s5
	s_delay_alu instid0(VALU_DEP_1) | instskip(SKIP_2) | instid1(VALU_DEP_1)
	s_cmp_lg_u32 s5, 0
	s_addc_u32 s19, s4, s19
	s_ashr_i32 s20, s59, 31
	v_readfirstlane_b32 s23, v2
	s_add_u32 s4, s80, s20
	s_mov_b32 s21, s20
	s_addc_u32 s5, s59, s20
	s_delay_alu instid0(SALU_CYCLE_1) | instskip(NEXT) | instid1(SALU_CYCLE_1)
	s_xor_b64 s[4:5], s[4:5], s[20:21]
	s_mul_i32 s54, s4, s19
	s_mul_hi_u32 s58, s4, s23
	s_mul_hi_u32 s21, s4, s19
	;; [unrolled: 1-line block ×3, first 2 shown]
	s_mul_i32 s23, s5, s23
	s_add_u32 s54, s58, s54
	s_addc_u32 s21, 0, s21
	s_mul_hi_u32 s64, s5, s19
	s_add_u32 s23, s54, s23
	s_mul_i32 s19, s5, s19
	s_addc_u32 s21, s21, s65
	s_addc_u32 s23, s64, 0
	s_add_u32 s19, s21, s19
	s_addc_u32 s21, 0, s23
	s_mul_hi_u32 s23, s33, s19
	s_mul_i32 s19, s33, s19
	s_mul_i32 s21, s33, s21
	v_sub_co_u32 v2, s4, s4, s19
	s_add_i32 s23, s23, s21
	s_cmp_lg_u32 s4, 0
	s_delay_alu instid0(VALU_DEP_1) | instskip(SKIP_2) | instid1(VALU_DEP_1)
	v_sub_co_u32 v3, s4, v2, s33
	s_subb_u32 s5, s5, s23
	s_cmp_lg_u32 s4, 0
	v_cmp_le_u32_e32 vcc_lo, s33, v3
	v_sub_co_u32 v4, s4, v3, s33
	s_subb_u32 s19, s5, 0
	s_cmp_lg_u32 s4, 0
	v_cndmask_b32_e64 v5, 0, -1, vcc_lo
	s_subb_u32 s4, s19, 0
	s_cmp_eq_u32 s19, 0
	v_mov_b32_e32 v7, s4
	s_cselect_b32 vcc_lo, -1, 0
	s_cmp_eq_u32 s5, 0
	v_cndmask_b32_e32 v5, -1, v5, vcc_lo
	v_cmp_le_u32_e32 vcc_lo, s33, v2
	s_cselect_b32 s4, -1, 0
	v_cndmask_b32_e64 v6, 0, -1, vcc_lo
	s_delay_alu instid0(VALU_DEP_3) | instskip(NEXT) | instid1(VALU_DEP_2)
	v_cmp_ne_u32_e32 vcc_lo, 0, v5
	v_cndmask_b32_e64 v5, -1, v6, s4
	v_cndmask_b32_e32 v3, v3, v4, vcc_lo
	v_cndmask_b32_e32 v6, s19, v7, vcc_lo
	s_delay_alu instid0(VALU_DEP_3) | instskip(NEXT) | instid1(VALU_DEP_3)
	v_cmp_ne_u32_e32 vcc_lo, 0, v5
	v_cndmask_b32_e32 v2, v2, v3, vcc_lo
	s_delay_alu instid0(VALU_DEP_3) | instskip(NEXT) | instid1(VALU_DEP_2)
	v_cndmask_b32_e32 v4, s5, v6, vcc_lo
	v_xor_b32_e32 v2, s20, v2
	s_delay_alu instid0(VALU_DEP_2) | instskip(NEXT) | instid1(VALU_DEP_2)
	v_xor_b32_e32 v3, s20, v4
	v_sub_co_u32 v2, vcc_lo, v2, s20
	s_delay_alu instid0(VALU_DEP_2)
	v_subrev_co_ci_u32_e32 v3, vcc_lo, s20, v3, vcc_lo
	s_cbranch_execnz .LBB5_138
.LBB5_137:                              ;   in Loop: Header=BB5_17 Depth=1
	v_cvt_f32_u32_e32 v2, s33
	s_sub_i32 s4, 0, s33
	s_delay_alu instid0(VALU_DEP_1) | instskip(SKIP_2) | instid1(VALU_DEP_1)
	v_rcp_iflag_f32_e32 v2, v2
	s_waitcnt_depctr 0xfff
	v_mul_f32_e32 v2, 0x4f7ffffe, v2
	v_cvt_u32_f32_e32 v2, v2
	s_delay_alu instid0(VALU_DEP_1) | instskip(NEXT) | instid1(VALU_DEP_1)
	v_mul_lo_u32 v3, s4, v2
	v_mul_hi_u32 v3, v2, v3
	s_delay_alu instid0(VALU_DEP_1) | instskip(NEXT) | instid1(VALU_DEP_1)
	v_add_nc_u32_e32 v2, v2, v3
	v_mul_hi_u32 v2, s80, v2
	s_delay_alu instid0(VALU_DEP_1) | instskip(NEXT) | instid1(VALU_DEP_1)
	v_mul_lo_u32 v2, v2, s33
	v_sub_nc_u32_e32 v2, s80, v2
	s_delay_alu instid0(VALU_DEP_1) | instskip(SKIP_1) | instid1(VALU_DEP_2)
	v_subrev_nc_u32_e32 v3, s33, v2
	v_cmp_le_u32_e32 vcc_lo, s33, v2
	v_cndmask_b32_e32 v2, v2, v3, vcc_lo
	s_delay_alu instid0(VALU_DEP_1) | instskip(SKIP_1) | instid1(VALU_DEP_2)
	v_subrev_nc_u32_e32 v3, s33, v2
	v_cmp_le_u32_e32 vcc_lo, s33, v2
	v_cndmask_b32_e32 v12, v2, v3, vcc_lo
	s_delay_alu instid0(VALU_DEP_1)
	v_dual_mov_b32 v2, v12 :: v_dual_mov_b32 v3, v13
.LBB5_138:                              ;   in Loop: Header=BB5_17 Depth=1
	s_delay_alu instid0(VALU_DEP_1) | instskip(NEXT) | instid1(VALU_DEP_2)
	v_sub_co_u32 v2, vcc_lo, s80, v2
	v_sub_co_ci_u32_e32 v3, vcc_lo, s59, v3, vcc_lo
	s_mov_b32 s4, 0
	s_mov_b32 s5, exec_lo
                                        ; implicit-def: $vgpr39
	s_delay_alu instid0(VALU_DEP_1)
	v_cmpx_gt_i64_e64 v[2:3], v[0:1]
	s_cbranch_execz .LBB5_150
; %bb.139:                              ;   in Loop: Header=BB5_17 Depth=1
	v_dual_mov_b32 v4, v10 :: v_dual_mov_b32 v5, v11
	v_dual_mov_b32 v7, v1 :: v_dual_mov_b32 v6, v0
	s_mov_b32 s19, 0
                                        ; implicit-def: $sgpr20
	s_set_inst_prefetch_distance 0x1
	s_branch .LBB5_141
	.p2align	6
.LBB5_140:                              ;   in Loop: Header=BB5_141 Depth=2
	s_or_b32 exec_lo, exec_lo, s4
	s_waitcnt lgkmcnt(0)
	s_barrier
	buffer_gl0_inv
	ds_load_u16 v8, v13 offset:3072
	v_add_co_u32 v6, vcc_lo, v6, s33
	v_add_co_ci_u32_e32 v7, vcc_lo, 0, v7, vcc_lo
	s_waitcnt lgkmcnt(0)
	s_barrier
	buffer_gl0_inv
	v_cmp_ge_i64_e32 vcc_lo, v[6:7], v[2:3]
	v_and_b32_e32 v9, 0xff, v8
	s_delay_alu instid0(VALU_DEP_1) | instskip(NEXT) | instid1(VALU_DEP_1)
	v_cmp_ne_u16_e64 s4, 0, v9
	s_or_b32 s21, s4, vcc_lo
	v_add_co_u32 v4, vcc_lo, v4, s74
	s_and_b32 s21, exec_lo, s21
	v_add_co_ci_u32_e32 v5, vcc_lo, s35, v5, vcc_lo
	s_or_b32 s19, s21, s19
	s_and_not1_b32 s20, s20, exec_lo
	s_and_b32 s4, s4, exec_lo
	s_delay_alu instid0(SALU_CYCLE_1)
	s_or_b32 s20, s20, s4
	s_and_not1_b32 exec_lo, exec_lo, s19
	s_cbranch_execz .LBB5_149
.LBB5_141:                              ;   Parent Loop BB5_17 Depth=1
                                        ; =>  This Inner Loop Header: Depth=2
	s_delay_alu instid0(VALU_DEP_1)
	v_cmp_gt_i64_e32 vcc_lo, s[24:25], v[6:7]
	v_mov_b32_e32 v8, 0
	s_and_saveexec_b32 s4, vcc_lo
	s_cbranch_execz .LBB5_143
; %bb.142:                              ;   in Loop: Header=BB5_141 Depth=2
	global_load_u8 v8, v[4:5], off
.LBB5_143:                              ;   in Loop: Header=BB5_141 Depth=2
	s_or_b32 exec_lo, exec_lo, s4
	s_waitcnt vmcnt(0)
	v_and_b32_e32 v9, s94, v8
	s_delay_alu instid0(VALU_DEP_1) | instskip(NEXT) | instid1(VALU_DEP_1)
	v_and_b32_e32 v9, 0xff, v9
	v_cmp_eq_u32_e64 s4, s95, v9
	s_delay_alu instid0(VALU_DEP_1) | instskip(NEXT) | instid1(SALU_CYCLE_1)
	s_and_b32 s21, vcc_lo, s4
	s_and_saveexec_b32 s4, s21
	s_cbranch_execz .LBB5_140
; %bb.144:                              ;   in Loop: Header=BB5_141 Depth=2
	v_lshlrev_b16 v8, 8, v8
	s_delay_alu instid0(VALU_DEP_1)
	v_or_b32_e32 v8, 1, v8
	ds_store_b16 v13, v8 offset:3072
	s_branch .LBB5_140
.LBB5_145:                              ;   in Loop: Header=BB5_17 Depth=1
                                        ; implicit-def: $sgpr20
                                        ; implicit-def: $sgpr21
                                        ; implicit-def: $sgpr19
	s_branch .LBB5_163
.LBB5_146:                              ;   in Loop: Header=BB5_17 Depth=1
                                        ; implicit-def: $vgpr2_vgpr3
	s_branch .LBB5_94
.LBB5_147:                              ;   in Loop: Header=BB5_17 Depth=1
                                        ; implicit-def: $vgpr2_vgpr3
	s_branch .LBB5_108
.LBB5_148:                              ;   in Loop: Header=BB5_17 Depth=1
	s_mov_b32 s20, -1
	s_mov_b32 s4, 0
                                        ; implicit-def: $sgpr19
                                        ; implicit-def: $vgpr39
	s_mov_b32 s21, s20
	s_cbranch_execnz .LBB5_151
	s_branch .LBB5_163
.LBB5_149:                              ;   in Loop: Header=BB5_17 Depth=1
	s_set_inst_prefetch_distance 0x2
	s_or_b32 exec_lo, exec_lo, s19
	v_lshrrev_b16 v39, 8, v8
	s_and_b32 s4, s20, exec_lo
.LBB5_150:                              ;   in Loop: Header=BB5_17 Depth=1
	s_or_b32 exec_lo, exec_lo, s5
	s_mov_b32 s19, -1
	s_mov_b32 s20, 0
	s_delay_alu instid0(SALU_CYCLE_1)
	s_mov_b32 s21, s20
	s_branch .LBB5_163
.LBB5_151:                              ;   in Loop: Header=BB5_17 Depth=1
	s_add_u32 s19, s78, s12
	s_addc_u32 s5, s79, s13
	s_mov_b32 s4, s55
	s_delay_alu instid0(SALU_CYCLE_1)
	s_cmp_lg_u64 s[4:5], 0
	s_cbranch_scc0 .LBB5_192
; %bb.152:                              ;   in Loop: Header=BB5_17 Depth=1
	v_cvt_f32_u32_e32 v2, s33
	s_sub_u32 s21, 0, s33
	s_subb_u32 s23, 0, 0
	s_delay_alu instid0(VALU_DEP_1) | instskip(NEXT) | instid1(VALU_DEP_1)
	v_fmac_f32_e32 v2, 0x4f800000, v38
	v_rcp_f32_e32 v2, v2
	s_waitcnt_depctr 0xfff
	v_mul_f32_e32 v2, 0x5f7ffffc, v2
	s_delay_alu instid0(VALU_DEP_1) | instskip(NEXT) | instid1(VALU_DEP_1)
	v_mul_f32_e32 v3, 0x2f800000, v2
	v_trunc_f32_e32 v3, v3
	s_delay_alu instid0(VALU_DEP_1) | instskip(SKIP_1) | instid1(VALU_DEP_2)
	v_fmac_f32_e32 v2, 0xcf800000, v3
	v_cvt_u32_f32_e32 v3, v3
	v_cvt_u32_f32_e32 v2, v2
	s_delay_alu instid0(VALU_DEP_2) | instskip(NEXT) | instid1(VALU_DEP_2)
	v_readfirstlane_b32 s4, v3
	v_readfirstlane_b32 s20, v2
	s_delay_alu instid0(VALU_DEP_2) | instskip(NEXT) | instid1(VALU_DEP_1)
	s_mul_i32 s54, s21, s4
	s_mul_hi_u32 s64, s21, s20
	s_mul_i32 s58, s23, s20
	s_add_i32 s54, s64, s54
	s_mul_i32 s65, s21, s20
	s_add_i32 s54, s54, s58
	s_mul_hi_u32 s64, s20, s65
	s_mul_hi_u32 s66, s4, s65
	s_mul_i32 s58, s4, s65
	s_mul_hi_u32 s65, s20, s54
	s_mul_i32 s20, s20, s54
	s_mul_hi_u32 s67, s4, s54
	s_add_u32 s20, s64, s20
	s_addc_u32 s64, 0, s65
	s_add_u32 s20, s20, s58
	s_mul_i32 s54, s4, s54
	s_addc_u32 s20, s64, s66
	s_addc_u32 s58, s67, 0
	s_add_u32 s20, s20, s54
	s_addc_u32 s54, 0, s58
	v_add_co_u32 v2, s20, v2, s20
	s_delay_alu instid0(VALU_DEP_1) | instskip(SKIP_1) | instid1(VALU_DEP_1)
	s_cmp_lg_u32 s20, 0
	s_addc_u32 s4, s4, s54
	v_readfirstlane_b32 s20, v2
	s_mul_i32 s54, s21, s4
	s_delay_alu instid0(VALU_DEP_1)
	s_mul_hi_u32 s58, s21, s20
	s_mul_i32 s23, s23, s20
	s_add_i32 s54, s58, s54
	s_mul_i32 s21, s21, s20
	s_add_i32 s54, s54, s23
	s_mul_hi_u32 s58, s4, s21
	s_mul_i32 s64, s4, s21
	s_mul_hi_u32 s21, s20, s21
	s_mul_hi_u32 s65, s20, s54
	s_mul_i32 s20, s20, s54
	s_mul_hi_u32 s23, s4, s54
	s_add_u32 s20, s21, s20
	s_addc_u32 s21, 0, s65
	s_add_u32 s20, s20, s64
	s_mul_i32 s54, s4, s54
	s_addc_u32 s20, s21, s58
	s_addc_u32 s21, s23, 0
	s_add_u32 s20, s20, s54
	s_addc_u32 s21, 0, s21
	v_add_co_u32 v2, s20, v2, s20
	s_delay_alu instid0(VALU_DEP_1) | instskip(SKIP_2) | instid1(VALU_DEP_1)
	s_cmp_lg_u32 s20, 0
	s_addc_u32 s4, s4, s21
	s_ashr_i32 s20, s5, 31
	v_readfirstlane_b32 s23, v2
	s_add_u32 s64, s19, s20
	s_mov_b32 s21, s20
	s_addc_u32 s65, s5, s20
	s_delay_alu instid0(SALU_CYCLE_1) | instskip(NEXT) | instid1(SALU_CYCLE_1)
	s_xor_b64 s[64:65], s[64:65], s[20:21]
	s_mul_i32 s54, s64, s4
	s_mul_hi_u32 s58, s64, s23
	s_mul_hi_u32 s21, s64, s4
	s_mul_hi_u32 s67, s65, s23
	s_mul_i32 s23, s65, s23
	s_add_u32 s54, s58, s54
	s_addc_u32 s21, 0, s21
	s_mul_hi_u32 s66, s65, s4
	s_add_u32 s23, s54, s23
	s_mul_i32 s4, s65, s4
	s_addc_u32 s21, s21, s67
	s_addc_u32 s23, s66, 0
	s_add_u32 s4, s21, s4
	s_addc_u32 s21, 0, s23
	s_mul_hi_u32 s23, s33, s4
	s_mul_i32 s4, s33, s4
	s_mul_i32 s21, s33, s21
	v_sub_co_u32 v2, s4, s64, s4
	s_add_i32 s23, s23, s21
	s_cmp_lg_u32 s4, 0
	s_delay_alu instid0(VALU_DEP_1) | instskip(SKIP_2) | instid1(VALU_DEP_1)
	v_sub_co_u32 v3, s4, v2, s33
	s_subb_u32 s21, s65, s23
	s_cmp_lg_u32 s4, 0
	v_cmp_le_u32_e32 vcc_lo, s33, v3
	v_sub_co_u32 v4, s4, v3, s33
	s_subb_u32 s23, s21, 0
	s_cmp_lg_u32 s4, 0
	v_cndmask_b32_e64 v5, 0, -1, vcc_lo
	s_subb_u32 s4, s23, 0
	s_cmp_eq_u32 s23, 0
	v_mov_b32_e32 v7, s4
	s_cselect_b32 vcc_lo, -1, 0
	s_cmp_eq_u32 s21, 0
	v_cndmask_b32_e32 v5, -1, v5, vcc_lo
	v_cmp_le_u32_e32 vcc_lo, s33, v2
	s_cselect_b32 s4, -1, 0
	v_cndmask_b32_e64 v6, 0, -1, vcc_lo
	s_delay_alu instid0(VALU_DEP_3) | instskip(NEXT) | instid1(VALU_DEP_2)
	v_cmp_ne_u32_e32 vcc_lo, 0, v5
	v_cndmask_b32_e64 v5, -1, v6, s4
	v_cndmask_b32_e32 v3, v3, v4, vcc_lo
	v_cndmask_b32_e32 v6, s23, v7, vcc_lo
	s_delay_alu instid0(VALU_DEP_3) | instskip(NEXT) | instid1(VALU_DEP_3)
	v_cmp_ne_u32_e32 vcc_lo, 0, v5
	v_cndmask_b32_e32 v2, v2, v3, vcc_lo
	s_delay_alu instid0(VALU_DEP_3) | instskip(NEXT) | instid1(VALU_DEP_2)
	v_cndmask_b32_e32 v4, s21, v6, vcc_lo
	v_xor_b32_e32 v2, s20, v2
	s_delay_alu instid0(VALU_DEP_2) | instskip(NEXT) | instid1(VALU_DEP_2)
	v_xor_b32_e32 v3, s20, v4
	v_sub_co_u32 v2, vcc_lo, v2, s20
	s_delay_alu instid0(VALU_DEP_2)
	v_subrev_co_ci_u32_e32 v3, vcc_lo, s20, v3, vcc_lo
	s_cbranch_execnz .LBB5_154
.LBB5_153:                              ;   in Loop: Header=BB5_17 Depth=1
	v_cvt_f32_u32_e32 v2, s33
	s_sub_i32 s4, 0, s33
	s_delay_alu instid0(VALU_DEP_1) | instskip(SKIP_2) | instid1(VALU_DEP_1)
	v_rcp_iflag_f32_e32 v2, v2
	s_waitcnt_depctr 0xfff
	v_mul_f32_e32 v2, 0x4f7ffffe, v2
	v_cvt_u32_f32_e32 v2, v2
	s_delay_alu instid0(VALU_DEP_1) | instskip(NEXT) | instid1(VALU_DEP_1)
	v_mul_lo_u32 v3, s4, v2
	v_mul_hi_u32 v3, v2, v3
	s_delay_alu instid0(VALU_DEP_1) | instskip(NEXT) | instid1(VALU_DEP_1)
	v_add_nc_u32_e32 v2, v2, v3
	v_mul_hi_u32 v2, s19, v2
	s_delay_alu instid0(VALU_DEP_1) | instskip(NEXT) | instid1(VALU_DEP_1)
	v_mul_lo_u32 v2, v2, s33
	v_sub_nc_u32_e32 v2, s19, v2
	s_delay_alu instid0(VALU_DEP_1) | instskip(SKIP_1) | instid1(VALU_DEP_2)
	v_subrev_nc_u32_e32 v3, s33, v2
	v_cmp_le_u32_e32 vcc_lo, s33, v2
	v_cndmask_b32_e32 v2, v2, v3, vcc_lo
	s_delay_alu instid0(VALU_DEP_1) | instskip(SKIP_1) | instid1(VALU_DEP_2)
	v_subrev_nc_u32_e32 v3, s33, v2
	v_cmp_le_u32_e32 vcc_lo, s33, v2
	v_cndmask_b32_e32 v12, v2, v3, vcc_lo
	s_delay_alu instid0(VALU_DEP_1)
	v_dual_mov_b32 v2, v12 :: v_dual_mov_b32 v3, v13
.LBB5_154:                              ;   in Loop: Header=BB5_17 Depth=1
	s_delay_alu instid0(VALU_DEP_1) | instskip(NEXT) | instid1(VALU_DEP_2)
	v_sub_co_u32 v2, vcc_lo, s19, v2
	v_sub_co_ci_u32_e32 v3, vcc_lo, s5, v3, vcc_lo
	s_mov_b32 s4, 0
	s_mov_b32 s5, exec_lo
                                        ; implicit-def: $vgpr39
	s_delay_alu instid0(VALU_DEP_1)
	v_cmpx_gt_i64_e64 v[2:3], v[0:1]
	s_cbranch_execz .LBB5_162
; %bb.155:                              ;   in Loop: Header=BB5_17 Depth=1
	v_dual_mov_b32 v6, v0 :: v_dual_mov_b32 v5, v1
	v_mov_b32_e32 v4, v0
	s_mov_b32 s19, 0
                                        ; implicit-def: $sgpr20
	s_set_inst_prefetch_distance 0x1
	s_branch .LBB5_157
	.p2align	6
.LBB5_156:                              ;   in Loop: Header=BB5_157 Depth=2
	s_or_b32 exec_lo, exec_lo, s4
	s_waitcnt lgkmcnt(0)
	s_barrier
	buffer_gl0_inv
	ds_load_u16 v7, v13 offset:3072
	v_add_co_u32 v4, vcc_lo, v4, s33
	v_add_co_ci_u32_e32 v5, vcc_lo, 0, v5, vcc_lo
	v_add_nc_u32_e32 v6, s33, v6
	s_waitcnt lgkmcnt(0)
	s_barrier
	s_delay_alu instid0(VALU_DEP_2) | instskip(SKIP_2) | instid1(VALU_DEP_1)
	v_cmp_ge_i64_e32 vcc_lo, v[4:5], v[2:3]
	buffer_gl0_inv
	v_and_b32_e32 v8, 0xff, v7
	v_cmp_ne_u16_e64 s4, 0, v8
	s_delay_alu instid0(VALU_DEP_1) | instskip(NEXT) | instid1(SALU_CYCLE_1)
	s_or_b32 s21, s4, vcc_lo
	s_and_b32 s21, exec_lo, s21
	s_delay_alu instid0(SALU_CYCLE_1) | instskip(SKIP_2) | instid1(SALU_CYCLE_1)
	s_or_b32 s19, s21, s19
	s_and_not1_b32 s20, s20, exec_lo
	s_and_b32 s4, s4, exec_lo
	s_or_b32 s20, s20, s4
	s_and_not1_b32 exec_lo, exec_lo, s19
	s_cbranch_execz .LBB5_161
.LBB5_157:                              ;   Parent Loop BB5_17 Depth=1
                                        ; =>  This Inner Loop Header: Depth=2
	s_delay_alu instid0(VALU_DEP_1)
	v_cmp_gt_i64_e32 vcc_lo, s[12:13], v[4:5]
	v_mov_b32_e32 v7, 0
	s_and_saveexec_b32 s4, vcc_lo
	s_cbranch_execz .LBB5_159
; %bb.158:                              ;   in Loop: Header=BB5_157 Depth=2
	ds_load_u8 v7, v6
.LBB5_159:                              ;   in Loop: Header=BB5_157 Depth=2
	s_or_b32 exec_lo, exec_lo, s4
	s_waitcnt lgkmcnt(0)
	v_and_b32_e32 v8, s94, v7
	s_delay_alu instid0(VALU_DEP_1) | instskip(NEXT) | instid1(VALU_DEP_1)
	v_and_b32_e32 v8, 0xff, v8
	v_cmp_eq_u32_e64 s4, s95, v8
	s_delay_alu instid0(VALU_DEP_1) | instskip(NEXT) | instid1(SALU_CYCLE_1)
	s_and_b32 s21, vcc_lo, s4
	s_and_saveexec_b32 s4, s21
	s_cbranch_execz .LBB5_156
; %bb.160:                              ;   in Loop: Header=BB5_157 Depth=2
	v_lshlrev_b16 v7, 8, v7
	s_delay_alu instid0(VALU_DEP_1)
	v_or_b32_e32 v7, 1, v7
	ds_store_b16 v13, v7 offset:3072
	s_branch .LBB5_156
.LBB5_161:                              ;   in Loop: Header=BB5_17 Depth=1
	s_set_inst_prefetch_distance 0x2
	s_or_b32 exec_lo, exec_lo, s19
	v_lshrrev_b16 v39, 8, v7
	s_and_b32 s4, s20, exec_lo
.LBB5_162:                              ;   in Loop: Header=BB5_17 Depth=1
	s_or_b32 exec_lo, exec_lo, s5
	s_mov_b32 s21, -1
	s_mov_b32 s20, 0
	s_mov_b32 s19, 0
.LBB5_163:                              ;   in Loop: Header=BB5_17 Depth=1
	s_mov_b32 s5, 0
                                        ; implicit-def: $sgpr58
	s_and_saveexec_b32 s12, s4
	s_cbranch_execz .LBB5_270
; %bb.164:                              ;   in Loop: Header=BB5_17 Depth=1
	s_xor_b32 s4, s22, -1
	s_mov_b32 s58, 1
	s_and_not1_b32 vcc_lo, exec_lo, s4
	s_cbranch_vccnz .LBB5_175
; %bb.165:                              ;   in Loop: Header=BB5_17 Depth=1
	v_cmp_gt_i64_e64 s4, s[26:27], s[10:11]
                                        ; implicit-def: $sgpr58
                                        ; implicit-def: $sgpr5
                                        ; implicit-def: $sgpr13
	s_delay_alu instid0(VALU_DEP_1)
	s_and_b32 vcc_lo, exec_lo, s4
	s_mov_b32 s4, -1
	s_cbranch_vccnz .LBB5_171
; %bb.166:                              ;   in Loop: Header=BB5_17 Depth=1
	ds_load_b64 v[2:3], v13 offset:5120
	s_waitcnt lgkmcnt(0)
	v_cmp_ne_u64_e32 vcc_lo, 0, v[2:3]
	s_cbranch_vccnz .LBB5_170
; %bb.167:                              ;   in Loop: Header=BB5_17 Depth=1
	s_and_saveexec_b32 s4, s2
	s_cbranch_execz .LBB5_169
; %bb.168:                              ;   in Loop: Header=BB5_17 Depth=1
	v_dual_mov_b32 v2, s10 :: v_dual_mov_b32 v3, s11
	ds_store_b64 v13, v[2:3] offset:5128
.LBB5_169:                              ;   in Loop: Header=BB5_17 Depth=1
	s_or_b32 exec_lo, exec_lo, s4
	s_waitcnt lgkmcnt(0)
	s_barrier
	buffer_gl0_inv
.LBB5_170:                              ;   in Loop: Header=BB5_17 Depth=1
	s_lshl_b32 s4, 1, s17
	s_and_b32 s5, s95, s18
	s_or_b32 s13, s94, s16
	s_or_b32 s5, s5, s4
	s_mov_b32 s4, 0
	s_mov_b32 s58, 8
.LBB5_171:                              ;   in Loop: Header=BB5_17 Depth=1
	s_and_not1_b32 vcc_lo, exec_lo, s4
	s_cbranch_vccnz .LBB5_173
; %bb.172:                              ;   in Loop: Header=BB5_17 Depth=1
	s_sub_u32 s26, s26, s10
	s_subb_u32 s27, s27, s11
	s_mov_b32 s4, -1
	s_mov_b32 s58, 0
	s_mov_b32 s5, s95
	;; [unrolled: 1-line block ×3, first 2 shown]
.LBB5_173:                              ;   in Loop: Header=BB5_17 Depth=1
	s_delay_alu instid0(SALU_CYCLE_1)
	s_mov_b32 s94, s13
	s_mov_b32 s95, s5
	s_and_not1_b32 vcc_lo, exec_lo, s4
	s_mov_b32 s5, -1
	s_cbranch_vccz .LBB5_176
.LBB5_174:                              ;   in Loop: Header=BB5_17 Depth=1
                                        ; implicit-def: $sgpr22
                                        ; implicit-def: $sgpr23
                                        ; implicit-def: $sgpr13
	s_branch .LBB5_269
.LBB5_175:                              ;   in Loop: Header=BB5_17 Depth=1
	s_mov_b64 s[26:27], 1
	s_mov_b32 s5, -1
	s_cbranch_execnz .LBB5_174
.LBB5_176:                              ;   in Loop: Header=BB5_17 Depth=1
	s_cmp_eq_u64 s[8:9], 1
	s_cselect_b32 s4, -1, 0
	s_cmp_eq_u64 s[26:27], 1
	s_cselect_b32 s5, -1, 0
	s_delay_alu instid0(SALU_CYCLE_1)
	s_and_b32 s54, s4, s5
	s_mov_b32 s4, -1
	s_and_b32 vcc_lo, exec_lo, s54
	s_cbranch_vccz .LBB5_190
; %bb.177:                              ;   in Loop: Header=BB5_17 Depth=1
	ds_load_b64 v[2:3], v13 offset:5120
	s_waitcnt lgkmcnt(0)
	s_barrier
	buffer_gl0_inv
	v_readfirstlane_b32 s10, v2
	v_readfirstlane_b32 s11, v3
	s_and_saveexec_b32 s4, s3
	s_cbranch_execz .LBB5_179
; %bb.178:                              ;   in Loop: Header=BB5_17 Depth=1
	ds_store_b8 v0, v13 offset:3072
.LBB5_179:                              ;   in Loop: Header=BB5_17 Depth=1
	s_or_b32 exec_lo, exec_lo, s4
	s_delay_alu instid0(VALU_DEP_1)
	v_cmp_gt_i64_e64 s13, s[10:11], 0
	s_lshl_b32 s4, 2, s17
	s_and_b32 s5, s95, s18
	s_or_b32 s94, s94, s16
	s_or_b32 s95, s5, s4
	s_waitcnt lgkmcnt(0)
	s_and_b32 vcc_lo, exec_lo, s13
	s_barrier
	buffer_gl0_inv
	s_cbranch_vccnz .LBB5_193
; %bb.180:                              ;   in Loop: Header=BB5_17 Depth=1
	s_mov_b32 s58, s55
	s_delay_alu instid0(SALU_CYCLE_1)
	s_cmp_lg_u64 s[58:59], 0
	s_cbranch_scc0 .LBB5_236
; %bb.181:                              ;   in Loop: Header=BB5_17 Depth=1
	v_cvt_f32_u32_e32 v2, s33
	s_sub_u32 s13, 0, s33
	s_subb_u32 s22, 0, 0
	s_delay_alu instid0(VALU_DEP_1) | instskip(NEXT) | instid1(VALU_DEP_1)
	v_fmac_f32_e32 v2, 0x4f800000, v38
	v_rcp_f32_e32 v2, v2
	s_waitcnt_depctr 0xfff
	v_mul_f32_e32 v2, 0x5f7ffffc, v2
	s_delay_alu instid0(VALU_DEP_1) | instskip(NEXT) | instid1(VALU_DEP_1)
	v_mul_f32_e32 v3, 0x2f800000, v2
	v_trunc_f32_e32 v3, v3
	s_delay_alu instid0(VALU_DEP_1) | instskip(SKIP_1) | instid1(VALU_DEP_2)
	v_fmac_f32_e32 v2, 0xcf800000, v3
	v_cvt_u32_f32_e32 v3, v3
	v_cvt_u32_f32_e32 v2, v2
	s_delay_alu instid0(VALU_DEP_2) | instskip(NEXT) | instid1(VALU_DEP_2)
	v_readfirstlane_b32 s4, v3
	v_readfirstlane_b32 s5, v2
	s_delay_alu instid0(VALU_DEP_2) | instskip(NEXT) | instid1(VALU_DEP_1)
	s_mul_i32 s23, s13, s4
	s_mul_hi_u32 s64, s13, s5
	s_mul_i32 s58, s22, s5
	s_add_i32 s23, s64, s23
	s_mul_i32 s65, s13, s5
	s_add_i32 s23, s23, s58
	s_mul_hi_u32 s64, s5, s65
	s_mul_hi_u32 s66, s4, s65
	s_mul_i32 s58, s4, s65
	s_mul_hi_u32 s65, s5, s23
	s_mul_i32 s5, s5, s23
	s_mul_hi_u32 s67, s4, s23
	s_add_u32 s5, s64, s5
	s_addc_u32 s64, 0, s65
	s_add_u32 s5, s5, s58
	s_mul_i32 s23, s4, s23
	s_addc_u32 s5, s64, s66
	s_addc_u32 s58, s67, 0
	s_add_u32 s5, s5, s23
	s_addc_u32 s23, 0, s58
	v_add_co_u32 v2, s5, v2, s5
	s_delay_alu instid0(VALU_DEP_1) | instskip(SKIP_1) | instid1(VALU_DEP_1)
	s_cmp_lg_u32 s5, 0
	s_addc_u32 s4, s4, s23
	v_readfirstlane_b32 s5, v2
	s_mul_i32 s23, s13, s4
	s_delay_alu instid0(VALU_DEP_1)
	s_mul_hi_u32 s58, s13, s5
	s_mul_i32 s22, s22, s5
	s_add_i32 s23, s58, s23
	s_mul_i32 s13, s13, s5
	s_add_i32 s23, s23, s22
	s_mul_hi_u32 s58, s4, s13
	s_mul_i32 s64, s4, s13
	s_mul_hi_u32 s13, s5, s13
	s_mul_hi_u32 s65, s5, s23
	s_mul_i32 s5, s5, s23
	s_mul_hi_u32 s22, s4, s23
	s_add_u32 s5, s13, s5
	s_addc_u32 s13, 0, s65
	s_add_u32 s5, s5, s64
	s_mul_i32 s23, s4, s23
	s_addc_u32 s5, s13, s58
	s_addc_u32 s13, s22, 0
	s_add_u32 s5, s5, s23
	s_addc_u32 s13, 0, s13
	v_add_co_u32 v2, s5, v2, s5
	s_delay_alu instid0(VALU_DEP_1) | instskip(SKIP_2) | instid1(VALU_DEP_1)
	s_cmp_lg_u32 s5, 0
	s_addc_u32 s13, s4, s13
	s_ashr_i32 s22, s59, 31
	v_readfirstlane_b32 s58, v2
	s_add_u32 s4, s80, s22
	s_mov_b32 s23, s22
	s_addc_u32 s5, s59, s22
	s_delay_alu instid0(SALU_CYCLE_1) | instskip(NEXT) | instid1(SALU_CYCLE_1)
	s_xor_b64 s[4:5], s[4:5], s[22:23]
	s_mul_i32 s64, s4, s13
	s_mul_hi_u32 s65, s4, s58
	s_mul_hi_u32 s23, s4, s13
	;; [unrolled: 1-line block ×3, first 2 shown]
	s_mul_i32 s58, s5, s58
	s_add_u32 s64, s65, s64
	s_addc_u32 s23, 0, s23
	s_mul_hi_u32 s66, s5, s13
	s_add_u32 s58, s64, s58
	s_mul_i32 s13, s5, s13
	s_addc_u32 s23, s23, s67
	s_addc_u32 s58, s66, 0
	s_add_u32 s13, s23, s13
	s_addc_u32 s23, 0, s58
	s_mul_hi_u32 s58, s33, s13
	s_mul_i32 s13, s33, s13
	s_mul_i32 s23, s33, s23
	v_sub_co_u32 v2, s4, s4, s13
	s_add_i32 s58, s58, s23
	s_cmp_lg_u32 s4, 0
	s_delay_alu instid0(VALU_DEP_1) | instskip(SKIP_2) | instid1(VALU_DEP_1)
	v_sub_co_u32 v3, s4, v2, s33
	s_subb_u32 s5, s5, s58
	s_cmp_lg_u32 s4, 0
	v_cmp_le_u32_e32 vcc_lo, s33, v3
	v_sub_co_u32 v4, s4, v3, s33
	s_subb_u32 s13, s5, 0
	s_cmp_lg_u32 s4, 0
	v_cndmask_b32_e64 v5, 0, -1, vcc_lo
	s_subb_u32 s4, s13, 0
	s_cmp_eq_u32 s13, 0
	v_mov_b32_e32 v7, s4
	s_cselect_b32 vcc_lo, -1, 0
	s_cmp_eq_u32 s5, 0
	v_cndmask_b32_e32 v5, -1, v5, vcc_lo
	v_cmp_le_u32_e32 vcc_lo, s33, v2
	s_cselect_b32 s4, -1, 0
	v_cndmask_b32_e64 v6, 0, -1, vcc_lo
	s_delay_alu instid0(VALU_DEP_3) | instskip(NEXT) | instid1(VALU_DEP_2)
	v_cmp_ne_u32_e32 vcc_lo, 0, v5
	v_cndmask_b32_e64 v5, -1, v6, s4
	v_cndmask_b32_e32 v3, v3, v4, vcc_lo
	v_cndmask_b32_e32 v6, s13, v7, vcc_lo
	s_delay_alu instid0(VALU_DEP_3) | instskip(NEXT) | instid1(VALU_DEP_3)
	v_cmp_ne_u32_e32 vcc_lo, 0, v5
	v_cndmask_b32_e32 v2, v2, v3, vcc_lo
	s_delay_alu instid0(VALU_DEP_3) | instskip(NEXT) | instid1(VALU_DEP_2)
	v_cndmask_b32_e32 v4, s5, v6, vcc_lo
	v_xor_b32_e32 v2, s22, v2
	s_delay_alu instid0(VALU_DEP_2) | instskip(NEXT) | instid1(VALU_DEP_2)
	v_xor_b32_e32 v3, s22, v4
	v_sub_co_u32 v2, vcc_lo, v2, s22
	s_delay_alu instid0(VALU_DEP_2)
	v_subrev_co_ci_u32_e32 v3, vcc_lo, s22, v3, vcc_lo
	s_cbranch_execnz .LBB5_183
.LBB5_182:                              ;   in Loop: Header=BB5_17 Depth=1
	v_cvt_f32_u32_e32 v2, s33
	s_sub_i32 s4, 0, s33
	s_delay_alu instid0(VALU_DEP_1) | instskip(SKIP_2) | instid1(VALU_DEP_1)
	v_rcp_iflag_f32_e32 v2, v2
	s_waitcnt_depctr 0xfff
	v_mul_f32_e32 v2, 0x4f7ffffe, v2
	v_cvt_u32_f32_e32 v2, v2
	s_delay_alu instid0(VALU_DEP_1) | instskip(NEXT) | instid1(VALU_DEP_1)
	v_mul_lo_u32 v3, s4, v2
	v_mul_hi_u32 v3, v2, v3
	s_delay_alu instid0(VALU_DEP_1) | instskip(NEXT) | instid1(VALU_DEP_1)
	v_add_nc_u32_e32 v2, v2, v3
	v_mul_hi_u32 v2, s80, v2
	s_delay_alu instid0(VALU_DEP_1) | instskip(NEXT) | instid1(VALU_DEP_1)
	v_mul_lo_u32 v2, v2, s33
	v_sub_nc_u32_e32 v2, s80, v2
	s_delay_alu instid0(VALU_DEP_1) | instskip(SKIP_1) | instid1(VALU_DEP_2)
	v_subrev_nc_u32_e32 v3, s33, v2
	v_cmp_le_u32_e32 vcc_lo, s33, v2
	v_cndmask_b32_e32 v2, v2, v3, vcc_lo
	s_delay_alu instid0(VALU_DEP_1) | instskip(SKIP_1) | instid1(VALU_DEP_2)
	v_subrev_nc_u32_e32 v3, s33, v2
	v_cmp_le_u32_e32 vcc_lo, s33, v2
	v_cndmask_b32_e32 v12, v2, v3, vcc_lo
	s_delay_alu instid0(VALU_DEP_1)
	v_dual_mov_b32 v2, v12 :: v_dual_mov_b32 v3, v13
.LBB5_183:                              ;   in Loop: Header=BB5_17 Depth=1
	s_delay_alu instid0(VALU_DEP_1) | instskip(NEXT) | instid1(VALU_DEP_2)
	v_sub_co_u32 v2, vcc_lo, s80, v2
	v_sub_co_ci_u32_e32 v3, vcc_lo, s59, v3, vcc_lo
	s_mov_b32 s4, 0
	s_mov_b32 s5, exec_lo
                                        ; implicit-def: $vgpr39
	s_delay_alu instid0(VALU_DEP_1)
	v_cmpx_gt_i64_e64 v[2:3], v[0:1]
	s_cbranch_execz .LBB5_195
; %bb.184:                              ;   in Loop: Header=BB5_17 Depth=1
	v_dual_mov_b32 v4, v10 :: v_dual_mov_b32 v5, v11
	v_dual_mov_b32 v7, v1 :: v_dual_mov_b32 v6, v0
	s_mov_b32 s13, 0
                                        ; implicit-def: $sgpr22
	s_set_inst_prefetch_distance 0x1
	s_branch .LBB5_186
	.p2align	6
.LBB5_185:                              ;   in Loop: Header=BB5_186 Depth=2
	s_or_b32 exec_lo, exec_lo, s4
	s_waitcnt lgkmcnt(0)
	s_barrier
	buffer_gl0_inv
	ds_load_u16 v8, v13 offset:3072
	v_add_co_u32 v6, vcc_lo, v6, s33
	v_add_co_ci_u32_e32 v7, vcc_lo, 0, v7, vcc_lo
	s_waitcnt lgkmcnt(0)
	s_barrier
	buffer_gl0_inv
	v_cmp_ge_i64_e32 vcc_lo, v[6:7], v[2:3]
	v_and_b32_e32 v9, 0xff, v8
	s_delay_alu instid0(VALU_DEP_1) | instskip(NEXT) | instid1(VALU_DEP_1)
	v_cmp_ne_u16_e64 s4, 0, v9
	s_or_b32 s23, s4, vcc_lo
	v_add_co_u32 v4, vcc_lo, v4, s74
	s_and_b32 s23, exec_lo, s23
	v_add_co_ci_u32_e32 v5, vcc_lo, s35, v5, vcc_lo
	s_or_b32 s13, s23, s13
	s_and_not1_b32 s22, s22, exec_lo
	s_and_b32 s4, s4, exec_lo
	s_delay_alu instid0(SALU_CYCLE_1)
	s_or_b32 s22, s22, s4
	s_and_not1_b32 exec_lo, exec_lo, s13
	s_cbranch_execz .LBB5_194
.LBB5_186:                              ;   Parent Loop BB5_17 Depth=1
                                        ; =>  This Inner Loop Header: Depth=2
	s_delay_alu instid0(VALU_DEP_1)
	v_cmp_gt_i64_e32 vcc_lo, s[24:25], v[6:7]
	v_mov_b32_e32 v8, 0
	s_and_saveexec_b32 s4, vcc_lo
	s_cbranch_execz .LBB5_188
; %bb.187:                              ;   in Loop: Header=BB5_186 Depth=2
	global_load_u8 v8, v[4:5], off
.LBB5_188:                              ;   in Loop: Header=BB5_186 Depth=2
	s_or_b32 exec_lo, exec_lo, s4
	s_waitcnt vmcnt(0)
	v_and_b32_e32 v9, s94, v8
	s_delay_alu instid0(VALU_DEP_1) | instskip(NEXT) | instid1(VALU_DEP_1)
	v_and_b32_e32 v9, 0xff, v9
	v_cmp_eq_u32_e64 s4, s95, v9
	s_delay_alu instid0(VALU_DEP_1) | instskip(NEXT) | instid1(SALU_CYCLE_1)
	s_and_b32 s23, vcc_lo, s4
	s_and_saveexec_b32 s4, s23
	s_cbranch_execz .LBB5_185
; %bb.189:                              ;   in Loop: Header=BB5_186 Depth=2
	v_lshlrev_b16 v8, 8, v8
	s_delay_alu instid0(VALU_DEP_1)
	v_or_b32_e32 v8, 1, v8
	ds_store_b16 v13, v8 offset:3072
	s_branch .LBB5_185
.LBB5_190:                              ;   in Loop: Header=BB5_17 Depth=1
                                        ; implicit-def: $sgpr13
                                        ; implicit-def: $sgpr23
                                        ; implicit-def: $sgpr22
	s_branch .LBB5_208
.LBB5_191:                              ;   in Loop: Header=BB5_17 Depth=1
                                        ; implicit-def: $vgpr2_vgpr3
	s_branch .LBB5_137
.LBB5_192:                              ;   in Loop: Header=BB5_17 Depth=1
                                        ; implicit-def: $vgpr2_vgpr3
	s_branch .LBB5_153
.LBB5_193:                              ;   in Loop: Header=BB5_17 Depth=1
	s_mov_b32 s13, -1
	s_mov_b32 s4, 0
                                        ; implicit-def: $sgpr22
                                        ; implicit-def: $vgpr39
	s_mov_b32 s23, s13
	s_cbranch_execnz .LBB5_196
	s_branch .LBB5_208
.LBB5_194:                              ;   in Loop: Header=BB5_17 Depth=1
	s_set_inst_prefetch_distance 0x2
	s_or_b32 exec_lo, exec_lo, s13
	v_lshrrev_b16 v39, 8, v8
	s_and_b32 s4, s22, exec_lo
.LBB5_195:                              ;   in Loop: Header=BB5_17 Depth=1
	s_or_b32 exec_lo, exec_lo, s5
	s_mov_b32 s22, -1
	s_mov_b32 s13, 0
	s_delay_alu instid0(SALU_CYCLE_1)
	s_mov_b32 s23, s13
	s_branch .LBB5_208
.LBB5_196:                              ;   in Loop: Header=BB5_17 Depth=1
	s_add_u32 s13, s78, s10
	s_addc_u32 s5, s79, s11
	s_mov_b32 s4, s55
	s_delay_alu instid0(SALU_CYCLE_1)
	s_cmp_lg_u64 s[4:5], 0
	s_cbranch_scc0 .LBB5_237
; %bb.197:                              ;   in Loop: Header=BB5_17 Depth=1
	v_cvt_f32_u32_e32 v2, s33
	s_sub_u32 s23, 0, s33
	s_subb_u32 s58, 0, 0
	s_delay_alu instid0(VALU_DEP_1) | instskip(NEXT) | instid1(VALU_DEP_1)
	v_fmac_f32_e32 v2, 0x4f800000, v38
	v_rcp_f32_e32 v2, v2
	s_waitcnt_depctr 0xfff
	v_mul_f32_e32 v2, 0x5f7ffffc, v2
	s_delay_alu instid0(VALU_DEP_1) | instskip(NEXT) | instid1(VALU_DEP_1)
	v_mul_f32_e32 v3, 0x2f800000, v2
	v_trunc_f32_e32 v3, v3
	s_delay_alu instid0(VALU_DEP_1) | instskip(SKIP_1) | instid1(VALU_DEP_2)
	v_fmac_f32_e32 v2, 0xcf800000, v3
	v_cvt_u32_f32_e32 v3, v3
	v_cvt_u32_f32_e32 v2, v2
	s_delay_alu instid0(VALU_DEP_2) | instskip(NEXT) | instid1(VALU_DEP_2)
	v_readfirstlane_b32 s4, v3
	v_readfirstlane_b32 s22, v2
	s_delay_alu instid0(VALU_DEP_2) | instskip(NEXT) | instid1(VALU_DEP_1)
	s_mul_i32 s64, s23, s4
	s_mul_hi_u32 s66, s23, s22
	s_mul_i32 s65, s58, s22
	s_add_i32 s64, s66, s64
	s_mul_i32 s67, s23, s22
	s_add_i32 s64, s64, s65
	s_mul_hi_u32 s66, s22, s67
	s_mul_hi_u32 s68, s4, s67
	s_mul_i32 s65, s4, s67
	s_mul_hi_u32 s67, s22, s64
	s_mul_i32 s22, s22, s64
	s_mul_hi_u32 s69, s4, s64
	s_add_u32 s22, s66, s22
	s_addc_u32 s66, 0, s67
	s_add_u32 s22, s22, s65
	s_mul_i32 s64, s4, s64
	s_addc_u32 s22, s66, s68
	s_addc_u32 s65, s69, 0
	s_add_u32 s22, s22, s64
	s_addc_u32 s64, 0, s65
	v_add_co_u32 v2, s22, v2, s22
	s_delay_alu instid0(VALU_DEP_1) | instskip(SKIP_1) | instid1(VALU_DEP_1)
	s_cmp_lg_u32 s22, 0
	s_addc_u32 s4, s4, s64
	v_readfirstlane_b32 s22, v2
	s_mul_i32 s64, s23, s4
	s_delay_alu instid0(VALU_DEP_1)
	s_mul_hi_u32 s65, s23, s22
	s_mul_i32 s58, s58, s22
	s_add_i32 s64, s65, s64
	s_mul_i32 s23, s23, s22
	s_add_i32 s64, s64, s58
	s_mul_hi_u32 s65, s4, s23
	s_mul_i32 s66, s4, s23
	s_mul_hi_u32 s23, s22, s23
	s_mul_hi_u32 s67, s22, s64
	s_mul_i32 s22, s22, s64
	s_mul_hi_u32 s58, s4, s64
	s_add_u32 s22, s23, s22
	s_addc_u32 s23, 0, s67
	s_add_u32 s22, s22, s66
	s_mul_i32 s64, s4, s64
	s_addc_u32 s22, s23, s65
	s_addc_u32 s23, s58, 0
	s_add_u32 s22, s22, s64
	s_addc_u32 s23, 0, s23
	v_add_co_u32 v2, s22, v2, s22
	s_delay_alu instid0(VALU_DEP_1) | instskip(SKIP_2) | instid1(VALU_DEP_1)
	s_cmp_lg_u32 s22, 0
	s_addc_u32 s4, s4, s23
	s_ashr_i32 s22, s5, 31
	v_readfirstlane_b32 s58, v2
	s_add_u32 s64, s13, s22
	s_mov_b32 s23, s22
	s_addc_u32 s65, s5, s22
	s_delay_alu instid0(SALU_CYCLE_1) | instskip(NEXT) | instid1(SALU_CYCLE_1)
	s_xor_b64 s[64:65], s[64:65], s[22:23]
	s_mul_i32 s66, s64, s4
	s_mul_hi_u32 s67, s64, s58
	s_mul_hi_u32 s23, s64, s4
	s_mul_hi_u32 s69, s65, s58
	s_mul_i32 s58, s65, s58
	s_add_u32 s66, s67, s66
	s_addc_u32 s23, 0, s23
	s_mul_hi_u32 s68, s65, s4
	s_add_u32 s58, s66, s58
	s_mul_i32 s4, s65, s4
	s_addc_u32 s23, s23, s69
	s_addc_u32 s58, s68, 0
	s_add_u32 s4, s23, s4
	s_addc_u32 s23, 0, s58
	s_mul_hi_u32 s58, s33, s4
	s_mul_i32 s4, s33, s4
	s_mul_i32 s23, s33, s23
	v_sub_co_u32 v2, s4, s64, s4
	s_add_i32 s58, s58, s23
	s_cmp_lg_u32 s4, 0
	s_delay_alu instid0(VALU_DEP_1) | instskip(SKIP_2) | instid1(VALU_DEP_1)
	v_sub_co_u32 v3, s4, v2, s33
	s_subb_u32 s23, s65, s58
	s_cmp_lg_u32 s4, 0
	v_cmp_le_u32_e32 vcc_lo, s33, v3
	v_sub_co_u32 v4, s4, v3, s33
	s_subb_u32 s58, s23, 0
	s_cmp_lg_u32 s4, 0
	v_cndmask_b32_e64 v5, 0, -1, vcc_lo
	s_subb_u32 s4, s58, 0
	s_cmp_eq_u32 s58, 0
	v_mov_b32_e32 v7, s4
	s_cselect_b32 vcc_lo, -1, 0
	s_cmp_eq_u32 s23, 0
	v_cndmask_b32_e32 v5, -1, v5, vcc_lo
	v_cmp_le_u32_e32 vcc_lo, s33, v2
	s_cselect_b32 s4, -1, 0
	v_cndmask_b32_e64 v6, 0, -1, vcc_lo
	s_delay_alu instid0(VALU_DEP_3) | instskip(NEXT) | instid1(VALU_DEP_2)
	v_cmp_ne_u32_e32 vcc_lo, 0, v5
	v_cndmask_b32_e64 v5, -1, v6, s4
	v_cndmask_b32_e32 v3, v3, v4, vcc_lo
	v_cndmask_b32_e32 v6, s58, v7, vcc_lo
	s_delay_alu instid0(VALU_DEP_3) | instskip(NEXT) | instid1(VALU_DEP_3)
	v_cmp_ne_u32_e32 vcc_lo, 0, v5
	v_cndmask_b32_e32 v2, v2, v3, vcc_lo
	s_delay_alu instid0(VALU_DEP_3) | instskip(NEXT) | instid1(VALU_DEP_2)
	v_cndmask_b32_e32 v4, s23, v6, vcc_lo
	v_xor_b32_e32 v2, s22, v2
	s_delay_alu instid0(VALU_DEP_2) | instskip(NEXT) | instid1(VALU_DEP_2)
	v_xor_b32_e32 v3, s22, v4
	v_sub_co_u32 v2, vcc_lo, v2, s22
	s_delay_alu instid0(VALU_DEP_2)
	v_subrev_co_ci_u32_e32 v3, vcc_lo, s22, v3, vcc_lo
	s_cbranch_execnz .LBB5_199
.LBB5_198:                              ;   in Loop: Header=BB5_17 Depth=1
	v_cvt_f32_u32_e32 v2, s33
	s_sub_i32 s4, 0, s33
	s_delay_alu instid0(VALU_DEP_1) | instskip(SKIP_2) | instid1(VALU_DEP_1)
	v_rcp_iflag_f32_e32 v2, v2
	s_waitcnt_depctr 0xfff
	v_mul_f32_e32 v2, 0x4f7ffffe, v2
	v_cvt_u32_f32_e32 v2, v2
	s_delay_alu instid0(VALU_DEP_1) | instskip(NEXT) | instid1(VALU_DEP_1)
	v_mul_lo_u32 v3, s4, v2
	v_mul_hi_u32 v3, v2, v3
	s_delay_alu instid0(VALU_DEP_1) | instskip(NEXT) | instid1(VALU_DEP_1)
	v_add_nc_u32_e32 v2, v2, v3
	v_mul_hi_u32 v2, s13, v2
	s_delay_alu instid0(VALU_DEP_1) | instskip(NEXT) | instid1(VALU_DEP_1)
	v_mul_lo_u32 v2, v2, s33
	v_sub_nc_u32_e32 v2, s13, v2
	s_delay_alu instid0(VALU_DEP_1) | instskip(SKIP_1) | instid1(VALU_DEP_2)
	v_subrev_nc_u32_e32 v3, s33, v2
	v_cmp_le_u32_e32 vcc_lo, s33, v2
	v_cndmask_b32_e32 v2, v2, v3, vcc_lo
	s_delay_alu instid0(VALU_DEP_1) | instskip(SKIP_1) | instid1(VALU_DEP_2)
	v_subrev_nc_u32_e32 v3, s33, v2
	v_cmp_le_u32_e32 vcc_lo, s33, v2
	v_cndmask_b32_e32 v12, v2, v3, vcc_lo
	s_delay_alu instid0(VALU_DEP_1)
	v_dual_mov_b32 v2, v12 :: v_dual_mov_b32 v3, v13
.LBB5_199:                              ;   in Loop: Header=BB5_17 Depth=1
	s_delay_alu instid0(VALU_DEP_1) | instskip(NEXT) | instid1(VALU_DEP_2)
	v_sub_co_u32 v2, vcc_lo, s13, v2
	v_sub_co_ci_u32_e32 v3, vcc_lo, s5, v3, vcc_lo
	s_mov_b32 s4, 0
	s_mov_b32 s5, exec_lo
                                        ; implicit-def: $vgpr39
	s_delay_alu instid0(VALU_DEP_1)
	v_cmpx_gt_i64_e64 v[2:3], v[0:1]
	s_cbranch_execz .LBB5_207
; %bb.200:                              ;   in Loop: Header=BB5_17 Depth=1
	v_dual_mov_b32 v6, v0 :: v_dual_mov_b32 v5, v1
	v_mov_b32_e32 v4, v0
	s_mov_b32 s13, 0
                                        ; implicit-def: $sgpr22
	s_set_inst_prefetch_distance 0x1
	s_branch .LBB5_202
	.p2align	6
.LBB5_201:                              ;   in Loop: Header=BB5_202 Depth=2
	s_or_b32 exec_lo, exec_lo, s4
	s_waitcnt lgkmcnt(0)
	s_barrier
	buffer_gl0_inv
	ds_load_u16 v7, v13 offset:3072
	v_add_co_u32 v4, vcc_lo, v4, s33
	v_add_co_ci_u32_e32 v5, vcc_lo, 0, v5, vcc_lo
	v_add_nc_u32_e32 v6, s33, v6
	s_waitcnt lgkmcnt(0)
	s_barrier
	s_delay_alu instid0(VALU_DEP_2) | instskip(SKIP_2) | instid1(VALU_DEP_1)
	v_cmp_ge_i64_e32 vcc_lo, v[4:5], v[2:3]
	buffer_gl0_inv
	v_and_b32_e32 v8, 0xff, v7
	v_cmp_ne_u16_e64 s4, 0, v8
	s_delay_alu instid0(VALU_DEP_1) | instskip(NEXT) | instid1(SALU_CYCLE_1)
	s_or_b32 s23, s4, vcc_lo
	s_and_b32 s23, exec_lo, s23
	s_delay_alu instid0(SALU_CYCLE_1) | instskip(SKIP_2) | instid1(SALU_CYCLE_1)
	s_or_b32 s13, s23, s13
	s_and_not1_b32 s22, s22, exec_lo
	s_and_b32 s4, s4, exec_lo
	s_or_b32 s22, s22, s4
	s_and_not1_b32 exec_lo, exec_lo, s13
	s_cbranch_execz .LBB5_206
.LBB5_202:                              ;   Parent Loop BB5_17 Depth=1
                                        ; =>  This Inner Loop Header: Depth=2
	s_delay_alu instid0(VALU_DEP_1)
	v_cmp_gt_i64_e32 vcc_lo, s[10:11], v[4:5]
	v_mov_b32_e32 v7, 0
	s_and_saveexec_b32 s4, vcc_lo
	s_cbranch_execz .LBB5_204
; %bb.203:                              ;   in Loop: Header=BB5_202 Depth=2
	ds_load_u8 v7, v6
.LBB5_204:                              ;   in Loop: Header=BB5_202 Depth=2
	s_or_b32 exec_lo, exec_lo, s4
	s_waitcnt lgkmcnt(0)
	v_and_b32_e32 v8, s94, v7
	s_delay_alu instid0(VALU_DEP_1) | instskip(NEXT) | instid1(VALU_DEP_1)
	v_and_b32_e32 v8, 0xff, v8
	v_cmp_eq_u32_e64 s4, s95, v8
	s_delay_alu instid0(VALU_DEP_1) | instskip(NEXT) | instid1(SALU_CYCLE_1)
	s_and_b32 s23, vcc_lo, s4
	s_and_saveexec_b32 s4, s23
	s_cbranch_execz .LBB5_201
; %bb.205:                              ;   in Loop: Header=BB5_202 Depth=2
	v_lshlrev_b16 v7, 8, v7
	s_delay_alu instid0(VALU_DEP_1)
	v_or_b32_e32 v7, 1, v7
	ds_store_b16 v13, v7 offset:3072
	s_branch .LBB5_201
.LBB5_206:                              ;   in Loop: Header=BB5_17 Depth=1
	s_set_inst_prefetch_distance 0x2
	s_or_b32 exec_lo, exec_lo, s13
	v_lshrrev_b16 v39, 8, v7
	s_and_b32 s4, s22, exec_lo
.LBB5_207:                              ;   in Loop: Header=BB5_17 Depth=1
	s_or_b32 exec_lo, exec_lo, s5
	s_mov_b32 s23, -1
	s_mov_b32 s13, 0
	s_mov_b32 s22, 0
.LBB5_208:                              ;   in Loop: Header=BB5_17 Depth=1
	s_mov_b32 s5, 0
                                        ; implicit-def: $sgpr58
	s_and_saveexec_b32 s10, s4
	s_cbranch_execz .LBB5_268
; %bb.209:                              ;   in Loop: Header=BB5_17 Depth=1
	s_xor_b32 s4, s54, -1
	s_mov_b32 s58, 1
	s_and_not1_b32 vcc_lo, exec_lo, s4
	s_cbranch_vccnz .LBB5_220
; %bb.210:                              ;   in Loop: Header=BB5_17 Depth=1
	v_cmp_gt_i64_e64 s4, s[26:27], s[8:9]
                                        ; implicit-def: $sgpr58
                                        ; implicit-def: $sgpr5
                                        ; implicit-def: $sgpr11
	s_delay_alu instid0(VALU_DEP_1)
	s_and_b32 vcc_lo, exec_lo, s4
	s_mov_b32 s4, -1
	s_cbranch_vccnz .LBB5_216
; %bb.211:                              ;   in Loop: Header=BB5_17 Depth=1
	ds_load_b64 v[2:3], v13 offset:5120
	s_waitcnt lgkmcnt(0)
	v_cmp_ne_u64_e32 vcc_lo, 0, v[2:3]
	s_cbranch_vccnz .LBB5_215
; %bb.212:                              ;   in Loop: Header=BB5_17 Depth=1
	s_and_saveexec_b32 s4, s2
	s_cbranch_execz .LBB5_214
; %bb.213:                              ;   in Loop: Header=BB5_17 Depth=1
	v_dual_mov_b32 v2, s8 :: v_dual_mov_b32 v3, s9
	ds_store_b64 v13, v[2:3] offset:5128
.LBB5_214:                              ;   in Loop: Header=BB5_17 Depth=1
	s_or_b32 exec_lo, exec_lo, s4
	s_waitcnt lgkmcnt(0)
	s_barrier
	buffer_gl0_inv
.LBB5_215:                              ;   in Loop: Header=BB5_17 Depth=1
	s_lshl_b32 s4, 2, s17
	s_and_b32 s5, s95, s18
	s_or_b32 s11, s94, s16
	s_or_b32 s5, s5, s4
	s_mov_b32 s4, 0
	s_mov_b32 s58, 8
.LBB5_216:                              ;   in Loop: Header=BB5_17 Depth=1
	s_and_not1_b32 vcc_lo, exec_lo, s4
	s_cbranch_vccnz .LBB5_218
; %bb.217:                              ;   in Loop: Header=BB5_17 Depth=1
	s_sub_u32 s26, s26, s8
	s_subb_u32 s27, s27, s9
	s_mov_b32 s4, -1
	s_mov_b32 s58, 0
	s_mov_b32 s5, s95
	;; [unrolled: 1-line block ×3, first 2 shown]
.LBB5_218:                              ;   in Loop: Header=BB5_17 Depth=1
	s_delay_alu instid0(SALU_CYCLE_1)
	s_mov_b32 s94, s11
	s_mov_b32 s95, s5
	s_and_not1_b32 vcc_lo, exec_lo, s4
	s_mov_b32 s9, -1
	s_cbranch_vccz .LBB5_221
.LBB5_219:                              ;   in Loop: Header=BB5_17 Depth=1
                                        ; implicit-def: $sgpr17
                                        ; implicit-def: $sgpr54
                                        ; implicit-def: $sgpr18
	s_branch .LBB5_267
.LBB5_220:                              ;   in Loop: Header=BB5_17 Depth=1
	s_mov_b64 s[26:27], 1
	s_mov_b32 s9, -1
	s_cbranch_execnz .LBB5_219
.LBB5_221:                              ;   in Loop: Header=BB5_17 Depth=1
	s_cmp_eq_u64 s[6:7], 1
	s_mov_b32 s64, -1
	s_cselect_b32 s4, -1, 0
	s_cmp_eq_u64 s[26:27], 1
	s_cselect_b32 s5, -1, 0
	s_delay_alu instid0(SALU_CYCLE_1) | instskip(NEXT) | instid1(SALU_CYCLE_1)
	s_and_b32 s11, s4, s5
	s_and_b32 vcc_lo, exec_lo, s11
	s_cbranch_vccz .LBB5_235
; %bb.222:                              ;   in Loop: Header=BB5_17 Depth=1
	ds_load_b64 v[2:3], v13 offset:5120
	s_waitcnt lgkmcnt(0)
	s_barrier
	buffer_gl0_inv
	v_readfirstlane_b32 s8, v2
	v_readfirstlane_b32 s9, v3
	s_and_saveexec_b32 s4, s3
	s_cbranch_execz .LBB5_224
; %bb.223:                              ;   in Loop: Header=BB5_17 Depth=1
	ds_store_b8 v0, v13 offset:3072
.LBB5_224:                              ;   in Loop: Header=BB5_17 Depth=1
	s_or_b32 exec_lo, exec_lo, s4
	s_delay_alu instid0(VALU_DEP_1)
	v_cmp_gt_i64_e64 s4, s[8:9], 0
	s_or_b32 s95, s95, s16
	s_or_b32 s94, s94, s16
	s_waitcnt lgkmcnt(0)
	s_barrier
	buffer_gl0_inv
	s_and_b32 vcc_lo, exec_lo, s4
	s_cbranch_vccnz .LBB5_238
; %bb.225:                              ;   in Loop: Header=BB5_17 Depth=1
	s_mov_b32 s58, s55
	s_delay_alu instid0(SALU_CYCLE_1)
	s_cmp_lg_u64 s[58:59], 0
	s_cbranch_scc0 .LBB5_273
; %bb.226:                              ;   in Loop: Header=BB5_17 Depth=1
	v_cvt_f32_u32_e32 v2, s33
	s_sub_u32 s17, 0, s33
	s_subb_u32 s18, 0, 0
	s_delay_alu instid0(VALU_DEP_1) | instskip(NEXT) | instid1(VALU_DEP_1)
	v_fmac_f32_e32 v2, 0x4f800000, v38
	v_rcp_f32_e32 v2, v2
	s_waitcnt_depctr 0xfff
	v_mul_f32_e32 v2, 0x5f7ffffc, v2
	s_delay_alu instid0(VALU_DEP_1) | instskip(NEXT) | instid1(VALU_DEP_1)
	v_mul_f32_e32 v3, 0x2f800000, v2
	v_trunc_f32_e32 v3, v3
	s_delay_alu instid0(VALU_DEP_1) | instskip(SKIP_1) | instid1(VALU_DEP_2)
	v_fmac_f32_e32 v2, 0xcf800000, v3
	v_cvt_u32_f32_e32 v3, v3
	v_cvt_u32_f32_e32 v2, v2
	s_delay_alu instid0(VALU_DEP_2) | instskip(NEXT) | instid1(VALU_DEP_2)
	v_readfirstlane_b32 s4, v3
	v_readfirstlane_b32 s5, v2
	s_delay_alu instid0(VALU_DEP_2) | instskip(NEXT) | instid1(VALU_DEP_1)
	s_mul_i32 s54, s17, s4
	s_mul_hi_u32 s64, s17, s5
	s_mul_i32 s58, s18, s5
	s_add_i32 s54, s64, s54
	s_mul_i32 s65, s17, s5
	s_add_i32 s54, s54, s58
	s_mul_hi_u32 s64, s5, s65
	s_mul_hi_u32 s66, s4, s65
	s_mul_i32 s58, s4, s65
	s_mul_hi_u32 s65, s5, s54
	s_mul_i32 s5, s5, s54
	s_mul_hi_u32 s67, s4, s54
	s_add_u32 s5, s64, s5
	s_addc_u32 s64, 0, s65
	s_add_u32 s5, s5, s58
	s_mul_i32 s54, s4, s54
	s_addc_u32 s5, s64, s66
	s_addc_u32 s58, s67, 0
	s_add_u32 s5, s5, s54
	s_addc_u32 s54, 0, s58
	v_add_co_u32 v2, s5, v2, s5
	s_delay_alu instid0(VALU_DEP_1) | instskip(SKIP_1) | instid1(VALU_DEP_1)
	s_cmp_lg_u32 s5, 0
	s_addc_u32 s4, s4, s54
	v_readfirstlane_b32 s5, v2
	s_mul_i32 s54, s17, s4
	s_delay_alu instid0(VALU_DEP_1)
	s_mul_hi_u32 s58, s17, s5
	s_mul_i32 s18, s18, s5
	s_add_i32 s54, s58, s54
	s_mul_i32 s17, s17, s5
	s_add_i32 s54, s54, s18
	s_mul_hi_u32 s58, s4, s17
	s_mul_i32 s64, s4, s17
	s_mul_hi_u32 s17, s5, s17
	s_mul_hi_u32 s65, s5, s54
	s_mul_i32 s5, s5, s54
	s_mul_hi_u32 s18, s4, s54
	s_add_u32 s5, s17, s5
	s_addc_u32 s17, 0, s65
	s_add_u32 s5, s5, s64
	s_mul_i32 s54, s4, s54
	s_addc_u32 s5, s17, s58
	s_addc_u32 s17, s18, 0
	s_add_u32 s5, s5, s54
	s_addc_u32 s17, 0, s17
	v_add_co_u32 v2, s5, v2, s5
	s_delay_alu instid0(VALU_DEP_1) | instskip(SKIP_2) | instid1(VALU_DEP_1)
	s_cmp_lg_u32 s5, 0
	s_addc_u32 s17, s4, s17
	s_ashr_i32 s64, s59, 31
	v_readfirstlane_b32 s18, v2
	s_add_u32 s4, s80, s64
	s_mov_b32 s65, s64
	s_addc_u32 s5, s59, s64
	s_delay_alu instid0(SALU_CYCLE_1) | instskip(NEXT) | instid1(SALU_CYCLE_1)
	s_xor_b64 s[4:5], s[4:5], s[64:65]
	s_mul_i32 s58, s4, s17
	s_mul_hi_u32 s65, s4, s18
	s_mul_hi_u32 s54, s4, s17
	;; [unrolled: 1-line block ×3, first 2 shown]
	s_mul_i32 s18, s5, s18
	s_add_u32 s58, s65, s58
	s_addc_u32 s54, 0, s54
	s_mul_hi_u32 s66, s5, s17
	s_add_u32 s18, s58, s18
	s_mul_i32 s17, s5, s17
	s_addc_u32 s18, s54, s67
	s_addc_u32 s54, s66, 0
	s_add_u32 s17, s18, s17
	s_addc_u32 s18, 0, s54
	s_mul_hi_u32 s54, s33, s17
	s_mul_i32 s17, s33, s17
	s_mul_i32 s18, s33, s18
	v_sub_co_u32 v2, s4, s4, s17
	s_add_i32 s54, s54, s18
	s_cmp_lg_u32 s4, 0
	s_delay_alu instid0(VALU_DEP_1) | instskip(SKIP_2) | instid1(VALU_DEP_1)
	v_sub_co_u32 v3, s4, v2, s33
	s_subb_u32 s5, s5, s54
	s_cmp_lg_u32 s4, 0
	v_cmp_le_u32_e32 vcc_lo, s33, v3
	v_sub_co_u32 v4, s4, v3, s33
	s_subb_u32 s17, s5, 0
	s_cmp_lg_u32 s4, 0
	v_cndmask_b32_e64 v5, 0, -1, vcc_lo
	s_subb_u32 s4, s17, 0
	s_cmp_eq_u32 s17, 0
	v_mov_b32_e32 v7, s4
	s_cselect_b32 vcc_lo, -1, 0
	s_cmp_eq_u32 s5, 0
	v_cndmask_b32_e32 v5, -1, v5, vcc_lo
	v_cmp_le_u32_e32 vcc_lo, s33, v2
	s_cselect_b32 s4, -1, 0
	v_cndmask_b32_e64 v6, 0, -1, vcc_lo
	s_delay_alu instid0(VALU_DEP_3) | instskip(NEXT) | instid1(VALU_DEP_2)
	v_cmp_ne_u32_e32 vcc_lo, 0, v5
	v_cndmask_b32_e64 v5, -1, v6, s4
	v_cndmask_b32_e32 v3, v3, v4, vcc_lo
	v_cndmask_b32_e32 v6, s17, v7, vcc_lo
	s_delay_alu instid0(VALU_DEP_3) | instskip(NEXT) | instid1(VALU_DEP_3)
	v_cmp_ne_u32_e32 vcc_lo, 0, v5
	v_cndmask_b32_e32 v2, v2, v3, vcc_lo
	s_delay_alu instid0(VALU_DEP_3) | instskip(NEXT) | instid1(VALU_DEP_2)
	v_cndmask_b32_e32 v4, s5, v6, vcc_lo
	v_xor_b32_e32 v2, s64, v2
	s_delay_alu instid0(VALU_DEP_2) | instskip(NEXT) | instid1(VALU_DEP_2)
	v_xor_b32_e32 v3, s64, v4
	v_sub_co_u32 v2, vcc_lo, v2, s64
	s_delay_alu instid0(VALU_DEP_2)
	v_subrev_co_ci_u32_e32 v3, vcc_lo, s64, v3, vcc_lo
	s_cbranch_execnz .LBB5_228
.LBB5_227:                              ;   in Loop: Header=BB5_17 Depth=1
	v_cvt_f32_u32_e32 v2, s33
	s_sub_i32 s4, 0, s33
	s_delay_alu instid0(VALU_DEP_1) | instskip(SKIP_2) | instid1(VALU_DEP_1)
	v_rcp_iflag_f32_e32 v2, v2
	s_waitcnt_depctr 0xfff
	v_mul_f32_e32 v2, 0x4f7ffffe, v2
	v_cvt_u32_f32_e32 v2, v2
	s_delay_alu instid0(VALU_DEP_1) | instskip(NEXT) | instid1(VALU_DEP_1)
	v_mul_lo_u32 v3, s4, v2
	v_mul_hi_u32 v3, v2, v3
	s_delay_alu instid0(VALU_DEP_1) | instskip(NEXT) | instid1(VALU_DEP_1)
	v_add_nc_u32_e32 v2, v2, v3
	v_mul_hi_u32 v2, s80, v2
	s_delay_alu instid0(VALU_DEP_1) | instskip(NEXT) | instid1(VALU_DEP_1)
	v_mul_lo_u32 v2, v2, s33
	v_sub_nc_u32_e32 v2, s80, v2
	s_delay_alu instid0(VALU_DEP_1) | instskip(SKIP_1) | instid1(VALU_DEP_2)
	v_subrev_nc_u32_e32 v3, s33, v2
	v_cmp_le_u32_e32 vcc_lo, s33, v2
	v_cndmask_b32_e32 v2, v2, v3, vcc_lo
	s_delay_alu instid0(VALU_DEP_1) | instskip(SKIP_1) | instid1(VALU_DEP_2)
	v_subrev_nc_u32_e32 v3, s33, v2
	v_cmp_le_u32_e32 vcc_lo, s33, v2
	v_cndmask_b32_e32 v12, v2, v3, vcc_lo
	s_delay_alu instid0(VALU_DEP_1)
	v_dual_mov_b32 v2, v12 :: v_dual_mov_b32 v3, v13
.LBB5_228:                              ;   in Loop: Header=BB5_17 Depth=1
	s_delay_alu instid0(VALU_DEP_1) | instskip(NEXT) | instid1(VALU_DEP_2)
	v_sub_co_u32 v2, vcc_lo, s80, v2
	v_sub_co_ci_u32_e32 v3, vcc_lo, s59, v3, vcc_lo
	s_mov_b32 s64, 0
	s_mov_b32 s5, exec_lo
                                        ; implicit-def: $vgpr39
	s_delay_alu instid0(VALU_DEP_1)
	v_cmpx_gt_i64_e64 v[2:3], v[0:1]
	s_cbranch_execz .LBB5_240
; %bb.229:                              ;   in Loop: Header=BB5_17 Depth=1
	v_dual_mov_b32 v4, v10 :: v_dual_mov_b32 v5, v11
	v_dual_mov_b32 v7, v1 :: v_dual_mov_b32 v6, v0
	s_mov_b32 s17, 0
                                        ; implicit-def: $sgpr18
	s_set_inst_prefetch_distance 0x1
	s_branch .LBB5_231
	.p2align	6
.LBB5_230:                              ;   in Loop: Header=BB5_231 Depth=2
	s_or_b32 exec_lo, exec_lo, s4
	s_waitcnt lgkmcnt(0)
	s_barrier
	buffer_gl0_inv
	ds_load_u16 v8, v13 offset:3072
	v_add_co_u32 v6, vcc_lo, v6, s33
	v_add_co_ci_u32_e32 v7, vcc_lo, 0, v7, vcc_lo
	s_waitcnt lgkmcnt(0)
	s_barrier
	buffer_gl0_inv
	v_cmp_ge_i64_e32 vcc_lo, v[6:7], v[2:3]
	v_and_b32_e32 v9, 0xff, v8
	s_delay_alu instid0(VALU_DEP_1) | instskip(NEXT) | instid1(VALU_DEP_1)
	v_cmp_ne_u16_e64 s4, 0, v9
	s_or_b32 s54, s4, vcc_lo
	v_add_co_u32 v4, vcc_lo, v4, s74
	s_and_b32 s54, exec_lo, s54
	v_add_co_ci_u32_e32 v5, vcc_lo, s35, v5, vcc_lo
	s_or_b32 s17, s54, s17
	s_and_not1_b32 s18, s18, exec_lo
	s_and_b32 s4, s4, exec_lo
	s_delay_alu instid0(SALU_CYCLE_1)
	s_or_b32 s18, s18, s4
	s_and_not1_b32 exec_lo, exec_lo, s17
	s_cbranch_execz .LBB5_239
.LBB5_231:                              ;   Parent Loop BB5_17 Depth=1
                                        ; =>  This Inner Loop Header: Depth=2
	s_delay_alu instid0(VALU_DEP_1)
	v_cmp_gt_i64_e32 vcc_lo, s[24:25], v[6:7]
	v_mov_b32_e32 v8, 0
	s_and_saveexec_b32 s4, vcc_lo
	s_cbranch_execz .LBB5_233
; %bb.232:                              ;   in Loop: Header=BB5_231 Depth=2
	global_load_u8 v8, v[4:5], off
.LBB5_233:                              ;   in Loop: Header=BB5_231 Depth=2
	s_or_b32 exec_lo, exec_lo, s4
	s_waitcnt vmcnt(0)
	v_and_b32_e32 v9, s94, v8
	s_delay_alu instid0(VALU_DEP_1) | instskip(NEXT) | instid1(VALU_DEP_1)
	v_and_b32_e32 v9, 0xff, v9
	v_cmp_eq_u32_e64 s4, s95, v9
	s_delay_alu instid0(VALU_DEP_1) | instskip(NEXT) | instid1(SALU_CYCLE_1)
	s_and_b32 s54, vcc_lo, s4
	s_and_saveexec_b32 s4, s54
	s_cbranch_execz .LBB5_230
; %bb.234:                              ;   in Loop: Header=BB5_231 Depth=2
	v_lshlrev_b16 v8, 8, v8
	s_delay_alu instid0(VALU_DEP_1)
	v_or_b32_e32 v8, 1, v8
	ds_store_b16 v13, v8 offset:3072
	s_branch .LBB5_230
.LBB5_235:                              ;   in Loop: Header=BB5_17 Depth=1
                                        ; implicit-def: $sgpr17
                                        ; implicit-def: $sgpr54
                                        ; implicit-def: $sgpr18
	s_branch .LBB5_253
.LBB5_236:                              ;   in Loop: Header=BB5_17 Depth=1
                                        ; implicit-def: $vgpr2_vgpr3
	s_branch .LBB5_182
.LBB5_237:                              ;   in Loop: Header=BB5_17 Depth=1
                                        ; implicit-def: $vgpr2_vgpr3
	s_branch .LBB5_198
.LBB5_238:                              ;   in Loop: Header=BB5_17 Depth=1
	s_mov_b32 s17, -1
	s_mov_b32 s64, 0
                                        ; implicit-def: $sgpr18
                                        ; implicit-def: $vgpr39
	s_mov_b32 s54, s17
	s_cbranch_execnz .LBB5_241
	s_branch .LBB5_253
.LBB5_239:                              ;   in Loop: Header=BB5_17 Depth=1
	s_set_inst_prefetch_distance 0x2
	s_or_b32 exec_lo, exec_lo, s17
	v_lshrrev_b16 v39, 8, v8
	s_and_b32 s64, s18, exec_lo
.LBB5_240:                              ;   in Loop: Header=BB5_17 Depth=1
	s_or_b32 exec_lo, exec_lo, s5
	s_mov_b32 s18, -1
	s_mov_b32 s17, 0
	s_delay_alu instid0(SALU_CYCLE_1)
	s_mov_b32 s54, s17
	s_branch .LBB5_253
.LBB5_241:                              ;   in Loop: Header=BB5_17 Depth=1
	s_add_u32 s17, s78, s8
	s_addc_u32 s5, s79, s9
	s_mov_b32 s4, s55
	s_delay_alu instid0(SALU_CYCLE_1)
	s_cmp_lg_u64 s[4:5], 0
	s_cbranch_scc0 .LBB5_274
; %bb.242:                              ;   in Loop: Header=BB5_17 Depth=1
	v_cvt_f32_u32_e32 v2, s33
	s_sub_u32 s54, 0, s33
	s_subb_u32 s58, 0, 0
	s_delay_alu instid0(VALU_DEP_1) | instskip(NEXT) | instid1(VALU_DEP_1)
	v_fmac_f32_e32 v2, 0x4f800000, v38
	v_rcp_f32_e32 v2, v2
	s_waitcnt_depctr 0xfff
	v_mul_f32_e32 v2, 0x5f7ffffc, v2
	s_delay_alu instid0(VALU_DEP_1) | instskip(NEXT) | instid1(VALU_DEP_1)
	v_mul_f32_e32 v3, 0x2f800000, v2
	v_trunc_f32_e32 v3, v3
	s_delay_alu instid0(VALU_DEP_1) | instskip(SKIP_1) | instid1(VALU_DEP_2)
	v_fmac_f32_e32 v2, 0xcf800000, v3
	v_cvt_u32_f32_e32 v3, v3
	v_cvt_u32_f32_e32 v2, v2
	s_delay_alu instid0(VALU_DEP_2) | instskip(NEXT) | instid1(VALU_DEP_2)
	v_readfirstlane_b32 s4, v3
	v_readfirstlane_b32 s18, v2
	s_delay_alu instid0(VALU_DEP_2) | instskip(NEXT) | instid1(VALU_DEP_1)
	s_mul_i32 s64, s54, s4
	s_mul_hi_u32 s66, s54, s18
	s_mul_i32 s65, s58, s18
	s_add_i32 s64, s66, s64
	s_mul_i32 s67, s54, s18
	s_add_i32 s64, s64, s65
	s_mul_hi_u32 s66, s18, s67
	s_mul_hi_u32 s68, s4, s67
	s_mul_i32 s65, s4, s67
	s_mul_hi_u32 s67, s18, s64
	s_mul_i32 s18, s18, s64
	s_mul_hi_u32 s69, s4, s64
	s_add_u32 s18, s66, s18
	s_addc_u32 s66, 0, s67
	s_add_u32 s18, s18, s65
	s_mul_i32 s64, s4, s64
	s_addc_u32 s18, s66, s68
	s_addc_u32 s65, s69, 0
	s_add_u32 s18, s18, s64
	s_addc_u32 s64, 0, s65
	v_add_co_u32 v2, s18, v2, s18
	s_delay_alu instid0(VALU_DEP_1) | instskip(SKIP_1) | instid1(VALU_DEP_1)
	s_cmp_lg_u32 s18, 0
	s_addc_u32 s4, s4, s64
	v_readfirstlane_b32 s18, v2
	s_mul_i32 s64, s54, s4
	s_delay_alu instid0(VALU_DEP_1)
	s_mul_hi_u32 s65, s54, s18
	s_mul_i32 s58, s58, s18
	s_add_i32 s64, s65, s64
	s_mul_i32 s54, s54, s18
	s_add_i32 s64, s64, s58
	s_mul_hi_u32 s65, s4, s54
	s_mul_i32 s66, s4, s54
	s_mul_hi_u32 s54, s18, s54
	s_mul_hi_u32 s67, s18, s64
	s_mul_i32 s18, s18, s64
	s_mul_hi_u32 s58, s4, s64
	s_add_u32 s18, s54, s18
	s_addc_u32 s54, 0, s67
	s_add_u32 s18, s18, s66
	s_mul_i32 s64, s4, s64
	s_addc_u32 s18, s54, s65
	s_addc_u32 s54, s58, 0
	s_add_u32 s18, s18, s64
	s_addc_u32 s54, 0, s54
	v_add_co_u32 v2, s18, v2, s18
	s_delay_alu instid0(VALU_DEP_1) | instskip(SKIP_2) | instid1(VALU_DEP_1)
	s_cmp_lg_u32 s18, 0
	s_addc_u32 s4, s4, s54
	s_ashr_i32 s64, s5, 31
	v_readfirstlane_b32 s18, v2
	s_add_u32 s66, s17, s64
	s_mov_b32 s65, s64
	s_addc_u32 s67, s5, s64
	s_delay_alu instid0(SALU_CYCLE_1) | instskip(NEXT) | instid1(SALU_CYCLE_1)
	s_xor_b64 s[66:67], s[66:67], s[64:65]
	s_mul_i32 s58, s66, s4
	s_mul_hi_u32 s65, s66, s18
	s_mul_hi_u32 s54, s66, s4
	;; [unrolled: 1-line block ×3, first 2 shown]
	s_mul_i32 s18, s67, s18
	s_add_u32 s58, s65, s58
	s_addc_u32 s54, 0, s54
	s_mul_hi_u32 s68, s67, s4
	s_add_u32 s18, s58, s18
	s_mul_i32 s4, s67, s4
	s_addc_u32 s18, s54, s69
	s_addc_u32 s54, s68, 0
	s_add_u32 s4, s18, s4
	s_addc_u32 s18, 0, s54
	s_mul_hi_u32 s54, s33, s4
	s_mul_i32 s4, s33, s4
	s_mul_i32 s18, s33, s18
	v_sub_co_u32 v2, s4, s66, s4
	s_add_i32 s54, s54, s18
	s_cmp_lg_u32 s4, 0
	s_delay_alu instid0(VALU_DEP_1) | instskip(SKIP_2) | instid1(VALU_DEP_1)
	v_sub_co_u32 v3, s4, v2, s33
	s_subb_u32 s18, s67, s54
	s_cmp_lg_u32 s4, 0
	v_cmp_le_u32_e32 vcc_lo, s33, v3
	v_sub_co_u32 v4, s4, v3, s33
	s_subb_u32 s54, s18, 0
	s_cmp_lg_u32 s4, 0
	v_cndmask_b32_e64 v5, 0, -1, vcc_lo
	s_subb_u32 s4, s54, 0
	s_cmp_eq_u32 s54, 0
	v_mov_b32_e32 v7, s4
	s_cselect_b32 vcc_lo, -1, 0
	s_cmp_eq_u32 s18, 0
	v_cndmask_b32_e32 v5, -1, v5, vcc_lo
	v_cmp_le_u32_e32 vcc_lo, s33, v2
	s_cselect_b32 s4, -1, 0
	v_cndmask_b32_e64 v6, 0, -1, vcc_lo
	s_delay_alu instid0(VALU_DEP_3) | instskip(NEXT) | instid1(VALU_DEP_2)
	v_cmp_ne_u32_e32 vcc_lo, 0, v5
	v_cndmask_b32_e64 v5, -1, v6, s4
	v_cndmask_b32_e32 v3, v3, v4, vcc_lo
	v_cndmask_b32_e32 v6, s54, v7, vcc_lo
	s_delay_alu instid0(VALU_DEP_3) | instskip(NEXT) | instid1(VALU_DEP_3)
	v_cmp_ne_u32_e32 vcc_lo, 0, v5
	v_cndmask_b32_e32 v2, v2, v3, vcc_lo
	s_delay_alu instid0(VALU_DEP_3) | instskip(NEXT) | instid1(VALU_DEP_2)
	v_cndmask_b32_e32 v4, s18, v6, vcc_lo
	v_xor_b32_e32 v2, s64, v2
	s_delay_alu instid0(VALU_DEP_2) | instskip(NEXT) | instid1(VALU_DEP_2)
	v_xor_b32_e32 v3, s64, v4
	v_sub_co_u32 v2, vcc_lo, v2, s64
	s_delay_alu instid0(VALU_DEP_2)
	v_subrev_co_ci_u32_e32 v3, vcc_lo, s64, v3, vcc_lo
	s_cbranch_execnz .LBB5_244
.LBB5_243:                              ;   in Loop: Header=BB5_17 Depth=1
	v_cvt_f32_u32_e32 v2, s33
	s_sub_i32 s4, 0, s33
	s_delay_alu instid0(VALU_DEP_1) | instskip(SKIP_2) | instid1(VALU_DEP_1)
	v_rcp_iflag_f32_e32 v2, v2
	s_waitcnt_depctr 0xfff
	v_mul_f32_e32 v2, 0x4f7ffffe, v2
	v_cvt_u32_f32_e32 v2, v2
	s_delay_alu instid0(VALU_DEP_1) | instskip(NEXT) | instid1(VALU_DEP_1)
	v_mul_lo_u32 v3, s4, v2
	v_mul_hi_u32 v3, v2, v3
	s_delay_alu instid0(VALU_DEP_1) | instskip(NEXT) | instid1(VALU_DEP_1)
	v_add_nc_u32_e32 v2, v2, v3
	v_mul_hi_u32 v2, s17, v2
	s_delay_alu instid0(VALU_DEP_1) | instskip(NEXT) | instid1(VALU_DEP_1)
	v_mul_lo_u32 v2, v2, s33
	v_sub_nc_u32_e32 v2, s17, v2
	s_delay_alu instid0(VALU_DEP_1) | instskip(SKIP_1) | instid1(VALU_DEP_2)
	v_subrev_nc_u32_e32 v3, s33, v2
	v_cmp_le_u32_e32 vcc_lo, s33, v2
	v_cndmask_b32_e32 v2, v2, v3, vcc_lo
	s_delay_alu instid0(VALU_DEP_1) | instskip(SKIP_1) | instid1(VALU_DEP_2)
	v_subrev_nc_u32_e32 v3, s33, v2
	v_cmp_le_u32_e32 vcc_lo, s33, v2
	v_cndmask_b32_e32 v12, v2, v3, vcc_lo
	s_delay_alu instid0(VALU_DEP_1)
	v_dual_mov_b32 v2, v12 :: v_dual_mov_b32 v3, v13
.LBB5_244:                              ;   in Loop: Header=BB5_17 Depth=1
	s_delay_alu instid0(VALU_DEP_1) | instskip(NEXT) | instid1(VALU_DEP_2)
	v_sub_co_u32 v2, vcc_lo, s17, v2
	v_sub_co_ci_u32_e32 v3, vcc_lo, s5, v3, vcc_lo
	s_mov_b32 s64, 0
	s_mov_b32 s5, exec_lo
                                        ; implicit-def: $vgpr39
	s_delay_alu instid0(VALU_DEP_1)
	v_cmpx_gt_i64_e64 v[2:3], v[0:1]
	s_cbranch_execz .LBB5_252
; %bb.245:                              ;   in Loop: Header=BB5_17 Depth=1
	v_dual_mov_b32 v6, v0 :: v_dual_mov_b32 v5, v1
	v_mov_b32_e32 v4, v0
	s_mov_b32 s17, 0
                                        ; implicit-def: $sgpr18
	s_set_inst_prefetch_distance 0x1
	s_branch .LBB5_247
	.p2align	6
.LBB5_246:                              ;   in Loop: Header=BB5_247 Depth=2
	s_or_b32 exec_lo, exec_lo, s4
	s_waitcnt lgkmcnt(0)
	s_barrier
	buffer_gl0_inv
	ds_load_u16 v7, v13 offset:3072
	v_add_co_u32 v4, vcc_lo, v4, s33
	v_add_co_ci_u32_e32 v5, vcc_lo, 0, v5, vcc_lo
	v_add_nc_u32_e32 v6, s33, v6
	s_waitcnt lgkmcnt(0)
	s_barrier
	s_delay_alu instid0(VALU_DEP_2) | instskip(SKIP_2) | instid1(VALU_DEP_1)
	v_cmp_ge_i64_e32 vcc_lo, v[4:5], v[2:3]
	buffer_gl0_inv
	v_and_b32_e32 v8, 0xff, v7
	v_cmp_ne_u16_e64 s4, 0, v8
	s_delay_alu instid0(VALU_DEP_1) | instskip(NEXT) | instid1(SALU_CYCLE_1)
	s_or_b32 s54, s4, vcc_lo
	s_and_b32 s54, exec_lo, s54
	s_delay_alu instid0(SALU_CYCLE_1) | instskip(SKIP_2) | instid1(SALU_CYCLE_1)
	s_or_b32 s17, s54, s17
	s_and_not1_b32 s18, s18, exec_lo
	s_and_b32 s4, s4, exec_lo
	s_or_b32 s18, s18, s4
	s_and_not1_b32 exec_lo, exec_lo, s17
	s_cbranch_execz .LBB5_251
.LBB5_247:                              ;   Parent Loop BB5_17 Depth=1
                                        ; =>  This Inner Loop Header: Depth=2
	s_delay_alu instid0(VALU_DEP_1)
	v_cmp_gt_i64_e32 vcc_lo, s[8:9], v[4:5]
	v_mov_b32_e32 v7, 0
	s_and_saveexec_b32 s4, vcc_lo
	s_cbranch_execz .LBB5_249
; %bb.248:                              ;   in Loop: Header=BB5_247 Depth=2
	ds_load_u8 v7, v6
.LBB5_249:                              ;   in Loop: Header=BB5_247 Depth=2
	s_or_b32 exec_lo, exec_lo, s4
	s_waitcnt lgkmcnt(0)
	v_and_b32_e32 v8, s94, v7
	s_delay_alu instid0(VALU_DEP_1) | instskip(NEXT) | instid1(VALU_DEP_1)
	v_and_b32_e32 v8, 0xff, v8
	v_cmp_eq_u32_e64 s4, s95, v8
	s_delay_alu instid0(VALU_DEP_1) | instskip(NEXT) | instid1(SALU_CYCLE_1)
	s_and_b32 s54, vcc_lo, s4
	s_and_saveexec_b32 s4, s54
	s_cbranch_execz .LBB5_246
; %bb.250:                              ;   in Loop: Header=BB5_247 Depth=2
	v_lshlrev_b16 v7, 8, v7
	s_delay_alu instid0(VALU_DEP_1)
	v_or_b32_e32 v7, 1, v7
	ds_store_b16 v13, v7 offset:3072
	s_branch .LBB5_246
.LBB5_251:                              ;   in Loop: Header=BB5_17 Depth=1
	s_set_inst_prefetch_distance 0x2
	s_or_b32 exec_lo, exec_lo, s17
	v_lshrrev_b16 v39, 8, v7
	s_and_b32 s64, s18, exec_lo
.LBB5_252:                              ;   in Loop: Header=BB5_17 Depth=1
	s_or_b32 exec_lo, exec_lo, s5
	s_mov_b32 s54, -1
	s_mov_b32 s17, 0
	s_mov_b32 s18, 0
.LBB5_253:                              ;   in Loop: Header=BB5_17 Depth=1
	s_mov_b32 s9, 0
                                        ; implicit-def: $sgpr58
                                        ; implicit-def: $sgpr4_sgpr5
	s_and_saveexec_b32 s8, s64
	s_cbranch_execz .LBB5_266
; %bb.254:                              ;   in Loop: Header=BB5_17 Depth=1
	s_xor_b32 s9, s11, -1
	s_mov_b64 s[4:5], 1
	s_and_not1_b32 vcc_lo, exec_lo, s9
	s_mov_b32 s58, 1
	s_cbranch_vccnz .LBB5_265
; %bb.255:                              ;   in Loop: Header=BB5_17 Depth=1
	v_cmp_gt_i64_e64 s4, s[26:27], s[6:7]
	s_delay_alu instid0(VALU_DEP_1)
	s_and_b32 vcc_lo, exec_lo, s4
	s_cbranch_vccnz .LBB5_261
; %bb.256:                              ;   in Loop: Header=BB5_17 Depth=1
	ds_load_b64 v[2:3], v13 offset:5120
	s_waitcnt lgkmcnt(0)
	v_cmp_ne_u64_e32 vcc_lo, 0, v[2:3]
	s_cbranch_vccnz .LBB5_260
; %bb.257:                              ;   in Loop: Header=BB5_17 Depth=1
	s_and_saveexec_b32 s4, s2
	s_cbranch_execz .LBB5_259
; %bb.258:                              ;   in Loop: Header=BB5_17 Depth=1
	v_dual_mov_b32 v2, s6 :: v_dual_mov_b32 v3, s7
	ds_store_b64 v13, v[2:3] offset:5128
.LBB5_259:                              ;   in Loop: Header=BB5_17 Depth=1
	s_or_b32 exec_lo, exec_lo, s4
	s_waitcnt lgkmcnt(0)
	s_barrier
	buffer_gl0_inv
.LBB5_260:                              ;   in Loop: Header=BB5_17 Depth=1
	s_or_b32 s9, s95, s16
	s_or_b32 s11, s94, s16
	s_mov_b32 s4, 0
	s_mov_b32 s58, 8
	s_branch .LBB5_262
.LBB5_261:                              ;   in Loop: Header=BB5_17 Depth=1
	s_mov_b32 s4, -1
                                        ; implicit-def: $sgpr58
                                        ; implicit-def: $sgpr9
                                        ; implicit-def: $sgpr11
.LBB5_262:                              ;   in Loop: Header=BB5_17 Depth=1
	s_delay_alu instid0(SALU_CYCLE_1)
	s_and_not1_b32 vcc_lo, exec_lo, s4
	s_cbranch_vccnz .LBB5_264
; %bb.263:                              ;   in Loop: Header=BB5_17 Depth=1
	s_sub_u32 s26, s26, s6
	s_subb_u32 s27, s27, s7
	s_mov_b32 s58, 8
	s_mov_b32 s9, s95
	;; [unrolled: 1-line block ×3, first 2 shown]
.LBB5_264:                              ;   in Loop: Header=BB5_17 Depth=1
	s_mov_b64 s[4:5], s[26:27]
	s_mov_b32 s95, s9
	s_mov_b32 s94, s11
.LBB5_265:                              ;   in Loop: Header=BB5_17 Depth=1
	s_mov_b32 s9, exec_lo
.LBB5_266:                              ;   in Loop: Header=BB5_17 Depth=1
	s_or_b32 exec_lo, exec_lo, s8
	s_mov_b64 s[26:27], s[4:5]
.LBB5_267:                              ;   in Loop: Header=BB5_17 Depth=1
	s_and_not1_b32 s4, s13, exec_lo
	s_and_b32 s5, s17, exec_lo
	s_and_not1_b32 s6, s22, exec_lo
	s_or_b32 s13, s4, s5
	s_and_not1_b32 s4, s23, exec_lo
	s_and_b32 s5, s54, exec_lo
	s_and_b32 s7, s18, exec_lo
	s_or_b32 s23, s4, s5
	s_or_b32 s22, s6, s7
	s_and_b32 s5, s9, exec_lo
.LBB5_268:                              ;   in Loop: Header=BB5_17 Depth=1
	s_or_b32 exec_lo, exec_lo, s10
.LBB5_269:                              ;   in Loop: Header=BB5_17 Depth=1
	s_delay_alu instid0(SALU_CYCLE_1)
	s_and_not1_b32 s4, s20, exec_lo
	s_and_b32 s6, s13, exec_lo
	s_and_not1_b32 s7, s19, exec_lo
	s_or_b32 s20, s4, s6
	s_and_not1_b32 s4, s21, exec_lo
	s_and_b32 s6, s23, exec_lo
	s_and_b32 s8, s22, exec_lo
	s_or_b32 s21, s4, s6
	s_or_b32 s19, s7, s8
	s_and_b32 s5, s5, exec_lo
.LBB5_270:                              ;   in Loop: Header=BB5_17 Depth=1
	s_or_b32 exec_lo, exec_lo, s12
	s_and_saveexec_b32 s4, s5
	s_delay_alu instid0(SALU_CYCLE_1)
	s_xor_b32 s4, exec_lo, s4
	s_cbranch_execz .LBB5_15
.LBB5_271:                              ;   in Loop: Header=BB5_17 Depth=1
	s_and_b32 s5, s58, -9
	s_delay_alu instid0(SALU_CYCLE_1)
	s_cmp_eq_u32 s5, 0
	s_cbranch_scc1 .LBB5_13
; %bb.272:                              ;   in Loop: Header=BB5_17 Depth=1
	s_mov_b32 s5, -1
	s_mov_b32 s6, -1
                                        ; implicit-def: $sgpr94
                                        ; implicit-def: $sgpr85
                                        ; implicit-def: $sgpr90
	s_branch .LBB5_14
.LBB5_273:                              ;   in Loop: Header=BB5_17 Depth=1
                                        ; implicit-def: $vgpr2_vgpr3
	s_branch .LBB5_227
.LBB5_274:                              ;   in Loop: Header=BB5_17 Depth=1
                                        ; implicit-def: $vgpr2_vgpr3
	s_branch .LBB5_243
.LBB5_275:
	s_or_b32 exec_lo, exec_lo, s86
	s_xor_b32 s5, s89, -1
	s_xor_b32 s1, s87, -1
	;; [unrolled: 1-line block ×3, first 2 shown]
	s_mov_b32 s3, 0
	s_and_saveexec_b32 s6, s1
	s_delay_alu instid0(SALU_CYCLE_1)
	s_xor_b32 s1, exec_lo, s6
	s_cbranch_execz .LBB5_301
; %bb.276:
	s_and_saveexec_b32 s3, s5
	s_delay_alu instid0(SALU_CYCLE_1)
	s_xor_b32 s3, exec_lo, s3
	s_cbranch_execz .LBB5_299
; %bb.277:
	s_and_saveexec_b32 s5, s4
	s_delay_alu instid0(SALU_CYCLE_1)
	s_xor_b32 s4, exec_lo, s5
; %bb.278:
	v_mov_b32_e32 v39, v2
; %bb.279:
	s_or_b32 exec_lo, exec_lo, s4
	s_and_saveexec_b32 s4, s2
	s_cbranch_execz .LBB5_281
; %bb.280:
	v_dual_mov_b32 v2, 0 :: v_dual_mov_b32 v3, s24
	ds_store_b32 v2, v3 offset:5140
.LBB5_281:
	s_or_b32 exec_lo, exec_lo, s4
	s_waitcnt lgkmcnt(0)
	s_barrier
	buffer_gl0_inv
	s_and_saveexec_b32 s4, s0
	s_cbranch_execz .LBB5_296
; %bb.282:
	v_mov_b32_e32 v2, 0
	v_and_b32_e32 v6, 0xff, v39
	s_mov_b32 s5, 0
                                        ; implicit-def: $sgpr6
                                        ; implicit-def: $sgpr7
                                        ; implicit-def: $sgpr8
	ds_load_b32 v4, v2 offset:5140
	s_waitcnt lgkmcnt(0)
	v_ashrrev_i32_e32 v5, 31, v4
	s_set_inst_prefetch_distance 0x1
	s_branch .LBB5_285
	.p2align	6
.LBB5_283:                              ;   in Loop: Header=BB5_285 Depth=1
	s_or_b32 exec_lo, exec_lo, s11
	s_delay_alu instid0(SALU_CYCLE_1)
	s_and_not1_b32 s8, s8, exec_lo
	s_and_b32 s10, s10, exec_lo
	s_and_not1_b32 s7, s7, exec_lo
	s_and_b32 s0, s0, exec_lo
	s_or_b32 s8, s8, s10
	s_or_b32 s7, s7, s0
.LBB5_284:                              ;   in Loop: Header=BB5_285 Depth=1
	s_or_b32 exec_lo, exec_lo, s9
	s_delay_alu instid0(SALU_CYCLE_1) | instskip(NEXT) | instid1(SALU_CYCLE_1)
	s_and_b32 s0, exec_lo, s7
	s_or_b32 s5, s0, s5
	s_and_not1_b32 s0, s6, exec_lo
	s_and_b32 s6, s8, exec_lo
	s_delay_alu instid0(SALU_CYCLE_1)
	s_or_b32 s6, s0, s6
	s_and_not1_b32 exec_lo, exec_lo, s5
	s_cbranch_execz .LBB5_291
.LBB5_285:                              ; =>This Inner Loop Header: Depth=1
	v_dual_mov_b32 v3, v1 :: v_dual_mov_b32 v2, v0
	s_or_b32 s8, s8, exec_lo
	s_or_b32 s7, s7, exec_lo
	s_mov_b32 s9, exec_lo
                                        ; implicit-def: $vgpr0_vgpr1
	s_delay_alu instid0(VALU_DEP_1)
	v_cmpx_lt_i64_e64 v[2:3], v[4:5]
	s_cbranch_execz .LBB5_284
; %bb.286:                              ;   in Loop: Header=BB5_285 Depth=1
	global_load_u8 v0, v[10:11], off
	s_mov_b32 s0, -1
	s_mov_b32 s10, 0
	s_waitcnt vmcnt(0)
	v_cmp_ne_u16_e32 vcc_lo, v0, v6
                                        ; implicit-def: $vgpr0_vgpr1
	s_and_saveexec_b32 s11, vcc_lo
	s_cbranch_execz .LBB5_283
; %bb.287:                              ;   in Loop: Header=BB5_285 Depth=1
	v_add_co_u32 v0, vcc_lo, v2, s33
	v_add_co_ci_u32_e32 v1, vcc_lo, 0, v3, vcc_lo
	v_add_co_u32 v10, s0, v10, s74
	s_delay_alu instid0(VALU_DEP_1) | instskip(NEXT) | instid1(VALU_DEP_3)
	v_add_co_ci_u32_e64 v11, s0, s35, v11, s0
	v_cmp_le_i64_e32 vcc_lo, s[24:25], v[0:1]
	s_mov_b32 s10, exec_lo
	s_or_not1_b32 s0, vcc_lo, exec_lo
	s_branch .LBB5_283
.LBB5_288:
                                        ; implicit-def: $sgpr16_sgpr17
	s_branch .LBB5_3
.LBB5_289:
                                        ; implicit-def: $sgpr46_sgpr47
	s_branch .LBB5_6
.LBB5_290:
                                        ; implicit-def: $sgpr48_sgpr49
	s_load_b64 s[18:19], s[0:1], 0x0
	s_branch .LBB5_9
.LBB5_291:
	s_set_inst_prefetch_distance 0x2
	s_or_b32 exec_lo, exec_lo, s5
	s_xor_b32 s0, s6, -1
	s_delay_alu instid0(SALU_CYCLE_1) | instskip(NEXT) | instid1(SALU_CYCLE_1)
	s_and_saveexec_b32 s5, s0
	s_xor_b32 s5, exec_lo, s5
	s_cbranch_execz .LBB5_296
; %bb.292:
	s_mov_b32 s5, exec_lo
	s_brev_b32 s0, -2
.LBB5_293:                              ; =>This Inner Loop Header: Depth=1
	s_ctz_i32_b32 s6, s5
	s_delay_alu instid0(SALU_CYCLE_1) | instskip(SKIP_1) | instid1(SALU_CYCLE_1)
	v_readlane_b32 s7, v2, s6
	s_lshl_b32 s6, 1, s6
	s_and_not1_b32 s5, s5, s6
	s_delay_alu instid0(VALU_DEP_1)
	s_min_i32 s0, s0, s7
	s_cmp_lg_u32 s5, 0
	s_cbranch_scc1 .LBB5_293
; %bb.294:
	v_mbcnt_lo_u32_b32 v0, exec_lo, 0
	s_mov_b32 s5, exec_lo
	s_delay_alu instid0(VALU_DEP_1)
	v_cmpx_eq_u32_e32 0, v0
	s_xor_b32 s5, exec_lo, s5
	s_cbranch_execz .LBB5_296
; %bb.295:
	v_dual_mov_b32 v0, 0 :: v_dual_mov_b32 v1, s0
	ds_min_i32 v0, v1 offset:5140
.LBB5_296:
	s_or_b32 exec_lo, exec_lo, s4
	s_waitcnt lgkmcnt(0)
	s_barrier
	buffer_gl0_inv
	s_and_saveexec_b32 s0, s2
	s_cbranch_execz .LBB5_298
; %bb.297:
	s_mul_i32 s2, s46, s29
	s_mul_hi_u32 s4, s46, s28
	s_mul_i32 s5, s46, s28
	s_add_i32 s2, s4, s2
	s_mul_i32 s4, s47, s28
	v_mov_b32_e32 v2, 0
	s_add_i32 s2, s2, s4
	s_sub_u32 s4, s34, s5
	s_subb_u32 s2, 0, s2
	s_mul_i32 s5, s4, s43
	s_mul_hi_u32 s6, s4, s42
	s_mul_i32 s2, s2, s42
	s_add_i32 s5, s6, s5
	s_mul_hi_u32 s6, s46, s40
	s_add_i32 s2, s5, s2
	s_mul_i32 s5, s46, s41
	s_mul_hi_u32 s7, s48, s44
	s_add_i32 s5, s6, s5
	s_mul_i32 s6, s48, s45
	ds_load_b32 v0, v2 offset:5140
	s_mul_i32 s8, s47, s40
	s_add_i32 s6, s7, s6
	s_mul_i32 s7, s49, s44
	s_add_i32 s8, s5, s8
	;; [unrolled: 2-line block ×3, first 2 shown]
	s_sub_u32 s10, s34, s5
	s_subb_u32 s6, 0, s6
	s_mul_i32 s5, s10, s39
	s_mul_hi_u32 s7, s10, s38
	s_mul_hi_u32 s11, s48, s36
	s_add_i32 s5, s7, s5
	s_mul_i32 s7, s48, s37
	s_mul_i32 s6, s6, s38
	s_add_i32 s7, s11, s7
	s_mul_i32 s11, s49, s36
	s_mul_i32 s9, s46, s40
	s_add_i32 s5, s5, s6
	s_add_i32 s7, s7, s11
	s_mul_i32 s4, s4, s42
	s_add_u32 s9, s52, s9
	s_mul_i32 s6, s48, s36
	s_addc_u32 s11, s53, s8
	s_add_u32 s8, s9, s4
	s_addc_u32 s9, s11, s2
	s_lshl_b64 s[6:7], s[6:7], 3
	s_mul_i32 s4, s10, s38
	s_add_u32 s2, s50, s6
	s_addc_u32 s6, s51, s7
	s_lshl_b64 s[4:5], s[4:5], 3
	s_waitcnt lgkmcnt(0)
	v_ashrrev_i32_e32 v1, 31, v0
	s_add_u32 s4, s2, s4
	s_addc_u32 s5, s6, s5
	s_clause 0x1
	global_store_b64 v2, v[0:1], s[4:5]
	global_store_b8 v2, v39, s[8:9]
.LBB5_298:
	s_or_b32 exec_lo, exec_lo, s0
.LBB5_299:
	s_or_saveexec_b32 s0, s3
	s_mov_b32 s2, 0
	s_xor_b32 exec_lo, exec_lo, s0
	s_cbranch_execnz .LBB5_307
.LBB5_300:
	s_or_b32 exec_lo, exec_lo, s0
	s_delay_alu instid0(SALU_CYCLE_1)
	s_and_b32 s3, s2, exec_lo
.LBB5_301:
	s_and_not1_saveexec_b32 s0, s1
	s_cbranch_execnz .LBB5_305
; %bb.302:
	s_or_b32 exec_lo, exec_lo, s0
	s_and_saveexec_b32 s0, s3
.LBB5_303:
	; divergent unreachable
.LBB5_304:
	s_nop 0
	s_sendmsg sendmsg(MSG_DEALLOC_VGPRS)
	s_endpgm
.LBB5_305:
	s_cbranch_execnz .LBB5_309
; %bb.306:
	s_or_b32 s3, s3, exec_lo
	s_or_b32 exec_lo, exec_lo, s0
	s_and_saveexec_b32 s0, s3
	s_cbranch_execnz .LBB5_303
	s_branch .LBB5_304
.LBB5_307:
	s_cbranch_execnz .LBB5_311
; %bb.308:
	s_mov_b32 s2, exec_lo
	s_branch .LBB5_300
.LBB5_309:
	s_trap 2
	s_sendmsg_rtn_b32 s0, sendmsg(MSG_RTN_GET_DOORBELL)
	s_mov_b32 ttmp2, m0
	s_waitcnt lgkmcnt(0)
	s_and_b32 s0, s0, 0x3ff
	s_delay_alu instid0(SALU_CYCLE_1) | instskip(NEXT) | instid1(SALU_CYCLE_1)
	s_bitset1_b32 s0, 10
	s_mov_b32 m0, s0
	s_sendmsg sendmsg(MSG_INTERRUPT)
	s_mov_b32 m0, ttmp2
.LBB5_310:                              ; =>This Inner Loop Header: Depth=1
	s_sethalt 5
	s_branch .LBB5_310
.LBB5_311:
	s_trap 2
	s_sendmsg_rtn_b32 s0, sendmsg(MSG_RTN_GET_DOORBELL)
	s_mov_b32 ttmp2, m0
	s_waitcnt lgkmcnt(0)
	s_and_b32 s0, s0, 0x3ff
	s_delay_alu instid0(SALU_CYCLE_1) | instskip(NEXT) | instid1(SALU_CYCLE_1)
	s_bitset1_b32 s0, 10
	s_mov_b32 m0, s0
	s_sendmsg sendmsg(MSG_INTERRUPT)
	s_mov_b32 m0, ttmp2
.LBB5_312:                              ; =>This Inner Loop Header: Depth=1
	s_sethalt 5
	s_branch .LBB5_312
	.section	.rodata,"a",@progbits
	.p2align	6, 0x0
	.amdhsa_kernel _ZN2at6native12_GLOBAL__N_114gatherKthValueIhlLi2EEEvNS_4cuda6detail10TensorInfoIKT_T0_EES8_S8_S8_S8_NS5_IS6_S8_EENS5_IlS8_EE
		.amdhsa_group_segment_fixed_size 5144
		.amdhsa_private_segment_fixed_size 0
		.amdhsa_kernarg_size 1536
		.amdhsa_user_sgpr_count 13
		.amdhsa_user_sgpr_dispatch_ptr 0
		.amdhsa_user_sgpr_queue_ptr 0
		.amdhsa_user_sgpr_kernarg_segment_ptr 1
		.amdhsa_user_sgpr_dispatch_id 0
		.amdhsa_user_sgpr_private_segment_size 0
		.amdhsa_wavefront_size32 1
		.amdhsa_uses_dynamic_stack 0
		.amdhsa_enable_private_segment 0
		.amdhsa_system_sgpr_workgroup_id_x 1
		.amdhsa_system_sgpr_workgroup_id_y 1
		.amdhsa_system_sgpr_workgroup_id_z 1
		.amdhsa_system_sgpr_workgroup_info 0
		.amdhsa_system_vgpr_workitem_id 0
		.amdhsa_next_free_vgpr 42
		.amdhsa_next_free_sgpr 98
		.amdhsa_reserve_vcc 1
		.amdhsa_float_round_mode_32 0
		.amdhsa_float_round_mode_16_64 0
		.amdhsa_float_denorm_mode_32 3
		.amdhsa_float_denorm_mode_16_64 3
		.amdhsa_dx10_clamp 1
		.amdhsa_ieee_mode 1
		.amdhsa_fp16_overflow 0
		.amdhsa_workgroup_processor_mode 1
		.amdhsa_memory_ordered 1
		.amdhsa_forward_progress 0
		.amdhsa_shared_vgpr_count 0
		.amdhsa_exception_fp_ieee_invalid_op 0
		.amdhsa_exception_fp_denorm_src 0
		.amdhsa_exception_fp_ieee_div_zero 0
		.amdhsa_exception_fp_ieee_overflow 0
		.amdhsa_exception_fp_ieee_underflow 0
		.amdhsa_exception_fp_ieee_inexact 0
		.amdhsa_exception_int_div_zero 0
	.end_amdhsa_kernel
	.section	.text._ZN2at6native12_GLOBAL__N_114gatherKthValueIhlLi2EEEvNS_4cuda6detail10TensorInfoIKT_T0_EES8_S8_S8_S8_NS5_IS6_S8_EENS5_IlS8_EE,"axG",@progbits,_ZN2at6native12_GLOBAL__N_114gatherKthValueIhlLi2EEEvNS_4cuda6detail10TensorInfoIKT_T0_EES8_S8_S8_S8_NS5_IS6_S8_EENS5_IlS8_EE,comdat
.Lfunc_end5:
	.size	_ZN2at6native12_GLOBAL__N_114gatherKthValueIhlLi2EEEvNS_4cuda6detail10TensorInfoIKT_T0_EES8_S8_S8_S8_NS5_IS6_S8_EENS5_IlS8_EE, .Lfunc_end5-_ZN2at6native12_GLOBAL__N_114gatherKthValueIhlLi2EEEvNS_4cuda6detail10TensorInfoIKT_T0_EES8_S8_S8_S8_NS5_IS6_S8_EENS5_IlS8_EE
                                        ; -- End function
	.section	.AMDGPU.csdata,"",@progbits
; Kernel info:
; codeLenInByte = 19576
; NumSgprs: 100
; NumVgprs: 42
; ScratchSize: 0
; MemoryBound: 0
; FloatMode: 240
; IeeeMode: 1
; LDSByteSize: 5144 bytes/workgroup (compile time only)
; SGPRBlocks: 12
; VGPRBlocks: 5
; NumSGPRsForWavesPerEU: 100
; NumVGPRsForWavesPerEU: 42
; Occupancy: 16
; WaveLimiterHint : 1
; COMPUTE_PGM_RSRC2:SCRATCH_EN: 0
; COMPUTE_PGM_RSRC2:USER_SGPR: 13
; COMPUTE_PGM_RSRC2:TRAP_HANDLER: 0
; COMPUTE_PGM_RSRC2:TGID_X_EN: 1
; COMPUTE_PGM_RSRC2:TGID_Y_EN: 1
; COMPUTE_PGM_RSRC2:TGID_Z_EN: 1
; COMPUTE_PGM_RSRC2:TIDIG_COMP_CNT: 0
	.section	.text._ZN2at6native12_GLOBAL__N_114gatherKthValueIhlLi3EEEvNS_4cuda6detail10TensorInfoIKT_T0_EES8_S8_S8_S8_NS5_IS6_S8_EENS5_IlS8_EE,"axG",@progbits,_ZN2at6native12_GLOBAL__N_114gatherKthValueIhlLi3EEEvNS_4cuda6detail10TensorInfoIKT_T0_EES8_S8_S8_S8_NS5_IS6_S8_EENS5_IlS8_EE,comdat
	.globl	_ZN2at6native12_GLOBAL__N_114gatherKthValueIhlLi3EEEvNS_4cuda6detail10TensorInfoIKT_T0_EES8_S8_S8_S8_NS5_IS6_S8_EENS5_IlS8_EE ; -- Begin function _ZN2at6native12_GLOBAL__N_114gatherKthValueIhlLi3EEEvNS_4cuda6detail10TensorInfoIKT_T0_EES8_S8_S8_S8_NS5_IS6_S8_EENS5_IlS8_EE
	.p2align	8
	.type	_ZN2at6native12_GLOBAL__N_114gatherKthValueIhlLi3EEEvNS_4cuda6detail10TensorInfoIKT_T0_EES8_S8_S8_S8_NS5_IS6_S8_EENS5_IlS8_EE,@function
_ZN2at6native12_GLOBAL__N_114gatherKthValueIhlLi3EEEvNS_4cuda6detail10TensorInfoIKT_T0_EES8_S8_S8_S8_NS5_IS6_S8_EENS5_IlS8_EE: ; @_ZN2at6native12_GLOBAL__N_114gatherKthValueIhlLi3EEEvNS_4cuda6detail10TensorInfoIKT_T0_EES8_S8_S8_S8_NS5_IS6_S8_EENS5_IlS8_EE
; %bb.0:
	s_clause 0x1
	s_load_b64 s[18:19], s[0:1], 0x500
	s_load_b256 s[24:31], s[0:1], 0x1a0
	s_add_u32 s16, s0, 0x500
	s_addc_u32 s17, s1, 0
	s_mov_b32 s35, 0
	s_waitcnt lgkmcnt(0)
	s_mul_i32 s2, s19, s15
	s_delay_alu instid0(SALU_CYCLE_1) | instskip(NEXT) | instid1(SALU_CYCLE_1)
	s_add_i32 s2, s2, s14
	s_mul_i32 s2, s2, s18
	s_delay_alu instid0(SALU_CYCLE_1) | instskip(NEXT) | instid1(SALU_CYCLE_1)
	s_add_i32 s34, s2, s13
	v_cmp_ge_i64_e64 s2, s[34:35], s[28:29]
	s_delay_alu instid0(VALU_DEP_1)
	s_and_b32 vcc_lo, exec_lo, s2
	s_cbranch_vccnz .LBB6_317
; %bb.1:
	s_load_b128 s[4:7], s[0:1], 0x10
	s_mov_b32 s2, s35
	s_waitcnt lgkmcnt(0)
	s_mov_b32 s3, s7
	s_delay_alu instid0(SALU_CYCLE_1)
	s_cmp_lg_u64 s[2:3], 0
	s_cbranch_scc0 .LBB6_18
; %bb.2:
	s_ashr_i32 s2, s7, 31
	s_delay_alu instid0(SALU_CYCLE_1) | instskip(SKIP_2) | instid1(SALU_CYCLE_1)
	s_add_u32 s8, s6, s2
	s_mov_b32 s3, s2
	s_addc_u32 s9, s7, s2
	s_xor_b64 s[8:9], s[8:9], s[2:3]
	s_delay_alu instid0(SALU_CYCLE_1) | instskip(SKIP_3) | instid1(VALU_DEP_1)
	v_cvt_f32_u32_e32 v1, s8
	v_cvt_f32_u32_e32 v2, s9
	s_sub_u32 s12, 0, s8
	s_subb_u32 s14, 0, s9
	v_fmamk_f32 v1, v2, 0x4f800000, v1
	s_delay_alu instid0(VALU_DEP_1) | instskip(SKIP_2) | instid1(VALU_DEP_1)
	v_rcp_f32_e32 v1, v1
	s_waitcnt_depctr 0xfff
	v_mul_f32_e32 v1, 0x5f7ffffc, v1
	v_mul_f32_e32 v2, 0x2f800000, v1
	s_delay_alu instid0(VALU_DEP_1) | instskip(NEXT) | instid1(VALU_DEP_1)
	v_trunc_f32_e32 v2, v2
	v_fmamk_f32 v1, v2, 0xcf800000, v1
	v_cvt_u32_f32_e32 v2, v2
	s_delay_alu instid0(VALU_DEP_2) | instskip(NEXT) | instid1(VALU_DEP_2)
	v_cvt_u32_f32_e32 v1, v1
	v_readfirstlane_b32 s10, v2
	s_delay_alu instid0(VALU_DEP_2) | instskip(NEXT) | instid1(VALU_DEP_2)
	v_readfirstlane_b32 s11, v1
	s_mul_i32 s15, s12, s10
	s_delay_alu instid0(VALU_DEP_1)
	s_mul_hi_u32 s20, s12, s11
	s_mul_i32 s19, s14, s11
	s_add_i32 s15, s20, s15
	s_mul_i32 s21, s12, s11
	s_add_i32 s15, s15, s19
	s_mul_hi_u32 s20, s11, s21
	s_mul_hi_u32 s22, s10, s21
	s_mul_i32 s19, s10, s21
	s_mul_hi_u32 s21, s11, s15
	s_mul_i32 s11, s11, s15
	s_mul_hi_u32 s23, s10, s15
	s_add_u32 s11, s20, s11
	s_addc_u32 s20, 0, s21
	s_add_u32 s11, s11, s19
	s_mul_i32 s15, s10, s15
	s_addc_u32 s11, s20, s22
	s_addc_u32 s19, s23, 0
	s_add_u32 s11, s11, s15
	s_addc_u32 s15, 0, s19
	v_add_co_u32 v1, s11, v1, s11
	s_delay_alu instid0(VALU_DEP_1) | instskip(SKIP_1) | instid1(VALU_DEP_1)
	s_cmp_lg_u32 s11, 0
	s_addc_u32 s10, s10, s15
	v_readfirstlane_b32 s11, v1
	s_mul_i32 s15, s12, s10
	s_delay_alu instid0(VALU_DEP_1)
	s_mul_hi_u32 s19, s12, s11
	s_mul_i32 s14, s14, s11
	s_add_i32 s15, s19, s15
	s_mul_i32 s12, s12, s11
	s_add_i32 s15, s15, s14
	s_mul_hi_u32 s19, s10, s12
	s_mul_i32 s20, s10, s12
	s_mul_hi_u32 s12, s11, s12
	s_mul_hi_u32 s21, s11, s15
	s_mul_i32 s11, s11, s15
	s_mul_hi_u32 s14, s10, s15
	s_add_u32 s11, s12, s11
	s_addc_u32 s12, 0, s21
	s_add_u32 s11, s11, s20
	s_mul_i32 s15, s10, s15
	s_addc_u32 s11, s12, s19
	s_addc_u32 s12, s14, 0
	s_add_u32 s11, s11, s15
	s_addc_u32 s12, 0, s12
	v_add_co_u32 v1, s11, v1, s11
	s_delay_alu instid0(VALU_DEP_1) | instskip(SKIP_2) | instid1(VALU_DEP_1)
	s_cmp_lg_u32 s11, 0
	s_addc_u32 s12, s10, s12
	s_ashr_i32 s10, 0, 31
	v_readfirstlane_b32 s19, v1
	s_add_u32 s14, s34, s10
	s_mov_b32 s11, s10
	s_addc_u32 s15, 0, s10
	s_delay_alu instid0(SALU_CYCLE_1) | instskip(NEXT) | instid1(SALU_CYCLE_1)
	s_xor_b64 s[14:15], s[14:15], s[10:11]
	s_mul_i32 s21, s14, s12
	s_mul_hi_u32 s22, s14, s19
	s_mul_hi_u32 s20, s14, s12
	;; [unrolled: 1-line block ×3, first 2 shown]
	s_mul_i32 s19, s15, s19
	s_add_u32 s21, s22, s21
	s_addc_u32 s20, 0, s20
	s_mul_hi_u32 s23, s15, s12
	s_add_u32 s19, s21, s19
	s_mul_i32 s12, s15, s12
	s_addc_u32 s19, s20, s28
	s_addc_u32 s20, s23, 0
	s_add_u32 s12, s19, s12
	s_addc_u32 s19, 0, s20
	s_mul_i32 s23, s8, s12
	s_mul_hi_u32 s20, s8, s12
	s_mul_i32 s22, s8, s19
	v_sub_co_u32 v1, s14, s14, s23
	s_mul_i32 s21, s9, s12
	s_add_i32 s20, s20, s22
	s_delay_alu instid0(SALU_CYCLE_1) | instskip(NEXT) | instid1(VALU_DEP_1)
	s_add_i32 s20, s20, s21
	v_sub_co_u32 v2, s22, v1, s8
	s_sub_i32 s21, s15, s20
	s_cmp_lg_u32 s14, 0
	s_subb_u32 s21, s21, s9
	s_cmp_lg_u32 s22, 0
	v_readfirstlane_b32 s22, v2
	s_subb_u32 s21, s21, 0
	s_delay_alu instid0(SALU_CYCLE_1) | instskip(SKIP_1) | instid1(VALU_DEP_1)
	s_cmp_ge_u32 s21, s9
	s_cselect_b32 s23, -1, 0
	s_cmp_ge_u32 s22, s8
	s_cselect_b32 s22, -1, 0
	s_cmp_eq_u32 s21, s9
	s_cselect_b32 s21, s22, s23
	s_add_u32 s22, s12, 1
	s_addc_u32 s23, s19, 0
	s_add_u32 s28, s12, 2
	s_addc_u32 s29, s19, 0
	s_cmp_lg_u32 s21, 0
	s_cselect_b32 s21, s28, s22
	s_cselect_b32 s22, s29, s23
	s_cmp_lg_u32 s14, 0
	v_readfirstlane_b32 s14, v1
	s_subb_u32 s15, s15, s20
	s_delay_alu instid0(SALU_CYCLE_1) | instskip(SKIP_1) | instid1(VALU_DEP_1)
	s_cmp_ge_u32 s15, s9
	s_cselect_b32 s20, -1, 0
	s_cmp_ge_u32 s14, s8
	s_cselect_b32 s8, -1, 0
	s_cmp_eq_u32 s15, s9
	s_cselect_b32 s8, s8, s20
	s_delay_alu instid0(SALU_CYCLE_1) | instskip(SKIP_3) | instid1(SALU_CYCLE_1)
	s_cmp_lg_u32 s8, 0
	s_cselect_b32 s9, s22, s19
	s_cselect_b32 s8, s21, s12
	s_xor_b64 s[2:3], s[10:11], s[2:3]
	s_xor_b64 s[10:11], s[8:9], s[2:3]
	s_delay_alu instid0(SALU_CYCLE_1)
	s_sub_u32 s2, s10, s2
	s_subb_u32 s3, s11, s3
	s_cbranch_execnz .LBB6_4
.LBB6_3:
	v_cvt_f32_u32_e32 v1, s6
	s_sub_i32 s3, 0, s6
	s_delay_alu instid0(VALU_DEP_1) | instskip(SKIP_2) | instid1(VALU_DEP_1)
	v_rcp_iflag_f32_e32 v1, v1
	s_waitcnt_depctr 0xfff
	v_mul_f32_e32 v1, 0x4f7ffffe, v1
	v_cvt_u32_f32_e32 v1, v1
	s_delay_alu instid0(VALU_DEP_1) | instskip(NEXT) | instid1(VALU_DEP_1)
	v_readfirstlane_b32 s2, v1
	s_mul_i32 s3, s3, s2
	s_delay_alu instid0(SALU_CYCLE_1) | instskip(NEXT) | instid1(SALU_CYCLE_1)
	s_mul_hi_u32 s3, s2, s3
	s_add_i32 s2, s2, s3
	s_delay_alu instid0(SALU_CYCLE_1) | instskip(NEXT) | instid1(SALU_CYCLE_1)
	s_mul_hi_u32 s2, s34, s2
	s_mul_i32 s3, s2, s6
	s_add_i32 s8, s2, 1
	s_sub_i32 s3, s34, s3
	s_delay_alu instid0(SALU_CYCLE_1)
	s_sub_i32 s9, s3, s6
	s_cmp_ge_u32 s3, s6
	s_cselect_b32 s2, s8, s2
	s_cselect_b32 s3, s9, s3
	s_add_i32 s8, s2, 1
	s_cmp_ge_u32 s3, s6
	s_mov_b32 s3, 0
	s_cselect_b32 s2, s8, s2
.LBB6_4:
	s_delay_alu instid0(SALU_CYCLE_1) | instskip(SKIP_1) | instid1(SALU_CYCLE_1)
	s_or_b64 s[8:9], s[2:3], s[4:5]
	s_mov_b32 s8, 0
	s_cmp_lg_u64 s[8:9], 0
	s_cbranch_scc0 .LBB6_19
; %bb.5:
	s_ashr_i32 s10, s5, 31
	s_delay_alu instid0(SALU_CYCLE_1) | instskip(SKIP_2) | instid1(SALU_CYCLE_1)
	s_add_u32 s14, s4, s10
	s_mov_b32 s11, s10
	s_addc_u32 s15, s5, s10
	s_xor_b64 s[14:15], s[14:15], s[10:11]
	s_delay_alu instid0(SALU_CYCLE_1) | instskip(SKIP_3) | instid1(VALU_DEP_1)
	v_cvt_f32_u32_e32 v1, s14
	v_cvt_f32_u32_e32 v2, s15
	s_sub_u32 s19, 0, s14
	s_subb_u32 s20, 0, s15
	v_fmamk_f32 v1, v2, 0x4f800000, v1
	s_delay_alu instid0(VALU_DEP_1) | instskip(SKIP_2) | instid1(VALU_DEP_1)
	v_rcp_f32_e32 v1, v1
	s_waitcnt_depctr 0xfff
	v_mul_f32_e32 v1, 0x5f7ffffc, v1
	v_mul_f32_e32 v2, 0x2f800000, v1
	s_delay_alu instid0(VALU_DEP_1) | instskip(NEXT) | instid1(VALU_DEP_1)
	v_trunc_f32_e32 v2, v2
	v_fmamk_f32 v1, v2, 0xcf800000, v1
	v_cvt_u32_f32_e32 v2, v2
	s_delay_alu instid0(VALU_DEP_2) | instskip(NEXT) | instid1(VALU_DEP_2)
	v_cvt_u32_f32_e32 v1, v1
	v_readfirstlane_b32 s9, v2
	s_delay_alu instid0(VALU_DEP_2) | instskip(NEXT) | instid1(VALU_DEP_2)
	v_readfirstlane_b32 s12, v1
	s_mul_i32 s21, s19, s9
	s_delay_alu instid0(VALU_DEP_1)
	s_mul_hi_u32 s23, s19, s12
	s_mul_i32 s22, s20, s12
	s_add_i32 s21, s23, s21
	s_mul_i32 s28, s19, s12
	s_add_i32 s21, s21, s22
	s_mul_hi_u32 s23, s12, s28
	s_mul_hi_u32 s29, s9, s28
	s_mul_i32 s22, s9, s28
	s_mul_hi_u32 s28, s12, s21
	s_mul_i32 s12, s12, s21
	s_mul_hi_u32 s33, s9, s21
	s_add_u32 s12, s23, s12
	s_addc_u32 s23, 0, s28
	s_add_u32 s12, s12, s22
	s_mul_i32 s21, s9, s21
	s_addc_u32 s12, s23, s29
	s_addc_u32 s22, s33, 0
	s_add_u32 s12, s12, s21
	s_addc_u32 s21, 0, s22
	v_add_co_u32 v1, s12, v1, s12
	s_delay_alu instid0(VALU_DEP_1) | instskip(SKIP_1) | instid1(VALU_DEP_1)
	s_cmp_lg_u32 s12, 0
	s_addc_u32 s9, s9, s21
	v_readfirstlane_b32 s12, v1
	s_mul_i32 s21, s19, s9
	s_delay_alu instid0(VALU_DEP_1)
	s_mul_hi_u32 s22, s19, s12
	s_mul_i32 s20, s20, s12
	s_add_i32 s21, s22, s21
	s_mul_i32 s19, s19, s12
	s_add_i32 s21, s21, s20
	s_mul_hi_u32 s22, s9, s19
	s_mul_i32 s23, s9, s19
	s_mul_hi_u32 s19, s12, s19
	s_mul_hi_u32 s28, s12, s21
	s_mul_i32 s12, s12, s21
	s_mul_hi_u32 s20, s9, s21
	s_add_u32 s12, s19, s12
	s_addc_u32 s19, 0, s28
	s_add_u32 s12, s12, s23
	s_mul_i32 s21, s9, s21
	s_addc_u32 s12, s19, s22
	s_addc_u32 s19, s20, 0
	s_add_u32 s12, s12, s21
	s_addc_u32 s19, 0, s19
	v_add_co_u32 v1, s12, v1, s12
	s_delay_alu instid0(VALU_DEP_1) | instskip(SKIP_2) | instid1(VALU_DEP_1)
	s_cmp_lg_u32 s12, 0
	s_addc_u32 s9, s9, s19
	s_ashr_i32 s20, s3, 31
	v_readfirstlane_b32 s12, v1
	s_add_u32 s22, s2, s20
	s_mov_b32 s21, s20
	s_addc_u32 s23, s3, s20
	s_delay_alu instid0(SALU_CYCLE_1) | instskip(NEXT) | instid1(SALU_CYCLE_1)
	s_xor_b64 s[22:23], s[22:23], s[20:21]
	s_mul_i32 s28, s22, s9
	s_mul_hi_u32 s29, s22, s12
	s_mul_hi_u32 s19, s22, s9
	;; [unrolled: 1-line block ×3, first 2 shown]
	s_mul_i32 s12, s23, s12
	s_add_u32 s28, s29, s28
	s_addc_u32 s19, 0, s19
	s_mul_hi_u32 s33, s23, s9
	s_add_u32 s12, s28, s12
	s_mul_i32 s9, s23, s9
	s_addc_u32 s12, s19, s35
	s_addc_u32 s19, s33, 0
	s_add_u32 s9, s12, s9
	s_addc_u32 s12, 0, s19
	s_mul_i32 s33, s14, s9
	s_mul_hi_u32 s19, s14, s9
	s_mul_i32 s29, s14, s12
	v_sub_co_u32 v1, s22, s22, s33
	s_mul_i32 s28, s15, s9
	s_add_i32 s19, s19, s29
	s_delay_alu instid0(SALU_CYCLE_1) | instskip(NEXT) | instid1(VALU_DEP_1)
	s_add_i32 s19, s19, s28
	v_sub_co_u32 v2, s29, v1, s14
	s_sub_i32 s28, s23, s19
	s_cmp_lg_u32 s22, 0
	s_subb_u32 s28, s28, s15
	s_cmp_lg_u32 s29, 0
	v_readfirstlane_b32 s29, v2
	s_subb_u32 s28, s28, 0
	s_delay_alu instid0(SALU_CYCLE_1) | instskip(SKIP_1) | instid1(VALU_DEP_1)
	s_cmp_ge_u32 s28, s15
	s_cselect_b32 s33, -1, 0
	s_cmp_ge_u32 s29, s14
	s_cselect_b32 s29, -1, 0
	s_cmp_eq_u32 s28, s15
	s_cselect_b32 s28, s29, s33
	s_add_u32 s29, s9, 1
	s_addc_u32 s33, s12, 0
	s_add_u32 s35, s9, 2
	s_addc_u32 s36, s12, 0
	s_cmp_lg_u32 s28, 0
	s_cselect_b32 s28, s35, s29
	s_cselect_b32 s29, s36, s33
	s_cmp_lg_u32 s22, 0
	v_readfirstlane_b32 s22, v1
	s_subb_u32 s19, s23, s19
	s_delay_alu instid0(SALU_CYCLE_1) | instskip(SKIP_1) | instid1(VALU_DEP_1)
	s_cmp_ge_u32 s19, s15
	s_cselect_b32 s23, -1, 0
	s_cmp_ge_u32 s22, s14
	s_cselect_b32 s14, -1, 0
	s_cmp_eq_u32 s19, s15
	s_cselect_b32 s14, s14, s23
	s_delay_alu instid0(SALU_CYCLE_1) | instskip(SKIP_3) | instid1(SALU_CYCLE_1)
	s_cmp_lg_u32 s14, 0
	s_cselect_b32 s15, s29, s12
	s_cselect_b32 s14, s28, s9
	s_xor_b64 s[10:11], s[20:21], s[10:11]
	s_xor_b64 s[14:15], s[14:15], s[10:11]
	s_delay_alu instid0(SALU_CYCLE_1)
	s_sub_u32 s14, s14, s10
	s_subb_u32 s15, s15, s11
	s_load_b128 s[36:39], s[0:1], 0x1d0
	s_and_not1_b32 vcc_lo, exec_lo, s8
	s_cbranch_vccnz .LBB6_7
.LBB6_6:
	v_cvt_f32_u32_e32 v1, s4
	s_sub_i32 s9, 0, s4
	s_mov_b32 s15, 0
	s_delay_alu instid0(VALU_DEP_1) | instskip(SKIP_2) | instid1(VALU_DEP_1)
	v_rcp_iflag_f32_e32 v1, v1
	s_waitcnt_depctr 0xfff
	v_mul_f32_e32 v1, 0x4f7ffffe, v1
	v_cvt_u32_f32_e32 v1, v1
	s_delay_alu instid0(VALU_DEP_1) | instskip(NEXT) | instid1(VALU_DEP_1)
	v_readfirstlane_b32 s8, v1
	s_mul_i32 s9, s9, s8
	s_delay_alu instid0(SALU_CYCLE_1) | instskip(NEXT) | instid1(SALU_CYCLE_1)
	s_mul_hi_u32 s9, s8, s9
	s_add_i32 s8, s8, s9
	s_delay_alu instid0(SALU_CYCLE_1) | instskip(NEXT) | instid1(SALU_CYCLE_1)
	s_mul_hi_u32 s8, s2, s8
	s_mul_i32 s9, s8, s4
	s_add_i32 s10, s8, 1
	s_sub_i32 s9, s2, s9
	s_delay_alu instid0(SALU_CYCLE_1)
	s_sub_i32 s11, s9, s4
	s_cmp_ge_u32 s9, s4
	s_cselect_b32 s8, s10, s8
	s_cselect_b32 s9, s11, s9
	s_add_i32 s10, s8, 1
	s_cmp_ge_u32 s9, s4
	s_cselect_b32 s14, s10, s8
.LBB6_7:
	s_mov_b32 s8, 0
	s_waitcnt lgkmcnt(0)
	s_mov_b32 s9, s39
	s_delay_alu instid0(SALU_CYCLE_1)
	s_cmp_lg_u64 s[8:9], 0
	s_cbranch_scc0 .LBB6_20
; %bb.8:
	s_ashr_i32 s10, s39, 31
	s_delay_alu instid0(SALU_CYCLE_1) | instskip(SKIP_2) | instid1(SALU_CYCLE_1)
	s_add_u32 s20, s38, s10
	s_mov_b32 s11, s10
	s_addc_u32 s21, s39, s10
	s_xor_b64 s[20:21], s[20:21], s[10:11]
	s_delay_alu instid0(SALU_CYCLE_1) | instskip(SKIP_3) | instid1(VALU_DEP_1)
	v_cvt_f32_u32_e32 v1, s20
	v_cvt_f32_u32_e32 v2, s21
	s_sub_u32 s19, 0, s20
	s_subb_u32 s22, 0, s21
	v_fmamk_f32 v1, v2, 0x4f800000, v1
	s_delay_alu instid0(VALU_DEP_1) | instskip(SKIP_2) | instid1(VALU_DEP_1)
	v_rcp_f32_e32 v1, v1
	s_waitcnt_depctr 0xfff
	v_mul_f32_e32 v1, 0x5f7ffffc, v1
	v_mul_f32_e32 v2, 0x2f800000, v1
	s_delay_alu instid0(VALU_DEP_1) | instskip(NEXT) | instid1(VALU_DEP_1)
	v_trunc_f32_e32 v2, v2
	v_fmamk_f32 v1, v2, 0xcf800000, v1
	v_cvt_u32_f32_e32 v2, v2
	s_delay_alu instid0(VALU_DEP_2) | instskip(NEXT) | instid1(VALU_DEP_2)
	v_cvt_u32_f32_e32 v1, v1
	v_readfirstlane_b32 s9, v2
	s_delay_alu instid0(VALU_DEP_2) | instskip(NEXT) | instid1(VALU_DEP_2)
	v_readfirstlane_b32 s12, v1
	s_mul_i32 s23, s19, s9
	s_delay_alu instid0(VALU_DEP_1)
	s_mul_hi_u32 s29, s19, s12
	s_mul_i32 s28, s22, s12
	s_add_i32 s23, s29, s23
	s_mul_i32 s33, s19, s12
	s_add_i32 s23, s23, s28
	s_mul_hi_u32 s29, s12, s33
	s_mul_hi_u32 s35, s9, s33
	s_mul_i32 s28, s9, s33
	s_mul_hi_u32 s33, s12, s23
	s_mul_i32 s12, s12, s23
	s_mul_hi_u32 s40, s9, s23
	s_add_u32 s12, s29, s12
	s_addc_u32 s29, 0, s33
	s_add_u32 s12, s12, s28
	s_mul_i32 s23, s9, s23
	s_addc_u32 s12, s29, s35
	s_addc_u32 s28, s40, 0
	s_add_u32 s12, s12, s23
	s_addc_u32 s23, 0, s28
	v_add_co_u32 v1, s12, v1, s12
	s_delay_alu instid0(VALU_DEP_1) | instskip(SKIP_1) | instid1(VALU_DEP_1)
	s_cmp_lg_u32 s12, 0
	s_addc_u32 s9, s9, s23
	v_readfirstlane_b32 s12, v1
	s_mul_i32 s23, s19, s9
	s_delay_alu instid0(VALU_DEP_1)
	s_mul_hi_u32 s28, s19, s12
	s_mul_i32 s22, s22, s12
	s_add_i32 s23, s28, s23
	s_mul_i32 s19, s19, s12
	s_add_i32 s23, s23, s22
	s_mul_hi_u32 s28, s9, s19
	s_mul_i32 s29, s9, s19
	s_mul_hi_u32 s19, s12, s19
	s_mul_hi_u32 s33, s12, s23
	s_mul_i32 s12, s12, s23
	s_mul_hi_u32 s22, s9, s23
	s_add_u32 s12, s19, s12
	s_addc_u32 s19, 0, s33
	s_add_u32 s12, s12, s29
	s_mul_i32 s23, s9, s23
	s_addc_u32 s12, s19, s28
	s_addc_u32 s19, s22, 0
	s_add_u32 s12, s12, s23
	s_addc_u32 s19, 0, s19
	v_add_co_u32 v1, s12, v1, s12
	s_delay_alu instid0(VALU_DEP_1) | instskip(SKIP_2) | instid1(VALU_DEP_1)
	s_cmp_lg_u32 s12, 0
	s_addc_u32 s9, s9, s19
	s_ashr_i32 s22, 0, 31
	v_readfirstlane_b32 s12, v1
	s_add_u32 s28, s34, s22
	s_mov_b32 s23, s22
	s_addc_u32 s29, 0, s22
	s_delay_alu instid0(SALU_CYCLE_1) | instskip(NEXT) | instid1(SALU_CYCLE_1)
	s_xor_b64 s[28:29], s[28:29], s[22:23]
	s_mul_i32 s33, s28, s9
	s_mul_hi_u32 s35, s28, s12
	s_mul_hi_u32 s19, s28, s9
	;; [unrolled: 1-line block ×3, first 2 shown]
	s_mul_i32 s12, s29, s12
	s_add_u32 s33, s35, s33
	s_addc_u32 s19, 0, s19
	s_mul_hi_u32 s40, s29, s9
	s_add_u32 s12, s33, s12
	s_mul_i32 s9, s29, s9
	s_addc_u32 s12, s19, s41
	s_addc_u32 s19, s40, 0
	s_add_u32 s9, s12, s9
	s_addc_u32 s12, 0, s19
	s_mul_i32 s40, s20, s9
	s_mul_hi_u32 s19, s20, s9
	s_mul_i32 s35, s20, s12
	v_sub_co_u32 v1, s28, s28, s40
	s_mul_i32 s33, s21, s9
	s_add_i32 s19, s19, s35
	s_delay_alu instid0(SALU_CYCLE_1) | instskip(NEXT) | instid1(VALU_DEP_1)
	s_add_i32 s19, s19, s33
	v_sub_co_u32 v2, s35, v1, s20
	s_sub_i32 s33, s29, s19
	s_cmp_lg_u32 s28, 0
	s_subb_u32 s33, s33, s21
	s_cmp_lg_u32 s35, 0
	v_readfirstlane_b32 s35, v2
	s_subb_u32 s33, s33, 0
	s_delay_alu instid0(SALU_CYCLE_1) | instskip(SKIP_1) | instid1(VALU_DEP_1)
	s_cmp_ge_u32 s33, s21
	s_cselect_b32 s40, -1, 0
	s_cmp_ge_u32 s35, s20
	s_cselect_b32 s35, -1, 0
	s_cmp_eq_u32 s33, s21
	s_cselect_b32 s33, s35, s40
	s_add_u32 s35, s9, 1
	s_addc_u32 s40, s12, 0
	s_add_u32 s41, s9, 2
	s_addc_u32 s42, s12, 0
	s_cmp_lg_u32 s33, 0
	s_cselect_b32 s33, s41, s35
	s_cselect_b32 s35, s42, s40
	s_cmp_lg_u32 s28, 0
	v_readfirstlane_b32 s28, v1
	s_subb_u32 s19, s29, s19
	s_delay_alu instid0(SALU_CYCLE_1) | instskip(SKIP_1) | instid1(VALU_DEP_1)
	s_cmp_ge_u32 s19, s21
	s_cselect_b32 s29, -1, 0
	s_cmp_ge_u32 s28, s20
	s_cselect_b32 s20, -1, 0
	s_cmp_eq_u32 s19, s21
	s_cselect_b32 s19, s20, s29
	s_delay_alu instid0(SALU_CYCLE_1) | instskip(SKIP_3) | instid1(SALU_CYCLE_1)
	s_cmp_lg_u32 s19, 0
	s_cselect_b32 s21, s35, s12
	s_cselect_b32 s20, s33, s9
	s_xor_b64 s[10:11], s[22:23], s[10:11]
	s_xor_b64 s[20:21], s[20:21], s[10:11]
	s_delay_alu instid0(SALU_CYCLE_1)
	s_sub_u32 s28, s20, s10
	s_subb_u32 s29, s21, s11
	s_and_not1_b32 vcc_lo, exec_lo, s8
	s_cbranch_vccnz .LBB6_10
.LBB6_9:
	v_cvt_f32_u32_e32 v1, s38
	s_sub_i32 s9, 0, s38
	s_mov_b32 s29, 0
	s_delay_alu instid0(VALU_DEP_1) | instskip(SKIP_2) | instid1(VALU_DEP_1)
	v_rcp_iflag_f32_e32 v1, v1
	s_waitcnt_depctr 0xfff
	v_mul_f32_e32 v1, 0x4f7ffffe, v1
	v_cvt_u32_f32_e32 v1, v1
	s_delay_alu instid0(VALU_DEP_1) | instskip(NEXT) | instid1(VALU_DEP_1)
	v_readfirstlane_b32 s8, v1
	s_mul_i32 s9, s9, s8
	s_delay_alu instid0(SALU_CYCLE_1) | instskip(NEXT) | instid1(SALU_CYCLE_1)
	s_mul_hi_u32 s9, s8, s9
	s_add_i32 s8, s8, s9
	s_delay_alu instid0(SALU_CYCLE_1) | instskip(NEXT) | instid1(SALU_CYCLE_1)
	s_mul_hi_u32 s8, s34, s8
	s_mul_i32 s9, s8, s38
	s_add_i32 s10, s8, 1
	s_sub_i32 s9, s34, s9
	s_delay_alu instid0(SALU_CYCLE_1)
	s_sub_i32 s11, s9, s38
	s_cmp_ge_u32 s9, s38
	s_cselect_b32 s8, s10, s8
	s_cselect_b32 s9, s11, s9
	s_add_i32 s10, s8, 1
	s_cmp_ge_u32 s9, s38
	s_cselect_b32 s28, s10, s8
.LBB6_10:
	s_delay_alu instid0(SALU_CYCLE_1) | instskip(SKIP_1) | instid1(SALU_CYCLE_1)
	s_or_b64 s[8:9], s[28:29], s[36:37]
	s_mov_b32 s8, 0
	s_cmp_lg_u64 s[8:9], 0
	s_cbranch_scc0 .LBB6_21
; %bb.11:
	s_ashr_i32 s10, s37, 31
	s_delay_alu instid0(SALU_CYCLE_1) | instskip(SKIP_2) | instid1(SALU_CYCLE_1)
	s_add_u32 s20, s36, s10
	s_mov_b32 s11, s10
	s_addc_u32 s21, s37, s10
	s_xor_b64 s[20:21], s[20:21], s[10:11]
	s_delay_alu instid0(SALU_CYCLE_1) | instskip(SKIP_3) | instid1(VALU_DEP_1)
	v_cvt_f32_u32_e32 v1, s20
	v_cvt_f32_u32_e32 v2, s21
	s_sub_u32 s19, 0, s20
	s_subb_u32 s22, 0, s21
	v_fmamk_f32 v1, v2, 0x4f800000, v1
	s_delay_alu instid0(VALU_DEP_1) | instskip(SKIP_2) | instid1(VALU_DEP_1)
	v_rcp_f32_e32 v1, v1
	s_waitcnt_depctr 0xfff
	v_mul_f32_e32 v1, 0x5f7ffffc, v1
	v_mul_f32_e32 v2, 0x2f800000, v1
	s_delay_alu instid0(VALU_DEP_1) | instskip(NEXT) | instid1(VALU_DEP_1)
	v_trunc_f32_e32 v2, v2
	v_fmamk_f32 v1, v2, 0xcf800000, v1
	v_cvt_u32_f32_e32 v2, v2
	s_delay_alu instid0(VALU_DEP_2) | instskip(NEXT) | instid1(VALU_DEP_2)
	v_cvt_u32_f32_e32 v1, v1
	v_readfirstlane_b32 s9, v2
	s_delay_alu instid0(VALU_DEP_2) | instskip(NEXT) | instid1(VALU_DEP_2)
	v_readfirstlane_b32 s12, v1
	s_mul_i32 s23, s19, s9
	s_delay_alu instid0(VALU_DEP_1)
	s_mul_hi_u32 s35, s19, s12
	s_mul_i32 s33, s22, s12
	s_add_i32 s23, s35, s23
	s_mul_i32 s40, s19, s12
	s_add_i32 s23, s23, s33
	s_mul_hi_u32 s35, s12, s40
	s_mul_hi_u32 s41, s9, s40
	s_mul_i32 s33, s9, s40
	s_mul_hi_u32 s40, s12, s23
	s_mul_i32 s12, s12, s23
	s_mul_hi_u32 s42, s9, s23
	s_add_u32 s12, s35, s12
	s_addc_u32 s35, 0, s40
	s_add_u32 s12, s12, s33
	s_mul_i32 s23, s9, s23
	s_addc_u32 s12, s35, s41
	s_addc_u32 s33, s42, 0
	s_add_u32 s12, s12, s23
	s_addc_u32 s23, 0, s33
	v_add_co_u32 v1, s12, v1, s12
	s_delay_alu instid0(VALU_DEP_1) | instskip(SKIP_1) | instid1(VALU_DEP_1)
	s_cmp_lg_u32 s12, 0
	s_addc_u32 s9, s9, s23
	v_readfirstlane_b32 s12, v1
	s_mul_i32 s23, s19, s9
	s_delay_alu instid0(VALU_DEP_1)
	s_mul_hi_u32 s33, s19, s12
	s_mul_i32 s22, s22, s12
	s_add_i32 s23, s33, s23
	s_mul_i32 s19, s19, s12
	s_add_i32 s23, s23, s22
	s_mul_hi_u32 s33, s9, s19
	s_mul_i32 s35, s9, s19
	s_mul_hi_u32 s19, s12, s19
	s_mul_hi_u32 s40, s12, s23
	s_mul_i32 s12, s12, s23
	s_mul_hi_u32 s22, s9, s23
	s_add_u32 s12, s19, s12
	s_addc_u32 s19, 0, s40
	s_add_u32 s12, s12, s35
	s_mul_i32 s23, s9, s23
	s_addc_u32 s12, s19, s33
	s_addc_u32 s19, s22, 0
	s_add_u32 s12, s12, s23
	s_addc_u32 s19, 0, s19
	v_add_co_u32 v1, s12, v1, s12
	s_delay_alu instid0(VALU_DEP_1) | instskip(SKIP_2) | instid1(VALU_DEP_1)
	s_cmp_lg_u32 s12, 0
	s_addc_u32 s9, s9, s19
	s_ashr_i32 s22, s29, 31
	v_readfirstlane_b32 s12, v1
	s_add_u32 s40, s28, s22
	s_mov_b32 s23, s22
	s_addc_u32 s41, s29, s22
	s_delay_alu instid0(SALU_CYCLE_1) | instskip(NEXT) | instid1(SALU_CYCLE_1)
	s_xor_b64 s[40:41], s[40:41], s[22:23]
	s_mul_i32 s33, s40, s9
	s_mul_hi_u32 s35, s40, s12
	s_mul_hi_u32 s19, s40, s9
	;; [unrolled: 1-line block ×3, first 2 shown]
	s_mul_i32 s12, s41, s12
	s_add_u32 s33, s35, s33
	s_addc_u32 s19, 0, s19
	s_mul_hi_u32 s42, s41, s9
	s_add_u32 s12, s33, s12
	s_mul_i32 s9, s41, s9
	s_addc_u32 s12, s19, s43
	s_addc_u32 s19, s42, 0
	s_add_u32 s9, s12, s9
	s_addc_u32 s12, 0, s19
	s_mul_hi_u32 s19, s20, s9
	s_mul_i32 s35, s20, s12
	s_mul_i32 s42, s20, s9
	s_add_i32 s19, s19, s35
	v_sub_co_u32 v1, s35, s40, s42
	s_mul_i32 s33, s21, s9
	s_delay_alu instid0(SALU_CYCLE_1) | instskip(NEXT) | instid1(VALU_DEP_1)
	s_add_i32 s19, s19, s33
	v_sub_co_u32 v2, s40, v1, s20
	s_sub_i32 s33, s41, s19
	s_cmp_lg_u32 s35, 0
	s_subb_u32 s33, s33, s21
	s_cmp_lg_u32 s40, 0
	v_readfirstlane_b32 s40, v2
	s_subb_u32 s33, s33, 0
	s_delay_alu instid0(SALU_CYCLE_1) | instskip(SKIP_1) | instid1(VALU_DEP_1)
	s_cmp_ge_u32 s33, s21
	s_cselect_b32 s42, -1, 0
	s_cmp_ge_u32 s40, s20
	s_cselect_b32 s40, -1, 0
	s_cmp_eq_u32 s33, s21
	s_cselect_b32 s33, s40, s42
	s_add_u32 s40, s9, 1
	s_addc_u32 s42, s12, 0
	s_add_u32 s43, s9, 2
	s_addc_u32 s44, s12, 0
	s_cmp_lg_u32 s33, 0
	s_cselect_b32 s33, s43, s40
	s_cselect_b32 s40, s44, s42
	s_cmp_lg_u32 s35, 0
	v_readfirstlane_b32 s35, v1
	s_subb_u32 s19, s41, s19
	s_delay_alu instid0(SALU_CYCLE_1) | instskip(SKIP_1) | instid1(VALU_DEP_1)
	s_cmp_ge_u32 s19, s21
	s_cselect_b32 s41, -1, 0
	s_cmp_ge_u32 s35, s20
	s_cselect_b32 s20, -1, 0
	s_cmp_eq_u32 s19, s21
	s_cselect_b32 s19, s20, s41
	s_delay_alu instid0(SALU_CYCLE_1) | instskip(SKIP_3) | instid1(SALU_CYCLE_1)
	s_cmp_lg_u32 s19, 0
	s_cselect_b32 s21, s40, s12
	s_cselect_b32 s20, s33, s9
	s_xor_b64 s[10:11], s[22:23], s[10:11]
	s_xor_b64 s[20:21], s[20:21], s[10:11]
	s_delay_alu instid0(SALU_CYCLE_1)
	s_sub_u32 s52, s20, s10
	s_subb_u32 s53, s21, s11
	s_load_b128 s[40:43], s[0:1], 0x370
	s_and_not1_b32 vcc_lo, exec_lo, s8
	s_cbranch_vccnz .LBB6_13
.LBB6_12:
	v_cvt_f32_u32_e32 v1, s36
	s_sub_i32 s9, 0, s36
	s_mov_b32 s53, 0
	s_delay_alu instid0(VALU_DEP_1) | instskip(SKIP_2) | instid1(VALU_DEP_1)
	v_rcp_iflag_f32_e32 v1, v1
	s_waitcnt_depctr 0xfff
	v_mul_f32_e32 v1, 0x4f7ffffe, v1
	v_cvt_u32_f32_e32 v1, v1
	s_delay_alu instid0(VALU_DEP_1) | instskip(NEXT) | instid1(VALU_DEP_1)
	v_readfirstlane_b32 s8, v1
	s_mul_i32 s9, s9, s8
	s_delay_alu instid0(SALU_CYCLE_1) | instskip(NEXT) | instid1(SALU_CYCLE_1)
	s_mul_hi_u32 s9, s8, s9
	s_add_i32 s8, s8, s9
	s_delay_alu instid0(SALU_CYCLE_1) | instskip(NEXT) | instid1(SALU_CYCLE_1)
	s_mul_hi_u32 s8, s28, s8
	s_mul_i32 s9, s8, s36
	s_add_i32 s10, s8, 1
	s_sub_i32 s9, s28, s9
	s_delay_alu instid0(SALU_CYCLE_1)
	s_sub_i32 s11, s9, s36
	s_cmp_ge_u32 s9, s36
	s_cselect_b32 s8, s10, s8
	s_cselect_b32 s9, s11, s9
	s_add_i32 s10, s8, 1
	s_cmp_ge_u32 s9, s36
	s_cselect_b32 s52, s10, s8
.LBB6_13:
	s_mov_b32 s8, 0
	s_waitcnt lgkmcnt(0)
	s_mov_b32 s9, s43
	s_delay_alu instid0(SALU_CYCLE_1)
	s_cmp_lg_u64 s[8:9], 0
	s_cbranch_scc0 .LBB6_22
; %bb.14:
	s_ashr_i32 s10, s43, 31
	s_delay_alu instid0(SALU_CYCLE_1) | instskip(SKIP_2) | instid1(SALU_CYCLE_1)
	s_add_u32 s20, s42, s10
	s_mov_b32 s11, s10
	s_addc_u32 s21, s43, s10
	s_xor_b64 s[20:21], s[20:21], s[10:11]
	s_delay_alu instid0(SALU_CYCLE_1) | instskip(SKIP_3) | instid1(VALU_DEP_1)
	v_cvt_f32_u32_e32 v1, s20
	v_cvt_f32_u32_e32 v2, s21
	s_sub_u32 s19, 0, s20
	s_subb_u32 s22, 0, s21
	v_fmamk_f32 v1, v2, 0x4f800000, v1
	s_delay_alu instid0(VALU_DEP_1) | instskip(SKIP_2) | instid1(VALU_DEP_1)
	v_rcp_f32_e32 v1, v1
	s_waitcnt_depctr 0xfff
	v_mul_f32_e32 v1, 0x5f7ffffc, v1
	v_mul_f32_e32 v2, 0x2f800000, v1
	s_delay_alu instid0(VALU_DEP_1) | instskip(NEXT) | instid1(VALU_DEP_1)
	v_trunc_f32_e32 v2, v2
	v_fmamk_f32 v1, v2, 0xcf800000, v1
	v_cvt_u32_f32_e32 v2, v2
	s_delay_alu instid0(VALU_DEP_2) | instskip(NEXT) | instid1(VALU_DEP_2)
	v_cvt_u32_f32_e32 v1, v1
	v_readfirstlane_b32 s9, v2
	s_delay_alu instid0(VALU_DEP_2) | instskip(NEXT) | instid1(VALU_DEP_2)
	v_readfirstlane_b32 s12, v1
	s_mul_i32 s23, s19, s9
	s_delay_alu instid0(VALU_DEP_1)
	s_mul_hi_u32 s35, s19, s12
	s_mul_i32 s33, s22, s12
	s_add_i32 s23, s35, s23
	s_mul_i32 s44, s19, s12
	s_add_i32 s23, s23, s33
	s_mul_hi_u32 s35, s12, s44
	s_mul_hi_u32 s45, s9, s44
	s_mul_i32 s33, s9, s44
	s_mul_hi_u32 s44, s12, s23
	s_mul_i32 s12, s12, s23
	s_mul_hi_u32 s46, s9, s23
	s_add_u32 s12, s35, s12
	s_addc_u32 s35, 0, s44
	s_add_u32 s12, s12, s33
	s_mul_i32 s23, s9, s23
	s_addc_u32 s12, s35, s45
	s_addc_u32 s33, s46, 0
	s_add_u32 s12, s12, s23
	s_addc_u32 s23, 0, s33
	v_add_co_u32 v1, s12, v1, s12
	s_delay_alu instid0(VALU_DEP_1) | instskip(SKIP_1) | instid1(VALU_DEP_1)
	s_cmp_lg_u32 s12, 0
	s_addc_u32 s9, s9, s23
	v_readfirstlane_b32 s12, v1
	s_mul_i32 s23, s19, s9
	s_delay_alu instid0(VALU_DEP_1)
	s_mul_hi_u32 s33, s19, s12
	s_mul_i32 s22, s22, s12
	s_add_i32 s23, s33, s23
	s_mul_i32 s19, s19, s12
	s_add_i32 s23, s23, s22
	s_mul_hi_u32 s33, s9, s19
	s_mul_i32 s35, s9, s19
	s_mul_hi_u32 s19, s12, s19
	s_mul_hi_u32 s44, s12, s23
	s_mul_i32 s12, s12, s23
	s_mul_hi_u32 s22, s9, s23
	s_add_u32 s12, s19, s12
	s_addc_u32 s19, 0, s44
	s_add_u32 s12, s12, s35
	s_mul_i32 s23, s9, s23
	s_addc_u32 s12, s19, s33
	s_addc_u32 s19, s22, 0
	s_add_u32 s12, s12, s23
	s_addc_u32 s19, 0, s19
	v_add_co_u32 v1, s12, v1, s12
	s_delay_alu instid0(VALU_DEP_1) | instskip(SKIP_2) | instid1(VALU_DEP_1)
	s_cmp_lg_u32 s12, 0
	s_addc_u32 s9, s9, s19
	s_ashr_i32 s22, 0, 31
	v_readfirstlane_b32 s12, v1
	s_add_u32 s44, s34, s22
	s_mov_b32 s23, s22
	s_addc_u32 s45, 0, s22
	s_delay_alu instid0(SALU_CYCLE_1) | instskip(NEXT) | instid1(SALU_CYCLE_1)
	s_xor_b64 s[44:45], s[44:45], s[22:23]
	s_mul_i32 s33, s44, s9
	s_mul_hi_u32 s35, s44, s12
	s_mul_hi_u32 s19, s44, s9
	;; [unrolled: 1-line block ×3, first 2 shown]
	s_mul_i32 s12, s45, s12
	s_add_u32 s33, s35, s33
	s_addc_u32 s19, 0, s19
	s_mul_hi_u32 s46, s45, s9
	s_add_u32 s12, s33, s12
	s_mul_i32 s9, s45, s9
	s_addc_u32 s12, s19, s47
	s_addc_u32 s19, s46, 0
	s_add_u32 s9, s12, s9
	s_addc_u32 s12, 0, s19
	s_mul_hi_u32 s19, s20, s9
	s_mul_i32 s35, s20, s12
	s_mul_i32 s46, s20, s9
	s_add_i32 s19, s19, s35
	v_sub_co_u32 v1, s35, s44, s46
	s_mul_i32 s33, s21, s9
	s_delay_alu instid0(SALU_CYCLE_1) | instskip(NEXT) | instid1(VALU_DEP_1)
	s_add_i32 s19, s19, s33
	v_sub_co_u32 v2, s44, v1, s20
	s_sub_i32 s33, s45, s19
	s_cmp_lg_u32 s35, 0
	s_subb_u32 s33, s33, s21
	s_cmp_lg_u32 s44, 0
	v_readfirstlane_b32 s44, v2
	s_subb_u32 s33, s33, 0
	s_delay_alu instid0(SALU_CYCLE_1) | instskip(SKIP_1) | instid1(VALU_DEP_1)
	s_cmp_ge_u32 s33, s21
	s_cselect_b32 s46, -1, 0
	s_cmp_ge_u32 s44, s20
	s_cselect_b32 s44, -1, 0
	s_cmp_eq_u32 s33, s21
	s_cselect_b32 s33, s44, s46
	s_add_u32 s44, s9, 1
	s_addc_u32 s46, s12, 0
	s_add_u32 s47, s9, 2
	s_addc_u32 s48, s12, 0
	s_cmp_lg_u32 s33, 0
	s_cselect_b32 s33, s47, s44
	s_cselect_b32 s44, s48, s46
	s_cmp_lg_u32 s35, 0
	v_readfirstlane_b32 s35, v1
	s_subb_u32 s19, s45, s19
	s_delay_alu instid0(SALU_CYCLE_1) | instskip(SKIP_1) | instid1(VALU_DEP_1)
	s_cmp_ge_u32 s19, s21
	s_cselect_b32 s45, -1, 0
	s_cmp_ge_u32 s35, s20
	s_cselect_b32 s20, -1, 0
	s_cmp_eq_u32 s19, s21
	s_cselect_b32 s19, s20, s45
	s_delay_alu instid0(SALU_CYCLE_1) | instskip(SKIP_3) | instid1(SALU_CYCLE_1)
	s_cmp_lg_u32 s19, 0
	s_cselect_b32 s21, s44, s12
	s_cselect_b32 s20, s33, s9
	s_xor_b64 s[10:11], s[22:23], s[10:11]
	s_xor_b64 s[20:21], s[20:21], s[10:11]
	s_delay_alu instid0(SALU_CYCLE_1)
	s_sub_u32 s54, s20, s10
	s_subb_u32 s55, s21, s11
	s_and_not1_b32 vcc_lo, exec_lo, s8
	s_cbranch_vccnz .LBB6_16
.LBB6_15:
	v_cvt_f32_u32_e32 v1, s42
	s_sub_i32 s9, 0, s42
	s_mov_b32 s55, 0
	s_delay_alu instid0(VALU_DEP_1) | instskip(SKIP_2) | instid1(VALU_DEP_1)
	v_rcp_iflag_f32_e32 v1, v1
	s_waitcnt_depctr 0xfff
	v_mul_f32_e32 v1, 0x4f7ffffe, v1
	v_cvt_u32_f32_e32 v1, v1
	s_delay_alu instid0(VALU_DEP_1) | instskip(NEXT) | instid1(VALU_DEP_1)
	v_readfirstlane_b32 s8, v1
	s_mul_i32 s9, s9, s8
	s_delay_alu instid0(SALU_CYCLE_1) | instskip(NEXT) | instid1(SALU_CYCLE_1)
	s_mul_hi_u32 s9, s8, s9
	s_add_i32 s8, s8, s9
	s_delay_alu instid0(SALU_CYCLE_1) | instskip(NEXT) | instid1(SALU_CYCLE_1)
	s_mul_hi_u32 s8, s34, s8
	s_mul_i32 s9, s8, s42
	s_add_i32 s10, s8, 1
	s_sub_i32 s9, s34, s9
	s_delay_alu instid0(SALU_CYCLE_1)
	s_sub_i32 s11, s9, s42
	s_cmp_ge_u32 s9, s42
	s_cselect_b32 s8, s10, s8
	s_cselect_b32 s9, s11, s9
	s_add_i32 s10, s8, 1
	s_cmp_ge_u32 s9, s42
	s_cselect_b32 s54, s10, s8
.LBB6_16:
	s_clause 0x1
	s_load_b64 s[20:21], s[0:1], 0xe0
	s_load_b128 s[8:11], s[0:1], 0xd0
	s_or_b64 s[60:61], s[54:55], s[40:41]
	s_mov_b32 s60, 0
	s_delay_alu instid0(SALU_CYCLE_1)
	s_cmp_lg_u64 s[60:61], 0
	s_cbranch_scc0 .LBB6_23
; %bb.17:
	s_ashr_i32 s22, s41, 31
	s_delay_alu instid0(SALU_CYCLE_1) | instskip(SKIP_2) | instid1(SALU_CYCLE_1)
	s_add_u32 s44, s40, s22
	s_mov_b32 s23, s22
	s_addc_u32 s45, s41, s22
	s_xor_b64 s[44:45], s[44:45], s[22:23]
	s_delay_alu instid0(SALU_CYCLE_1) | instskip(SKIP_3) | instid1(VALU_DEP_1)
	v_cvt_f32_u32_e32 v1, s44
	v_cvt_f32_u32_e32 v2, s45
	s_sub_u32 s33, 0, s44
	s_subb_u32 s35, 0, s45
	v_fmamk_f32 v1, v2, 0x4f800000, v1
	s_delay_alu instid0(VALU_DEP_1) | instskip(SKIP_2) | instid1(VALU_DEP_1)
	v_rcp_f32_e32 v1, v1
	s_waitcnt_depctr 0xfff
	v_mul_f32_e32 v1, 0x5f7ffffc, v1
	v_mul_f32_e32 v2, 0x2f800000, v1
	s_delay_alu instid0(VALU_DEP_1) | instskip(NEXT) | instid1(VALU_DEP_1)
	v_trunc_f32_e32 v2, v2
	v_fmamk_f32 v1, v2, 0xcf800000, v1
	v_cvt_u32_f32_e32 v2, v2
	s_delay_alu instid0(VALU_DEP_2) | instskip(NEXT) | instid1(VALU_DEP_2)
	v_cvt_u32_f32_e32 v1, v1
	v_readfirstlane_b32 s12, v2
	s_delay_alu instid0(VALU_DEP_2) | instskip(NEXT) | instid1(VALU_DEP_2)
	v_readfirstlane_b32 s19, v1
	s_mul_i32 s46, s33, s12
	s_delay_alu instid0(VALU_DEP_1)
	s_mul_hi_u32 s48, s33, s19
	s_mul_i32 s47, s35, s19
	s_add_i32 s46, s48, s46
	s_mul_i32 s49, s33, s19
	s_add_i32 s46, s46, s47
	s_mul_hi_u32 s48, s19, s49
	s_mul_hi_u32 s50, s12, s49
	s_mul_i32 s47, s12, s49
	s_mul_hi_u32 s49, s19, s46
	s_mul_i32 s19, s19, s46
	s_mul_hi_u32 s51, s12, s46
	s_add_u32 s19, s48, s19
	s_addc_u32 s48, 0, s49
	s_add_u32 s19, s19, s47
	s_mul_i32 s46, s12, s46
	s_addc_u32 s19, s48, s50
	s_addc_u32 s47, s51, 0
	s_add_u32 s19, s19, s46
	s_addc_u32 s46, 0, s47
	v_add_co_u32 v1, s19, v1, s19
	s_delay_alu instid0(VALU_DEP_1) | instskip(SKIP_1) | instid1(VALU_DEP_1)
	s_cmp_lg_u32 s19, 0
	s_addc_u32 s12, s12, s46
	v_readfirstlane_b32 s19, v1
	s_mul_i32 s46, s33, s12
	s_delay_alu instid0(VALU_DEP_1)
	s_mul_hi_u32 s47, s33, s19
	s_mul_i32 s35, s35, s19
	s_add_i32 s46, s47, s46
	s_mul_i32 s33, s33, s19
	s_add_i32 s46, s46, s35
	s_mul_hi_u32 s47, s12, s33
	s_mul_i32 s48, s12, s33
	s_mul_hi_u32 s33, s19, s33
	s_mul_hi_u32 s49, s19, s46
	s_mul_i32 s19, s19, s46
	s_mul_hi_u32 s35, s12, s46
	s_add_u32 s19, s33, s19
	s_addc_u32 s33, 0, s49
	s_add_u32 s19, s19, s48
	s_mul_i32 s46, s12, s46
	s_addc_u32 s19, s33, s47
	s_addc_u32 s33, s35, 0
	s_add_u32 s19, s19, s46
	s_addc_u32 s33, 0, s33
	v_add_co_u32 v1, s19, v1, s19
	s_delay_alu instid0(VALU_DEP_1) | instskip(SKIP_2) | instid1(VALU_DEP_1)
	s_cmp_lg_u32 s19, 0
	s_addc_u32 s12, s12, s33
	s_ashr_i32 s46, s55, 31
	v_readfirstlane_b32 s19, v1
	s_add_u32 s48, s54, s46
	s_mov_b32 s47, s46
	s_addc_u32 s49, s55, s46
	s_delay_alu instid0(SALU_CYCLE_1) | instskip(NEXT) | instid1(SALU_CYCLE_1)
	s_xor_b64 s[48:49], s[48:49], s[46:47]
	s_mul_i32 s35, s48, s12
	s_mul_hi_u32 s50, s48, s19
	s_mul_hi_u32 s33, s48, s12
	;; [unrolled: 1-line block ×3, first 2 shown]
	s_mul_i32 s19, s49, s19
	s_add_u32 s35, s50, s35
	s_addc_u32 s33, 0, s33
	s_mul_hi_u32 s51, s49, s12
	s_add_u32 s19, s35, s19
	s_mul_i32 s12, s49, s12
	s_addc_u32 s19, s33, s56
	s_addc_u32 s33, s51, 0
	s_add_u32 s12, s19, s12
	s_addc_u32 s19, 0, s33
	s_mul_i32 s51, s44, s12
	s_mul_hi_u32 s33, s44, s12
	s_mul_i32 s50, s44, s19
	v_sub_co_u32 v1, s48, s48, s51
	s_mul_i32 s35, s45, s12
	s_add_i32 s33, s33, s50
	s_delay_alu instid0(SALU_CYCLE_1) | instskip(NEXT) | instid1(VALU_DEP_1)
	s_add_i32 s33, s33, s35
	v_sub_co_u32 v2, s50, v1, s44
	s_sub_i32 s35, s49, s33
	s_cmp_lg_u32 s48, 0
	s_subb_u32 s35, s35, s45
	s_cmp_lg_u32 s50, 0
	v_readfirstlane_b32 s50, v2
	s_subb_u32 s35, s35, 0
	s_delay_alu instid0(SALU_CYCLE_1) | instskip(SKIP_1) | instid1(VALU_DEP_1)
	s_cmp_ge_u32 s35, s45
	s_cselect_b32 s51, -1, 0
	s_cmp_ge_u32 s50, s44
	s_cselect_b32 s50, -1, 0
	s_cmp_eq_u32 s35, s45
	s_cselect_b32 s35, s50, s51
	s_add_u32 s50, s12, 1
	s_addc_u32 s51, s19, 0
	s_add_u32 s56, s12, 2
	s_addc_u32 s57, s19, 0
	s_cmp_lg_u32 s35, 0
	s_cselect_b32 s35, s56, s50
	s_cselect_b32 s50, s57, s51
	s_cmp_lg_u32 s48, 0
	v_readfirstlane_b32 s48, v1
	s_subb_u32 s33, s49, s33
	s_delay_alu instid0(SALU_CYCLE_1) | instskip(SKIP_1) | instid1(VALU_DEP_1)
	s_cmp_ge_u32 s33, s45
	s_cselect_b32 s49, -1, 0
	s_cmp_ge_u32 s48, s44
	s_cselect_b32 s44, -1, 0
	s_cmp_eq_u32 s33, s45
	s_cselect_b32 s33, s44, s49
	s_delay_alu instid0(SALU_CYCLE_1) | instskip(SKIP_3) | instid1(SALU_CYCLE_1)
	s_cmp_lg_u32 s33, 0
	s_cselect_b32 s45, s50, s19
	s_cselect_b32 s44, s35, s12
	s_xor_b64 s[22:23], s[46:47], s[22:23]
	s_xor_b64 s[44:45], s[44:45], s[22:23]
	s_delay_alu instid0(SALU_CYCLE_1)
	s_sub_u32 s58, s44, s22
	s_subb_u32 s59, s45, s23
	s_branch .LBB6_24
.LBB6_18:
                                        ; implicit-def: $sgpr2_sgpr3
	s_branch .LBB6_3
.LBB6_19:
                                        ; implicit-def: $sgpr14_sgpr15
	s_load_b128 s[36:39], s[0:1], 0x1d0
	s_branch .LBB6_6
.LBB6_20:
                                        ; implicit-def: $sgpr28_sgpr29
	s_branch .LBB6_9
.LBB6_21:
                                        ; implicit-def: $sgpr52_sgpr53
	s_load_b128 s[40:43], s[0:1], 0x370
	s_branch .LBB6_12
.LBB6_22:
                                        ; implicit-def: $sgpr54_sgpr55
	s_branch .LBB6_15
.LBB6_23:
	s_mov_b32 s60, -1
                                        ; implicit-def: $sgpr58_sgpr59
.LBB6_24:
	s_load_b64 s[22:23], s[0:1], 0x440
                                        ; implicit-def: $vgpr44 : SGPR spill to VGPR lane
	s_and_not1_b32 vcc_lo, exec_lo, s60
	s_waitcnt lgkmcnt(0)
	v_writelane_b32 v44, s22, 0
	v_writelane_b32 v44, s23, 1
	s_clause 0x3
	s_load_b128 s[44:47], s[0:1], 0x430
	s_load_b64 s[64:65], s[0:1], 0x2a0
	s_load_b128 s[48:51], s[0:1], 0x290
	s_load_b64 s[22:23], s[0:1], 0x0
	s_cbranch_vccnz .LBB6_26
; %bb.25:
	v_cvt_f32_u32_e32 v1, s40
	s_sub_i32 s19, 0, s40
	s_mov_b32 s59, 0
	s_delay_alu instid0(VALU_DEP_1) | instskip(SKIP_2) | instid1(VALU_DEP_1)
	v_rcp_iflag_f32_e32 v1, v1
	s_waitcnt_depctr 0xfff
	v_mul_f32_e32 v1, 0x4f7ffffe, v1
	v_cvt_u32_f32_e32 v1, v1
	s_delay_alu instid0(VALU_DEP_1) | instskip(NEXT) | instid1(VALU_DEP_1)
	v_readfirstlane_b32 s12, v1
	s_mul_i32 s19, s19, s12
	s_delay_alu instid0(SALU_CYCLE_1) | instskip(NEXT) | instid1(SALU_CYCLE_1)
	s_mul_hi_u32 s19, s12, s19
	s_add_i32 s12, s12, s19
	s_delay_alu instid0(SALU_CYCLE_1) | instskip(NEXT) | instid1(SALU_CYCLE_1)
	s_mul_hi_u32 s12, s54, s12
	s_mul_i32 s19, s12, s40
	s_add_i32 s33, s12, 1
	s_sub_i32 s19, s54, s19
	s_delay_alu instid0(SALU_CYCLE_1)
	s_sub_i32 s35, s19, s40
	s_cmp_ge_u32 s19, s40
	s_cselect_b32 s12, s33, s12
	s_cselect_b32 s19, s35, s19
	s_add_i32 s33, s12, 1
	s_cmp_ge_u32 s19, s40
	s_cselect_b32 s58, s33, s12
.LBB6_26:
	s_clause 0x1
	s_load_b64 s[56:57], s[0:1], 0x360
	s_load_b64 s[0:1], s[0:1], 0x1c0
	s_mov_b32 s67, 0
	s_waitcnt lgkmcnt(0)
	v_writelane_b32 v44, s56, 2
	v_writelane_b32 v44, s57, 3
	v_writelane_b32 v44, s0, 4
	v_writelane_b32 v44, s1, 5
	v_cmp_eq_u32_e64 s0, 0, v0
	s_delay_alu instid0(VALU_DEP_1)
	s_and_saveexec_b32 s1, s0
	s_cbranch_execz .LBB6_28
; %bb.27:
	v_dual_mov_b32 v1, 0 :: v_dual_mov_b32 v4, s25
	s_delay_alu instid0(VALU_DEP_1)
	v_dual_mov_b32 v3, s24 :: v_dual_mov_b32 v2, v1
	ds_store_b32 v1, v1 offset:5136
	ds_store_b128 v1, v[1:4] offset:5120
.LBB6_28:
	s_or_b32 exec_lo, exec_lo, s1
	s_mul_i32 s1, s14, s5
	s_mul_hi_u32 s5, s14, s4
	s_mul_i32 s9, s14, s9
	s_add_i32 s1, s5, s1
	s_mul_i32 s5, s15, s4
	s_mul_i32 s4, s14, s4
	s_add_i32 s1, s1, s5
	s_sub_u32 s4, s2, s4
	s_subb_u32 s1, s3, s1
	s_mul_i32 s5, s4, s11
	s_mul_hi_u32 s11, s4, s10
	s_mul_i32 s1, s1, s10
	s_add_i32 s5, s11, s5
	s_mul_hi_u32 s11, s14, s8
	v_mad_u64_u32 v[2:3], null, v0, s30, 0
	s_add_i32 s5, s5, s1
	s_add_i32 s1, s11, s9
	s_mul_i32 s9, s15, s8
	s_mul_i32 s7, s2, s7
	s_mul_hi_u32 s11, s2, s6
	s_mul_i32 s4, s4, s10
	s_waitcnt lgkmcnt(0)
	s_barrier
	buffer_gl0_inv
	s_load_b32 s10, s[16:17], 0xc
	s_add_i32 s9, s1, s9
	s_add_i32 s1, s11, s7
	s_mul_i32 s3, s3, s6
	s_mul_i32 s2, s2, s6
	s_add_i32 s1, s1, s3
	s_sub_u32 s2, s34, s2
	s_subb_u32 s1, 0, s1
	s_mul_i32 s3, s2, s21
	s_mul_hi_u32 s6, s2, s20
	v_dual_mov_b32 v1, v3 :: v_dual_lshlrev_b32 v16, 2, v0
	s_add_i32 s3, s6, s3
	s_mul_i32 s1, s1, s20
	s_mul_i32 s6, s14, s8
	s_add_i32 s7, s3, s1
	v_mbcnt_lo_u32_b32 v33, -1, 0
	s_add_u32 s1, s22, s6
	v_or_b32_e32 v9, 3, v16
	v_or_b32_e32 v10, 2, v16
	s_mul_i32 s8, s2, s20
	s_addc_u32 s2, s23, s9
	v_mad_u64_u32 v[3:4], null, v0, s31, v[1:2]
	s_add_u32 s1, s1, s4
	v_lshrrev_b32_e32 v4, 3, v0
	s_addc_u32 s2, s2, s5
	s_add_u32 s68, s1, s8
	v_cmp_gt_u32_e32 vcc_lo, 32, v0
	v_cmp_gt_i32_e64 s1, 4, v33
	v_mad_u64_u32 v[18:19], null, s30, v9, 0
	v_mad_u64_u32 v[20:21], null, s30, v10, 0
	v_dual_mov_b32 v13, 0 :: v_dual_and_b32 v34, 0x7c, v4
	v_lshlrev_b64 v[4:5], v33, -1
	s_addc_u32 s69, s2, s7
	s_waitcnt lgkmcnt(0)
	s_and_b32 s33, s10, 0xffff
	s_and_b32 s89, vcc_lo, s1
	s_bfe_u32 s11, s10, 0xb0005
	s_add_u32 s91, s33, -1
	s_addc_u32 s92, 0, -1
	s_add_u32 s93, s91, s24
	v_mov_b32_e32 v1, v13
	s_addc_u32 s71, s92, s25
	v_not_b32_e32 v35, v4
	v_mov_b32_e32 v4, v19
	v_mad_u64_u32 v[22:23], null, s30, v16, s[30:31]
	v_mov_b32_e32 v5, v21
	s_cmp_lt_u32 s13, s18
	v_cmp_gt_u16_e64 s94, s10, 31
	s_cselect_b32 s12, 12, 18
	v_mov_b32_e32 v17, v13
	s_add_u32 s72, s16, s12
	s_delay_alu instid0(VALU_DEP_4)
	v_mov_b32_e32 v6, v23
	v_mad_u64_u32 v[7:8], null, s31, v9, v[4:5]
	s_addc_u32 s73, s17, 0
	s_add_i32 s10, s11, -1
	s_bfe_u32 s95, s33, 0x30005
	s_cmp_gt_u32 s10, 6
	v_mad_u64_u32 v[8:9], null, s31, v10, v[5:6]
	s_cselect_b32 s96, -1, 0
	s_and_b32 s97, s11, 0x7f8
	s_cmp_lg_u32 s95, 0
	v_mad_u64_u32 v[4:5], null, s31, v16, v[6:7]
	s_cselect_b32 s98, -1, 0
	s_add_u32 s6, s6, s8
	s_addc_u32 s7, s9, s7
	s_add_u32 s4, s6, s4
	v_add_co_u32 v14, vcc_lo, s68, v2
	s_addc_u32 s5, s7, s5
	s_add_u32 s74, s22, s4
	v_add_co_ci_u32_e32 v15, vcc_lo, s69, v3, vcc_lo
	s_addc_u32 s75, s23, s5
	v_add_co_u32 v37, s4, s24, v0
	v_add_co_u32 v10, vcc_lo, s74, v2
	v_cmp_lt_i64_e64 s90, 0xc00, s[24:25]
	v_cmp_gt_i64_e64 s1, s[24:25], v[0:1]
	v_lshlrev_b64 v[23:24], 2, v[2:3]
	v_cmp_eq_u32_e64 s2, 0, v33
	v_cmp_gt_u32_e64 s3, 2, v0
	v_mov_b32_e32 v19, v7
	v_mov_b32_e32 v21, v8
	;; [unrolled: 1-line block ×3, first 2 shown]
	v_add_co_ci_u32_e64 v38, null, s25, 0, s4
	v_lshl_or_b32 v39, v33, 3, 0xc00
	v_add_co_ci_u32_e32 v11, vcc_lo, s75, v3, vcc_lo
	v_cvt_f32_ubyte0_e32 v40, 0
	v_mov_b32_e32 v41, 0
	s_mul_i32 s4, s31, s33
	s_mul_hi_u32 s5, s30, s33
	s_mov_b32 s99, 6
	s_lshl_b64 s[76:77], s[30:31], 2
	s_add_i32 s35, s5, s4
	s_mul_i32 s88, s30, s33
	s_mov_b32 s100, 0
	s_mov_b32 s104, 0
	s_mov_b32 s63, 0
	s_mov_b32 s62, 0
                                        ; implicit-def: $sgpr101
                                        ; implicit-def: $sgpr103
                                        ; implicit-def: $sgpr102
                                        ; implicit-def: $sgpr60
                                        ; implicit-def: $sgpr61
                                        ; implicit-def: $vcc_hi
	s_branch .LBB6_33
.LBB6_29:                               ;   in Loop: Header=BB6_33 Depth=1
	s_xor_b32 s104, s104, 1
	s_add_i32 s7, s99, -2
	s_cmp_eq_u32 s99, 0
	s_mov_b32 s5, 0
	s_cselect_b32 s6, -1, 0
	s_mov_b32 s99, s7
.LBB6_30:                               ;   in Loop: Header=BB6_33 Depth=1
	s_and_not1_b32 s7, s20, exec_lo
	s_and_b32 s5, s5, exec_lo
	s_and_not1_b32 s21, s21, exec_lo
	s_or_b32 s20, s7, s5
	s_and_not1_b32 s19, s19, exec_lo
	s_or_not1_b32 s15, s6, exec_lo
.LBB6_31:                               ;   in Loop: Header=BB6_33 Depth=1
	s_or_b32 exec_lo, exec_lo, s4
	s_delay_alu instid0(SALU_CYCLE_1)
	s_and_not1_b32 s4, vcc_hi, exec_lo
	s_and_b32 s5, s20, exec_lo
	s_and_not1_b32 s6, s60, exec_lo
	s_or_b32 vcc_hi, s4, s5
	s_and_not1_b32 s4, s61, exec_lo
	s_and_b32 s5, s21, exec_lo
	s_and_b32 s7, s19, exec_lo
	s_or_b32 s61, s4, s5
	s_or_b32 s60, s6, s7
	s_or_not1_b32 s19, s15, exec_lo
.LBB6_32:                               ;   in Loop: Header=BB6_33 Depth=1
	s_or_b32 exec_lo, exec_lo, s14
	s_delay_alu instid0(SALU_CYCLE_1)
	s_and_b32 s4, exec_lo, s19
	v_mov_b32_e32 v2, s63
	s_or_b32 s100, s4, s100
	s_and_not1_b32 s4, s102, exec_lo
	s_and_b32 s5, vcc_hi, exec_lo
	s_and_not1_b32 s6, s101, exec_lo
	s_or_b32 s102, s4, s5
	s_and_not1_b32 s4, s103, exec_lo
	s_and_b32 s5, s61, exec_lo
	s_and_b32 s7, s60, exec_lo
	s_or_b32 s103, s4, s5
	s_or_b32 s101, s6, s7
	s_and_not1_b32 exec_lo, exec_lo, s100
	s_cbranch_execz .LBB6_291
.LBB6_33:                               ; =>This Loop Header: Depth=1
                                        ;     Child Loop BB6_38 Depth 2
                                        ;     Child Loop BB6_57 Depth 2
	;; [unrolled: 1-line block ×16, first 2 shown]
	ds_load_b128 v[2:5], v13 offset:5120
	s_waitcnt lgkmcnt(0)
	v_readfirstlane_b32 s79, v3
	v_readfirstlane_b32 s78, v2
	s_delay_alu instid0(VALU_DEP_1) | instskip(NEXT) | instid1(VALU_DEP_1)
	v_cmp_gt_i64_e64 s4, s[78:79], 0
	s_and_b32 vcc_lo, exec_lo, s4
	s_cbranch_vccnz .LBB6_64
; %bb.34:                               ;   in Loop: Header=BB6_33 Depth=1
	s_and_b32 vcc_lo, exec_lo, s90
	s_cbranch_vccz .LBB6_46
; %bb.35:                               ;   in Loop: Header=BB6_33 Depth=1
	v_cmp_gt_i64_e32 vcc_lo, 0xc01, v[4:5]
	s_mov_b32 s6, 0
	s_mov_b32 s4, 0
	s_cbranch_vccz .LBB6_51
; %bb.36:                               ;   in Loop: Header=BB6_33 Depth=1
	global_load_u16 v6, v13, s[72:73]
	global_load_u8 v7, v[14:15], off
	s_mov_b32 s8, 0
	s_waitcnt vmcnt(1)
	v_readfirstlane_b32 s4, v6
	v_and_b32_e32 v6, 0xffff, v6
	s_delay_alu instid0(VALU_DEP_2) | instskip(NEXT) | instid1(SALU_CYCLE_1)
	s_and_b32 s4, 0xffff, s4
	v_add_nc_u32_e32 v8, s4, v0
	s_mul_i32 s5, s31, s4
	s_mul_hi_u32 s7, s30, s4
	s_mul_i32 s9, s30, s4
	s_add_i32 s7, s7, s5
	v_mad_u64_u32 v[2:3], null, s30, v8, s[74:75]
	s_delay_alu instid0(VALU_DEP_1) | instskip(NEXT) | instid1(VALU_DEP_1)
	v_mad_u64_u32 v[4:5], null, s31, v8, v[3:4]
	v_mov_b32_e32 v3, v4
	v_dual_mov_b32 v5, v1 :: v_dual_mov_b32 v4, v0
	s_branch .LBB6_38
.LBB6_37:                               ;   in Loop: Header=BB6_38 Depth=2
	s_or_b32 exec_lo, exec_lo, s5
	v_add_co_u32 v2, vcc_lo, v2, s9
	v_add_co_ci_u32_e32 v3, vcc_lo, s7, v3, vcc_lo
	v_mov_b32_e32 v7, v8
	s_and_not1_b32 exec_lo, exec_lo, s8
	s_cbranch_execz .LBB6_47
.LBB6_38:                               ;   Parent Loop BB6_33 Depth=1
                                        ; =>  This Inner Loop Header: Depth=2
	s_delay_alu instid0(VALU_DEP_1) | instskip(NEXT) | instid1(VALU_DEP_2)
	v_add_co_u32 v4, vcc_lo, v4, v6
	v_add_co_ci_u32_e32 v5, vcc_lo, 0, v5, vcc_lo
	s_waitcnt lgkmcnt(0)
	v_dual_mov_b32 v9, 0 :: v_dual_mov_b32 v8, 0
	s_mov_b32 s5, exec_lo
	s_delay_alu instid0(VALU_DEP_2)
	v_cmp_le_i64_e32 vcc_lo, s[24:25], v[4:5]
	v_cmpx_gt_i64_e64 s[24:25], v[4:5]
	s_cbranch_execz .LBB6_40
; %bb.39:                               ;   in Loop: Header=BB6_38 Depth=2
	global_load_u8 v8, v[2:3], off
.LBB6_40:                               ;   in Loop: Header=BB6_38 Depth=2
	s_or_b32 exec_lo, exec_lo, s5
	s_waitcnt vmcnt(0)
	v_and_b32_e32 v12, s62, v7
	s_delay_alu instid0(VALU_DEP_1) | instskip(NEXT) | instid1(VALU_DEP_1)
	v_and_b32_e32 v12, 0xff, v12
	v_cmp_eq_u32_e64 s4, s63, v12
	s_delay_alu instid0(VALU_DEP_1) | instskip(SKIP_1) | instid1(SALU_CYCLE_1)
	s_cmp_lg_u32 s4, 0
	s_cselect_b32 s5, -1, 0
	s_and_b32 s5, s2, s5
	s_delay_alu instid0(SALU_CYCLE_1)
	s_and_saveexec_b32 s10, s5
	s_cbranch_execz .LBB6_44
; %bb.41:                               ;   in Loop: Header=BB6_38 Depth=2
	s_mov_b32 s13, exec_lo
	s_bcnt1_i32_b32 s11, s4
	v_mbcnt_lo_u32_b32 v9, s13, 0
	s_mov_b32 s12, exec_lo
                                        ; implicit-def: $vgpr12
	s_delay_alu instid0(VALU_DEP_1)
	v_cmpx_eq_u32_e32 0, v9
	s_cbranch_execz .LBB6_43
; %bb.42:                               ;   in Loop: Header=BB6_38 Depth=2
	s_bcnt1_i32_b32 s5, s13
	s_delay_alu instid0(SALU_CYCLE_1) | instskip(NEXT) | instid1(SALU_CYCLE_1)
	s_mul_i32 s5, s11, s5
	v_mov_b32_e32 v12, s5
	ds_add_rtn_u32 v12, v13, v12 offset:5136
.LBB6_43:                               ;   in Loop: Header=BB6_38 Depth=2
	s_or_b32 exec_lo, exec_lo, s12
	s_waitcnt lgkmcnt(0)
	v_readfirstlane_b32 s5, v12
	s_delay_alu instid0(VALU_DEP_1)
	v_mad_u32_u24 v9, s11, v9, s5
.LBB6_44:                               ;   in Loop: Header=BB6_38 Depth=2
	s_or_b32 exec_lo, exec_lo, s10
	ds_bpermute_b32 v9, v13, v9
	s_and_b32 s5, exec_lo, vcc_lo
	s_delay_alu instid0(SALU_CYCLE_1)
	s_or_b32 s8, s5, s8
	s_and_saveexec_b32 s5, s4
	s_cbranch_execz .LBB6_37
; %bb.45:                               ;   in Loop: Header=BB6_38 Depth=2
	v_and_b32_e32 v12, s4, v35
	s_waitcnt lgkmcnt(0)
	s_delay_alu instid0(VALU_DEP_1)
	v_bcnt_u32_b32 v9, v12, v9
	ds_store_b8 v9, v7
	s_branch .LBB6_37
.LBB6_46:                               ;   in Loop: Header=BB6_33 Depth=1
	s_mov_b32 s6, -1
	s_mov_b32 s4, 0
	s_branch .LBB6_50
.LBB6_47:                               ;   in Loop: Header=BB6_33 Depth=1
	s_or_b32 exec_lo, exec_lo, s8
	s_waitcnt lgkmcnt(0)
	s_barrier
	buffer_gl0_inv
	s_and_saveexec_b32 s4, s0
	s_cbranch_execz .LBB6_49
; %bb.48:                               ;   in Loop: Header=BB6_33 Depth=1
	ds_load_b32 v2, v13 offset:5136
	s_waitcnt lgkmcnt(0)
	v_ashrrev_i32_e32 v3, 31, v2
	ds_store_b64 v13, v[2:3] offset:5120
.LBB6_49:                               ;   in Loop: Header=BB6_33 Depth=1
	s_or_b32 exec_lo, exec_lo, s4
	s_waitcnt lgkmcnt(0)
	s_mov_b32 s4, -1
	s_barrier
.LBB6_50:                               ;   in Loop: Header=BB6_33 Depth=1
                                        ; implicit-def: $sgpr78_sgpr79
.LBB6_51:                               ;   in Loop: Header=BB6_33 Depth=1
	s_and_b32 vcc_lo, exec_lo, s6
	s_cbranch_vccz .LBB6_62
; %bb.52:                               ;   in Loop: Header=BB6_33 Depth=1
	v_mov_b32_e32 v6, 0
	s_and_saveexec_b32 s4, s1
	s_cbranch_execz .LBB6_54
; %bb.53:                               ;   in Loop: Header=BB6_33 Depth=1
	global_load_u8 v6, v[14:15], off
.LBB6_54:                               ;   in Loop: Header=BB6_33 Depth=1
	s_or_b32 exec_lo, exec_lo, s4
	s_and_saveexec_b32 s5, s1
	s_cbranch_execz .LBB6_59
; %bb.55:                               ;   in Loop: Header=BB6_33 Depth=1
	global_load_u16 v8, v13, s[72:73]
	s_mov_b32 s9, 0
	s_waitcnt vmcnt(0)
	v_readfirstlane_b32 s4, v8
	v_and_b32_e32 v8, 0xffff, v8
	s_delay_alu instid0(VALU_DEP_2) | instskip(NEXT) | instid1(SALU_CYCLE_1)
	s_and_b32 s6, 0xffff, s4
	v_add_nc_u32_e32 v7, s6, v0
	s_mul_i32 s4, s31, s6
	s_mul_hi_u32 s7, s30, s6
	s_mul_i32 s8, s30, s6
	s_add_i32 s7, s7, s4
	v_mad_u64_u32 v[2:3], null, s30, v7, s[74:75]
	s_delay_alu instid0(VALU_DEP_1) | instskip(SKIP_1) | instid1(VALU_DEP_2)
	v_mad_u64_u32 v[4:5], null, s31, v7, v[3:4]
	v_mov_b32_e32 v7, v0
	v_mov_b32_e32 v3, v4
	v_dual_mov_b32 v5, v1 :: v_dual_mov_b32 v4, v0
	s_branch .LBB6_57
	.p2align	6
.LBB6_56:                               ;   in Loop: Header=BB6_57 Depth=2
	s_or_b32 exec_lo, exec_lo, s10
	s_delay_alu instid0(SALU_CYCLE_1)
	s_and_b32 s4, exec_lo, vcc_lo
	v_add_co_u32 v2, vcc_lo, v2, s8
	ds_store_b8 v7, v6
	s_waitcnt vmcnt(0)
	v_dual_mov_b32 v6, v9 :: v_dual_add_nc_u32 v7, s6, v7
	v_add_co_ci_u32_e32 v3, vcc_lo, s7, v3, vcc_lo
	s_or_b32 s9, s4, s9
	s_delay_alu instid0(SALU_CYCLE_1)
	s_and_not1_b32 exec_lo, exec_lo, s9
	s_cbranch_execz .LBB6_59
.LBB6_57:                               ;   Parent Loop BB6_33 Depth=1
                                        ; =>  This Inner Loop Header: Depth=2
	s_delay_alu instid0(VALU_DEP_1) | instskip(NEXT) | instid1(VALU_DEP_2)
	v_add_co_u32 v4, vcc_lo, v4, v8
	v_add_co_ci_u32_e32 v5, vcc_lo, 0, v5, vcc_lo
	v_mov_b32_e32 v9, 0
	s_mov_b32 s10, exec_lo
	s_delay_alu instid0(VALU_DEP_2)
	v_cmp_le_i64_e32 vcc_lo, s[24:25], v[4:5]
	v_cmpx_gt_i64_e64 s[24:25], v[4:5]
	s_cbranch_execz .LBB6_56
; %bb.58:                               ;   in Loop: Header=BB6_57 Depth=2
	global_load_u8 v9, v[2:3], off
	s_branch .LBB6_56
.LBB6_59:                               ;   in Loop: Header=BB6_33 Depth=1
	s_or_b32 exec_lo, exec_lo, s5
	s_waitcnt vmcnt(0) lgkmcnt(0)
	s_barrier
	buffer_gl0_inv
	s_and_saveexec_b32 s4, s0
	s_cbranch_execz .LBB6_61
; %bb.60:                               ;   in Loop: Header=BB6_33 Depth=1
	v_dual_mov_b32 v2, s24 :: v_dual_mov_b32 v3, s25
	ds_store_b64 v13, v[2:3] offset:5120
.LBB6_61:                               ;   in Loop: Header=BB6_33 Depth=1
	s_or_b32 exec_lo, exec_lo, s4
	s_mov_b32 s4, -1
	s_waitcnt lgkmcnt(0)
	s_barrier
                                        ; implicit-def: $sgpr78_sgpr79
.LBB6_62:                               ;   in Loop: Header=BB6_33 Depth=1
	s_and_b32 vcc_lo, exec_lo, s4
	s_cbranch_vccz .LBB6_64
; %bb.63:                               ;   in Loop: Header=BB6_33 Depth=1
	buffer_gl0_inv
	ds_load_b64 v[2:3], v13 offset:5120
	s_waitcnt lgkmcnt(0)
	v_readfirstlane_b32 s78, v2
.LBB6_64:                               ;   in Loop: Header=BB6_33 Depth=1
	s_delay_alu instid0(VALU_DEP_1)
	s_cmp_lt_i32 s78, 1
	s_cbranch_scc0 .LBB6_79
; %bb.65:                               ;   in Loop: Header=BB6_33 Depth=1
	global_load_u16 v4, v13, s[72:73]
	s_mov_b32 s5, s25
	s_waitcnt vmcnt(0)
	v_readfirstlane_b32 s4, v4
	s_delay_alu instid0(VALU_DEP_1)
	s_and_b32 s6, 0xffff, s4
	s_mov_b32 s4, s67
	s_lshl_b32 s23, s6, 2
	s_cmp_lg_u64 s[4:5], 0
	s_cbranch_scc0 .LBB6_99
; %bb.66:                               ;   in Loop: Header=BB6_33 Depth=1
	v_cvt_f32_u32_e32 v2, s23
	s_sub_u32 s6, 0, s23
	s_subb_u32 s7, 0, 0
	s_delay_alu instid0(VALU_DEP_1) | instskip(NEXT) | instid1(VALU_DEP_1)
	v_fmac_f32_e32 v2, 0x4f800000, v40
	v_rcp_f32_e32 v2, v2
	s_waitcnt_depctr 0xfff
	v_mul_f32_e32 v2, 0x5f7ffffc, v2
	s_delay_alu instid0(VALU_DEP_1) | instskip(NEXT) | instid1(VALU_DEP_1)
	v_mul_f32_e32 v3, 0x2f800000, v2
	v_trunc_f32_e32 v3, v3
	s_delay_alu instid0(VALU_DEP_1) | instskip(SKIP_1) | instid1(VALU_DEP_2)
	v_fmac_f32_e32 v2, 0xcf800000, v3
	v_cvt_u32_f32_e32 v3, v3
	v_cvt_u32_f32_e32 v2, v2
	s_delay_alu instid0(VALU_DEP_2) | instskip(NEXT) | instid1(VALU_DEP_2)
	v_readfirstlane_b32 s4, v3
	v_readfirstlane_b32 s5, v2
	s_delay_alu instid0(VALU_DEP_2) | instskip(NEXT) | instid1(VALU_DEP_1)
	s_mul_i32 s8, s6, s4
	s_mul_hi_u32 s10, s6, s5
	s_mul_i32 s9, s7, s5
	s_add_i32 s8, s10, s8
	s_mul_i32 s11, s6, s5
	s_add_i32 s8, s8, s9
	s_mul_hi_u32 s10, s5, s11
	s_mul_hi_u32 s12, s4, s11
	s_mul_i32 s9, s4, s11
	s_mul_hi_u32 s11, s5, s8
	s_mul_i32 s5, s5, s8
	s_mul_hi_u32 s13, s4, s8
	s_add_u32 s5, s10, s5
	s_addc_u32 s10, 0, s11
	s_add_u32 s5, s5, s9
	s_mul_i32 s8, s4, s8
	s_addc_u32 s5, s10, s12
	s_addc_u32 s9, s13, 0
	s_add_u32 s5, s5, s8
	s_addc_u32 s8, 0, s9
	v_add_co_u32 v2, s5, v2, s5
	s_delay_alu instid0(VALU_DEP_1) | instskip(SKIP_1) | instid1(VALU_DEP_1)
	s_cmp_lg_u32 s5, 0
	s_addc_u32 s4, s4, s8
	v_readfirstlane_b32 s5, v2
	s_mul_i32 s8, s6, s4
	s_delay_alu instid0(VALU_DEP_1)
	s_mul_hi_u32 s9, s6, s5
	s_mul_i32 s7, s7, s5
	s_add_i32 s8, s9, s8
	s_mul_i32 s6, s6, s5
	s_add_i32 s8, s8, s7
	s_mul_hi_u32 s9, s4, s6
	s_mul_i32 s10, s4, s6
	s_mul_hi_u32 s6, s5, s6
	s_mul_hi_u32 s11, s5, s8
	s_mul_i32 s5, s5, s8
	s_mul_hi_u32 s7, s4, s8
	s_add_u32 s5, s6, s5
	s_addc_u32 s6, 0, s11
	s_add_u32 s5, s5, s10
	s_mul_i32 s8, s4, s8
	s_addc_u32 s5, s6, s9
	s_addc_u32 s6, s7, 0
	s_add_u32 s5, s5, s8
	s_addc_u32 s6, 0, s6
	v_add_co_u32 v2, s5, v2, s5
	s_delay_alu instid0(VALU_DEP_1) | instskip(SKIP_2) | instid1(VALU_DEP_1)
	s_cmp_lg_u32 s5, 0
	s_addc_u32 s8, s4, s6
	s_ashr_i32 s6, s25, 31
	v_readfirstlane_b32 s9, v2
	s_add_u32 s4, s24, s6
	s_mov_b32 s7, s6
	s_addc_u32 s5, s25, s6
	s_delay_alu instid0(SALU_CYCLE_1) | instskip(NEXT) | instid1(SALU_CYCLE_1)
	s_xor_b64 s[4:5], s[4:5], s[6:7]
	s_mul_i32 s10, s4, s8
	s_mul_hi_u32 s11, s4, s9
	s_mul_hi_u32 s7, s4, s8
	;; [unrolled: 1-line block ×3, first 2 shown]
	s_mul_i32 s9, s5, s9
	s_add_u32 s10, s11, s10
	s_addc_u32 s7, 0, s7
	s_mul_hi_u32 s12, s5, s8
	s_add_u32 s9, s10, s9
	s_mul_i32 s8, s5, s8
	s_addc_u32 s7, s7, s13
	s_addc_u32 s9, s12, 0
	s_add_u32 s7, s7, s8
	s_addc_u32 s8, 0, s9
	s_mul_hi_u32 s9, s23, s7
	s_mul_i32 s7, s23, s7
	s_mul_i32 s8, s23, s8
	v_sub_co_u32 v2, s4, s4, s7
	s_add_i32 s9, s9, s8
	s_cmp_lg_u32 s4, 0
	s_delay_alu instid0(VALU_DEP_1) | instskip(SKIP_2) | instid1(VALU_DEP_1)
	v_sub_co_u32 v3, s4, v2, s23
	s_subb_u32 s5, s5, s9
	s_cmp_lg_u32 s4, 0
	v_cmp_le_u32_e32 vcc_lo, s23, v3
	v_sub_co_u32 v5, s4, v3, s23
	s_subb_u32 s7, s5, 0
	s_cmp_lg_u32 s4, 0
	v_cndmask_b32_e64 v6, 0, -1, vcc_lo
	s_subb_u32 s4, s7, 0
	s_cmp_eq_u32 s7, 0
	v_mov_b32_e32 v8, s4
	s_cselect_b32 vcc_lo, -1, 0
	s_cmp_eq_u32 s5, 0
	v_cndmask_b32_e32 v6, -1, v6, vcc_lo
	v_cmp_le_u32_e32 vcc_lo, s23, v2
	s_cselect_b32 s4, -1, 0
	v_cndmask_b32_e64 v7, 0, -1, vcc_lo
	s_delay_alu instid0(VALU_DEP_3) | instskip(NEXT) | instid1(VALU_DEP_2)
	v_cmp_ne_u32_e32 vcc_lo, 0, v6
	v_cndmask_b32_e64 v6, -1, v7, s4
	v_cndmask_b32_e32 v7, s7, v8, vcc_lo
	v_cndmask_b32_e32 v3, v3, v5, vcc_lo
	s_delay_alu instid0(VALU_DEP_3) | instskip(NEXT) | instid1(VALU_DEP_2)
	v_cmp_ne_u32_e32 vcc_lo, 0, v6
	v_cndmask_b32_e32 v2, v2, v3, vcc_lo
	s_delay_alu instid0(VALU_DEP_4) | instskip(NEXT) | instid1(VALU_DEP_2)
	v_cndmask_b32_e32 v5, s5, v7, vcc_lo
	v_xor_b32_e32 v2, s6, v2
	s_delay_alu instid0(VALU_DEP_2) | instskip(NEXT) | instid1(VALU_DEP_2)
	v_xor_b32_e32 v3, s6, v5
	v_sub_co_u32 v25, vcc_lo, v2, s6
	s_delay_alu instid0(VALU_DEP_2)
	v_subrev_co_ci_u32_e32 v26, vcc_lo, s6, v3, vcc_lo
	s_cbranch_execnz .LBB6_68
.LBB6_67:                               ;   in Loop: Header=BB6_33 Depth=1
	v_cvt_f32_u32_e32 v2, s23
	s_sub_i32 s4, 0, s23
	s_delay_alu instid0(VALU_DEP_1) | instskip(SKIP_2) | instid1(VALU_DEP_1)
	v_rcp_iflag_f32_e32 v2, v2
	s_waitcnt_depctr 0xfff
	v_mul_f32_e32 v2, 0x4f7ffffe, v2
	v_cvt_u32_f32_e32 v2, v2
	s_delay_alu instid0(VALU_DEP_1) | instskip(NEXT) | instid1(VALU_DEP_1)
	v_mul_lo_u32 v3, s4, v2
	v_mul_hi_u32 v3, v2, v3
	s_delay_alu instid0(VALU_DEP_1) | instskip(NEXT) | instid1(VALU_DEP_1)
	v_add_nc_u32_e32 v2, v2, v3
	v_mul_hi_u32 v2, s24, v2
	s_delay_alu instid0(VALU_DEP_1) | instskip(NEXT) | instid1(VALU_DEP_1)
	v_mul_lo_u32 v2, v2, s23
	v_sub_nc_u32_e32 v2, s24, v2
	s_delay_alu instid0(VALU_DEP_1) | instskip(SKIP_1) | instid1(VALU_DEP_2)
	v_subrev_nc_u32_e32 v3, s23, v2
	v_cmp_le_u32_e32 vcc_lo, s23, v2
	v_cndmask_b32_e32 v2, v2, v3, vcc_lo
	s_delay_alu instid0(VALU_DEP_1) | instskip(SKIP_1) | instid1(VALU_DEP_2)
	v_subrev_nc_u32_e32 v3, s23, v2
	v_cmp_le_u32_e32 vcc_lo, s23, v2
	v_cndmask_b32_e32 v12, v2, v3, vcc_lo
	s_delay_alu instid0(VALU_DEP_1)
	v_dual_mov_b32 v26, v13 :: v_dual_mov_b32 v25, v12
.LBB6_68:                               ;   in Loop: Header=BB6_33 Depth=1
	v_mov_b32_e32 v2, 0
	v_dual_mov_b32 v3, 0 :: v_dual_and_b32 v12, 0xffff, v4
	s_delay_alu instid0(VALU_DEP_3) | instskip(NEXT) | instid1(VALU_DEP_4)
	v_sub_co_u32 v27, vcc_lo, s24, v25
	v_sub_co_ci_u32_e32 v28, vcc_lo, s25, v26, vcc_lo
	s_delay_alu instid0(VALU_DEP_3)
	v_dual_mov_b32 v5, v3 :: v_dual_mov_b32 v4, v2
	v_dual_mov_b32 v7, v3 :: v_dual_mov_b32 v6, v2
	;; [unrolled: 1-line block ×3, first 2 shown]
	s_mov_b64 s[80:81], 0
	s_mov_b32 s66, exec_lo
	v_cmpx_gt_i64_e64 v[27:28], v[16:17]
	s_cbranch_execz .LBB6_72
; %bb.69:                               ;   in Loop: Header=BB6_33 Depth=1
	v_mul_lo_u32 v2, s77, v12
	v_mul_hi_u32 v3, s76, v12
	v_mul_lo_u32 v42, s76, v12
	v_dual_mov_b32 v29, s68 :: v_dual_mov_b32 v30, s69
	s_and_b32 s70, s99, 0xfe
	s_mov_b32 s79, 0
	s_mov_b64 s[82:83], 0
	s_delay_alu instid0(VALU_DEP_3)
	v_dual_mov_b32 v32, v17 :: v_dual_add_nc_u32 v43, v3, v2
	v_mov_b32_e32 v31, v16
	s_mov_b64 s[84:85], 0
	s_mov_b64 s[86:87], 0
.LBB6_70:                               ;   Parent Loop BB6_33 Depth=1
                                        ; =>  This Inner Loop Header: Depth=2
	v_add_co_u32 v2, vcc_lo, v29, v23
	v_add_co_ci_u32_e32 v3, vcc_lo, v30, v24, vcc_lo
	global_load_u8 v4, v[2:3], off
	v_add_co_u32 v2, vcc_lo, v29, v22
	v_add_co_ci_u32_e32 v3, vcc_lo, v30, v36, vcc_lo
	global_load_u8 v5, v[2:3], off
	v_add_co_u32 v2, vcc_lo, v29, v20
	v_add_co_ci_u32_e32 v3, vcc_lo, v30, v21, vcc_lo
	global_load_u8 v6, v[2:3], off
	v_add_co_u32 v2, vcc_lo, v29, v18
	v_add_co_ci_u32_e32 v3, vcc_lo, v30, v19, vcc_lo
	global_load_u8 v2, v[2:3], off
	s_waitcnt vmcnt(3)
	v_and_b32_e32 v3, s62, v4
	s_delay_alu instid0(VALU_DEP_1) | instskip(SKIP_2) | instid1(VALU_DEP_1)
	v_cmp_eq_u32_e32 vcc_lo, s63, v3
	s_waitcnt vmcnt(2)
	v_and_b32_e32 v3, s62, v5
	v_cmp_eq_u32_e64 s4, s63, v3
	s_waitcnt vmcnt(1)
	v_and_b32_e32 v3, s62, v6
	s_delay_alu instid0(VALU_DEP_1) | instskip(SKIP_3) | instid1(VALU_DEP_2)
	v_cmp_eq_u32_e64 s5, s63, v3
	s_waitcnt vmcnt(0)
	v_and_b32_e32 v3, s62, v2
	v_bfe_u32 v2, v2, s70, 2
	v_cmp_eq_u32_e64 s6, s63, v3
	v_bfe_u32 v3, v4, s70, 2
	s_delay_alu instid0(VALU_DEP_3)
	v_cmp_eq_u32_e64 s19, 0, v2
	v_cmp_eq_u32_e64 s20, 1, v2
	v_cmp_eq_u32_e64 s21, 2, v2
	v_cmp_eq_u32_e64 s22, 3, v2
	v_cmp_eq_u32_e64 s7, 0, v3
	v_cmp_eq_u32_e64 s8, 1, v3
	v_cmp_eq_u32_e64 s9, 2, v3
	v_cmp_eq_u32_e64 s10, 3, v3
	v_bfe_u32 v3, v5, s70, 2
	s_and_b32 s7, vcc_lo, s7
	s_and_b32 s19, s6, s19
	v_cndmask_b32_e64 v2, 0, 1, s7
	s_delay_alu instid0(VALU_DEP_2)
	v_cmp_eq_u32_e64 s11, 0, v3
	v_cmp_eq_u32_e64 s12, 1, v3
	v_cmp_eq_u32_e64 s13, 2, v3
	v_cmp_eq_u32_e64 s14, 3, v3
	v_bfe_u32 v3, v6, s70, 2
	s_and_b32 s11, s4, s11
	v_cmp_ne_u32_e64 s7, 0, v2
	v_cndmask_b32_e64 v2, 0, 1, s11
	s_delay_alu instid0(VALU_DEP_3) | instskip(SKIP_1) | instid1(VALU_DEP_4)
	v_cmp_eq_u32_e64 s15, 0, v3
	v_cmp_eq_u32_e64 s16, 1, v3
	s_bcnt1_i32_b32 s7, s7
	s_delay_alu instid0(VALU_DEP_3)
	v_cmp_ne_u32_e64 s11, 0, v2
	v_cmp_eq_u32_e64 s17, 2, v3
	s_and_b32 s15, s5, s15
	v_cmp_eq_u32_e64 s18, 3, v3
	v_cndmask_b32_e64 v2, 0, 1, s15
	s_bcnt1_i32_b32 s11, s11
	s_delay_alu instid0(SALU_CYCLE_1) | instskip(NEXT) | instid1(VALU_DEP_1)
	s_add_i32 s7, s11, s7
	v_cmp_ne_u32_e64 s15, 0, v2
	v_cndmask_b32_e64 v2, 0, 1, s19
	s_delay_alu instid0(VALU_DEP_2) | instskip(NEXT) | instid1(VALU_DEP_1)
	s_bcnt1_i32_b32 s15, s15
	v_cmp_ne_u32_e64 s19, 0, v2
	s_add_i32 s7, s7, s15
	s_delay_alu instid0(VALU_DEP_1) | instskip(NEXT) | instid1(SALU_CYCLE_1)
	s_bcnt1_i32_b32 s19, s19
	s_add_i32 s7, s7, s19
	s_delay_alu instid0(SALU_CYCLE_1)
	s_add_u32 s86, s86, s7
	s_addc_u32 s87, s87, 0
	s_and_b32 s7, vcc_lo, s8
	s_and_b32 s8, s4, s12
	v_cndmask_b32_e64 v2, 0, 1, s7
	s_and_b32 s11, s5, s16
	s_and_b32 s12, s6, s20
	s_delay_alu instid0(VALU_DEP_1) | instskip(SKIP_1) | instid1(VALU_DEP_2)
	v_cmp_ne_u32_e64 s7, 0, v2
	v_cndmask_b32_e64 v2, 0, 1, s8
	s_bcnt1_i32_b32 s7, s7
	s_delay_alu instid0(VALU_DEP_1) | instskip(SKIP_1) | instid1(VALU_DEP_2)
	v_cmp_ne_u32_e64 s8, 0, v2
	v_cndmask_b32_e64 v2, 0, 1, s11
	s_bcnt1_i32_b32 s8, s8
	s_delay_alu instid0(VALU_DEP_1) | instskip(SKIP_2) | instid1(VALU_DEP_2)
	v_cmp_ne_u32_e64 s11, 0, v2
	v_cndmask_b32_e64 v2, 0, 1, s12
	s_add_i32 s7, s8, s7
	s_bcnt1_i32_b32 s11, s11
	s_delay_alu instid0(VALU_DEP_1) | instskip(SKIP_1) | instid1(VALU_DEP_1)
	v_cmp_ne_u32_e64 s12, 0, v2
	s_add_i32 s7, s7, s11
	s_bcnt1_i32_b32 s12, s12
	s_delay_alu instid0(SALU_CYCLE_1) | instskip(NEXT) | instid1(SALU_CYCLE_1)
	s_add_i32 s7, s7, s12
	s_add_u32 s84, s84, s7
	s_addc_u32 s85, s85, 0
	s_and_b32 s7, vcc_lo, s9
	s_and_b32 s8, s4, s13
	v_cndmask_b32_e64 v2, 0, 1, s7
	s_and_b32 s9, s5, s17
	s_and_b32 s11, s6, s21
	v_dual_mov_b32 v4, s84 :: v_dual_mov_b32 v5, s85
	s_delay_alu instid0(VALU_DEP_2) | instskip(SKIP_1) | instid1(VALU_DEP_2)
	v_cmp_ne_u32_e64 s7, 0, v2
	v_cndmask_b32_e64 v2, 0, 1, s8
	s_bcnt1_i32_b32 s7, s7
	s_delay_alu instid0(VALU_DEP_1) | instskip(SKIP_1) | instid1(VALU_DEP_2)
	v_cmp_ne_u32_e64 s8, 0, v2
	v_cndmask_b32_e64 v2, 0, 1, s9
	s_bcnt1_i32_b32 s8, s8
	s_delay_alu instid0(VALU_DEP_1) | instskip(SKIP_3) | instid1(VALU_DEP_3)
	v_cmp_ne_u32_e64 s9, 0, v2
	v_cndmask_b32_e64 v2, 0, 1, s11
	s_add_i32 s7, s8, s7
	v_add_co_u32 v29, s8, v29, v42
	s_bcnt1_i32_b32 s9, s9
	s_delay_alu instid0(VALU_DEP_2) | instskip(SKIP_1) | instid1(VALU_DEP_1)
	v_cmp_ne_u32_e64 s11, 0, v2
	s_add_i32 s7, s7, s9
	s_bcnt1_i32_b32 s11, s11
	s_delay_alu instid0(SALU_CYCLE_1) | instskip(NEXT) | instid1(SALU_CYCLE_1)
	s_add_i32 s7, s7, s11
	s_add_u32 s82, s82, s7
	s_addc_u32 s83, s83, 0
	s_and_b32 s7, vcc_lo, s10
	s_and_b32 s4, s4, s14
	v_cndmask_b32_e64 v2, 0, 1, s7
	s_and_b32 s5, s5, s18
	s_and_b32 s6, s6, s22
	v_add_co_u32 v31, s7, v31, s23
	s_delay_alu instid0(VALU_DEP_2) | instskip(SKIP_3) | instid1(VALU_DEP_3)
	v_cmp_ne_u32_e32 vcc_lo, 0, v2
	v_cndmask_b32_e64 v2, 0, 1, s4
	v_add_co_ci_u32_e64 v32, s7, 0, v32, s7
	v_add_co_ci_u32_e64 v30, s7, v30, v43, s8
	v_cmp_ne_u32_e64 s4, 0, v2
	v_cndmask_b32_e64 v2, 0, 1, s5
	s_bcnt1_i32_b32 s8, vcc_lo
	v_cmp_ge_i64_e64 s7, v[31:32], v[27:28]
	v_mov_b32_e32 v6, s82
	s_bcnt1_i32_b32 s4, s4
	v_cmp_ne_u32_e64 s5, 0, v2
	v_cndmask_b32_e64 v2, 0, 1, s6
	s_add_i32 s4, s4, s8
	v_mov_b32_e32 v7, s83
	s_delay_alu instid0(VALU_DEP_3) | instskip(NEXT) | instid1(VALU_DEP_2)
	s_bcnt1_i32_b32 s5, s5
	v_cmp_ne_u32_e64 s6, 0, v2
	s_add_i32 s4, s4, s5
	v_dual_mov_b32 v2, s86 :: v_dual_mov_b32 v3, s87
	s_delay_alu instid0(VALU_DEP_2) | instskip(NEXT) | instid1(SALU_CYCLE_1)
	s_bcnt1_i32_b32 s6, s6
	s_add_i32 s4, s4, s6
	s_delay_alu instid0(SALU_CYCLE_1) | instskip(SKIP_1) | instid1(SALU_CYCLE_1)
	s_add_u32 s80, s80, s4
	s_addc_u32 s81, s81, 0
	v_dual_mov_b32 v8, s80 :: v_dual_mov_b32 v9, s81
	s_or_b32 s79, s7, s79
	s_delay_alu instid0(SALU_CYCLE_1)
	s_and_not1_b32 exec_lo, exec_lo, s79
	s_cbranch_execnz .LBB6_70
; %bb.71:                               ;   in Loop: Header=BB6_33 Depth=1
	s_or_b32 exec_lo, exec_lo, s79
.LBB6_72:                               ;   in Loop: Header=BB6_33 Depth=1
	s_delay_alu instid0(SALU_CYCLE_1) | instskip(SKIP_3) | instid1(VALU_DEP_2)
	s_or_b32 exec_lo, exec_lo, s66
	v_add_co_u32 v27, vcc_lo, v27, v0
	v_add_co_ci_u32_e32 v28, vcc_lo, 0, v28, vcc_lo
	v_mov_b32_e32 v31, 0
	v_cmp_gt_i64_e32 vcc_lo, s[24:25], v[27:28]
	s_and_saveexec_b32 s4, vcc_lo
	s_cbranch_execz .LBB6_74
; %bb.73:                               ;   in Loop: Header=BB6_33 Depth=1
	v_mad_u64_u32 v[29:30], null, v27, s30, s[68:69]
	v_mul_lo_u32 v31, v27, s31
	v_mul_lo_u32 v32, v28, s30
	s_delay_alu instid0(VALU_DEP_1)
	v_add3_u32 v30, v32, v30, v31
	global_load_u8 v31, v[29:30], off
.LBB6_74:                               ;   in Loop: Header=BB6_33 Depth=1
	s_or_b32 exec_lo, exec_lo, s4
	s_and_saveexec_b32 s7, vcc_lo
	s_cbranch_execz .LBB6_81
; %bb.75:                               ;   in Loop: Header=BB6_33 Depth=1
	v_add_co_u32 v29, vcc_lo, v37, v12
	v_add_co_ci_u32_e32 v30, vcc_lo, 0, v38, vcc_lo
	v_mul_lo_u32 v42, s31, v12
	s_delay_alu instid0(VALU_DEP_3) | instskip(NEXT) | instid1(VALU_DEP_3)
	v_sub_co_u32 v29, vcc_lo, v29, v25
	v_sub_co_ci_u32_e32 v25, vcc_lo, v30, v26, vcc_lo
	v_mul_hi_u32 v43, s30, v12
	s_delay_alu instid0(VALU_DEP_3) | instskip(SKIP_1) | instid1(VALU_DEP_3)
	v_mul_lo_u32 v32, s31, v29
	s_and_b32 s9, s99, 0xfe
	v_mul_lo_u32 v30, s30, v25
	v_mad_u64_u32 v[25:26], null, s30, v29, s[74:75]
	v_mul_lo_u32 v29, s30, v12
	s_mov_b32 s8, 0
	s_delay_alu instid0(VALU_DEP_2)
	v_add3_u32 v26, v32, v26, v30
	v_add_nc_u32_e32 v30, v43, v42
	s_branch .LBB6_77
.LBB6_76:                               ;   in Loop: Header=BB6_77 Depth=2
	s_or_b32 exec_lo, exec_lo, s5
	s_waitcnt vmcnt(0)
	v_and_b32_e32 v31, 0xff, v31
	s_and_b32 s6, exec_lo, vcc_lo
	s_delay_alu instid0(SALU_CYCLE_1) | instskip(NEXT) | instid1(VALU_DEP_1)
	s_or_b32 s8, s6, s8
	v_and_b32_e32 v42, s62, v31
	v_bfe_u32 v31, v31, s9, 2
	s_delay_alu instid0(VALU_DEP_2) | instskip(NEXT) | instid1(VALU_DEP_2)
	v_cmp_eq_u32_e64 s4, s63, v42
	v_cmp_eq_u32_e64 s5, 0, v31
	v_cmp_eq_u32_e32 vcc_lo, 1, v31
	v_cmp_eq_u32_e64 s6, 2, v31
	s_delay_alu instid0(VALU_DEP_3) | instskip(NEXT) | instid1(SALU_CYCLE_1)
	s_and_b32 s5, s4, s5
	v_cndmask_b32_e64 v42, 0, 1, s5
	s_and_b32 s5, s4, vcc_lo
	v_cmp_eq_u32_e32 vcc_lo, 3, v31
	v_cndmask_b32_e64 v43, 0, 1, s5
	s_and_b32 s5, s4, s6
	s_delay_alu instid0(SALU_CYCLE_1) | instskip(SKIP_1) | instid1(VALU_DEP_3)
	v_cndmask_b32_e64 v31, 0, 1, s5
	v_cmp_ne_u32_e64 s5, 0, v42
	v_cmp_ne_u32_e64 s6, 0, v43
	s_and_b32 s4, s4, vcc_lo
	s_delay_alu instid0(SALU_CYCLE_1) | instskip(NEXT) | instid1(VALU_DEP_3)
	v_cndmask_b32_e64 v42, 0, 1, s4
	s_bcnt1_i32_b32 s4, s5
	v_cmp_ne_u32_e32 vcc_lo, 0, v31
	v_mov_b32_e32 v31, v32
	v_add_co_u32 v2, s4, v2, s4
	s_bcnt1_i32_b32 s5, s6
	v_add_co_ci_u32_e64 v3, s4, 0, v3, s4
	v_add_co_u32 v4, s4, v4, s5
	s_delay_alu instid0(VALU_DEP_1) | instskip(SKIP_3) | instid1(VALU_DEP_1)
	v_add_co_ci_u32_e64 v5, s4, 0, v5, s4
	s_bcnt1_i32_b32 s4, vcc_lo
	v_cmp_ne_u32_e32 vcc_lo, 0, v42
	v_add_co_u32 v6, s4, v6, s4
	v_add_co_ci_u32_e64 v7, s4, 0, v7, s4
	s_bcnt1_i32_b32 s4, vcc_lo
	s_delay_alu instid0(SALU_CYCLE_1)
	v_add_co_u32 v8, vcc_lo, v8, s4
	v_add_co_ci_u32_e32 v9, vcc_lo, 0, v9, vcc_lo
	v_add_co_u32 v25, vcc_lo, v25, v29
	v_add_co_ci_u32_e32 v26, vcc_lo, v26, v30, vcc_lo
	s_and_not1_b32 exec_lo, exec_lo, s8
	s_cbranch_execz .LBB6_80
.LBB6_77:                               ;   Parent Loop BB6_33 Depth=1
                                        ; =>  This Inner Loop Header: Depth=2
	v_add_co_u32 v27, vcc_lo, v27, v12
	v_add_co_ci_u32_e32 v28, vcc_lo, 0, v28, vcc_lo
	v_mov_b32_e32 v32, 0
	s_mov_b32 s5, exec_lo
	s_delay_alu instid0(VALU_DEP_2)
	v_cmp_le_i64_e32 vcc_lo, s[24:25], v[27:28]
	v_cmpx_gt_i64_e64 s[24:25], v[27:28]
	s_cbranch_execz .LBB6_76
; %bb.78:                               ;   in Loop: Header=BB6_77 Depth=2
	global_load_u8 v32, v[25:26], off
	s_branch .LBB6_76
.LBB6_79:                               ;   in Loop: Header=BB6_33 Depth=1
                                        ; implicit-def: $vgpr8_vgpr9
                                        ; implicit-def: $vgpr4_vgpr5
	s_cbranch_execnz .LBB6_82
	s_branch .LBB6_91
.LBB6_80:                               ;   in Loop: Header=BB6_33 Depth=1
	s_or_b32 exec_lo, exec_lo, s8
.LBB6_81:                               ;   in Loop: Header=BB6_33 Depth=1
	s_delay_alu instid0(SALU_CYCLE_1)
	s_or_b32 exec_lo, exec_lo, s7
	s_branch .LBB6_91
.LBB6_82:                               ;   in Loop: Header=BB6_33 Depth=1
	global_load_u16 v12, v13, s[72:73]
	s_mov_b64 s[80:81], 0
	s_mov_b32 s79, exec_lo
	s_waitcnt vmcnt(0)
	v_readfirstlane_b32 s4, v12
	s_delay_alu instid0(VALU_DEP_1) | instskip(NEXT) | instid1(SALU_CYCLE_1)
	s_and_b32 s4, 0xffff, s4
	s_lshl_b32 s70, s4, 2
	s_delay_alu instid0(SALU_CYCLE_1) | instskip(SKIP_1) | instid1(VALU_DEP_1)
	v_cvt_f32_u32_e32 v2, s70
	s_sub_i32 s5, 0, s70
	v_rcp_iflag_f32_e32 v2, v2
	s_waitcnt_depctr 0xfff
	v_mul_f32_e32 v2, 0x4f7ffffe, v2
	s_delay_alu instid0(VALU_DEP_1) | instskip(NEXT) | instid1(VALU_DEP_1)
	v_cvt_u32_f32_e32 v2, v2
	v_readfirstlane_b32 s4, v2
	v_mov_b32_e32 v2, 0
	v_mov_b32_e32 v3, 0
	s_delay_alu instid0(VALU_DEP_3) | instskip(NEXT) | instid1(VALU_DEP_1)
	s_mul_i32 s5, s5, s4
	v_dual_mov_b32 v5, v3 :: v_dual_mov_b32 v4, v2
	s_mul_hi_u32 s5, s4, s5
	v_dual_mov_b32 v7, v3 :: v_dual_mov_b32 v6, v2
	s_add_i32 s4, s4, s5
	v_dual_mov_b32 v9, v3 :: v_dual_mov_b32 v8, v2
	s_mul_hi_u32 s4, s78, s4
	s_delay_alu instid0(SALU_CYCLE_1) | instskip(NEXT) | instid1(SALU_CYCLE_1)
	s_mul_i32 s4, s4, s70
	s_sub_i32 s4, s78, s4
	s_delay_alu instid0(SALU_CYCLE_1) | instskip(SKIP_2) | instid1(SALU_CYCLE_1)
	s_sub_i32 s5, s4, s70
	s_cmp_ge_u32 s4, s70
	s_cselect_b32 s4, s5, s4
	s_sub_i32 s5, s4, s70
	s_cmp_ge_u32 s4, s70
	s_cselect_b32 s4, s5, s4
	s_delay_alu instid0(SALU_CYCLE_1) | instskip(NEXT) | instid1(SALU_CYCLE_1)
	s_sub_i32 s66, s78, s4
	v_cmpx_gt_u32_e64 s66, v16
	s_cbranch_execz .LBB6_86
; %bb.83:                               ;   in Loop: Header=BB6_33 Depth=1
	v_dual_mov_b32 v27, v16 :: v_dual_mov_b32 v26, v17
	v_mov_b32_e32 v25, v16
	s_and_b32 s57, s99, 0xfe
	s_mov_b32 s56, 0
	s_mov_b64 s[82:83], 0
	s_mov_b64 s[84:85], 0
	;; [unrolled: 1-line block ×3, first 2 shown]
.LBB6_84:                               ;   Parent Loop BB6_33 Depth=1
                                        ; =>  This Inner Loop Header: Depth=2
	ds_load_b32 v2, v27
	v_add_co_u32 v25, vcc_lo, v25, s70
	v_add_co_ci_u32_e32 v26, vcc_lo, 0, v26, vcc_lo
	s_delay_alu instid0(VALU_DEP_1)
	v_cmp_le_u64_e32 vcc_lo, s[66:67], v[25:26]
	s_waitcnt lgkmcnt(0)
	v_and_b32_e32 v3, 0xff, v2
	v_bfe_u32 v4, v2, 8, 8
	v_bfe_u32 v5, v2, 16, 8
	v_lshrrev_b32_e32 v2, 24, v2
	s_delay_alu instid0(VALU_DEP_4) | instskip(NEXT) | instid1(VALU_DEP_4)
	v_and_b32_e32 v6, s62, v3
	v_and_b32_e32 v7, s62, v4
	v_bfe_u32 v3, v3, s57, 2
	v_bfe_u32 v4, v4, s57, 2
	v_and_b32_e32 v8, s62, v5
	v_bfe_u32 v5, v5, s57, 2
	v_and_b32_e32 v9, s62, v2
	v_bfe_u32 v2, v2, s57, 2
	v_cmp_eq_u32_e64 s4, s63, v6
	v_cmp_eq_u32_e64 s5, s63, v7
	;; [unrolled: 1-line block ×8, first 2 shown]
	s_and_b32 s8, s4, s8
	s_and_b32 s9, s5, s9
	v_cmp_eq_u32_e64 s12, 1, v3
	v_cmp_eq_u32_e64 s15, 1, v2
	;; [unrolled: 1-line block ×6, first 2 shown]
	s_and_b32 s10, s6, s10
	v_cndmask_b32_e64 v2, 0, 1, s8
	v_cndmask_b32_e64 v3, 0, 1, s9
	v_cmp_eq_u32_e64 s13, 1, v4
	v_cmp_eq_u32_e64 s17, 2, v4
	v_cmp_eq_u32_e64 s21, 3, v4
	s_and_b32 s11, s7, s11
	v_cndmask_b32_e64 v4, 0, 1, s10
	v_cmp_eq_u32_e64 s14, 1, v5
	v_cmp_eq_u32_e64 s18, 2, v5
	;; [unrolled: 1-line block ×3, first 2 shown]
	v_cndmask_b32_e64 v5, 0, 1, s11
	v_cmp_ne_u32_e64 s8, 0, v2
	v_cmp_ne_u32_e64 s9, 0, v3
	;; [unrolled: 1-line block ×3, first 2 shown]
	s_delay_alu instid0(VALU_DEP_4) | instskip(NEXT) | instid1(VALU_DEP_4)
	v_cmp_ne_u32_e64 s11, 0, v5
	s_bcnt1_i32_b32 s8, s8
	s_delay_alu instid0(VALU_DEP_3) | instskip(NEXT) | instid1(VALU_DEP_2)
	s_bcnt1_i32_b32 s9, s9
	s_bcnt1_i32_b32 s10, s10
	s_add_i32 s8, s9, s8
	s_bcnt1_i32_b32 s11, s11
	s_add_i32 s8, s8, s10
	s_delay_alu instid0(SALU_CYCLE_1) | instskip(NEXT) | instid1(SALU_CYCLE_1)
	s_add_i32 s8, s8, s11
	s_add_u32 s86, s86, s8
	s_addc_u32 s87, s87, 0
	s_and_b32 s8, s4, s12
	s_and_b32 s9, s5, s13
	;; [unrolled: 1-line block ×3, first 2 shown]
	v_cndmask_b32_e64 v2, 0, 1, s8
	v_cndmask_b32_e64 v3, 0, 1, s9
	s_and_b32 s11, s7, s15
	v_cndmask_b32_e64 v4, 0, 1, s10
	v_cndmask_b32_e64 v5, 0, 1, s11
	v_cmp_ne_u32_e64 s8, 0, v2
	v_cmp_ne_u32_e64 s9, 0, v3
	v_add_nc_u32_e32 v27, s70, v27
	v_cmp_ne_u32_e64 s10, 0, v4
	v_cmp_ne_u32_e64 s11, 0, v5
	s_bcnt1_i32_b32 s8, s8
	s_bcnt1_i32_b32 s9, s9
	s_delay_alu instid0(VALU_DEP_2) | instskip(SKIP_3) | instid1(SALU_CYCLE_1)
	s_bcnt1_i32_b32 s10, s10
	s_add_i32 s8, s9, s8
	s_bcnt1_i32_b32 s11, s11
	s_add_i32 s8, s8, s10
	s_add_i32 s8, s8, s11
	s_delay_alu instid0(SALU_CYCLE_1)
	s_add_u32 s84, s84, s8
	s_addc_u32 s85, s85, 0
	s_and_b32 s8, s4, s16
	s_and_b32 s9, s5, s17
	;; [unrolled: 1-line block ×3, first 2 shown]
	v_cndmask_b32_e64 v2, 0, 1, s8
	v_cndmask_b32_e64 v3, 0, 1, s9
	s_and_b32 s11, s7, s19
	v_cndmask_b32_e64 v4, 0, 1, s10
	v_cndmask_b32_e64 v5, 0, 1, s11
	v_cmp_ne_u32_e64 s8, 0, v2
	v_cmp_ne_u32_e64 s9, 0, v3
	s_delay_alu instid0(VALU_DEP_4) | instskip(NEXT) | instid1(VALU_DEP_4)
	v_cmp_ne_u32_e64 s10, 0, v4
	v_cmp_ne_u32_e64 s11, 0, v5
	s_delay_alu instid0(VALU_DEP_4) | instskip(NEXT) | instid1(VALU_DEP_3)
	s_bcnt1_i32_b32 s8, s8
	s_bcnt1_i32_b32 s9, s9
	s_delay_alu instid0(VALU_DEP_2) | instskip(SKIP_3) | instid1(SALU_CYCLE_1)
	s_bcnt1_i32_b32 s10, s10
	s_add_i32 s8, s9, s8
	s_bcnt1_i32_b32 s11, s11
	s_add_i32 s8, s8, s10
	s_add_i32 s8, s8, s11
	s_delay_alu instid0(SALU_CYCLE_1)
	s_add_u32 s82, s82, s8
	s_addc_u32 s83, s83, 0
	s_and_b32 s4, s4, s20
	s_and_b32 s5, s5, s21
	;; [unrolled: 1-line block ×3, first 2 shown]
	v_cndmask_b32_e64 v2, 0, 1, s4
	v_cndmask_b32_e64 v3, 0, 1, s5
	s_and_b32 s7, s7, s23
	v_cndmask_b32_e64 v4, 0, 1, s6
	v_cndmask_b32_e64 v5, 0, 1, s7
	v_cmp_ne_u32_e64 s4, 0, v2
	v_cmp_ne_u32_e64 s5, 0, v3
	v_mov_b32_e32 v2, s86
	v_cmp_ne_u32_e64 s6, 0, v4
	v_cmp_ne_u32_e64 s7, 0, v5
	s_bcnt1_i32_b32 s4, s4
	s_bcnt1_i32_b32 s5, s5
	v_mov_b32_e32 v4, s84
	s_bcnt1_i32_b32 s6, s6
	s_add_i32 s4, s5, s4
	s_bcnt1_i32_b32 s5, s7
	s_add_i32 s4, s4, s6
	v_mov_b32_e32 v6, s82
	s_add_i32 s4, s4, s5
	v_mov_b32_e32 v3, s87
	s_add_u32 s80, s80, s4
	s_addc_u32 s81, s81, 0
	v_dual_mov_b32 v8, s80 :: v_dual_mov_b32 v5, s85
	v_mov_b32_e32 v7, s83
	v_mov_b32_e32 v9, s81
	s_or_b32 s56, vcc_lo, s56
	s_delay_alu instid0(SALU_CYCLE_1)
	s_and_not1_b32 exec_lo, exec_lo, s56
	s_cbranch_execnz .LBB6_84
; %bb.85:                               ;   in Loop: Header=BB6_33 Depth=1
	s_or_b32 exec_lo, exec_lo, s56
.LBB6_86:                               ;   in Loop: Header=BB6_33 Depth=1
	s_delay_alu instid0(SALU_CYCLE_1) | instskip(SKIP_3) | instid1(VALU_DEP_1)
	s_or_b32 exec_lo, exec_lo, s79
	v_and_b32_e32 v27, 0xffff, v12
	v_add_nc_u32_e32 v12, s66, v0
	s_mov_b32 s9, exec_lo
	v_cmpx_gt_u32_e64 s78, v12
	s_cbranch_execz .LBB6_90
; %bb.87:                               ;   in Loop: Header=BB6_33 Depth=1
	v_dual_mov_b32 v26, v13 :: v_dual_mov_b32 v25, v12
	s_mov_b32 s11, 0
	s_and_b32 s10, s78, 0x7fffffff
	s_and_b32 s13, s99, 0xfe
	s_mov_b32 s12, s11
.LBB6_88:                               ;   Parent Loop BB6_33 Depth=1
                                        ; =>  This Inner Loop Header: Depth=2
	ds_load_u8 v28, v12
	v_add_co_u32 v25, vcc_lo, v25, v27
	v_add_co_ci_u32_e32 v26, vcc_lo, 0, v26, vcc_lo
	v_add_nc_u32_e32 v12, v12, v27
	s_delay_alu instid0(VALU_DEP_2) | instskip(SKIP_3) | instid1(VALU_DEP_2)
	v_cmp_le_u64_e32 vcc_lo, s[10:11], v[25:26]
	s_waitcnt lgkmcnt(0)
	v_and_b32_e32 v29, s62, v28
	v_bfe_u32 v28, v28, s13, 2
	v_cmp_eq_u32_e64 s4, s63, v29
	s_delay_alu instid0(VALU_DEP_2) | instskip(SKIP_3) | instid1(VALU_DEP_4)
	v_cmp_eq_u32_e64 s5, 0, v28
	v_cmp_eq_u32_e64 s6, 1, v28
	v_cmp_eq_u32_e64 s7, 2, v28
	v_cmp_eq_u32_e64 s8, 3, v28
	s_and_b32 s5, s4, s5
	s_delay_alu instid0(SALU_CYCLE_1) | instskip(SKIP_1) | instid1(SALU_CYCLE_1)
	v_cndmask_b32_e64 v28, 0, 1, s5
	s_and_b32 s5, s4, s6
	v_cndmask_b32_e64 v29, 0, 1, s5
	s_and_b32 s5, s4, s7
	s_and_b32 s4, s4, s8
	v_cndmask_b32_e64 v30, 0, 1, s5
	v_cndmask_b32_e64 v31, 0, 1, s4
	v_cmp_ne_u32_e64 s4, 0, v28
	v_cmp_ne_u32_e64 s5, 0, v29
	s_delay_alu instid0(VALU_DEP_4) | instskip(NEXT) | instid1(VALU_DEP_4)
	v_cmp_ne_u32_e64 s6, 0, v30
	v_cmp_ne_u32_e64 s7, 0, v31
	s_delay_alu instid0(VALU_DEP_4) | instskip(NEXT) | instid1(VALU_DEP_3)
	s_bcnt1_i32_b32 s4, s4
	s_bcnt1_i32_b32 s5, s5
	v_add_co_u32 v2, s4, v2, s4
	s_delay_alu instid0(VALU_DEP_1)
	v_add_co_ci_u32_e64 v3, s4, 0, v3, s4
	v_add_co_u32 v4, s4, v4, s5
	s_bcnt1_i32_b32 s6, s6
	v_add_co_ci_u32_e64 v5, s4, 0, v5, s4
	v_add_co_u32 v6, s4, v6, s6
	s_bcnt1_i32_b32 s7, s7
	v_add_co_ci_u32_e64 v7, s4, 0, v7, s4
	v_add_co_u32 v8, s4, v8, s7
	s_delay_alu instid0(VALU_DEP_1) | instskip(SKIP_1) | instid1(SALU_CYCLE_1)
	v_add_co_ci_u32_e64 v9, s4, 0, v9, s4
	s_or_b32 s12, vcc_lo, s12
	s_and_not1_b32 exec_lo, exec_lo, s12
	s_cbranch_execnz .LBB6_88
; %bb.89:                               ;   in Loop: Header=BB6_33 Depth=1
	s_or_b32 exec_lo, exec_lo, s12
.LBB6_90:                               ;   in Loop: Header=BB6_33 Depth=1
	s_delay_alu instid0(SALU_CYCLE_1)
	s_or_b32 exec_lo, exec_lo, s9
.LBB6_91:                               ;   in Loop: Header=BB6_33 Depth=1
	s_lshl_b32 s4, s104, 7
	s_and_saveexec_b32 s5, s2
	s_cbranch_execz .LBB6_93
; %bb.92:                               ;   in Loop: Header=BB6_33 Depth=1
	v_or_b32_e32 v12, s4, v34
	s_delay_alu instid0(VALU_DEP_1)
	v_lshlrev_b32_e32 v12, 3, v12
	ds_store_b128 v12, v[2:5] offset:3072
	ds_store_b128 v12, v[6:9] offset:3088
.LBB6_93:                               ;   in Loop: Header=BB6_33 Depth=1
	s_or_b32 exec_lo, exec_lo, s5
	s_waitcnt vmcnt(0) lgkmcnt(0)
	s_barrier
	buffer_gl0_inv
	s_and_saveexec_b32 s5, s89
	s_cbranch_execz .LBB6_104
; %bb.94:                               ;   in Loop: Header=BB6_33 Depth=1
	v_mov_b32_e32 v2, 0
	v_mov_b32_e32 v3, 0
	s_and_not1_b32 vcc_lo, exec_lo, s94
	s_cbranch_vccnz .LBB6_103
; %bb.95:                               ;   in Loop: Header=BB6_33 Depth=1
	v_mov_b32_e32 v2, 0
	v_mov_b32_e32 v3, 0
	s_and_not1_b32 vcc_lo, exec_lo, s96
	s_cbranch_vccnz .LBB6_100
; %bb.96:                               ;   in Loop: Header=BB6_33 Depth=1
	v_lshl_add_u32 v4, s104, 10, v39
	s_mov_b32 s6, 0
	s_set_inst_prefetch_distance 0x1
	.p2align	6
.LBB6_97:                               ;   Parent Loop BB6_33 Depth=1
                                        ; =>  This Inner Loop Header: Depth=2
	ds_load_2addr_b64 v[5:8], v4 offset1:4
	ds_load_2addr_b64 v[25:28], v4 offset0:8 offset1:12
	ds_load_2addr_b64 v[29:32], v4 offset0:16 offset1:20
	s_add_i32 s6, s6, 8
	s_delay_alu instid0(SALU_CYCLE_1) | instskip(SKIP_3) | instid1(VALU_DEP_2)
	s_cmp_eq_u32 s97, s6
	s_waitcnt lgkmcnt(2)
	v_add_co_u32 v2, vcc_lo, v5, v2
	v_add_co_ci_u32_e32 v3, vcc_lo, v6, v3, vcc_lo
	v_add_co_u32 v2, vcc_lo, v7, v2
	s_delay_alu instid0(VALU_DEP_2)
	v_add_co_ci_u32_e32 v3, vcc_lo, v8, v3, vcc_lo
	ds_load_2addr_b64 v[5:8], v4 offset0:24 offset1:28
	s_waitcnt lgkmcnt(2)
	v_add_co_u32 v2, vcc_lo, v25, v2
	v_add_co_ci_u32_e32 v3, vcc_lo, v26, v3, vcc_lo
	v_add_nc_u32_e32 v4, 0x100, v4
	s_delay_alu instid0(VALU_DEP_3) | instskip(NEXT) | instid1(VALU_DEP_3)
	v_add_co_u32 v2, vcc_lo, v27, v2
	v_add_co_ci_u32_e32 v3, vcc_lo, v28, v3, vcc_lo
	s_waitcnt lgkmcnt(1)
	s_delay_alu instid0(VALU_DEP_2) | instskip(NEXT) | instid1(VALU_DEP_2)
	v_add_co_u32 v2, vcc_lo, v29, v2
	v_add_co_ci_u32_e32 v3, vcc_lo, v30, v3, vcc_lo
	s_delay_alu instid0(VALU_DEP_2) | instskip(NEXT) | instid1(VALU_DEP_2)
	v_add_co_u32 v2, vcc_lo, v31, v2
	v_add_co_ci_u32_e32 v3, vcc_lo, v32, v3, vcc_lo
	s_waitcnt lgkmcnt(0)
	s_delay_alu instid0(VALU_DEP_2) | instskip(NEXT) | instid1(VALU_DEP_2)
	v_add_co_u32 v2, vcc_lo, v5, v2
	v_add_co_ci_u32_e32 v3, vcc_lo, v6, v3, vcc_lo
	s_delay_alu instid0(VALU_DEP_2) | instskip(NEXT) | instid1(VALU_DEP_2)
	v_add_co_u32 v2, vcc_lo, v7, v2
	v_add_co_ci_u32_e32 v3, vcc_lo, v8, v3, vcc_lo
	s_cbranch_scc0 .LBB6_97
; %bb.98:                               ;   in Loop: Header=BB6_33 Depth=1
	s_set_inst_prefetch_distance 0x2
	s_mov_b32 s6, s97
	s_and_not1_b32 vcc_lo, exec_lo, s98
	s_cbranch_vccz .LBB6_101
	s_branch .LBB6_103
.LBB6_99:                               ;   in Loop: Header=BB6_33 Depth=1
                                        ; implicit-def: $vgpr25_vgpr26
	s_branch .LBB6_67
.LBB6_100:                              ;   in Loop: Header=BB6_33 Depth=1
	s_mov_b32 s6, 0
	s_and_not1_b32 vcc_lo, exec_lo, s98
	s_cbranch_vccnz .LBB6_103
.LBB6_101:                              ;   in Loop: Header=BB6_33 Depth=1
	s_lshl_b32 s7, s104, 10
	s_lshl_b32 s6, s6, 5
	s_delay_alu instid0(SALU_CYCLE_1)
	v_add3_u32 v4, s7, s6, v39
	s_mov_b32 s6, s95
.LBB6_102:                              ;   Parent Loop BB6_33 Depth=1
                                        ; =>  This Inner Loop Header: Depth=2
	ds_load_b64 v[5:6], v4
	v_add_nc_u32_e32 v4, 32, v4
	s_add_i32 s6, s6, -1
	s_delay_alu instid0(SALU_CYCLE_1)
	s_cmp_lg_u32 s6, 0
	s_waitcnt lgkmcnt(0)
	v_add_co_u32 v2, vcc_lo, v5, v2
	v_add_co_ci_u32_e32 v3, vcc_lo, v6, v3, vcc_lo
	s_cbranch_scc1 .LBB6_102
.LBB6_103:                              ;   in Loop: Header=BB6_33 Depth=1
	v_add_lshl_u32 v4, s4, v33, 3
	ds_store_b64 v4, v[2:3] offset:3072
.LBB6_104:                              ;   in Loop: Header=BB6_33 Depth=1
	s_or_b32 exec_lo, exec_lo, s5
	s_lshl_b32 s4, s4, 3
	s_waitcnt lgkmcnt(0)
	v_mov_b32_e32 v6, s4
	s_barrier
	buffer_gl0_inv
	s_and_b32 s17, s99, 0xfe
	s_mov_b32 s19, -1
	ds_load_b128 v[2:5], v6 offset:3072
	ds_load_b128 v[6:9], v6 offset:3088
	s_lshl_b32 s16, 3, s17
	s_delay_alu instid0(SALU_CYCLE_1)
	s_not_b32 s18, s16
	s_waitcnt lgkmcnt(1)
	v_readfirstlane_b32 s13, v3
	v_readfirstlane_b32 s12, v2
	v_readfirstlane_b32 s10, v4
	v_readfirstlane_b32 s11, v5
	s_waitcnt lgkmcnt(0)
	v_readfirstlane_b32 s8, v6
	v_readfirstlane_b32 s9, v7
	s_cmp_eq_u64 s[12:13], 1
	v_readfirstlane_b32 s6, v8
	s_cselect_b32 s4, -1, 0
	s_cmp_eq_u64 s[26:27], 1
	v_readfirstlane_b32 s7, v9
	s_cselect_b32 s5, -1, 0
	s_delay_alu instid0(SALU_CYCLE_1) | instskip(NEXT) | instid1(SALU_CYCLE_1)
	s_and_b32 s20, s4, s5
	s_and_b32 vcc_lo, exec_lo, s20
	s_cbranch_vccz .LBB6_118
; %bb.105:                              ;   in Loop: Header=BB6_33 Depth=1
	ds_load_b64 v[2:3], v13 offset:5120
	s_waitcnt lgkmcnt(0)
	s_barrier
	buffer_gl0_inv
	v_readfirstlane_b32 s14, v2
	v_readfirstlane_b32 s15, v3
	s_and_saveexec_b32 s4, s3
	s_cbranch_execz .LBB6_107
; %bb.106:                              ;   in Loop: Header=BB6_33 Depth=1
	ds_store_b8 v0, v13 offset:3072
.LBB6_107:                              ;   in Loop: Header=BB6_33 Depth=1
	s_or_b32 exec_lo, exec_lo, s4
	s_delay_alu instid0(VALU_DEP_1)
	v_cmp_lt_i64_e64 s4, s[14:15], 1
	s_and_b32 s63, s63, s18
	s_or_b32 s62, s62, s16
	s_waitcnt lgkmcnt(0)
	s_barrier
	buffer_gl0_inv
	s_and_b32 vcc_lo, exec_lo, s4
	s_cbranch_vccz .LBB6_119
; %bb.108:                              ;   in Loop: Header=BB6_33 Depth=1
	s_mov_b32 s70, s67
	s_delay_alu instid0(SALU_CYCLE_1)
	s_cmp_lg_u64 s[70:71], 0
	s_cbranch_scc0 .LBB6_162
; %bb.109:                              ;   in Loop: Header=BB6_33 Depth=1
	v_cvt_f32_u32_e32 v2, s33
	s_sub_u32 s21, 0, s33
	s_subb_u32 s22, 0, 0
	s_delay_alu instid0(VALU_DEP_1) | instskip(NEXT) | instid1(VALU_DEP_1)
	v_fmac_f32_e32 v2, 0x4f800000, v40
	v_rcp_f32_e32 v2, v2
	s_waitcnt_depctr 0xfff
	v_mul_f32_e32 v2, 0x5f7ffffc, v2
	s_delay_alu instid0(VALU_DEP_1) | instskip(NEXT) | instid1(VALU_DEP_1)
	v_mul_f32_e32 v3, 0x2f800000, v2
	v_trunc_f32_e32 v3, v3
	s_delay_alu instid0(VALU_DEP_1) | instskip(SKIP_1) | instid1(VALU_DEP_2)
	v_fmac_f32_e32 v2, 0xcf800000, v3
	v_cvt_u32_f32_e32 v3, v3
	v_cvt_u32_f32_e32 v2, v2
	s_delay_alu instid0(VALU_DEP_2) | instskip(NEXT) | instid1(VALU_DEP_2)
	v_readfirstlane_b32 s4, v3
	v_readfirstlane_b32 s5, v2
	s_delay_alu instid0(VALU_DEP_2) | instskip(NEXT) | instid1(VALU_DEP_1)
	s_mul_i32 s23, s21, s4
	s_mul_hi_u32 s57, s21, s5
	s_mul_i32 s56, s22, s5
	s_add_i32 s23, s57, s23
	s_mul_i32 s66, s21, s5
	s_add_i32 s23, s23, s56
	s_mul_hi_u32 s57, s5, s66
	s_mul_hi_u32 s70, s4, s66
	s_mul_i32 s56, s4, s66
	s_mul_hi_u32 s66, s5, s23
	s_mul_i32 s5, s5, s23
	s_mul_hi_u32 s78, s4, s23
	s_add_u32 s5, s57, s5
	s_addc_u32 s57, 0, s66
	s_add_u32 s5, s5, s56
	s_mul_i32 s23, s4, s23
	s_addc_u32 s5, s57, s70
	s_addc_u32 s56, s78, 0
	s_add_u32 s5, s5, s23
	s_addc_u32 s23, 0, s56
	v_add_co_u32 v2, s5, v2, s5
	s_delay_alu instid0(VALU_DEP_1) | instskip(SKIP_1) | instid1(VALU_DEP_1)
	s_cmp_lg_u32 s5, 0
	s_addc_u32 s4, s4, s23
	v_readfirstlane_b32 s5, v2
	s_mul_i32 s23, s21, s4
	s_delay_alu instid0(VALU_DEP_1)
	s_mul_hi_u32 s56, s21, s5
	s_mul_i32 s22, s22, s5
	s_add_i32 s23, s56, s23
	s_mul_i32 s21, s21, s5
	s_add_i32 s23, s23, s22
	s_mul_hi_u32 s56, s4, s21
	s_mul_i32 s57, s4, s21
	s_mul_hi_u32 s21, s5, s21
	s_mul_hi_u32 s66, s5, s23
	s_mul_i32 s5, s5, s23
	s_mul_hi_u32 s22, s4, s23
	s_add_u32 s5, s21, s5
	s_addc_u32 s21, 0, s66
	s_add_u32 s5, s5, s57
	s_mul_i32 s23, s4, s23
	s_addc_u32 s5, s21, s56
	s_addc_u32 s21, s22, 0
	s_add_u32 s5, s5, s23
	s_addc_u32 s21, 0, s21
	v_add_co_u32 v2, s5, v2, s5
	s_delay_alu instid0(VALU_DEP_1) | instskip(SKIP_2) | instid1(VALU_DEP_1)
	s_cmp_lg_u32 s5, 0
	s_addc_u32 s21, s4, s21
	s_ashr_i32 s22, s71, 31
	v_readfirstlane_b32 s56, v2
	s_add_u32 s4, s93, s22
	s_mov_b32 s23, s22
	s_addc_u32 s5, s71, s22
	s_delay_alu instid0(SALU_CYCLE_1) | instskip(NEXT) | instid1(SALU_CYCLE_1)
	s_xor_b64 s[4:5], s[4:5], s[22:23]
	s_mul_i32 s57, s4, s21
	s_mul_hi_u32 s66, s4, s56
	s_mul_hi_u32 s23, s4, s21
	;; [unrolled: 1-line block ×3, first 2 shown]
	s_mul_i32 s56, s5, s56
	s_add_u32 s57, s66, s57
	s_addc_u32 s23, 0, s23
	s_mul_hi_u32 s70, s5, s21
	s_add_u32 s56, s57, s56
	s_mul_i32 s21, s5, s21
	s_addc_u32 s23, s23, s78
	s_addc_u32 s56, s70, 0
	s_add_u32 s21, s23, s21
	s_addc_u32 s23, 0, s56
	s_mul_hi_u32 s56, s33, s21
	s_mul_i32 s21, s33, s21
	s_mul_i32 s23, s33, s23
	v_sub_co_u32 v2, s4, s4, s21
	s_add_i32 s56, s56, s23
	s_cmp_lg_u32 s4, 0
	s_delay_alu instid0(VALU_DEP_1) | instskip(SKIP_2) | instid1(VALU_DEP_1)
	v_sub_co_u32 v3, s4, v2, s33
	s_subb_u32 s5, s5, s56
	s_cmp_lg_u32 s4, 0
	v_cmp_le_u32_e32 vcc_lo, s33, v3
	v_sub_co_u32 v4, s4, v3, s33
	s_subb_u32 s21, s5, 0
	s_cmp_lg_u32 s4, 0
	v_cndmask_b32_e64 v5, 0, -1, vcc_lo
	s_subb_u32 s4, s21, 0
	s_cmp_eq_u32 s21, 0
	v_mov_b32_e32 v7, s4
	s_cselect_b32 vcc_lo, -1, 0
	s_cmp_eq_u32 s5, 0
	v_cndmask_b32_e32 v5, -1, v5, vcc_lo
	v_cmp_le_u32_e32 vcc_lo, s33, v2
	s_cselect_b32 s4, -1, 0
	v_cndmask_b32_e64 v6, 0, -1, vcc_lo
	s_delay_alu instid0(VALU_DEP_3) | instskip(NEXT) | instid1(VALU_DEP_2)
	v_cmp_ne_u32_e32 vcc_lo, 0, v5
	v_cndmask_b32_e64 v5, -1, v6, s4
	v_cndmask_b32_e32 v3, v3, v4, vcc_lo
	v_cndmask_b32_e32 v6, s21, v7, vcc_lo
	s_delay_alu instid0(VALU_DEP_3) | instskip(NEXT) | instid1(VALU_DEP_3)
	v_cmp_ne_u32_e32 vcc_lo, 0, v5
	v_cndmask_b32_e32 v2, v2, v3, vcc_lo
	s_delay_alu instid0(VALU_DEP_3) | instskip(NEXT) | instid1(VALU_DEP_2)
	v_cndmask_b32_e32 v4, s5, v6, vcc_lo
	v_xor_b32_e32 v2, s22, v2
	s_delay_alu instid0(VALU_DEP_2) | instskip(NEXT) | instid1(VALU_DEP_2)
	v_xor_b32_e32 v3, s22, v4
	v_sub_co_u32 v2, vcc_lo, v2, s22
	s_delay_alu instid0(VALU_DEP_2)
	v_subrev_co_ci_u32_e32 v3, vcc_lo, s22, v3, vcc_lo
	s_cbranch_execnz .LBB6_111
.LBB6_110:                              ;   in Loop: Header=BB6_33 Depth=1
	v_cvt_f32_u32_e32 v2, s33
	s_sub_i32 s4, 0, s33
	s_delay_alu instid0(VALU_DEP_1) | instskip(SKIP_2) | instid1(VALU_DEP_1)
	v_rcp_iflag_f32_e32 v2, v2
	s_waitcnt_depctr 0xfff
	v_mul_f32_e32 v2, 0x4f7ffffe, v2
	v_cvt_u32_f32_e32 v2, v2
	s_delay_alu instid0(VALU_DEP_1) | instskip(NEXT) | instid1(VALU_DEP_1)
	v_mul_lo_u32 v3, s4, v2
	v_mul_hi_u32 v3, v2, v3
	s_delay_alu instid0(VALU_DEP_1) | instskip(NEXT) | instid1(VALU_DEP_1)
	v_add_nc_u32_e32 v2, v2, v3
	v_mul_hi_u32 v2, s93, v2
	s_delay_alu instid0(VALU_DEP_1) | instskip(NEXT) | instid1(VALU_DEP_1)
	v_mul_lo_u32 v2, v2, s33
	v_sub_nc_u32_e32 v2, s93, v2
	s_delay_alu instid0(VALU_DEP_1) | instskip(SKIP_1) | instid1(VALU_DEP_2)
	v_subrev_nc_u32_e32 v3, s33, v2
	v_cmp_le_u32_e32 vcc_lo, s33, v2
	v_cndmask_b32_e32 v2, v2, v3, vcc_lo
	s_delay_alu instid0(VALU_DEP_1) | instskip(SKIP_1) | instid1(VALU_DEP_2)
	v_subrev_nc_u32_e32 v3, s33, v2
	v_cmp_le_u32_e32 vcc_lo, s33, v2
	v_cndmask_b32_e32 v12, v2, v3, vcc_lo
	s_delay_alu instid0(VALU_DEP_1)
	v_dual_mov_b32 v2, v12 :: v_dual_mov_b32 v3, v13
.LBB6_111:                              ;   in Loop: Header=BB6_33 Depth=1
	s_delay_alu instid0(VALU_DEP_1) | instskip(NEXT) | instid1(VALU_DEP_2)
	v_sub_co_u32 v2, vcc_lo, s93, v2
	v_sub_co_ci_u32_e32 v3, vcc_lo, s71, v3, vcc_lo
	s_mov_b32 s4, 0
	s_mov_b32 s5, exec_lo
                                        ; implicit-def: $vgpr41
	s_delay_alu instid0(VALU_DEP_1)
	v_cmpx_gt_i64_e64 v[2:3], v[0:1]
	s_cbranch_execz .LBB6_121
; %bb.112:                              ;   in Loop: Header=BB6_33 Depth=1
	v_dual_mov_b32 v4, v10 :: v_dual_mov_b32 v5, v11
	v_dual_mov_b32 v7, v1 :: v_dual_mov_b32 v6, v0
	s_mov_b32 s21, 0
                                        ; implicit-def: $sgpr22
	s_set_inst_prefetch_distance 0x1
	s_branch .LBB6_114
	.p2align	6
.LBB6_113:                              ;   in Loop: Header=BB6_114 Depth=2
	s_or_b32 exec_lo, exec_lo, s4
	s_waitcnt lgkmcnt(0)
	s_barrier
	buffer_gl0_inv
	ds_load_u16 v8, v13 offset:3072
	v_add_co_u32 v6, vcc_lo, v6, s33
	v_add_co_ci_u32_e32 v7, vcc_lo, 0, v7, vcc_lo
	s_waitcnt lgkmcnt(0)
	s_barrier
	buffer_gl0_inv
	v_cmp_ge_i64_e32 vcc_lo, v[6:7], v[2:3]
	v_and_b32_e32 v9, 0xff, v8
	s_delay_alu instid0(VALU_DEP_1) | instskip(NEXT) | instid1(VALU_DEP_1)
	v_cmp_ne_u16_e64 s4, 0, v9
	s_or_b32 s23, s4, vcc_lo
	v_add_co_u32 v4, vcc_lo, v4, s88
	s_and_b32 s23, exec_lo, s23
	v_add_co_ci_u32_e32 v5, vcc_lo, s35, v5, vcc_lo
	s_or_b32 s21, s23, s21
	s_and_not1_b32 s22, s22, exec_lo
	s_and_b32 s4, s4, exec_lo
	s_delay_alu instid0(SALU_CYCLE_1)
	s_or_b32 s22, s22, s4
	s_and_not1_b32 exec_lo, exec_lo, s21
	s_cbranch_execz .LBB6_120
.LBB6_114:                              ;   Parent Loop BB6_33 Depth=1
                                        ; =>  This Inner Loop Header: Depth=2
	s_delay_alu instid0(VALU_DEP_1)
	v_cmp_gt_i64_e32 vcc_lo, s[24:25], v[6:7]
	v_mov_b32_e32 v8, 0
	s_and_saveexec_b32 s4, vcc_lo
	s_cbranch_execz .LBB6_116
; %bb.115:                              ;   in Loop: Header=BB6_114 Depth=2
	global_load_u8 v8, v[4:5], off
.LBB6_116:                              ;   in Loop: Header=BB6_114 Depth=2
	s_or_b32 exec_lo, exec_lo, s4
	s_waitcnt vmcnt(0)
	v_and_b32_e32 v9, s62, v8
	s_delay_alu instid0(VALU_DEP_1) | instskip(NEXT) | instid1(VALU_DEP_1)
	v_and_b32_e32 v9, 0xff, v9
	v_cmp_eq_u32_e64 s4, s63, v9
	s_delay_alu instid0(VALU_DEP_1) | instskip(NEXT) | instid1(SALU_CYCLE_1)
	s_and_b32 s23, vcc_lo, s4
	s_and_saveexec_b32 s4, s23
	s_cbranch_execz .LBB6_113
; %bb.117:                              ;   in Loop: Header=BB6_114 Depth=2
	v_lshlrev_b16 v8, 8, v8
	s_delay_alu instid0(VALU_DEP_1)
	v_or_b32_e32 v8, 1, v8
	ds_store_b16 v13, v8 offset:3072
	s_branch .LBB6_113
.LBB6_118:                              ;   in Loop: Header=BB6_33 Depth=1
	s_mov_b32 s4, -1
                                        ; implicit-def: $sgpr5
                                        ; implicit-def: $sgpr22
                                        ; implicit-def: $sgpr21
	s_branch .LBB6_134
.LBB6_119:                              ;   in Loop: Header=BB6_33 Depth=1
	s_mov_b32 s5, -1
	s_mov_b32 s4, 0
                                        ; implicit-def: $sgpr21
                                        ; implicit-def: $vgpr41
	s_mov_b32 s22, s5
	s_cbranch_execnz .LBB6_122
	s_branch .LBB6_134
.LBB6_120:                              ;   in Loop: Header=BB6_33 Depth=1
	s_set_inst_prefetch_distance 0x2
	s_or_b32 exec_lo, exec_lo, s21
	v_lshrrev_b16 v41, 8, v8
	s_and_b32 s4, s22, exec_lo
.LBB6_121:                              ;   in Loop: Header=BB6_33 Depth=1
	s_or_b32 exec_lo, exec_lo, s5
	s_mov_b32 s21, -1
	s_mov_b32 s5, 0
	s_delay_alu instid0(SALU_CYCLE_1)
	s_mov_b32 s22, s5
	s_branch .LBB6_134
.LBB6_122:                              ;   in Loop: Header=BB6_33 Depth=1
	s_add_u32 s21, s91, s14
	s_addc_u32 s5, s92, s15
	s_mov_b32 s4, s67
	s_delay_alu instid0(SALU_CYCLE_1)
	s_cmp_lg_u64 s[4:5], 0
	s_cbranch_scc0 .LBB6_163
; %bb.123:                              ;   in Loop: Header=BB6_33 Depth=1
	v_cvt_f32_u32_e32 v2, s33
	s_sub_u32 s23, 0, s33
	s_subb_u32 s56, 0, 0
	s_delay_alu instid0(VALU_DEP_1) | instskip(NEXT) | instid1(VALU_DEP_1)
	v_fmac_f32_e32 v2, 0x4f800000, v40
	v_rcp_f32_e32 v2, v2
	s_waitcnt_depctr 0xfff
	v_mul_f32_e32 v2, 0x5f7ffffc, v2
	s_delay_alu instid0(VALU_DEP_1) | instskip(NEXT) | instid1(VALU_DEP_1)
	v_mul_f32_e32 v3, 0x2f800000, v2
	v_trunc_f32_e32 v3, v3
	s_delay_alu instid0(VALU_DEP_1) | instskip(SKIP_1) | instid1(VALU_DEP_2)
	v_fmac_f32_e32 v2, 0xcf800000, v3
	v_cvt_u32_f32_e32 v3, v3
	v_cvt_u32_f32_e32 v2, v2
	s_delay_alu instid0(VALU_DEP_2) | instskip(NEXT) | instid1(VALU_DEP_2)
	v_readfirstlane_b32 s4, v3
	v_readfirstlane_b32 s22, v2
	s_delay_alu instid0(VALU_DEP_2) | instskip(NEXT) | instid1(VALU_DEP_1)
	s_mul_i32 s57, s23, s4
	s_mul_hi_u32 s70, s23, s22
	s_mul_i32 s66, s56, s22
	s_add_i32 s57, s70, s57
	s_mul_i32 s78, s23, s22
	s_add_i32 s57, s57, s66
	s_mul_hi_u32 s70, s22, s78
	s_mul_hi_u32 s79, s4, s78
	s_mul_i32 s66, s4, s78
	s_mul_hi_u32 s78, s22, s57
	s_mul_i32 s22, s22, s57
	s_mul_hi_u32 s80, s4, s57
	s_add_u32 s22, s70, s22
	s_addc_u32 s70, 0, s78
	s_add_u32 s22, s22, s66
	s_mul_i32 s57, s4, s57
	s_addc_u32 s22, s70, s79
	s_addc_u32 s66, s80, 0
	s_add_u32 s22, s22, s57
	s_addc_u32 s57, 0, s66
	v_add_co_u32 v2, s22, v2, s22
	s_delay_alu instid0(VALU_DEP_1) | instskip(SKIP_1) | instid1(VALU_DEP_1)
	s_cmp_lg_u32 s22, 0
	s_addc_u32 s4, s4, s57
	v_readfirstlane_b32 s22, v2
	s_mul_i32 s57, s23, s4
	s_delay_alu instid0(VALU_DEP_1)
	s_mul_hi_u32 s66, s23, s22
	s_mul_i32 s56, s56, s22
	s_add_i32 s57, s66, s57
	s_mul_i32 s23, s23, s22
	s_add_i32 s57, s57, s56
	s_mul_hi_u32 s66, s4, s23
	s_mul_i32 s70, s4, s23
	s_mul_hi_u32 s23, s22, s23
	s_mul_hi_u32 s78, s22, s57
	s_mul_i32 s22, s22, s57
	s_mul_hi_u32 s56, s4, s57
	s_add_u32 s22, s23, s22
	s_addc_u32 s23, 0, s78
	s_add_u32 s22, s22, s70
	s_mul_i32 s57, s4, s57
	s_addc_u32 s22, s23, s66
	s_addc_u32 s23, s56, 0
	s_add_u32 s22, s22, s57
	s_addc_u32 s23, 0, s23
	v_add_co_u32 v2, s22, v2, s22
	s_delay_alu instid0(VALU_DEP_1) | instskip(SKIP_2) | instid1(VALU_DEP_1)
	s_cmp_lg_u32 s22, 0
	s_addc_u32 s4, s4, s23
	s_ashr_i32 s22, s5, 31
	v_readfirstlane_b32 s66, v2
	s_add_u32 s56, s21, s22
	s_mov_b32 s23, s22
	s_addc_u32 s57, s5, s22
	s_delay_alu instid0(SALU_CYCLE_1) | instskip(NEXT) | instid1(SALU_CYCLE_1)
	s_xor_b64 s[56:57], s[56:57], s[22:23]
	s_mul_i32 s70, s56, s4
	s_mul_hi_u32 s78, s56, s66
	s_mul_hi_u32 s23, s56, s4
	;; [unrolled: 1-line block ×3, first 2 shown]
	s_mul_i32 s66, s57, s66
	s_add_u32 s70, s78, s70
	s_addc_u32 s23, 0, s23
	s_mul_hi_u32 s79, s57, s4
	s_add_u32 s66, s70, s66
	s_mul_i32 s4, s57, s4
	s_addc_u32 s23, s23, s80
	s_addc_u32 s66, s79, 0
	s_add_u32 s4, s23, s4
	s_addc_u32 s23, 0, s66
	s_mul_hi_u32 s66, s33, s4
	s_mul_i32 s4, s33, s4
	s_mul_i32 s23, s33, s23
	v_sub_co_u32 v2, s4, s56, s4
	s_add_i32 s66, s66, s23
	s_cmp_lg_u32 s4, 0
	s_delay_alu instid0(VALU_DEP_1) | instskip(SKIP_2) | instid1(VALU_DEP_1)
	v_sub_co_u32 v3, s4, v2, s33
	s_subb_u32 s23, s57, s66
	s_cmp_lg_u32 s4, 0
	v_cmp_le_u32_e32 vcc_lo, s33, v3
	v_sub_co_u32 v4, s4, v3, s33
	s_subb_u32 s56, s23, 0
	s_cmp_lg_u32 s4, 0
	v_cndmask_b32_e64 v5, 0, -1, vcc_lo
	s_subb_u32 s4, s56, 0
	s_cmp_eq_u32 s56, 0
	v_mov_b32_e32 v7, s4
	s_cselect_b32 vcc_lo, -1, 0
	s_cmp_eq_u32 s23, 0
	v_cndmask_b32_e32 v5, -1, v5, vcc_lo
	v_cmp_le_u32_e32 vcc_lo, s33, v2
	s_cselect_b32 s4, -1, 0
	v_cndmask_b32_e64 v6, 0, -1, vcc_lo
	s_delay_alu instid0(VALU_DEP_3) | instskip(NEXT) | instid1(VALU_DEP_2)
	v_cmp_ne_u32_e32 vcc_lo, 0, v5
	v_cndmask_b32_e64 v5, -1, v6, s4
	v_cndmask_b32_e32 v3, v3, v4, vcc_lo
	v_cndmask_b32_e32 v6, s56, v7, vcc_lo
	s_delay_alu instid0(VALU_DEP_3) | instskip(NEXT) | instid1(VALU_DEP_3)
	v_cmp_ne_u32_e32 vcc_lo, 0, v5
	v_cndmask_b32_e32 v2, v2, v3, vcc_lo
	s_delay_alu instid0(VALU_DEP_3) | instskip(NEXT) | instid1(VALU_DEP_2)
	v_cndmask_b32_e32 v4, s23, v6, vcc_lo
	v_xor_b32_e32 v2, s22, v2
	s_delay_alu instid0(VALU_DEP_2) | instskip(NEXT) | instid1(VALU_DEP_2)
	v_xor_b32_e32 v3, s22, v4
	v_sub_co_u32 v2, vcc_lo, v2, s22
	s_delay_alu instid0(VALU_DEP_2)
	v_subrev_co_ci_u32_e32 v3, vcc_lo, s22, v3, vcc_lo
	s_cbranch_execnz .LBB6_125
.LBB6_124:                              ;   in Loop: Header=BB6_33 Depth=1
	v_cvt_f32_u32_e32 v2, s33
	s_sub_i32 s4, 0, s33
	s_delay_alu instid0(VALU_DEP_1) | instskip(SKIP_2) | instid1(VALU_DEP_1)
	v_rcp_iflag_f32_e32 v2, v2
	s_waitcnt_depctr 0xfff
	v_mul_f32_e32 v2, 0x4f7ffffe, v2
	v_cvt_u32_f32_e32 v2, v2
	s_delay_alu instid0(VALU_DEP_1) | instskip(NEXT) | instid1(VALU_DEP_1)
	v_mul_lo_u32 v3, s4, v2
	v_mul_hi_u32 v3, v2, v3
	s_delay_alu instid0(VALU_DEP_1) | instskip(NEXT) | instid1(VALU_DEP_1)
	v_add_nc_u32_e32 v2, v2, v3
	v_mul_hi_u32 v2, s21, v2
	s_delay_alu instid0(VALU_DEP_1) | instskip(NEXT) | instid1(VALU_DEP_1)
	v_mul_lo_u32 v2, v2, s33
	v_sub_nc_u32_e32 v2, s21, v2
	s_delay_alu instid0(VALU_DEP_1) | instskip(SKIP_1) | instid1(VALU_DEP_2)
	v_subrev_nc_u32_e32 v3, s33, v2
	v_cmp_le_u32_e32 vcc_lo, s33, v2
	v_cndmask_b32_e32 v2, v2, v3, vcc_lo
	s_delay_alu instid0(VALU_DEP_1) | instskip(SKIP_1) | instid1(VALU_DEP_2)
	v_subrev_nc_u32_e32 v3, s33, v2
	v_cmp_le_u32_e32 vcc_lo, s33, v2
	v_cndmask_b32_e32 v12, v2, v3, vcc_lo
	s_delay_alu instid0(VALU_DEP_1)
	v_dual_mov_b32 v2, v12 :: v_dual_mov_b32 v3, v13
.LBB6_125:                              ;   in Loop: Header=BB6_33 Depth=1
	s_delay_alu instid0(VALU_DEP_1) | instskip(NEXT) | instid1(VALU_DEP_2)
	v_sub_co_u32 v2, vcc_lo, s21, v2
	v_sub_co_ci_u32_e32 v3, vcc_lo, s5, v3, vcc_lo
	s_mov_b32 s4, 0
	s_mov_b32 s5, exec_lo
                                        ; implicit-def: $vgpr41
	s_delay_alu instid0(VALU_DEP_1)
	v_cmpx_gt_i64_e64 v[2:3], v[0:1]
	s_cbranch_execz .LBB6_133
; %bb.126:                              ;   in Loop: Header=BB6_33 Depth=1
	v_dual_mov_b32 v6, v0 :: v_dual_mov_b32 v5, v1
	v_mov_b32_e32 v4, v0
	s_mov_b32 s21, 0
                                        ; implicit-def: $sgpr22
	s_set_inst_prefetch_distance 0x1
	s_branch .LBB6_128
	.p2align	6
.LBB6_127:                              ;   in Loop: Header=BB6_128 Depth=2
	s_or_b32 exec_lo, exec_lo, s4
	s_waitcnt lgkmcnt(0)
	s_barrier
	buffer_gl0_inv
	ds_load_u16 v7, v13 offset:3072
	v_add_co_u32 v4, vcc_lo, v4, s33
	v_add_co_ci_u32_e32 v5, vcc_lo, 0, v5, vcc_lo
	v_add_nc_u32_e32 v6, s33, v6
	s_waitcnt lgkmcnt(0)
	s_barrier
	s_delay_alu instid0(VALU_DEP_2) | instskip(SKIP_2) | instid1(VALU_DEP_1)
	v_cmp_ge_i64_e32 vcc_lo, v[4:5], v[2:3]
	buffer_gl0_inv
	v_and_b32_e32 v8, 0xff, v7
	v_cmp_ne_u16_e64 s4, 0, v8
	s_delay_alu instid0(VALU_DEP_1) | instskip(NEXT) | instid1(SALU_CYCLE_1)
	s_or_b32 s23, s4, vcc_lo
	s_and_b32 s23, exec_lo, s23
	s_delay_alu instid0(SALU_CYCLE_1) | instskip(SKIP_2) | instid1(SALU_CYCLE_1)
	s_or_b32 s21, s23, s21
	s_and_not1_b32 s22, s22, exec_lo
	s_and_b32 s4, s4, exec_lo
	s_or_b32 s22, s22, s4
	s_and_not1_b32 exec_lo, exec_lo, s21
	s_cbranch_execz .LBB6_132
.LBB6_128:                              ;   Parent Loop BB6_33 Depth=1
                                        ; =>  This Inner Loop Header: Depth=2
	s_delay_alu instid0(VALU_DEP_1)
	v_cmp_gt_i64_e32 vcc_lo, s[14:15], v[4:5]
	v_mov_b32_e32 v7, 0
	s_and_saveexec_b32 s4, vcc_lo
	s_cbranch_execz .LBB6_130
; %bb.129:                              ;   in Loop: Header=BB6_128 Depth=2
	ds_load_u8 v7, v6
.LBB6_130:                              ;   in Loop: Header=BB6_128 Depth=2
	s_or_b32 exec_lo, exec_lo, s4
	s_waitcnt lgkmcnt(0)
	v_and_b32_e32 v8, s62, v7
	s_delay_alu instid0(VALU_DEP_1) | instskip(NEXT) | instid1(VALU_DEP_1)
	v_and_b32_e32 v8, 0xff, v8
	v_cmp_eq_u32_e64 s4, s63, v8
	s_delay_alu instid0(VALU_DEP_1) | instskip(NEXT) | instid1(SALU_CYCLE_1)
	s_and_b32 s23, vcc_lo, s4
	s_and_saveexec_b32 s4, s23
	s_cbranch_execz .LBB6_127
; %bb.131:                              ;   in Loop: Header=BB6_128 Depth=2
	v_lshlrev_b16 v7, 8, v7
	s_delay_alu instid0(VALU_DEP_1)
	v_or_b32_e32 v7, 1, v7
	ds_store_b16 v13, v7 offset:3072
	s_branch .LBB6_127
.LBB6_132:                              ;   in Loop: Header=BB6_33 Depth=1
	s_set_inst_prefetch_distance 0x2
	s_or_b32 exec_lo, exec_lo, s21
	v_lshrrev_b16 v41, 8, v7
	s_and_b32 s4, s22, exec_lo
.LBB6_133:                              ;   in Loop: Header=BB6_33 Depth=1
	s_or_b32 exec_lo, exec_lo, s5
	s_mov_b32 s22, -1
	s_mov_b32 s5, 0
	s_mov_b32 s21, 0
.LBB6_134:                              ;   in Loop: Header=BB6_33 Depth=1
	s_and_not1_b32 s14, vcc_hi, exec_lo
	s_and_b32 s5, s5, exec_lo
	s_and_not1_b32 s15, s60, exec_lo
	s_or_b32 vcc_hi, s14, s5
	s_and_not1_b32 s5, s61, exec_lo
	s_and_b32 s14, s22, exec_lo
	s_and_b32 s21, s21, exec_lo
	s_or_b32 s61, s5, s14
	s_or_b32 s60, s15, s21
	s_and_saveexec_b32 s14, s4
	s_cbranch_execz .LBB6_32
; %bb.135:                              ;   in Loop: Header=BB6_33 Depth=1
	s_xor_b32 s4, s20, -1
	s_mov_b32 s70, 1
	s_and_not1_b32 vcc_lo, exec_lo, s4
	s_cbranch_vccnz .LBB6_146
; %bb.136:                              ;   in Loop: Header=BB6_33 Depth=1
	v_cmp_gt_i64_e64 s4, s[26:27], s[12:13]
                                        ; implicit-def: $sgpr70
                                        ; implicit-def: $sgpr5
                                        ; implicit-def: $sgpr15
	s_delay_alu instid0(VALU_DEP_1)
	s_and_b32 vcc_lo, exec_lo, s4
	s_mov_b32 s4, -1
	s_cbranch_vccnz .LBB6_142
; %bb.137:                              ;   in Loop: Header=BB6_33 Depth=1
	ds_load_b64 v[2:3], v13 offset:5120
	s_waitcnt lgkmcnt(0)
	v_cmp_ne_u64_e32 vcc_lo, 0, v[2:3]
	s_cbranch_vccnz .LBB6_141
; %bb.138:                              ;   in Loop: Header=BB6_33 Depth=1
	s_and_saveexec_b32 s4, s0
	s_cbranch_execz .LBB6_140
; %bb.139:                              ;   in Loop: Header=BB6_33 Depth=1
	v_dual_mov_b32 v2, s12 :: v_dual_mov_b32 v3, s13
	ds_store_b64 v13, v[2:3] offset:5128
.LBB6_140:                              ;   in Loop: Header=BB6_33 Depth=1
	s_or_b32 exec_lo, exec_lo, s4
	s_waitcnt lgkmcnt(0)
	s_barrier
	buffer_gl0_inv
.LBB6_141:                              ;   in Loop: Header=BB6_33 Depth=1
	s_and_b32 s5, s63, s18
	s_or_b32 s15, s62, s16
	s_mov_b32 s4, 0
	s_mov_b32 s70, 8
.LBB6_142:                              ;   in Loop: Header=BB6_33 Depth=1
	s_and_not1_b32 vcc_lo, exec_lo, s4
	s_cbranch_vccnz .LBB6_144
; %bb.143:                              ;   in Loop: Header=BB6_33 Depth=1
	s_sub_u32 s26, s26, s12
	s_subb_u32 s27, s27, s13
	s_mov_b32 s4, -1
	s_mov_b32 s70, 0
	s_mov_b32 s5, s63
	;; [unrolled: 1-line block ×3, first 2 shown]
.LBB6_144:                              ;   in Loop: Header=BB6_33 Depth=1
	s_delay_alu instid0(SALU_CYCLE_1)
	s_mov_b32 s62, s15
	s_mov_b32 s63, s5
	s_and_b32 vcc_lo, exec_lo, s4
	s_mov_b32 s15, -1
	s_cbranch_vccnz .LBB6_147
.LBB6_145:                              ;   in Loop: Header=BB6_33 Depth=1
	s_mov_b32 s5, -1
                                        ; implicit-def: $sgpr19
                                        ; implicit-def: $sgpr21
                                        ; implicit-def: $sgpr20
	s_delay_alu instid0(SALU_CYCLE_1) | instskip(NEXT) | instid1(SALU_CYCLE_1)
	s_and_saveexec_b32 s4, s5
	s_xor_b32 s4, exec_lo, s4
	s_cbranch_execz .LBB6_31
	s_branch .LBB6_287
.LBB6_146:                              ;   in Loop: Header=BB6_33 Depth=1
	s_mov_b64 s[26:27], 1
	s_mov_b32 s15, -1
	s_branch .LBB6_145
.LBB6_147:                              ;   in Loop: Header=BB6_33 Depth=1
	s_cmp_eq_u64 s[10:11], 1
	s_cselect_b32 s4, -1, 0
	s_cmp_eq_u64 s[26:27], 1
	s_cselect_b32 s5, -1, 0
	s_delay_alu instid0(SALU_CYCLE_1)
	s_and_b32 s22, s4, s5
	s_mov_b32 s4, -1
	s_and_b32 vcc_lo, exec_lo, s22
	s_cbranch_vccz .LBB6_161
; %bb.148:                              ;   in Loop: Header=BB6_33 Depth=1
	ds_load_b64 v[2:3], v13 offset:5120
	s_waitcnt lgkmcnt(0)
	s_barrier
	buffer_gl0_inv
	v_readfirstlane_b32 s12, v2
	v_readfirstlane_b32 s13, v3
	s_and_saveexec_b32 s4, s3
	s_cbranch_execz .LBB6_150
; %bb.149:                              ;   in Loop: Header=BB6_33 Depth=1
	ds_store_b8 v0, v13 offset:3072
.LBB6_150:                              ;   in Loop: Header=BB6_33 Depth=1
	s_or_b32 exec_lo, exec_lo, s4
	s_delay_alu instid0(VALU_DEP_1)
	v_cmp_gt_i64_e64 s19, s[12:13], 0
	s_lshl_b32 s4, 1, s17
	s_and_b32 s5, s63, s18
	s_or_b32 s62, s62, s16
	s_or_b32 s63, s5, s4
	s_waitcnt lgkmcnt(0)
	s_and_b32 vcc_lo, exec_lo, s19
	s_barrier
	buffer_gl0_inv
	s_cbranch_vccnz .LBB6_164
; %bb.151:                              ;   in Loop: Header=BB6_33 Depth=1
	s_mov_b32 s70, s67
	s_delay_alu instid0(SALU_CYCLE_1)
	s_cmp_lg_u64 s[70:71], 0
	s_cbranch_scc0 .LBB6_207
; %bb.152:                              ;   in Loop: Header=BB6_33 Depth=1
	v_cvt_f32_u32_e32 v2, s33
	s_sub_u32 s19, 0, s33
	s_subb_u32 s20, 0, 0
	s_delay_alu instid0(VALU_DEP_1) | instskip(NEXT) | instid1(VALU_DEP_1)
	v_fmac_f32_e32 v2, 0x4f800000, v40
	v_rcp_f32_e32 v2, v2
	s_waitcnt_depctr 0xfff
	v_mul_f32_e32 v2, 0x5f7ffffc, v2
	s_delay_alu instid0(VALU_DEP_1) | instskip(NEXT) | instid1(VALU_DEP_1)
	v_mul_f32_e32 v3, 0x2f800000, v2
	v_trunc_f32_e32 v3, v3
	s_delay_alu instid0(VALU_DEP_1) | instskip(SKIP_1) | instid1(VALU_DEP_2)
	v_fmac_f32_e32 v2, 0xcf800000, v3
	v_cvt_u32_f32_e32 v3, v3
	v_cvt_u32_f32_e32 v2, v2
	s_delay_alu instid0(VALU_DEP_2) | instskip(NEXT) | instid1(VALU_DEP_2)
	v_readfirstlane_b32 s4, v3
	v_readfirstlane_b32 s5, v2
	s_delay_alu instid0(VALU_DEP_2) | instskip(NEXT) | instid1(VALU_DEP_1)
	s_mul_i32 s21, s19, s4
	s_mul_hi_u32 s56, s19, s5
	s_mul_i32 s23, s20, s5
	s_add_i32 s21, s56, s21
	s_mul_i32 s57, s19, s5
	s_add_i32 s21, s21, s23
	s_mul_hi_u32 s56, s5, s57
	s_mul_hi_u32 s66, s4, s57
	s_mul_i32 s23, s4, s57
	s_mul_hi_u32 s57, s5, s21
	s_mul_i32 s5, s5, s21
	s_mul_hi_u32 s70, s4, s21
	s_add_u32 s5, s56, s5
	s_addc_u32 s56, 0, s57
	s_add_u32 s5, s5, s23
	s_mul_i32 s21, s4, s21
	s_addc_u32 s5, s56, s66
	s_addc_u32 s23, s70, 0
	s_add_u32 s5, s5, s21
	s_addc_u32 s21, 0, s23
	v_add_co_u32 v2, s5, v2, s5
	s_delay_alu instid0(VALU_DEP_1) | instskip(SKIP_1) | instid1(VALU_DEP_1)
	s_cmp_lg_u32 s5, 0
	s_addc_u32 s4, s4, s21
	v_readfirstlane_b32 s5, v2
	s_mul_i32 s21, s19, s4
	s_delay_alu instid0(VALU_DEP_1)
	s_mul_hi_u32 s23, s19, s5
	s_mul_i32 s20, s20, s5
	s_add_i32 s21, s23, s21
	s_mul_i32 s19, s19, s5
	s_add_i32 s21, s21, s20
	s_mul_hi_u32 s23, s4, s19
	s_mul_i32 s56, s4, s19
	s_mul_hi_u32 s19, s5, s19
	s_mul_hi_u32 s57, s5, s21
	s_mul_i32 s5, s5, s21
	s_mul_hi_u32 s20, s4, s21
	s_add_u32 s5, s19, s5
	s_addc_u32 s19, 0, s57
	s_add_u32 s5, s5, s56
	s_mul_i32 s21, s4, s21
	s_addc_u32 s5, s19, s23
	s_addc_u32 s19, s20, 0
	s_add_u32 s5, s5, s21
	s_addc_u32 s19, 0, s19
	v_add_co_u32 v2, s5, v2, s5
	s_delay_alu instid0(VALU_DEP_1) | instskip(SKIP_2) | instid1(VALU_DEP_1)
	s_cmp_lg_u32 s5, 0
	s_addc_u32 s19, s4, s19
	s_ashr_i32 s20, s71, 31
	v_readfirstlane_b32 s23, v2
	s_add_u32 s4, s93, s20
	s_mov_b32 s21, s20
	s_addc_u32 s5, s71, s20
	s_delay_alu instid0(SALU_CYCLE_1) | instskip(NEXT) | instid1(SALU_CYCLE_1)
	s_xor_b64 s[4:5], s[4:5], s[20:21]
	s_mul_i32 s56, s4, s19
	s_mul_hi_u32 s57, s4, s23
	s_mul_hi_u32 s21, s4, s19
	;; [unrolled: 1-line block ×3, first 2 shown]
	s_mul_i32 s23, s5, s23
	s_add_u32 s56, s57, s56
	s_addc_u32 s21, 0, s21
	s_mul_hi_u32 s66, s5, s19
	s_add_u32 s23, s56, s23
	s_mul_i32 s19, s5, s19
	s_addc_u32 s21, s21, s70
	s_addc_u32 s23, s66, 0
	s_add_u32 s19, s21, s19
	s_addc_u32 s21, 0, s23
	s_mul_hi_u32 s23, s33, s19
	s_mul_i32 s19, s33, s19
	s_mul_i32 s21, s33, s21
	v_sub_co_u32 v2, s4, s4, s19
	s_add_i32 s23, s23, s21
	s_cmp_lg_u32 s4, 0
	s_delay_alu instid0(VALU_DEP_1) | instskip(SKIP_2) | instid1(VALU_DEP_1)
	v_sub_co_u32 v3, s4, v2, s33
	s_subb_u32 s5, s5, s23
	s_cmp_lg_u32 s4, 0
	v_cmp_le_u32_e32 vcc_lo, s33, v3
	v_sub_co_u32 v4, s4, v3, s33
	s_subb_u32 s19, s5, 0
	s_cmp_lg_u32 s4, 0
	v_cndmask_b32_e64 v5, 0, -1, vcc_lo
	s_subb_u32 s4, s19, 0
	s_cmp_eq_u32 s19, 0
	v_mov_b32_e32 v7, s4
	s_cselect_b32 vcc_lo, -1, 0
	s_cmp_eq_u32 s5, 0
	v_cndmask_b32_e32 v5, -1, v5, vcc_lo
	v_cmp_le_u32_e32 vcc_lo, s33, v2
	s_cselect_b32 s4, -1, 0
	v_cndmask_b32_e64 v6, 0, -1, vcc_lo
	s_delay_alu instid0(VALU_DEP_3) | instskip(NEXT) | instid1(VALU_DEP_2)
	v_cmp_ne_u32_e32 vcc_lo, 0, v5
	v_cndmask_b32_e64 v5, -1, v6, s4
	v_cndmask_b32_e32 v3, v3, v4, vcc_lo
	v_cndmask_b32_e32 v6, s19, v7, vcc_lo
	s_delay_alu instid0(VALU_DEP_3) | instskip(NEXT) | instid1(VALU_DEP_3)
	v_cmp_ne_u32_e32 vcc_lo, 0, v5
	v_cndmask_b32_e32 v2, v2, v3, vcc_lo
	s_delay_alu instid0(VALU_DEP_3) | instskip(NEXT) | instid1(VALU_DEP_2)
	v_cndmask_b32_e32 v4, s5, v6, vcc_lo
	v_xor_b32_e32 v2, s20, v2
	s_delay_alu instid0(VALU_DEP_2) | instskip(NEXT) | instid1(VALU_DEP_2)
	v_xor_b32_e32 v3, s20, v4
	v_sub_co_u32 v2, vcc_lo, v2, s20
	s_delay_alu instid0(VALU_DEP_2)
	v_subrev_co_ci_u32_e32 v3, vcc_lo, s20, v3, vcc_lo
	s_cbranch_execnz .LBB6_154
.LBB6_153:                              ;   in Loop: Header=BB6_33 Depth=1
	v_cvt_f32_u32_e32 v2, s33
	s_sub_i32 s4, 0, s33
	s_delay_alu instid0(VALU_DEP_1) | instskip(SKIP_2) | instid1(VALU_DEP_1)
	v_rcp_iflag_f32_e32 v2, v2
	s_waitcnt_depctr 0xfff
	v_mul_f32_e32 v2, 0x4f7ffffe, v2
	v_cvt_u32_f32_e32 v2, v2
	s_delay_alu instid0(VALU_DEP_1) | instskip(NEXT) | instid1(VALU_DEP_1)
	v_mul_lo_u32 v3, s4, v2
	v_mul_hi_u32 v3, v2, v3
	s_delay_alu instid0(VALU_DEP_1) | instskip(NEXT) | instid1(VALU_DEP_1)
	v_add_nc_u32_e32 v2, v2, v3
	v_mul_hi_u32 v2, s93, v2
	s_delay_alu instid0(VALU_DEP_1) | instskip(NEXT) | instid1(VALU_DEP_1)
	v_mul_lo_u32 v2, v2, s33
	v_sub_nc_u32_e32 v2, s93, v2
	s_delay_alu instid0(VALU_DEP_1) | instskip(SKIP_1) | instid1(VALU_DEP_2)
	v_subrev_nc_u32_e32 v3, s33, v2
	v_cmp_le_u32_e32 vcc_lo, s33, v2
	v_cndmask_b32_e32 v2, v2, v3, vcc_lo
	s_delay_alu instid0(VALU_DEP_1) | instskip(SKIP_1) | instid1(VALU_DEP_2)
	v_subrev_nc_u32_e32 v3, s33, v2
	v_cmp_le_u32_e32 vcc_lo, s33, v2
	v_cndmask_b32_e32 v12, v2, v3, vcc_lo
	s_delay_alu instid0(VALU_DEP_1)
	v_dual_mov_b32 v2, v12 :: v_dual_mov_b32 v3, v13
.LBB6_154:                              ;   in Loop: Header=BB6_33 Depth=1
	s_delay_alu instid0(VALU_DEP_1) | instskip(NEXT) | instid1(VALU_DEP_2)
	v_sub_co_u32 v2, vcc_lo, s93, v2
	v_sub_co_ci_u32_e32 v3, vcc_lo, s71, v3, vcc_lo
	s_mov_b32 s4, 0
	s_mov_b32 s5, exec_lo
                                        ; implicit-def: $vgpr41
	s_delay_alu instid0(VALU_DEP_1)
	v_cmpx_gt_i64_e64 v[2:3], v[0:1]
	s_cbranch_execz .LBB6_166
; %bb.155:                              ;   in Loop: Header=BB6_33 Depth=1
	v_dual_mov_b32 v4, v10 :: v_dual_mov_b32 v5, v11
	v_dual_mov_b32 v7, v1 :: v_dual_mov_b32 v6, v0
	s_mov_b32 s19, 0
                                        ; implicit-def: $sgpr20
	s_set_inst_prefetch_distance 0x1
	s_branch .LBB6_157
	.p2align	6
.LBB6_156:                              ;   in Loop: Header=BB6_157 Depth=2
	s_or_b32 exec_lo, exec_lo, s4
	s_waitcnt lgkmcnt(0)
	s_barrier
	buffer_gl0_inv
	ds_load_u16 v8, v13 offset:3072
	v_add_co_u32 v6, vcc_lo, v6, s33
	v_add_co_ci_u32_e32 v7, vcc_lo, 0, v7, vcc_lo
	s_waitcnt lgkmcnt(0)
	s_barrier
	buffer_gl0_inv
	v_cmp_ge_i64_e32 vcc_lo, v[6:7], v[2:3]
	v_and_b32_e32 v9, 0xff, v8
	s_delay_alu instid0(VALU_DEP_1) | instskip(NEXT) | instid1(VALU_DEP_1)
	v_cmp_ne_u16_e64 s4, 0, v9
	s_or_b32 s21, s4, vcc_lo
	v_add_co_u32 v4, vcc_lo, v4, s88
	s_and_b32 s21, exec_lo, s21
	v_add_co_ci_u32_e32 v5, vcc_lo, s35, v5, vcc_lo
	s_or_b32 s19, s21, s19
	s_and_not1_b32 s20, s20, exec_lo
	s_and_b32 s4, s4, exec_lo
	s_delay_alu instid0(SALU_CYCLE_1)
	s_or_b32 s20, s20, s4
	s_and_not1_b32 exec_lo, exec_lo, s19
	s_cbranch_execz .LBB6_165
.LBB6_157:                              ;   Parent Loop BB6_33 Depth=1
                                        ; =>  This Inner Loop Header: Depth=2
	s_delay_alu instid0(VALU_DEP_1)
	v_cmp_gt_i64_e32 vcc_lo, s[24:25], v[6:7]
	v_mov_b32_e32 v8, 0
	s_and_saveexec_b32 s4, vcc_lo
	s_cbranch_execz .LBB6_159
; %bb.158:                              ;   in Loop: Header=BB6_157 Depth=2
	global_load_u8 v8, v[4:5], off
.LBB6_159:                              ;   in Loop: Header=BB6_157 Depth=2
	s_or_b32 exec_lo, exec_lo, s4
	s_waitcnt vmcnt(0)
	v_and_b32_e32 v9, s62, v8
	s_delay_alu instid0(VALU_DEP_1) | instskip(NEXT) | instid1(VALU_DEP_1)
	v_and_b32_e32 v9, 0xff, v9
	v_cmp_eq_u32_e64 s4, s63, v9
	s_delay_alu instid0(VALU_DEP_1) | instskip(NEXT) | instid1(SALU_CYCLE_1)
	s_and_b32 s21, vcc_lo, s4
	s_and_saveexec_b32 s4, s21
	s_cbranch_execz .LBB6_156
; %bb.160:                              ;   in Loop: Header=BB6_157 Depth=2
	v_lshlrev_b16 v8, 8, v8
	s_delay_alu instid0(VALU_DEP_1)
	v_or_b32_e32 v8, 1, v8
	ds_store_b16 v13, v8 offset:3072
	s_branch .LBB6_156
.LBB6_161:                              ;   in Loop: Header=BB6_33 Depth=1
                                        ; implicit-def: $sgpr20
                                        ; implicit-def: $sgpr21
                                        ; implicit-def: $sgpr19
	s_branch .LBB6_179
.LBB6_162:                              ;   in Loop: Header=BB6_33 Depth=1
                                        ; implicit-def: $vgpr2_vgpr3
	s_branch .LBB6_110
.LBB6_163:                              ;   in Loop: Header=BB6_33 Depth=1
                                        ; implicit-def: $vgpr2_vgpr3
	s_branch .LBB6_124
.LBB6_164:                              ;   in Loop: Header=BB6_33 Depth=1
	s_mov_b32 s20, -1
	s_mov_b32 s4, 0
                                        ; implicit-def: $sgpr19
                                        ; implicit-def: $vgpr41
	s_mov_b32 s21, s20
	s_cbranch_execnz .LBB6_167
	s_branch .LBB6_179
.LBB6_165:                              ;   in Loop: Header=BB6_33 Depth=1
	s_set_inst_prefetch_distance 0x2
	s_or_b32 exec_lo, exec_lo, s19
	v_lshrrev_b16 v41, 8, v8
	s_and_b32 s4, s20, exec_lo
.LBB6_166:                              ;   in Loop: Header=BB6_33 Depth=1
	s_or_b32 exec_lo, exec_lo, s5
	s_mov_b32 s19, -1
	s_mov_b32 s20, 0
	s_delay_alu instid0(SALU_CYCLE_1)
	s_mov_b32 s21, s20
	s_branch .LBB6_179
.LBB6_167:                              ;   in Loop: Header=BB6_33 Depth=1
	s_add_u32 s19, s91, s12
	s_addc_u32 s5, s92, s13
	s_mov_b32 s4, s67
	s_delay_alu instid0(SALU_CYCLE_1)
	s_cmp_lg_u64 s[4:5], 0
	s_cbranch_scc0 .LBB6_208
; %bb.168:                              ;   in Loop: Header=BB6_33 Depth=1
	v_cvt_f32_u32_e32 v2, s33
	s_sub_u32 s21, 0, s33
	s_subb_u32 s23, 0, 0
	s_delay_alu instid0(VALU_DEP_1) | instskip(NEXT) | instid1(VALU_DEP_1)
	v_fmac_f32_e32 v2, 0x4f800000, v40
	v_rcp_f32_e32 v2, v2
	s_waitcnt_depctr 0xfff
	v_mul_f32_e32 v2, 0x5f7ffffc, v2
	s_delay_alu instid0(VALU_DEP_1) | instskip(NEXT) | instid1(VALU_DEP_1)
	v_mul_f32_e32 v3, 0x2f800000, v2
	v_trunc_f32_e32 v3, v3
	s_delay_alu instid0(VALU_DEP_1) | instskip(SKIP_1) | instid1(VALU_DEP_2)
	v_fmac_f32_e32 v2, 0xcf800000, v3
	v_cvt_u32_f32_e32 v3, v3
	v_cvt_u32_f32_e32 v2, v2
	s_delay_alu instid0(VALU_DEP_2) | instskip(NEXT) | instid1(VALU_DEP_2)
	v_readfirstlane_b32 s4, v3
	v_readfirstlane_b32 s20, v2
	s_delay_alu instid0(VALU_DEP_2) | instskip(NEXT) | instid1(VALU_DEP_1)
	s_mul_i32 s56, s21, s4
	s_mul_hi_u32 s66, s21, s20
	s_mul_i32 s57, s23, s20
	s_add_i32 s56, s66, s56
	s_mul_i32 s70, s21, s20
	s_add_i32 s56, s56, s57
	s_mul_hi_u32 s66, s20, s70
	s_mul_hi_u32 s78, s4, s70
	s_mul_i32 s57, s4, s70
	s_mul_hi_u32 s70, s20, s56
	s_mul_i32 s20, s20, s56
	s_mul_hi_u32 s79, s4, s56
	s_add_u32 s20, s66, s20
	s_addc_u32 s66, 0, s70
	s_add_u32 s20, s20, s57
	s_mul_i32 s56, s4, s56
	s_addc_u32 s20, s66, s78
	s_addc_u32 s57, s79, 0
	s_add_u32 s20, s20, s56
	s_addc_u32 s56, 0, s57
	v_add_co_u32 v2, s20, v2, s20
	s_delay_alu instid0(VALU_DEP_1) | instskip(SKIP_1) | instid1(VALU_DEP_1)
	s_cmp_lg_u32 s20, 0
	s_addc_u32 s4, s4, s56
	v_readfirstlane_b32 s20, v2
	s_mul_i32 s56, s21, s4
	s_delay_alu instid0(VALU_DEP_1)
	s_mul_hi_u32 s57, s21, s20
	s_mul_i32 s23, s23, s20
	s_add_i32 s56, s57, s56
	s_mul_i32 s21, s21, s20
	s_add_i32 s56, s56, s23
	s_mul_hi_u32 s57, s4, s21
	s_mul_i32 s66, s4, s21
	s_mul_hi_u32 s21, s20, s21
	s_mul_hi_u32 s70, s20, s56
	s_mul_i32 s20, s20, s56
	s_mul_hi_u32 s23, s4, s56
	s_add_u32 s20, s21, s20
	s_addc_u32 s21, 0, s70
	s_add_u32 s20, s20, s66
	s_mul_i32 s56, s4, s56
	s_addc_u32 s20, s21, s57
	s_addc_u32 s21, s23, 0
	s_add_u32 s20, s20, s56
	s_addc_u32 s21, 0, s21
	v_add_co_u32 v2, s20, v2, s20
	s_delay_alu instid0(VALU_DEP_1) | instskip(SKIP_2) | instid1(VALU_DEP_1)
	s_cmp_lg_u32 s20, 0
	s_addc_u32 s4, s4, s21
	s_ashr_i32 s20, s5, 31
	v_readfirstlane_b32 s23, v2
	s_add_u32 s56, s19, s20
	s_mov_b32 s21, s20
	s_addc_u32 s57, s5, s20
	s_delay_alu instid0(SALU_CYCLE_1) | instskip(NEXT) | instid1(SALU_CYCLE_1)
	s_xor_b64 s[56:57], s[56:57], s[20:21]
	s_mul_i32 s66, s56, s4
	s_mul_hi_u32 s70, s56, s23
	s_mul_hi_u32 s21, s56, s4
	s_mul_hi_u32 s79, s57, s23
	s_mul_i32 s23, s57, s23
	s_add_u32 s66, s70, s66
	s_addc_u32 s21, 0, s21
	s_mul_hi_u32 s78, s57, s4
	s_add_u32 s23, s66, s23
	s_mul_i32 s4, s57, s4
	s_addc_u32 s21, s21, s79
	s_addc_u32 s23, s78, 0
	s_add_u32 s4, s21, s4
	s_addc_u32 s21, 0, s23
	s_mul_hi_u32 s23, s33, s4
	s_mul_i32 s4, s33, s4
	s_mul_i32 s21, s33, s21
	v_sub_co_u32 v2, s4, s56, s4
	s_add_i32 s23, s23, s21
	s_cmp_lg_u32 s4, 0
	s_delay_alu instid0(VALU_DEP_1) | instskip(SKIP_2) | instid1(VALU_DEP_1)
	v_sub_co_u32 v3, s4, v2, s33
	s_subb_u32 s21, s57, s23
	s_cmp_lg_u32 s4, 0
	v_cmp_le_u32_e32 vcc_lo, s33, v3
	v_sub_co_u32 v4, s4, v3, s33
	s_subb_u32 s23, s21, 0
	s_cmp_lg_u32 s4, 0
	v_cndmask_b32_e64 v5, 0, -1, vcc_lo
	s_subb_u32 s4, s23, 0
	s_cmp_eq_u32 s23, 0
	v_mov_b32_e32 v7, s4
	s_cselect_b32 vcc_lo, -1, 0
	s_cmp_eq_u32 s21, 0
	v_cndmask_b32_e32 v5, -1, v5, vcc_lo
	v_cmp_le_u32_e32 vcc_lo, s33, v2
	s_cselect_b32 s4, -1, 0
	v_cndmask_b32_e64 v6, 0, -1, vcc_lo
	s_delay_alu instid0(VALU_DEP_3) | instskip(NEXT) | instid1(VALU_DEP_2)
	v_cmp_ne_u32_e32 vcc_lo, 0, v5
	v_cndmask_b32_e64 v5, -1, v6, s4
	v_cndmask_b32_e32 v3, v3, v4, vcc_lo
	v_cndmask_b32_e32 v6, s23, v7, vcc_lo
	s_delay_alu instid0(VALU_DEP_3) | instskip(NEXT) | instid1(VALU_DEP_3)
	v_cmp_ne_u32_e32 vcc_lo, 0, v5
	v_cndmask_b32_e32 v2, v2, v3, vcc_lo
	s_delay_alu instid0(VALU_DEP_3) | instskip(NEXT) | instid1(VALU_DEP_2)
	v_cndmask_b32_e32 v4, s21, v6, vcc_lo
	v_xor_b32_e32 v2, s20, v2
	s_delay_alu instid0(VALU_DEP_2) | instskip(NEXT) | instid1(VALU_DEP_2)
	v_xor_b32_e32 v3, s20, v4
	v_sub_co_u32 v2, vcc_lo, v2, s20
	s_delay_alu instid0(VALU_DEP_2)
	v_subrev_co_ci_u32_e32 v3, vcc_lo, s20, v3, vcc_lo
	s_cbranch_execnz .LBB6_170
.LBB6_169:                              ;   in Loop: Header=BB6_33 Depth=1
	v_cvt_f32_u32_e32 v2, s33
	s_sub_i32 s4, 0, s33
	s_delay_alu instid0(VALU_DEP_1) | instskip(SKIP_2) | instid1(VALU_DEP_1)
	v_rcp_iflag_f32_e32 v2, v2
	s_waitcnt_depctr 0xfff
	v_mul_f32_e32 v2, 0x4f7ffffe, v2
	v_cvt_u32_f32_e32 v2, v2
	s_delay_alu instid0(VALU_DEP_1) | instskip(NEXT) | instid1(VALU_DEP_1)
	v_mul_lo_u32 v3, s4, v2
	v_mul_hi_u32 v3, v2, v3
	s_delay_alu instid0(VALU_DEP_1) | instskip(NEXT) | instid1(VALU_DEP_1)
	v_add_nc_u32_e32 v2, v2, v3
	v_mul_hi_u32 v2, s19, v2
	s_delay_alu instid0(VALU_DEP_1) | instskip(NEXT) | instid1(VALU_DEP_1)
	v_mul_lo_u32 v2, v2, s33
	v_sub_nc_u32_e32 v2, s19, v2
	s_delay_alu instid0(VALU_DEP_1) | instskip(SKIP_1) | instid1(VALU_DEP_2)
	v_subrev_nc_u32_e32 v3, s33, v2
	v_cmp_le_u32_e32 vcc_lo, s33, v2
	v_cndmask_b32_e32 v2, v2, v3, vcc_lo
	s_delay_alu instid0(VALU_DEP_1) | instskip(SKIP_1) | instid1(VALU_DEP_2)
	v_subrev_nc_u32_e32 v3, s33, v2
	v_cmp_le_u32_e32 vcc_lo, s33, v2
	v_cndmask_b32_e32 v12, v2, v3, vcc_lo
	s_delay_alu instid0(VALU_DEP_1)
	v_dual_mov_b32 v2, v12 :: v_dual_mov_b32 v3, v13
.LBB6_170:                              ;   in Loop: Header=BB6_33 Depth=1
	s_delay_alu instid0(VALU_DEP_1) | instskip(NEXT) | instid1(VALU_DEP_2)
	v_sub_co_u32 v2, vcc_lo, s19, v2
	v_sub_co_ci_u32_e32 v3, vcc_lo, s5, v3, vcc_lo
	s_mov_b32 s4, 0
	s_mov_b32 s5, exec_lo
                                        ; implicit-def: $vgpr41
	s_delay_alu instid0(VALU_DEP_1)
	v_cmpx_gt_i64_e64 v[2:3], v[0:1]
	s_cbranch_execz .LBB6_178
; %bb.171:                              ;   in Loop: Header=BB6_33 Depth=1
	v_dual_mov_b32 v6, v0 :: v_dual_mov_b32 v5, v1
	v_mov_b32_e32 v4, v0
	s_mov_b32 s19, 0
                                        ; implicit-def: $sgpr20
	s_set_inst_prefetch_distance 0x1
	s_branch .LBB6_173
	.p2align	6
.LBB6_172:                              ;   in Loop: Header=BB6_173 Depth=2
	s_or_b32 exec_lo, exec_lo, s4
	s_waitcnt lgkmcnt(0)
	s_barrier
	buffer_gl0_inv
	ds_load_u16 v7, v13 offset:3072
	v_add_co_u32 v4, vcc_lo, v4, s33
	v_add_co_ci_u32_e32 v5, vcc_lo, 0, v5, vcc_lo
	v_add_nc_u32_e32 v6, s33, v6
	s_waitcnt lgkmcnt(0)
	s_barrier
	s_delay_alu instid0(VALU_DEP_2) | instskip(SKIP_2) | instid1(VALU_DEP_1)
	v_cmp_ge_i64_e32 vcc_lo, v[4:5], v[2:3]
	buffer_gl0_inv
	v_and_b32_e32 v8, 0xff, v7
	v_cmp_ne_u16_e64 s4, 0, v8
	s_delay_alu instid0(VALU_DEP_1) | instskip(NEXT) | instid1(SALU_CYCLE_1)
	s_or_b32 s21, s4, vcc_lo
	s_and_b32 s21, exec_lo, s21
	s_delay_alu instid0(SALU_CYCLE_1) | instskip(SKIP_2) | instid1(SALU_CYCLE_1)
	s_or_b32 s19, s21, s19
	s_and_not1_b32 s20, s20, exec_lo
	s_and_b32 s4, s4, exec_lo
	s_or_b32 s20, s20, s4
	s_and_not1_b32 exec_lo, exec_lo, s19
	s_cbranch_execz .LBB6_177
.LBB6_173:                              ;   Parent Loop BB6_33 Depth=1
                                        ; =>  This Inner Loop Header: Depth=2
	s_delay_alu instid0(VALU_DEP_1)
	v_cmp_gt_i64_e32 vcc_lo, s[12:13], v[4:5]
	v_mov_b32_e32 v7, 0
	s_and_saveexec_b32 s4, vcc_lo
	s_cbranch_execz .LBB6_175
; %bb.174:                              ;   in Loop: Header=BB6_173 Depth=2
	ds_load_u8 v7, v6
.LBB6_175:                              ;   in Loop: Header=BB6_173 Depth=2
	s_or_b32 exec_lo, exec_lo, s4
	s_waitcnt lgkmcnt(0)
	v_and_b32_e32 v8, s62, v7
	s_delay_alu instid0(VALU_DEP_1) | instskip(NEXT) | instid1(VALU_DEP_1)
	v_and_b32_e32 v8, 0xff, v8
	v_cmp_eq_u32_e64 s4, s63, v8
	s_delay_alu instid0(VALU_DEP_1) | instskip(NEXT) | instid1(SALU_CYCLE_1)
	s_and_b32 s21, vcc_lo, s4
	s_and_saveexec_b32 s4, s21
	s_cbranch_execz .LBB6_172
; %bb.176:                              ;   in Loop: Header=BB6_173 Depth=2
	v_lshlrev_b16 v7, 8, v7
	s_delay_alu instid0(VALU_DEP_1)
	v_or_b32_e32 v7, 1, v7
	ds_store_b16 v13, v7 offset:3072
	s_branch .LBB6_172
.LBB6_177:                              ;   in Loop: Header=BB6_33 Depth=1
	s_set_inst_prefetch_distance 0x2
	s_or_b32 exec_lo, exec_lo, s19
	v_lshrrev_b16 v41, 8, v7
	s_and_b32 s4, s20, exec_lo
.LBB6_178:                              ;   in Loop: Header=BB6_33 Depth=1
	s_or_b32 exec_lo, exec_lo, s5
	s_mov_b32 s21, -1
	s_mov_b32 s20, 0
	s_mov_b32 s19, 0
.LBB6_179:                              ;   in Loop: Header=BB6_33 Depth=1
	s_mov_b32 s5, 0
                                        ; implicit-def: $sgpr70
	s_and_saveexec_b32 s12, s4
	s_cbranch_execz .LBB6_286
; %bb.180:                              ;   in Loop: Header=BB6_33 Depth=1
	s_xor_b32 s4, s22, -1
	s_mov_b32 s70, 1
	s_and_not1_b32 vcc_lo, exec_lo, s4
	s_cbranch_vccnz .LBB6_191
; %bb.181:                              ;   in Loop: Header=BB6_33 Depth=1
	v_cmp_gt_i64_e64 s4, s[26:27], s[10:11]
                                        ; implicit-def: $sgpr70
                                        ; implicit-def: $sgpr5
                                        ; implicit-def: $sgpr13
	s_delay_alu instid0(VALU_DEP_1)
	s_and_b32 vcc_lo, exec_lo, s4
	s_mov_b32 s4, -1
	s_cbranch_vccnz .LBB6_187
; %bb.182:                              ;   in Loop: Header=BB6_33 Depth=1
	ds_load_b64 v[2:3], v13 offset:5120
	s_waitcnt lgkmcnt(0)
	v_cmp_ne_u64_e32 vcc_lo, 0, v[2:3]
	s_cbranch_vccnz .LBB6_186
; %bb.183:                              ;   in Loop: Header=BB6_33 Depth=1
	s_and_saveexec_b32 s4, s0
	s_cbranch_execz .LBB6_185
; %bb.184:                              ;   in Loop: Header=BB6_33 Depth=1
	v_dual_mov_b32 v2, s10 :: v_dual_mov_b32 v3, s11
	ds_store_b64 v13, v[2:3] offset:5128
.LBB6_185:                              ;   in Loop: Header=BB6_33 Depth=1
	s_or_b32 exec_lo, exec_lo, s4
	s_waitcnt lgkmcnt(0)
	s_barrier
	buffer_gl0_inv
.LBB6_186:                              ;   in Loop: Header=BB6_33 Depth=1
	s_lshl_b32 s4, 1, s17
	s_and_b32 s5, s63, s18
	s_or_b32 s13, s62, s16
	s_or_b32 s5, s5, s4
	s_mov_b32 s4, 0
	s_mov_b32 s70, 8
.LBB6_187:                              ;   in Loop: Header=BB6_33 Depth=1
	s_and_not1_b32 vcc_lo, exec_lo, s4
	s_cbranch_vccnz .LBB6_189
; %bb.188:                              ;   in Loop: Header=BB6_33 Depth=1
	s_sub_u32 s26, s26, s10
	s_subb_u32 s27, s27, s11
	s_mov_b32 s4, -1
	s_mov_b32 s70, 0
	s_mov_b32 s5, s63
	;; [unrolled: 1-line block ×3, first 2 shown]
.LBB6_189:                              ;   in Loop: Header=BB6_33 Depth=1
	s_delay_alu instid0(SALU_CYCLE_1)
	s_mov_b32 s62, s13
	s_mov_b32 s63, s5
	s_and_not1_b32 vcc_lo, exec_lo, s4
	s_mov_b32 s5, -1
	s_cbranch_vccz .LBB6_192
.LBB6_190:                              ;   in Loop: Header=BB6_33 Depth=1
                                        ; implicit-def: $sgpr22
                                        ; implicit-def: $sgpr23
                                        ; implicit-def: $sgpr13
	s_branch .LBB6_285
.LBB6_191:                              ;   in Loop: Header=BB6_33 Depth=1
	s_mov_b64 s[26:27], 1
	s_mov_b32 s5, -1
	s_cbranch_execnz .LBB6_190
.LBB6_192:                              ;   in Loop: Header=BB6_33 Depth=1
	s_cmp_eq_u64 s[8:9], 1
	s_cselect_b32 s4, -1, 0
	s_cmp_eq_u64 s[26:27], 1
	s_cselect_b32 s5, -1, 0
	s_delay_alu instid0(SALU_CYCLE_1)
	s_and_b32 s66, s4, s5
	s_mov_b32 s4, -1
	s_and_b32 vcc_lo, exec_lo, s66
	s_cbranch_vccz .LBB6_206
; %bb.193:                              ;   in Loop: Header=BB6_33 Depth=1
	ds_load_b64 v[2:3], v13 offset:5120
	s_waitcnt lgkmcnt(0)
	s_barrier
	buffer_gl0_inv
	v_readfirstlane_b32 s10, v2
	v_readfirstlane_b32 s11, v3
	s_and_saveexec_b32 s4, s3
	s_cbranch_execz .LBB6_195
; %bb.194:                              ;   in Loop: Header=BB6_33 Depth=1
	ds_store_b8 v0, v13 offset:3072
.LBB6_195:                              ;   in Loop: Header=BB6_33 Depth=1
	s_or_b32 exec_lo, exec_lo, s4
	s_delay_alu instid0(VALU_DEP_1)
	v_cmp_gt_i64_e64 s13, s[10:11], 0
	s_lshl_b32 s4, 2, s17
	s_and_b32 s5, s63, s18
	s_or_b32 s62, s62, s16
	s_or_b32 s63, s5, s4
	s_waitcnt lgkmcnt(0)
	s_and_b32 vcc_lo, exec_lo, s13
	s_barrier
	buffer_gl0_inv
	s_cbranch_vccnz .LBB6_209
; %bb.196:                              ;   in Loop: Header=BB6_33 Depth=1
	s_mov_b32 s70, s67
	s_delay_alu instid0(SALU_CYCLE_1)
	s_cmp_lg_u64 s[70:71], 0
	s_cbranch_scc0 .LBB6_252
; %bb.197:                              ;   in Loop: Header=BB6_33 Depth=1
	v_cvt_f32_u32_e32 v2, s33
	s_sub_u32 s13, 0, s33
	s_subb_u32 s22, 0, 0
	s_delay_alu instid0(VALU_DEP_1) | instskip(NEXT) | instid1(VALU_DEP_1)
	v_fmac_f32_e32 v2, 0x4f800000, v40
	v_rcp_f32_e32 v2, v2
	s_waitcnt_depctr 0xfff
	v_mul_f32_e32 v2, 0x5f7ffffc, v2
	s_delay_alu instid0(VALU_DEP_1) | instskip(NEXT) | instid1(VALU_DEP_1)
	v_mul_f32_e32 v3, 0x2f800000, v2
	v_trunc_f32_e32 v3, v3
	s_delay_alu instid0(VALU_DEP_1) | instskip(SKIP_1) | instid1(VALU_DEP_2)
	v_fmac_f32_e32 v2, 0xcf800000, v3
	v_cvt_u32_f32_e32 v3, v3
	v_cvt_u32_f32_e32 v2, v2
	s_delay_alu instid0(VALU_DEP_2) | instskip(NEXT) | instid1(VALU_DEP_2)
	v_readfirstlane_b32 s4, v3
	v_readfirstlane_b32 s5, v2
	s_delay_alu instid0(VALU_DEP_2) | instskip(NEXT) | instid1(VALU_DEP_1)
	s_mul_i32 s23, s13, s4
	s_mul_hi_u32 s57, s13, s5
	s_mul_i32 s56, s22, s5
	s_add_i32 s23, s57, s23
	s_mul_i32 s70, s13, s5
	s_add_i32 s23, s23, s56
	s_mul_hi_u32 s57, s5, s70
	s_mul_hi_u32 s78, s4, s70
	s_mul_i32 s56, s4, s70
	s_mul_hi_u32 s70, s5, s23
	s_mul_i32 s5, s5, s23
	s_mul_hi_u32 s79, s4, s23
	s_add_u32 s5, s57, s5
	s_addc_u32 s57, 0, s70
	s_add_u32 s5, s5, s56
	s_mul_i32 s23, s4, s23
	s_addc_u32 s5, s57, s78
	s_addc_u32 s56, s79, 0
	s_add_u32 s5, s5, s23
	s_addc_u32 s23, 0, s56
	v_add_co_u32 v2, s5, v2, s5
	s_delay_alu instid0(VALU_DEP_1) | instskip(SKIP_1) | instid1(VALU_DEP_1)
	s_cmp_lg_u32 s5, 0
	s_addc_u32 s4, s4, s23
	v_readfirstlane_b32 s5, v2
	s_mul_i32 s23, s13, s4
	s_delay_alu instid0(VALU_DEP_1)
	s_mul_hi_u32 s56, s13, s5
	s_mul_i32 s22, s22, s5
	s_add_i32 s23, s56, s23
	s_mul_i32 s13, s13, s5
	s_add_i32 s23, s23, s22
	s_mul_hi_u32 s56, s4, s13
	s_mul_i32 s57, s4, s13
	s_mul_hi_u32 s13, s5, s13
	s_mul_hi_u32 s70, s5, s23
	s_mul_i32 s5, s5, s23
	s_mul_hi_u32 s22, s4, s23
	s_add_u32 s5, s13, s5
	s_addc_u32 s13, 0, s70
	s_add_u32 s5, s5, s57
	s_mul_i32 s23, s4, s23
	s_addc_u32 s5, s13, s56
	s_addc_u32 s13, s22, 0
	s_add_u32 s5, s5, s23
	s_addc_u32 s13, 0, s13
	v_add_co_u32 v2, s5, v2, s5
	s_delay_alu instid0(VALU_DEP_1) | instskip(SKIP_2) | instid1(VALU_DEP_1)
	s_cmp_lg_u32 s5, 0
	s_addc_u32 s13, s4, s13
	s_ashr_i32 s22, s71, 31
	v_readfirstlane_b32 s56, v2
	s_add_u32 s4, s93, s22
	s_mov_b32 s23, s22
	s_addc_u32 s5, s71, s22
	s_delay_alu instid0(SALU_CYCLE_1) | instskip(NEXT) | instid1(SALU_CYCLE_1)
	s_xor_b64 s[4:5], s[4:5], s[22:23]
	s_mul_i32 s57, s4, s13
	s_mul_hi_u32 s70, s4, s56
	s_mul_hi_u32 s23, s4, s13
	;; [unrolled: 1-line block ×3, first 2 shown]
	s_mul_i32 s56, s5, s56
	s_add_u32 s57, s70, s57
	s_addc_u32 s23, 0, s23
	s_mul_hi_u32 s78, s5, s13
	s_add_u32 s56, s57, s56
	s_mul_i32 s13, s5, s13
	s_addc_u32 s23, s23, s79
	s_addc_u32 s56, s78, 0
	s_add_u32 s13, s23, s13
	s_addc_u32 s23, 0, s56
	s_mul_hi_u32 s56, s33, s13
	s_mul_i32 s13, s33, s13
	s_mul_i32 s23, s33, s23
	v_sub_co_u32 v2, s4, s4, s13
	s_add_i32 s56, s56, s23
	s_cmp_lg_u32 s4, 0
	s_delay_alu instid0(VALU_DEP_1) | instskip(SKIP_2) | instid1(VALU_DEP_1)
	v_sub_co_u32 v3, s4, v2, s33
	s_subb_u32 s5, s5, s56
	s_cmp_lg_u32 s4, 0
	v_cmp_le_u32_e32 vcc_lo, s33, v3
	v_sub_co_u32 v4, s4, v3, s33
	s_subb_u32 s13, s5, 0
	s_cmp_lg_u32 s4, 0
	v_cndmask_b32_e64 v5, 0, -1, vcc_lo
	s_subb_u32 s4, s13, 0
	s_cmp_eq_u32 s13, 0
	v_mov_b32_e32 v7, s4
	s_cselect_b32 vcc_lo, -1, 0
	s_cmp_eq_u32 s5, 0
	v_cndmask_b32_e32 v5, -1, v5, vcc_lo
	v_cmp_le_u32_e32 vcc_lo, s33, v2
	s_cselect_b32 s4, -1, 0
	v_cndmask_b32_e64 v6, 0, -1, vcc_lo
	s_delay_alu instid0(VALU_DEP_3) | instskip(NEXT) | instid1(VALU_DEP_2)
	v_cmp_ne_u32_e32 vcc_lo, 0, v5
	v_cndmask_b32_e64 v5, -1, v6, s4
	v_cndmask_b32_e32 v3, v3, v4, vcc_lo
	v_cndmask_b32_e32 v6, s13, v7, vcc_lo
	s_delay_alu instid0(VALU_DEP_3) | instskip(NEXT) | instid1(VALU_DEP_3)
	v_cmp_ne_u32_e32 vcc_lo, 0, v5
	v_cndmask_b32_e32 v2, v2, v3, vcc_lo
	s_delay_alu instid0(VALU_DEP_3) | instskip(NEXT) | instid1(VALU_DEP_2)
	v_cndmask_b32_e32 v4, s5, v6, vcc_lo
	v_xor_b32_e32 v2, s22, v2
	s_delay_alu instid0(VALU_DEP_2) | instskip(NEXT) | instid1(VALU_DEP_2)
	v_xor_b32_e32 v3, s22, v4
	v_sub_co_u32 v2, vcc_lo, v2, s22
	s_delay_alu instid0(VALU_DEP_2)
	v_subrev_co_ci_u32_e32 v3, vcc_lo, s22, v3, vcc_lo
	s_cbranch_execnz .LBB6_199
.LBB6_198:                              ;   in Loop: Header=BB6_33 Depth=1
	v_cvt_f32_u32_e32 v2, s33
	s_sub_i32 s4, 0, s33
	s_delay_alu instid0(VALU_DEP_1) | instskip(SKIP_2) | instid1(VALU_DEP_1)
	v_rcp_iflag_f32_e32 v2, v2
	s_waitcnt_depctr 0xfff
	v_mul_f32_e32 v2, 0x4f7ffffe, v2
	v_cvt_u32_f32_e32 v2, v2
	s_delay_alu instid0(VALU_DEP_1) | instskip(NEXT) | instid1(VALU_DEP_1)
	v_mul_lo_u32 v3, s4, v2
	v_mul_hi_u32 v3, v2, v3
	s_delay_alu instid0(VALU_DEP_1) | instskip(NEXT) | instid1(VALU_DEP_1)
	v_add_nc_u32_e32 v2, v2, v3
	v_mul_hi_u32 v2, s93, v2
	s_delay_alu instid0(VALU_DEP_1) | instskip(NEXT) | instid1(VALU_DEP_1)
	v_mul_lo_u32 v2, v2, s33
	v_sub_nc_u32_e32 v2, s93, v2
	s_delay_alu instid0(VALU_DEP_1) | instskip(SKIP_1) | instid1(VALU_DEP_2)
	v_subrev_nc_u32_e32 v3, s33, v2
	v_cmp_le_u32_e32 vcc_lo, s33, v2
	v_cndmask_b32_e32 v2, v2, v3, vcc_lo
	s_delay_alu instid0(VALU_DEP_1) | instskip(SKIP_1) | instid1(VALU_DEP_2)
	v_subrev_nc_u32_e32 v3, s33, v2
	v_cmp_le_u32_e32 vcc_lo, s33, v2
	v_cndmask_b32_e32 v12, v2, v3, vcc_lo
	s_delay_alu instid0(VALU_DEP_1)
	v_dual_mov_b32 v2, v12 :: v_dual_mov_b32 v3, v13
.LBB6_199:                              ;   in Loop: Header=BB6_33 Depth=1
	s_delay_alu instid0(VALU_DEP_1) | instskip(NEXT) | instid1(VALU_DEP_2)
	v_sub_co_u32 v2, vcc_lo, s93, v2
	v_sub_co_ci_u32_e32 v3, vcc_lo, s71, v3, vcc_lo
	s_mov_b32 s4, 0
	s_mov_b32 s5, exec_lo
                                        ; implicit-def: $vgpr41
	s_delay_alu instid0(VALU_DEP_1)
	v_cmpx_gt_i64_e64 v[2:3], v[0:1]
	s_cbranch_execz .LBB6_211
; %bb.200:                              ;   in Loop: Header=BB6_33 Depth=1
	v_dual_mov_b32 v4, v10 :: v_dual_mov_b32 v5, v11
	v_dual_mov_b32 v7, v1 :: v_dual_mov_b32 v6, v0
	s_mov_b32 s13, 0
                                        ; implicit-def: $sgpr22
	s_set_inst_prefetch_distance 0x1
	s_branch .LBB6_202
	.p2align	6
.LBB6_201:                              ;   in Loop: Header=BB6_202 Depth=2
	s_or_b32 exec_lo, exec_lo, s4
	s_waitcnt lgkmcnt(0)
	s_barrier
	buffer_gl0_inv
	ds_load_u16 v8, v13 offset:3072
	v_add_co_u32 v6, vcc_lo, v6, s33
	v_add_co_ci_u32_e32 v7, vcc_lo, 0, v7, vcc_lo
	s_waitcnt lgkmcnt(0)
	s_barrier
	buffer_gl0_inv
	v_cmp_ge_i64_e32 vcc_lo, v[6:7], v[2:3]
	v_and_b32_e32 v9, 0xff, v8
	s_delay_alu instid0(VALU_DEP_1) | instskip(NEXT) | instid1(VALU_DEP_1)
	v_cmp_ne_u16_e64 s4, 0, v9
	s_or_b32 s23, s4, vcc_lo
	v_add_co_u32 v4, vcc_lo, v4, s88
	s_and_b32 s23, exec_lo, s23
	v_add_co_ci_u32_e32 v5, vcc_lo, s35, v5, vcc_lo
	s_or_b32 s13, s23, s13
	s_and_not1_b32 s22, s22, exec_lo
	s_and_b32 s4, s4, exec_lo
	s_delay_alu instid0(SALU_CYCLE_1)
	s_or_b32 s22, s22, s4
	s_and_not1_b32 exec_lo, exec_lo, s13
	s_cbranch_execz .LBB6_210
.LBB6_202:                              ;   Parent Loop BB6_33 Depth=1
                                        ; =>  This Inner Loop Header: Depth=2
	s_delay_alu instid0(VALU_DEP_1)
	v_cmp_gt_i64_e32 vcc_lo, s[24:25], v[6:7]
	v_mov_b32_e32 v8, 0
	s_and_saveexec_b32 s4, vcc_lo
	s_cbranch_execz .LBB6_204
; %bb.203:                              ;   in Loop: Header=BB6_202 Depth=2
	global_load_u8 v8, v[4:5], off
.LBB6_204:                              ;   in Loop: Header=BB6_202 Depth=2
	s_or_b32 exec_lo, exec_lo, s4
	s_waitcnt vmcnt(0)
	v_and_b32_e32 v9, s62, v8
	s_delay_alu instid0(VALU_DEP_1) | instskip(NEXT) | instid1(VALU_DEP_1)
	v_and_b32_e32 v9, 0xff, v9
	v_cmp_eq_u32_e64 s4, s63, v9
	s_delay_alu instid0(VALU_DEP_1) | instskip(NEXT) | instid1(SALU_CYCLE_1)
	s_and_b32 s23, vcc_lo, s4
	s_and_saveexec_b32 s4, s23
	s_cbranch_execz .LBB6_201
; %bb.205:                              ;   in Loop: Header=BB6_202 Depth=2
	v_lshlrev_b16 v8, 8, v8
	s_delay_alu instid0(VALU_DEP_1)
	v_or_b32_e32 v8, 1, v8
	ds_store_b16 v13, v8 offset:3072
	s_branch .LBB6_201
.LBB6_206:                              ;   in Loop: Header=BB6_33 Depth=1
                                        ; implicit-def: $sgpr13
                                        ; implicit-def: $sgpr23
                                        ; implicit-def: $sgpr22
	s_branch .LBB6_224
.LBB6_207:                              ;   in Loop: Header=BB6_33 Depth=1
                                        ; implicit-def: $vgpr2_vgpr3
	s_branch .LBB6_153
.LBB6_208:                              ;   in Loop: Header=BB6_33 Depth=1
                                        ; implicit-def: $vgpr2_vgpr3
	s_branch .LBB6_169
.LBB6_209:                              ;   in Loop: Header=BB6_33 Depth=1
	s_mov_b32 s13, -1
	s_mov_b32 s4, 0
                                        ; implicit-def: $sgpr22
                                        ; implicit-def: $vgpr41
	s_mov_b32 s23, s13
	s_cbranch_execnz .LBB6_212
	s_branch .LBB6_224
.LBB6_210:                              ;   in Loop: Header=BB6_33 Depth=1
	s_set_inst_prefetch_distance 0x2
	s_or_b32 exec_lo, exec_lo, s13
	v_lshrrev_b16 v41, 8, v8
	s_and_b32 s4, s22, exec_lo
.LBB6_211:                              ;   in Loop: Header=BB6_33 Depth=1
	s_or_b32 exec_lo, exec_lo, s5
	s_mov_b32 s22, -1
	s_mov_b32 s13, 0
	s_delay_alu instid0(SALU_CYCLE_1)
	s_mov_b32 s23, s13
	s_branch .LBB6_224
.LBB6_212:                              ;   in Loop: Header=BB6_33 Depth=1
	s_add_u32 s13, s91, s10
	s_addc_u32 s5, s92, s11
	s_mov_b32 s4, s67
	s_delay_alu instid0(SALU_CYCLE_1)
	s_cmp_lg_u64 s[4:5], 0
	s_cbranch_scc0 .LBB6_253
; %bb.213:                              ;   in Loop: Header=BB6_33 Depth=1
	v_cvt_f32_u32_e32 v2, s33
	s_sub_u32 s23, 0, s33
	s_subb_u32 s56, 0, 0
	s_delay_alu instid0(VALU_DEP_1) | instskip(NEXT) | instid1(VALU_DEP_1)
	v_fmac_f32_e32 v2, 0x4f800000, v40
	v_rcp_f32_e32 v2, v2
	s_waitcnt_depctr 0xfff
	v_mul_f32_e32 v2, 0x5f7ffffc, v2
	s_delay_alu instid0(VALU_DEP_1) | instskip(NEXT) | instid1(VALU_DEP_1)
	v_mul_f32_e32 v3, 0x2f800000, v2
	v_trunc_f32_e32 v3, v3
	s_delay_alu instid0(VALU_DEP_1) | instskip(SKIP_1) | instid1(VALU_DEP_2)
	v_fmac_f32_e32 v2, 0xcf800000, v3
	v_cvt_u32_f32_e32 v3, v3
	v_cvt_u32_f32_e32 v2, v2
	s_delay_alu instid0(VALU_DEP_2) | instskip(NEXT) | instid1(VALU_DEP_2)
	v_readfirstlane_b32 s4, v3
	v_readfirstlane_b32 s22, v2
	s_delay_alu instid0(VALU_DEP_2) | instskip(NEXT) | instid1(VALU_DEP_1)
	s_mul_i32 s57, s23, s4
	s_mul_hi_u32 s78, s23, s22
	s_mul_i32 s70, s56, s22
	s_add_i32 s57, s78, s57
	s_mul_i32 s79, s23, s22
	s_add_i32 s57, s57, s70
	s_mul_hi_u32 s78, s22, s79
	s_mul_hi_u32 s80, s4, s79
	s_mul_i32 s70, s4, s79
	s_mul_hi_u32 s79, s22, s57
	s_mul_i32 s22, s22, s57
	s_mul_hi_u32 s81, s4, s57
	s_add_u32 s22, s78, s22
	s_addc_u32 s78, 0, s79
	s_add_u32 s22, s22, s70
	s_mul_i32 s57, s4, s57
	s_addc_u32 s22, s78, s80
	s_addc_u32 s70, s81, 0
	s_add_u32 s22, s22, s57
	s_addc_u32 s57, 0, s70
	v_add_co_u32 v2, s22, v2, s22
	s_delay_alu instid0(VALU_DEP_1) | instskip(SKIP_1) | instid1(VALU_DEP_1)
	s_cmp_lg_u32 s22, 0
	s_addc_u32 s4, s4, s57
	v_readfirstlane_b32 s22, v2
	s_mul_i32 s57, s23, s4
	s_delay_alu instid0(VALU_DEP_1)
	s_mul_hi_u32 s70, s23, s22
	s_mul_i32 s56, s56, s22
	s_add_i32 s57, s70, s57
	s_mul_i32 s23, s23, s22
	s_add_i32 s57, s57, s56
	s_mul_hi_u32 s70, s4, s23
	s_mul_i32 s78, s4, s23
	s_mul_hi_u32 s23, s22, s23
	s_mul_hi_u32 s79, s22, s57
	s_mul_i32 s22, s22, s57
	s_mul_hi_u32 s56, s4, s57
	s_add_u32 s22, s23, s22
	s_addc_u32 s23, 0, s79
	s_add_u32 s22, s22, s78
	s_mul_i32 s57, s4, s57
	s_addc_u32 s22, s23, s70
	s_addc_u32 s23, s56, 0
	s_add_u32 s22, s22, s57
	s_addc_u32 s23, 0, s23
	v_add_co_u32 v2, s22, v2, s22
	s_delay_alu instid0(VALU_DEP_1) | instskip(SKIP_2) | instid1(VALU_DEP_1)
	s_cmp_lg_u32 s22, 0
	s_addc_u32 s4, s4, s23
	s_ashr_i32 s22, s5, 31
	v_readfirstlane_b32 s70, v2
	s_add_u32 s56, s13, s22
	s_mov_b32 s23, s22
	s_addc_u32 s57, s5, s22
	s_delay_alu instid0(SALU_CYCLE_1) | instskip(NEXT) | instid1(SALU_CYCLE_1)
	s_xor_b64 s[56:57], s[56:57], s[22:23]
	s_mul_i32 s78, s56, s4
	s_mul_hi_u32 s79, s56, s70
	s_mul_hi_u32 s23, s56, s4
	;; [unrolled: 1-line block ×3, first 2 shown]
	s_mul_i32 s70, s57, s70
	s_add_u32 s78, s79, s78
	s_addc_u32 s23, 0, s23
	s_mul_hi_u32 s80, s57, s4
	s_add_u32 s70, s78, s70
	s_mul_i32 s4, s57, s4
	s_addc_u32 s23, s23, s81
	s_addc_u32 s70, s80, 0
	s_add_u32 s4, s23, s4
	s_addc_u32 s23, 0, s70
	s_mul_hi_u32 s70, s33, s4
	s_mul_i32 s4, s33, s4
	s_mul_i32 s23, s33, s23
	v_sub_co_u32 v2, s4, s56, s4
	s_add_i32 s70, s70, s23
	s_cmp_lg_u32 s4, 0
	s_delay_alu instid0(VALU_DEP_1) | instskip(SKIP_2) | instid1(VALU_DEP_1)
	v_sub_co_u32 v3, s4, v2, s33
	s_subb_u32 s23, s57, s70
	s_cmp_lg_u32 s4, 0
	v_cmp_le_u32_e32 vcc_lo, s33, v3
	v_sub_co_u32 v4, s4, v3, s33
	s_subb_u32 s56, s23, 0
	s_cmp_lg_u32 s4, 0
	v_cndmask_b32_e64 v5, 0, -1, vcc_lo
	s_subb_u32 s4, s56, 0
	s_cmp_eq_u32 s56, 0
	v_mov_b32_e32 v7, s4
	s_cselect_b32 vcc_lo, -1, 0
	s_cmp_eq_u32 s23, 0
	v_cndmask_b32_e32 v5, -1, v5, vcc_lo
	v_cmp_le_u32_e32 vcc_lo, s33, v2
	s_cselect_b32 s4, -1, 0
	v_cndmask_b32_e64 v6, 0, -1, vcc_lo
	s_delay_alu instid0(VALU_DEP_3) | instskip(NEXT) | instid1(VALU_DEP_2)
	v_cmp_ne_u32_e32 vcc_lo, 0, v5
	v_cndmask_b32_e64 v5, -1, v6, s4
	v_cndmask_b32_e32 v3, v3, v4, vcc_lo
	v_cndmask_b32_e32 v6, s56, v7, vcc_lo
	s_delay_alu instid0(VALU_DEP_3) | instskip(NEXT) | instid1(VALU_DEP_3)
	v_cmp_ne_u32_e32 vcc_lo, 0, v5
	v_cndmask_b32_e32 v2, v2, v3, vcc_lo
	s_delay_alu instid0(VALU_DEP_3) | instskip(NEXT) | instid1(VALU_DEP_2)
	v_cndmask_b32_e32 v4, s23, v6, vcc_lo
	v_xor_b32_e32 v2, s22, v2
	s_delay_alu instid0(VALU_DEP_2) | instskip(NEXT) | instid1(VALU_DEP_2)
	v_xor_b32_e32 v3, s22, v4
	v_sub_co_u32 v2, vcc_lo, v2, s22
	s_delay_alu instid0(VALU_DEP_2)
	v_subrev_co_ci_u32_e32 v3, vcc_lo, s22, v3, vcc_lo
	s_cbranch_execnz .LBB6_215
.LBB6_214:                              ;   in Loop: Header=BB6_33 Depth=1
	v_cvt_f32_u32_e32 v2, s33
	s_sub_i32 s4, 0, s33
	s_delay_alu instid0(VALU_DEP_1) | instskip(SKIP_2) | instid1(VALU_DEP_1)
	v_rcp_iflag_f32_e32 v2, v2
	s_waitcnt_depctr 0xfff
	v_mul_f32_e32 v2, 0x4f7ffffe, v2
	v_cvt_u32_f32_e32 v2, v2
	s_delay_alu instid0(VALU_DEP_1) | instskip(NEXT) | instid1(VALU_DEP_1)
	v_mul_lo_u32 v3, s4, v2
	v_mul_hi_u32 v3, v2, v3
	s_delay_alu instid0(VALU_DEP_1) | instskip(NEXT) | instid1(VALU_DEP_1)
	v_add_nc_u32_e32 v2, v2, v3
	v_mul_hi_u32 v2, s13, v2
	s_delay_alu instid0(VALU_DEP_1) | instskip(NEXT) | instid1(VALU_DEP_1)
	v_mul_lo_u32 v2, v2, s33
	v_sub_nc_u32_e32 v2, s13, v2
	s_delay_alu instid0(VALU_DEP_1) | instskip(SKIP_1) | instid1(VALU_DEP_2)
	v_subrev_nc_u32_e32 v3, s33, v2
	v_cmp_le_u32_e32 vcc_lo, s33, v2
	v_cndmask_b32_e32 v2, v2, v3, vcc_lo
	s_delay_alu instid0(VALU_DEP_1) | instskip(SKIP_1) | instid1(VALU_DEP_2)
	v_subrev_nc_u32_e32 v3, s33, v2
	v_cmp_le_u32_e32 vcc_lo, s33, v2
	v_cndmask_b32_e32 v12, v2, v3, vcc_lo
	s_delay_alu instid0(VALU_DEP_1)
	v_dual_mov_b32 v2, v12 :: v_dual_mov_b32 v3, v13
.LBB6_215:                              ;   in Loop: Header=BB6_33 Depth=1
	s_delay_alu instid0(VALU_DEP_1) | instskip(NEXT) | instid1(VALU_DEP_2)
	v_sub_co_u32 v2, vcc_lo, s13, v2
	v_sub_co_ci_u32_e32 v3, vcc_lo, s5, v3, vcc_lo
	s_mov_b32 s4, 0
	s_mov_b32 s5, exec_lo
                                        ; implicit-def: $vgpr41
	s_delay_alu instid0(VALU_DEP_1)
	v_cmpx_gt_i64_e64 v[2:3], v[0:1]
	s_cbranch_execz .LBB6_223
; %bb.216:                              ;   in Loop: Header=BB6_33 Depth=1
	v_dual_mov_b32 v6, v0 :: v_dual_mov_b32 v5, v1
	v_mov_b32_e32 v4, v0
	s_mov_b32 s13, 0
                                        ; implicit-def: $sgpr22
	s_set_inst_prefetch_distance 0x1
	s_branch .LBB6_218
	.p2align	6
.LBB6_217:                              ;   in Loop: Header=BB6_218 Depth=2
	s_or_b32 exec_lo, exec_lo, s4
	s_waitcnt lgkmcnt(0)
	s_barrier
	buffer_gl0_inv
	ds_load_u16 v7, v13 offset:3072
	v_add_co_u32 v4, vcc_lo, v4, s33
	v_add_co_ci_u32_e32 v5, vcc_lo, 0, v5, vcc_lo
	v_add_nc_u32_e32 v6, s33, v6
	s_waitcnt lgkmcnt(0)
	s_barrier
	s_delay_alu instid0(VALU_DEP_2) | instskip(SKIP_2) | instid1(VALU_DEP_1)
	v_cmp_ge_i64_e32 vcc_lo, v[4:5], v[2:3]
	buffer_gl0_inv
	v_and_b32_e32 v8, 0xff, v7
	v_cmp_ne_u16_e64 s4, 0, v8
	s_delay_alu instid0(VALU_DEP_1) | instskip(NEXT) | instid1(SALU_CYCLE_1)
	s_or_b32 s23, s4, vcc_lo
	s_and_b32 s23, exec_lo, s23
	s_delay_alu instid0(SALU_CYCLE_1) | instskip(SKIP_2) | instid1(SALU_CYCLE_1)
	s_or_b32 s13, s23, s13
	s_and_not1_b32 s22, s22, exec_lo
	s_and_b32 s4, s4, exec_lo
	s_or_b32 s22, s22, s4
	s_and_not1_b32 exec_lo, exec_lo, s13
	s_cbranch_execz .LBB6_222
.LBB6_218:                              ;   Parent Loop BB6_33 Depth=1
                                        ; =>  This Inner Loop Header: Depth=2
	s_delay_alu instid0(VALU_DEP_1)
	v_cmp_gt_i64_e32 vcc_lo, s[10:11], v[4:5]
	v_mov_b32_e32 v7, 0
	s_and_saveexec_b32 s4, vcc_lo
	s_cbranch_execz .LBB6_220
; %bb.219:                              ;   in Loop: Header=BB6_218 Depth=2
	ds_load_u8 v7, v6
.LBB6_220:                              ;   in Loop: Header=BB6_218 Depth=2
	s_or_b32 exec_lo, exec_lo, s4
	s_waitcnt lgkmcnt(0)
	v_and_b32_e32 v8, s62, v7
	s_delay_alu instid0(VALU_DEP_1) | instskip(NEXT) | instid1(VALU_DEP_1)
	v_and_b32_e32 v8, 0xff, v8
	v_cmp_eq_u32_e64 s4, s63, v8
	s_delay_alu instid0(VALU_DEP_1) | instskip(NEXT) | instid1(SALU_CYCLE_1)
	s_and_b32 s23, vcc_lo, s4
	s_and_saveexec_b32 s4, s23
	s_cbranch_execz .LBB6_217
; %bb.221:                              ;   in Loop: Header=BB6_218 Depth=2
	v_lshlrev_b16 v7, 8, v7
	s_delay_alu instid0(VALU_DEP_1)
	v_or_b32_e32 v7, 1, v7
	ds_store_b16 v13, v7 offset:3072
	s_branch .LBB6_217
.LBB6_222:                              ;   in Loop: Header=BB6_33 Depth=1
	s_set_inst_prefetch_distance 0x2
	s_or_b32 exec_lo, exec_lo, s13
	v_lshrrev_b16 v41, 8, v7
	s_and_b32 s4, s22, exec_lo
.LBB6_223:                              ;   in Loop: Header=BB6_33 Depth=1
	s_or_b32 exec_lo, exec_lo, s5
	s_mov_b32 s23, -1
	s_mov_b32 s13, 0
	s_mov_b32 s22, 0
.LBB6_224:                              ;   in Loop: Header=BB6_33 Depth=1
	s_mov_b32 s5, 0
                                        ; implicit-def: $sgpr70
	s_and_saveexec_b32 s10, s4
	s_cbranch_execz .LBB6_284
; %bb.225:                              ;   in Loop: Header=BB6_33 Depth=1
	s_xor_b32 s4, s66, -1
	s_mov_b32 s70, 1
	s_and_not1_b32 vcc_lo, exec_lo, s4
	s_cbranch_vccnz .LBB6_236
; %bb.226:                              ;   in Loop: Header=BB6_33 Depth=1
	v_cmp_gt_i64_e64 s4, s[26:27], s[8:9]
                                        ; implicit-def: $sgpr70
                                        ; implicit-def: $sgpr5
                                        ; implicit-def: $sgpr11
	s_delay_alu instid0(VALU_DEP_1)
	s_and_b32 vcc_lo, exec_lo, s4
	s_mov_b32 s4, -1
	s_cbranch_vccnz .LBB6_232
; %bb.227:                              ;   in Loop: Header=BB6_33 Depth=1
	ds_load_b64 v[2:3], v13 offset:5120
	s_waitcnt lgkmcnt(0)
	v_cmp_ne_u64_e32 vcc_lo, 0, v[2:3]
	s_cbranch_vccnz .LBB6_231
; %bb.228:                              ;   in Loop: Header=BB6_33 Depth=1
	s_and_saveexec_b32 s4, s0
	s_cbranch_execz .LBB6_230
; %bb.229:                              ;   in Loop: Header=BB6_33 Depth=1
	v_dual_mov_b32 v2, s8 :: v_dual_mov_b32 v3, s9
	ds_store_b64 v13, v[2:3] offset:5128
.LBB6_230:                              ;   in Loop: Header=BB6_33 Depth=1
	s_or_b32 exec_lo, exec_lo, s4
	s_waitcnt lgkmcnt(0)
	s_barrier
	buffer_gl0_inv
.LBB6_231:                              ;   in Loop: Header=BB6_33 Depth=1
	s_lshl_b32 s4, 2, s17
	s_and_b32 s5, s63, s18
	s_or_b32 s11, s62, s16
	s_or_b32 s5, s5, s4
	s_mov_b32 s4, 0
	s_mov_b32 s70, 8
.LBB6_232:                              ;   in Loop: Header=BB6_33 Depth=1
	s_and_not1_b32 vcc_lo, exec_lo, s4
	s_cbranch_vccnz .LBB6_234
; %bb.233:                              ;   in Loop: Header=BB6_33 Depth=1
	s_sub_u32 s26, s26, s8
	s_subb_u32 s27, s27, s9
	s_mov_b32 s4, -1
	s_mov_b32 s70, 0
	s_mov_b32 s5, s63
	;; [unrolled: 1-line block ×3, first 2 shown]
.LBB6_234:                              ;   in Loop: Header=BB6_33 Depth=1
	s_delay_alu instid0(SALU_CYCLE_1)
	s_mov_b32 s62, s11
	s_mov_b32 s63, s5
	s_and_not1_b32 vcc_lo, exec_lo, s4
	s_mov_b32 s9, -1
	s_cbranch_vccz .LBB6_237
.LBB6_235:                              ;   in Loop: Header=BB6_33 Depth=1
                                        ; implicit-def: $sgpr17
                                        ; implicit-def: $sgpr56
                                        ; implicit-def: $sgpr18
	s_branch .LBB6_283
.LBB6_236:                              ;   in Loop: Header=BB6_33 Depth=1
	s_mov_b64 s[26:27], 1
	s_mov_b32 s9, -1
	s_cbranch_execnz .LBB6_235
.LBB6_237:                              ;   in Loop: Header=BB6_33 Depth=1
	s_cmp_eq_u64 s[6:7], 1
	s_mov_b32 s57, -1
	s_cselect_b32 s4, -1, 0
	s_cmp_eq_u64 s[26:27], 1
	s_cselect_b32 s5, -1, 0
	s_delay_alu instid0(SALU_CYCLE_1) | instskip(NEXT) | instid1(SALU_CYCLE_1)
	s_and_b32 s11, s4, s5
	s_and_b32 vcc_lo, exec_lo, s11
	s_cbranch_vccz .LBB6_251
; %bb.238:                              ;   in Loop: Header=BB6_33 Depth=1
	ds_load_b64 v[2:3], v13 offset:5120
	s_waitcnt lgkmcnt(0)
	s_barrier
	buffer_gl0_inv
	v_readfirstlane_b32 s8, v2
	v_readfirstlane_b32 s9, v3
	s_and_saveexec_b32 s4, s3
	s_cbranch_execz .LBB6_240
; %bb.239:                              ;   in Loop: Header=BB6_33 Depth=1
	ds_store_b8 v0, v13 offset:3072
.LBB6_240:                              ;   in Loop: Header=BB6_33 Depth=1
	s_or_b32 exec_lo, exec_lo, s4
	s_delay_alu instid0(VALU_DEP_1)
	v_cmp_gt_i64_e64 s4, s[8:9], 0
	s_or_b32 s63, s63, s16
	s_or_b32 s62, s62, s16
	s_waitcnt lgkmcnt(0)
	s_barrier
	buffer_gl0_inv
	s_and_b32 vcc_lo, exec_lo, s4
	s_cbranch_vccnz .LBB6_254
; %bb.241:                              ;   in Loop: Header=BB6_33 Depth=1
	s_mov_b32 s70, s67
	s_delay_alu instid0(SALU_CYCLE_1)
	s_cmp_lg_u64 s[70:71], 0
	s_cbranch_scc0 .LBB6_289
; %bb.242:                              ;   in Loop: Header=BB6_33 Depth=1
	v_cvt_f32_u32_e32 v2, s33
	s_sub_u32 s17, 0, s33
	s_subb_u32 s18, 0, 0
	s_delay_alu instid0(VALU_DEP_1) | instskip(NEXT) | instid1(VALU_DEP_1)
	v_fmac_f32_e32 v2, 0x4f800000, v40
	v_rcp_f32_e32 v2, v2
	s_waitcnt_depctr 0xfff
	v_mul_f32_e32 v2, 0x5f7ffffc, v2
	s_delay_alu instid0(VALU_DEP_1) | instskip(NEXT) | instid1(VALU_DEP_1)
	v_mul_f32_e32 v3, 0x2f800000, v2
	v_trunc_f32_e32 v3, v3
	s_delay_alu instid0(VALU_DEP_1) | instskip(SKIP_1) | instid1(VALU_DEP_2)
	v_fmac_f32_e32 v2, 0xcf800000, v3
	v_cvt_u32_f32_e32 v3, v3
	v_cvt_u32_f32_e32 v2, v2
	s_delay_alu instid0(VALU_DEP_2) | instskip(NEXT) | instid1(VALU_DEP_2)
	v_readfirstlane_b32 s4, v3
	v_readfirstlane_b32 s5, v2
	s_delay_alu instid0(VALU_DEP_2) | instskip(NEXT) | instid1(VALU_DEP_1)
	s_mul_i32 s56, s17, s4
	s_mul_hi_u32 s66, s17, s5
	s_mul_i32 s57, s18, s5
	s_add_i32 s56, s66, s56
	s_mul_i32 s70, s17, s5
	s_add_i32 s56, s56, s57
	s_mul_hi_u32 s66, s5, s70
	s_mul_hi_u32 s78, s4, s70
	s_mul_i32 s57, s4, s70
	s_mul_hi_u32 s70, s5, s56
	s_mul_i32 s5, s5, s56
	s_mul_hi_u32 s79, s4, s56
	s_add_u32 s5, s66, s5
	s_addc_u32 s66, 0, s70
	s_add_u32 s5, s5, s57
	s_mul_i32 s56, s4, s56
	s_addc_u32 s5, s66, s78
	s_addc_u32 s57, s79, 0
	s_add_u32 s5, s5, s56
	s_addc_u32 s56, 0, s57
	v_add_co_u32 v2, s5, v2, s5
	s_delay_alu instid0(VALU_DEP_1) | instskip(SKIP_1) | instid1(VALU_DEP_1)
	s_cmp_lg_u32 s5, 0
	s_addc_u32 s4, s4, s56
	v_readfirstlane_b32 s5, v2
	s_mul_i32 s56, s17, s4
	s_delay_alu instid0(VALU_DEP_1)
	s_mul_hi_u32 s57, s17, s5
	s_mul_i32 s18, s18, s5
	s_add_i32 s56, s57, s56
	s_mul_i32 s17, s17, s5
	s_add_i32 s56, s56, s18
	s_mul_hi_u32 s57, s4, s17
	s_mul_i32 s66, s4, s17
	s_mul_hi_u32 s17, s5, s17
	s_mul_hi_u32 s70, s5, s56
	s_mul_i32 s5, s5, s56
	s_mul_hi_u32 s18, s4, s56
	s_add_u32 s5, s17, s5
	s_addc_u32 s17, 0, s70
	s_add_u32 s5, s5, s66
	s_mul_i32 s56, s4, s56
	s_addc_u32 s5, s17, s57
	s_addc_u32 s17, s18, 0
	s_add_u32 s5, s5, s56
	s_addc_u32 s17, 0, s17
	v_add_co_u32 v2, s5, v2, s5
	s_delay_alu instid0(VALU_DEP_1) | instskip(SKIP_2) | instid1(VALU_DEP_1)
	s_cmp_lg_u32 s5, 0
	s_addc_u32 s17, s4, s17
	s_ashr_i32 s56, s71, 31
	v_readfirstlane_b32 s18, v2
	s_add_u32 s4, s93, s56
	s_mov_b32 s57, s56
	s_addc_u32 s5, s71, s56
	s_delay_alu instid0(SALU_CYCLE_1) | instskip(NEXT) | instid1(SALU_CYCLE_1)
	s_xor_b64 s[4:5], s[4:5], s[56:57]
	s_mul_i32 s66, s4, s17
	s_mul_hi_u32 s70, s4, s18
	s_mul_hi_u32 s57, s4, s17
	;; [unrolled: 1-line block ×3, first 2 shown]
	s_mul_i32 s18, s5, s18
	s_add_u32 s66, s70, s66
	s_addc_u32 s57, 0, s57
	s_mul_hi_u32 s78, s5, s17
	s_add_u32 s18, s66, s18
	s_mul_i32 s17, s5, s17
	s_addc_u32 s18, s57, s79
	s_addc_u32 s57, s78, 0
	s_add_u32 s17, s18, s17
	s_addc_u32 s18, 0, s57
	s_mul_hi_u32 s57, s33, s17
	s_mul_i32 s17, s33, s17
	s_mul_i32 s18, s33, s18
	v_sub_co_u32 v2, s4, s4, s17
	s_add_i32 s57, s57, s18
	s_cmp_lg_u32 s4, 0
	s_delay_alu instid0(VALU_DEP_1) | instskip(SKIP_2) | instid1(VALU_DEP_1)
	v_sub_co_u32 v3, s4, v2, s33
	s_subb_u32 s5, s5, s57
	s_cmp_lg_u32 s4, 0
	v_cmp_le_u32_e32 vcc_lo, s33, v3
	v_sub_co_u32 v4, s4, v3, s33
	s_subb_u32 s17, s5, 0
	s_cmp_lg_u32 s4, 0
	v_cndmask_b32_e64 v5, 0, -1, vcc_lo
	s_subb_u32 s4, s17, 0
	s_cmp_eq_u32 s17, 0
	v_mov_b32_e32 v7, s4
	s_cselect_b32 vcc_lo, -1, 0
	s_cmp_eq_u32 s5, 0
	v_cndmask_b32_e32 v5, -1, v5, vcc_lo
	v_cmp_le_u32_e32 vcc_lo, s33, v2
	s_cselect_b32 s4, -1, 0
	v_cndmask_b32_e64 v6, 0, -1, vcc_lo
	s_delay_alu instid0(VALU_DEP_3) | instskip(NEXT) | instid1(VALU_DEP_2)
	v_cmp_ne_u32_e32 vcc_lo, 0, v5
	v_cndmask_b32_e64 v5, -1, v6, s4
	v_cndmask_b32_e32 v3, v3, v4, vcc_lo
	v_cndmask_b32_e32 v6, s17, v7, vcc_lo
	s_delay_alu instid0(VALU_DEP_3) | instskip(NEXT) | instid1(VALU_DEP_3)
	v_cmp_ne_u32_e32 vcc_lo, 0, v5
	v_cndmask_b32_e32 v2, v2, v3, vcc_lo
	s_delay_alu instid0(VALU_DEP_3) | instskip(NEXT) | instid1(VALU_DEP_2)
	v_cndmask_b32_e32 v4, s5, v6, vcc_lo
	v_xor_b32_e32 v2, s56, v2
	s_delay_alu instid0(VALU_DEP_2) | instskip(NEXT) | instid1(VALU_DEP_2)
	v_xor_b32_e32 v3, s56, v4
	v_sub_co_u32 v2, vcc_lo, v2, s56
	s_delay_alu instid0(VALU_DEP_2)
	v_subrev_co_ci_u32_e32 v3, vcc_lo, s56, v3, vcc_lo
	s_cbranch_execnz .LBB6_244
.LBB6_243:                              ;   in Loop: Header=BB6_33 Depth=1
	v_cvt_f32_u32_e32 v2, s33
	s_sub_i32 s4, 0, s33
	s_delay_alu instid0(VALU_DEP_1) | instskip(SKIP_2) | instid1(VALU_DEP_1)
	v_rcp_iflag_f32_e32 v2, v2
	s_waitcnt_depctr 0xfff
	v_mul_f32_e32 v2, 0x4f7ffffe, v2
	v_cvt_u32_f32_e32 v2, v2
	s_delay_alu instid0(VALU_DEP_1) | instskip(NEXT) | instid1(VALU_DEP_1)
	v_mul_lo_u32 v3, s4, v2
	v_mul_hi_u32 v3, v2, v3
	s_delay_alu instid0(VALU_DEP_1) | instskip(NEXT) | instid1(VALU_DEP_1)
	v_add_nc_u32_e32 v2, v2, v3
	v_mul_hi_u32 v2, s93, v2
	s_delay_alu instid0(VALU_DEP_1) | instskip(NEXT) | instid1(VALU_DEP_1)
	v_mul_lo_u32 v2, v2, s33
	v_sub_nc_u32_e32 v2, s93, v2
	s_delay_alu instid0(VALU_DEP_1) | instskip(SKIP_1) | instid1(VALU_DEP_2)
	v_subrev_nc_u32_e32 v3, s33, v2
	v_cmp_le_u32_e32 vcc_lo, s33, v2
	v_cndmask_b32_e32 v2, v2, v3, vcc_lo
	s_delay_alu instid0(VALU_DEP_1) | instskip(SKIP_1) | instid1(VALU_DEP_2)
	v_subrev_nc_u32_e32 v3, s33, v2
	v_cmp_le_u32_e32 vcc_lo, s33, v2
	v_cndmask_b32_e32 v12, v2, v3, vcc_lo
	s_delay_alu instid0(VALU_DEP_1)
	v_dual_mov_b32 v2, v12 :: v_dual_mov_b32 v3, v13
.LBB6_244:                              ;   in Loop: Header=BB6_33 Depth=1
	s_delay_alu instid0(VALU_DEP_1) | instskip(NEXT) | instid1(VALU_DEP_2)
	v_sub_co_u32 v2, vcc_lo, s93, v2
	v_sub_co_ci_u32_e32 v3, vcc_lo, s71, v3, vcc_lo
	s_mov_b32 s57, 0
	s_mov_b32 s5, exec_lo
                                        ; implicit-def: $vgpr41
	s_delay_alu instid0(VALU_DEP_1)
	v_cmpx_gt_i64_e64 v[2:3], v[0:1]
	s_cbranch_execz .LBB6_256
; %bb.245:                              ;   in Loop: Header=BB6_33 Depth=1
	v_dual_mov_b32 v4, v10 :: v_dual_mov_b32 v5, v11
	v_dual_mov_b32 v7, v1 :: v_dual_mov_b32 v6, v0
	s_mov_b32 s17, 0
                                        ; implicit-def: $sgpr18
	s_set_inst_prefetch_distance 0x1
	s_branch .LBB6_247
	.p2align	6
.LBB6_246:                              ;   in Loop: Header=BB6_247 Depth=2
	s_or_b32 exec_lo, exec_lo, s4
	s_waitcnt lgkmcnt(0)
	s_barrier
	buffer_gl0_inv
	ds_load_u16 v8, v13 offset:3072
	v_add_co_u32 v6, vcc_lo, v6, s33
	v_add_co_ci_u32_e32 v7, vcc_lo, 0, v7, vcc_lo
	s_waitcnt lgkmcnt(0)
	s_barrier
	buffer_gl0_inv
	v_cmp_ge_i64_e32 vcc_lo, v[6:7], v[2:3]
	v_and_b32_e32 v9, 0xff, v8
	s_delay_alu instid0(VALU_DEP_1) | instskip(NEXT) | instid1(VALU_DEP_1)
	v_cmp_ne_u16_e64 s4, 0, v9
	s_or_b32 s56, s4, vcc_lo
	v_add_co_u32 v4, vcc_lo, v4, s88
	s_and_b32 s56, exec_lo, s56
	v_add_co_ci_u32_e32 v5, vcc_lo, s35, v5, vcc_lo
	s_or_b32 s17, s56, s17
	s_and_not1_b32 s18, s18, exec_lo
	s_and_b32 s4, s4, exec_lo
	s_delay_alu instid0(SALU_CYCLE_1)
	s_or_b32 s18, s18, s4
	s_and_not1_b32 exec_lo, exec_lo, s17
	s_cbranch_execz .LBB6_255
.LBB6_247:                              ;   Parent Loop BB6_33 Depth=1
                                        ; =>  This Inner Loop Header: Depth=2
	s_delay_alu instid0(VALU_DEP_1)
	v_cmp_gt_i64_e32 vcc_lo, s[24:25], v[6:7]
	v_mov_b32_e32 v8, 0
	s_and_saveexec_b32 s4, vcc_lo
	s_cbranch_execz .LBB6_249
; %bb.248:                              ;   in Loop: Header=BB6_247 Depth=2
	global_load_u8 v8, v[4:5], off
.LBB6_249:                              ;   in Loop: Header=BB6_247 Depth=2
	s_or_b32 exec_lo, exec_lo, s4
	s_waitcnt vmcnt(0)
	v_and_b32_e32 v9, s62, v8
	s_delay_alu instid0(VALU_DEP_1) | instskip(NEXT) | instid1(VALU_DEP_1)
	v_and_b32_e32 v9, 0xff, v9
	v_cmp_eq_u32_e64 s4, s63, v9
	s_delay_alu instid0(VALU_DEP_1) | instskip(NEXT) | instid1(SALU_CYCLE_1)
	s_and_b32 s56, vcc_lo, s4
	s_and_saveexec_b32 s4, s56
	s_cbranch_execz .LBB6_246
; %bb.250:                              ;   in Loop: Header=BB6_247 Depth=2
	v_lshlrev_b16 v8, 8, v8
	s_delay_alu instid0(VALU_DEP_1)
	v_or_b32_e32 v8, 1, v8
	ds_store_b16 v13, v8 offset:3072
	s_branch .LBB6_246
.LBB6_251:                              ;   in Loop: Header=BB6_33 Depth=1
                                        ; implicit-def: $sgpr17
                                        ; implicit-def: $sgpr56
                                        ; implicit-def: $sgpr18
	s_branch .LBB6_269
.LBB6_252:                              ;   in Loop: Header=BB6_33 Depth=1
                                        ; implicit-def: $vgpr2_vgpr3
	s_branch .LBB6_198
.LBB6_253:                              ;   in Loop: Header=BB6_33 Depth=1
                                        ; implicit-def: $vgpr2_vgpr3
	s_branch .LBB6_214
.LBB6_254:                              ;   in Loop: Header=BB6_33 Depth=1
	s_mov_b32 s17, -1
	s_mov_b32 s57, 0
                                        ; implicit-def: $sgpr18
                                        ; implicit-def: $vgpr41
	s_mov_b32 s56, s17
	s_cbranch_execnz .LBB6_257
	s_branch .LBB6_269
.LBB6_255:                              ;   in Loop: Header=BB6_33 Depth=1
	s_set_inst_prefetch_distance 0x2
	s_or_b32 exec_lo, exec_lo, s17
	v_lshrrev_b16 v41, 8, v8
	s_and_b32 s57, s18, exec_lo
.LBB6_256:                              ;   in Loop: Header=BB6_33 Depth=1
	s_or_b32 exec_lo, exec_lo, s5
	s_mov_b32 s18, -1
	s_mov_b32 s17, 0
	s_delay_alu instid0(SALU_CYCLE_1)
	s_mov_b32 s56, s17
	s_branch .LBB6_269
.LBB6_257:                              ;   in Loop: Header=BB6_33 Depth=1
	s_add_u32 s17, s91, s8
	s_addc_u32 s5, s92, s9
	s_mov_b32 s4, s67
	s_delay_alu instid0(SALU_CYCLE_1)
	s_cmp_lg_u64 s[4:5], 0
	s_cbranch_scc0 .LBB6_290
; %bb.258:                              ;   in Loop: Header=BB6_33 Depth=1
	v_cvt_f32_u32_e32 v2, s33
	s_sub_u32 s56, 0, s33
	s_subb_u32 s57, 0, 0
	s_delay_alu instid0(VALU_DEP_1) | instskip(NEXT) | instid1(VALU_DEP_1)
	v_fmac_f32_e32 v2, 0x4f800000, v40
	v_rcp_f32_e32 v2, v2
	s_waitcnt_depctr 0xfff
	v_mul_f32_e32 v2, 0x5f7ffffc, v2
	s_delay_alu instid0(VALU_DEP_1) | instskip(NEXT) | instid1(VALU_DEP_1)
	v_mul_f32_e32 v3, 0x2f800000, v2
	v_trunc_f32_e32 v3, v3
	s_delay_alu instid0(VALU_DEP_1) | instskip(SKIP_1) | instid1(VALU_DEP_2)
	v_fmac_f32_e32 v2, 0xcf800000, v3
	v_cvt_u32_f32_e32 v3, v3
	v_cvt_u32_f32_e32 v2, v2
	s_delay_alu instid0(VALU_DEP_2) | instskip(NEXT) | instid1(VALU_DEP_2)
	v_readfirstlane_b32 s4, v3
	v_readfirstlane_b32 s18, v2
	s_delay_alu instid0(VALU_DEP_2) | instskip(NEXT) | instid1(VALU_DEP_1)
	s_mul_i32 s66, s56, s4
	s_mul_hi_u32 s78, s56, s18
	s_mul_i32 s70, s57, s18
	s_add_i32 s66, s78, s66
	s_mul_i32 s79, s56, s18
	s_add_i32 s66, s66, s70
	s_mul_hi_u32 s78, s18, s79
	s_mul_hi_u32 s80, s4, s79
	s_mul_i32 s70, s4, s79
	s_mul_hi_u32 s79, s18, s66
	s_mul_i32 s18, s18, s66
	s_mul_hi_u32 s81, s4, s66
	s_add_u32 s18, s78, s18
	s_addc_u32 s78, 0, s79
	s_add_u32 s18, s18, s70
	s_mul_i32 s66, s4, s66
	s_addc_u32 s18, s78, s80
	s_addc_u32 s70, s81, 0
	s_add_u32 s18, s18, s66
	s_addc_u32 s66, 0, s70
	v_add_co_u32 v2, s18, v2, s18
	s_delay_alu instid0(VALU_DEP_1) | instskip(SKIP_1) | instid1(VALU_DEP_1)
	s_cmp_lg_u32 s18, 0
	s_addc_u32 s4, s4, s66
	v_readfirstlane_b32 s18, v2
	s_mul_i32 s66, s56, s4
	s_delay_alu instid0(VALU_DEP_1)
	s_mul_hi_u32 s70, s56, s18
	s_mul_i32 s57, s57, s18
	s_add_i32 s66, s70, s66
	s_mul_i32 s56, s56, s18
	s_add_i32 s66, s66, s57
	s_mul_hi_u32 s70, s4, s56
	s_mul_i32 s78, s4, s56
	s_mul_hi_u32 s56, s18, s56
	s_mul_hi_u32 s79, s18, s66
	s_mul_i32 s18, s18, s66
	s_mul_hi_u32 s57, s4, s66
	s_add_u32 s18, s56, s18
	s_addc_u32 s56, 0, s79
	s_add_u32 s18, s18, s78
	s_mul_i32 s66, s4, s66
	s_addc_u32 s18, s56, s70
	s_addc_u32 s56, s57, 0
	s_add_u32 s18, s18, s66
	s_addc_u32 s56, 0, s56
	v_add_co_u32 v2, s18, v2, s18
	s_delay_alu instid0(VALU_DEP_1) | instskip(SKIP_2) | instid1(VALU_DEP_1)
	s_cmp_lg_u32 s18, 0
	s_addc_u32 s4, s4, s56
	s_ashr_i32 s56, s5, 31
	v_readfirstlane_b32 s18, v2
	s_add_u32 s78, s17, s56
	s_mov_b32 s57, s56
	s_addc_u32 s79, s5, s56
	s_delay_alu instid0(SALU_CYCLE_1) | instskip(NEXT) | instid1(SALU_CYCLE_1)
	s_xor_b64 s[78:79], s[78:79], s[56:57]
	s_mul_i32 s66, s78, s4
	s_mul_hi_u32 s70, s78, s18
	s_mul_hi_u32 s57, s78, s4
	;; [unrolled: 1-line block ×3, first 2 shown]
	s_mul_i32 s18, s79, s18
	s_add_u32 s66, s70, s66
	s_addc_u32 s57, 0, s57
	s_mul_hi_u32 s80, s79, s4
	s_add_u32 s18, s66, s18
	s_mul_i32 s4, s79, s4
	s_addc_u32 s18, s57, s81
	s_addc_u32 s57, s80, 0
	s_add_u32 s4, s18, s4
	s_addc_u32 s18, 0, s57
	s_mul_hi_u32 s57, s33, s4
	s_mul_i32 s4, s33, s4
	s_mul_i32 s18, s33, s18
	v_sub_co_u32 v2, s4, s78, s4
	s_add_i32 s57, s57, s18
	s_cmp_lg_u32 s4, 0
	s_delay_alu instid0(VALU_DEP_1) | instskip(SKIP_2) | instid1(VALU_DEP_1)
	v_sub_co_u32 v3, s4, v2, s33
	s_subb_u32 s18, s79, s57
	s_cmp_lg_u32 s4, 0
	v_cmp_le_u32_e32 vcc_lo, s33, v3
	v_sub_co_u32 v4, s4, v3, s33
	s_subb_u32 s57, s18, 0
	s_cmp_lg_u32 s4, 0
	v_cndmask_b32_e64 v5, 0, -1, vcc_lo
	s_subb_u32 s4, s57, 0
	s_cmp_eq_u32 s57, 0
	v_mov_b32_e32 v7, s4
	s_cselect_b32 vcc_lo, -1, 0
	s_cmp_eq_u32 s18, 0
	v_cndmask_b32_e32 v5, -1, v5, vcc_lo
	v_cmp_le_u32_e32 vcc_lo, s33, v2
	s_cselect_b32 s4, -1, 0
	v_cndmask_b32_e64 v6, 0, -1, vcc_lo
	s_delay_alu instid0(VALU_DEP_3) | instskip(NEXT) | instid1(VALU_DEP_2)
	v_cmp_ne_u32_e32 vcc_lo, 0, v5
	v_cndmask_b32_e64 v5, -1, v6, s4
	v_cndmask_b32_e32 v3, v3, v4, vcc_lo
	v_cndmask_b32_e32 v6, s57, v7, vcc_lo
	s_delay_alu instid0(VALU_DEP_3) | instskip(NEXT) | instid1(VALU_DEP_3)
	v_cmp_ne_u32_e32 vcc_lo, 0, v5
	v_cndmask_b32_e32 v2, v2, v3, vcc_lo
	s_delay_alu instid0(VALU_DEP_3) | instskip(NEXT) | instid1(VALU_DEP_2)
	v_cndmask_b32_e32 v4, s18, v6, vcc_lo
	v_xor_b32_e32 v2, s56, v2
	s_delay_alu instid0(VALU_DEP_2) | instskip(NEXT) | instid1(VALU_DEP_2)
	v_xor_b32_e32 v3, s56, v4
	v_sub_co_u32 v2, vcc_lo, v2, s56
	s_delay_alu instid0(VALU_DEP_2)
	v_subrev_co_ci_u32_e32 v3, vcc_lo, s56, v3, vcc_lo
	s_cbranch_execnz .LBB6_260
.LBB6_259:                              ;   in Loop: Header=BB6_33 Depth=1
	v_cvt_f32_u32_e32 v2, s33
	s_sub_i32 s4, 0, s33
	s_delay_alu instid0(VALU_DEP_1) | instskip(SKIP_2) | instid1(VALU_DEP_1)
	v_rcp_iflag_f32_e32 v2, v2
	s_waitcnt_depctr 0xfff
	v_mul_f32_e32 v2, 0x4f7ffffe, v2
	v_cvt_u32_f32_e32 v2, v2
	s_delay_alu instid0(VALU_DEP_1) | instskip(NEXT) | instid1(VALU_DEP_1)
	v_mul_lo_u32 v3, s4, v2
	v_mul_hi_u32 v3, v2, v3
	s_delay_alu instid0(VALU_DEP_1) | instskip(NEXT) | instid1(VALU_DEP_1)
	v_add_nc_u32_e32 v2, v2, v3
	v_mul_hi_u32 v2, s17, v2
	s_delay_alu instid0(VALU_DEP_1) | instskip(NEXT) | instid1(VALU_DEP_1)
	v_mul_lo_u32 v2, v2, s33
	v_sub_nc_u32_e32 v2, s17, v2
	s_delay_alu instid0(VALU_DEP_1) | instskip(SKIP_1) | instid1(VALU_DEP_2)
	v_subrev_nc_u32_e32 v3, s33, v2
	v_cmp_le_u32_e32 vcc_lo, s33, v2
	v_cndmask_b32_e32 v2, v2, v3, vcc_lo
	s_delay_alu instid0(VALU_DEP_1) | instskip(SKIP_1) | instid1(VALU_DEP_2)
	v_subrev_nc_u32_e32 v3, s33, v2
	v_cmp_le_u32_e32 vcc_lo, s33, v2
	v_cndmask_b32_e32 v12, v2, v3, vcc_lo
	s_delay_alu instid0(VALU_DEP_1)
	v_dual_mov_b32 v2, v12 :: v_dual_mov_b32 v3, v13
.LBB6_260:                              ;   in Loop: Header=BB6_33 Depth=1
	s_delay_alu instid0(VALU_DEP_1) | instskip(NEXT) | instid1(VALU_DEP_2)
	v_sub_co_u32 v2, vcc_lo, s17, v2
	v_sub_co_ci_u32_e32 v3, vcc_lo, s5, v3, vcc_lo
	s_mov_b32 s57, 0
	s_mov_b32 s5, exec_lo
                                        ; implicit-def: $vgpr41
	s_delay_alu instid0(VALU_DEP_1)
	v_cmpx_gt_i64_e64 v[2:3], v[0:1]
	s_cbranch_execz .LBB6_268
; %bb.261:                              ;   in Loop: Header=BB6_33 Depth=1
	v_dual_mov_b32 v6, v0 :: v_dual_mov_b32 v5, v1
	v_mov_b32_e32 v4, v0
	s_mov_b32 s17, 0
                                        ; implicit-def: $sgpr18
	s_set_inst_prefetch_distance 0x1
	s_branch .LBB6_263
	.p2align	6
.LBB6_262:                              ;   in Loop: Header=BB6_263 Depth=2
	s_or_b32 exec_lo, exec_lo, s4
	s_waitcnt lgkmcnt(0)
	s_barrier
	buffer_gl0_inv
	ds_load_u16 v7, v13 offset:3072
	v_add_co_u32 v4, vcc_lo, v4, s33
	v_add_co_ci_u32_e32 v5, vcc_lo, 0, v5, vcc_lo
	v_add_nc_u32_e32 v6, s33, v6
	s_waitcnt lgkmcnt(0)
	s_barrier
	s_delay_alu instid0(VALU_DEP_2) | instskip(SKIP_2) | instid1(VALU_DEP_1)
	v_cmp_ge_i64_e32 vcc_lo, v[4:5], v[2:3]
	buffer_gl0_inv
	v_and_b32_e32 v8, 0xff, v7
	v_cmp_ne_u16_e64 s4, 0, v8
	s_delay_alu instid0(VALU_DEP_1) | instskip(NEXT) | instid1(SALU_CYCLE_1)
	s_or_b32 s56, s4, vcc_lo
	s_and_b32 s56, exec_lo, s56
	s_delay_alu instid0(SALU_CYCLE_1) | instskip(SKIP_2) | instid1(SALU_CYCLE_1)
	s_or_b32 s17, s56, s17
	s_and_not1_b32 s18, s18, exec_lo
	s_and_b32 s4, s4, exec_lo
	s_or_b32 s18, s18, s4
	s_and_not1_b32 exec_lo, exec_lo, s17
	s_cbranch_execz .LBB6_267
.LBB6_263:                              ;   Parent Loop BB6_33 Depth=1
                                        ; =>  This Inner Loop Header: Depth=2
	s_delay_alu instid0(VALU_DEP_1)
	v_cmp_gt_i64_e32 vcc_lo, s[8:9], v[4:5]
	v_mov_b32_e32 v7, 0
	s_and_saveexec_b32 s4, vcc_lo
	s_cbranch_execz .LBB6_265
; %bb.264:                              ;   in Loop: Header=BB6_263 Depth=2
	ds_load_u8 v7, v6
.LBB6_265:                              ;   in Loop: Header=BB6_263 Depth=2
	s_or_b32 exec_lo, exec_lo, s4
	s_waitcnt lgkmcnt(0)
	v_and_b32_e32 v8, s62, v7
	s_delay_alu instid0(VALU_DEP_1) | instskip(NEXT) | instid1(VALU_DEP_1)
	v_and_b32_e32 v8, 0xff, v8
	v_cmp_eq_u32_e64 s4, s63, v8
	s_delay_alu instid0(VALU_DEP_1) | instskip(NEXT) | instid1(SALU_CYCLE_1)
	s_and_b32 s56, vcc_lo, s4
	s_and_saveexec_b32 s4, s56
	s_cbranch_execz .LBB6_262
; %bb.266:                              ;   in Loop: Header=BB6_263 Depth=2
	v_lshlrev_b16 v7, 8, v7
	s_delay_alu instid0(VALU_DEP_1)
	v_or_b32_e32 v7, 1, v7
	ds_store_b16 v13, v7 offset:3072
	s_branch .LBB6_262
.LBB6_267:                              ;   in Loop: Header=BB6_33 Depth=1
	s_set_inst_prefetch_distance 0x2
	s_or_b32 exec_lo, exec_lo, s17
	v_lshrrev_b16 v41, 8, v7
	s_and_b32 s57, s18, exec_lo
.LBB6_268:                              ;   in Loop: Header=BB6_33 Depth=1
	s_or_b32 exec_lo, exec_lo, s5
	s_mov_b32 s56, -1
	s_mov_b32 s17, 0
	s_mov_b32 s18, 0
.LBB6_269:                              ;   in Loop: Header=BB6_33 Depth=1
	s_mov_b32 s9, 0
                                        ; implicit-def: $sgpr70
                                        ; implicit-def: $sgpr4_sgpr5
	s_and_saveexec_b32 s8, s57
	s_cbranch_execz .LBB6_282
; %bb.270:                              ;   in Loop: Header=BB6_33 Depth=1
	s_xor_b32 s9, s11, -1
	s_mov_b64 s[4:5], 1
	s_and_not1_b32 vcc_lo, exec_lo, s9
	s_mov_b32 s70, 1
	s_cbranch_vccnz .LBB6_281
; %bb.271:                              ;   in Loop: Header=BB6_33 Depth=1
	v_cmp_gt_i64_e64 s4, s[26:27], s[6:7]
	s_delay_alu instid0(VALU_DEP_1)
	s_and_b32 vcc_lo, exec_lo, s4
	s_cbranch_vccnz .LBB6_277
; %bb.272:                              ;   in Loop: Header=BB6_33 Depth=1
	ds_load_b64 v[2:3], v13 offset:5120
	s_waitcnt lgkmcnt(0)
	v_cmp_ne_u64_e32 vcc_lo, 0, v[2:3]
	s_cbranch_vccnz .LBB6_276
; %bb.273:                              ;   in Loop: Header=BB6_33 Depth=1
	s_and_saveexec_b32 s4, s0
	s_cbranch_execz .LBB6_275
; %bb.274:                              ;   in Loop: Header=BB6_33 Depth=1
	v_dual_mov_b32 v2, s6 :: v_dual_mov_b32 v3, s7
	ds_store_b64 v13, v[2:3] offset:5128
.LBB6_275:                              ;   in Loop: Header=BB6_33 Depth=1
	s_or_b32 exec_lo, exec_lo, s4
	s_waitcnt lgkmcnt(0)
	s_barrier
	buffer_gl0_inv
.LBB6_276:                              ;   in Loop: Header=BB6_33 Depth=1
	s_or_b32 s9, s63, s16
	s_or_b32 s11, s62, s16
	s_mov_b32 s4, 0
	s_mov_b32 s70, 8
	s_branch .LBB6_278
.LBB6_277:                              ;   in Loop: Header=BB6_33 Depth=1
	s_mov_b32 s4, -1
                                        ; implicit-def: $sgpr70
                                        ; implicit-def: $sgpr9
                                        ; implicit-def: $sgpr11
.LBB6_278:                              ;   in Loop: Header=BB6_33 Depth=1
	s_delay_alu instid0(SALU_CYCLE_1)
	s_and_not1_b32 vcc_lo, exec_lo, s4
	s_cbranch_vccnz .LBB6_280
; %bb.279:                              ;   in Loop: Header=BB6_33 Depth=1
	s_sub_u32 s26, s26, s6
	s_subb_u32 s27, s27, s7
	s_mov_b32 s70, 8
	s_mov_b32 s9, s63
	;; [unrolled: 1-line block ×3, first 2 shown]
.LBB6_280:                              ;   in Loop: Header=BB6_33 Depth=1
	s_mov_b64 s[4:5], s[26:27]
	s_mov_b32 s63, s9
	s_mov_b32 s62, s11
.LBB6_281:                              ;   in Loop: Header=BB6_33 Depth=1
	s_mov_b32 s9, exec_lo
.LBB6_282:                              ;   in Loop: Header=BB6_33 Depth=1
	s_or_b32 exec_lo, exec_lo, s8
	s_mov_b64 s[26:27], s[4:5]
.LBB6_283:                              ;   in Loop: Header=BB6_33 Depth=1
	s_and_not1_b32 s4, s13, exec_lo
	s_and_b32 s5, s17, exec_lo
	s_and_not1_b32 s6, s22, exec_lo
	s_or_b32 s13, s4, s5
	s_and_not1_b32 s4, s23, exec_lo
	s_and_b32 s5, s56, exec_lo
	s_and_b32 s7, s18, exec_lo
	s_or_b32 s23, s4, s5
	s_or_b32 s22, s6, s7
	s_and_b32 s5, s9, exec_lo
.LBB6_284:                              ;   in Loop: Header=BB6_33 Depth=1
	s_or_b32 exec_lo, exec_lo, s10
.LBB6_285:                              ;   in Loop: Header=BB6_33 Depth=1
	s_delay_alu instid0(SALU_CYCLE_1)
	s_and_not1_b32 s4, s20, exec_lo
	s_and_b32 s6, s13, exec_lo
	s_and_not1_b32 s7, s19, exec_lo
	s_or_b32 s20, s4, s6
	s_and_not1_b32 s4, s21, exec_lo
	s_and_b32 s6, s23, exec_lo
	s_and_b32 s8, s22, exec_lo
	s_or_b32 s21, s4, s6
	s_or_b32 s19, s7, s8
	s_and_b32 s5, s5, exec_lo
.LBB6_286:                              ;   in Loop: Header=BB6_33 Depth=1
	s_or_b32 exec_lo, exec_lo, s12
	s_and_saveexec_b32 s4, s5
	s_delay_alu instid0(SALU_CYCLE_1)
	s_xor_b32 s4, exec_lo, s4
	s_cbranch_execz .LBB6_31
.LBB6_287:                              ;   in Loop: Header=BB6_33 Depth=1
	s_and_b32 s5, s70, -9
	s_delay_alu instid0(SALU_CYCLE_1)
	s_cmp_eq_u32 s5, 0
	s_cbranch_scc1 .LBB6_29
; %bb.288:                              ;   in Loop: Header=BB6_33 Depth=1
	s_mov_b32 s5, -1
	s_mov_b32 s6, -1
                                        ; implicit-def: $sgpr62
                                        ; implicit-def: $sgpr99
                                        ; implicit-def: $sgpr104
	s_branch .LBB6_30
.LBB6_289:                              ;   in Loop: Header=BB6_33 Depth=1
                                        ; implicit-def: $vgpr2_vgpr3
	s_branch .LBB6_243
.LBB6_290:                              ;   in Loop: Header=BB6_33 Depth=1
                                        ; implicit-def: $vgpr2_vgpr3
	s_branch .LBB6_259
.LBB6_291:
	s_or_b32 exec_lo, exec_lo, s100
	s_xor_b32 s5, s103, -1
	s_xor_b32 s2, s101, -1
	s_xor_b32 s4, s102, -1
	s_mov_b32 s3, 0
	s_and_saveexec_b32 s6, s2
	s_delay_alu instid0(SALU_CYCLE_1)
	s_xor_b32 s2, exec_lo, s6
	s_cbranch_execz .LBB6_314
; %bb.292:
	s_and_saveexec_b32 s3, s5
	s_delay_alu instid0(SALU_CYCLE_1)
	s_xor_b32 s3, exec_lo, s3
	s_cbranch_execz .LBB6_312
; %bb.293:
	s_and_saveexec_b32 s5, s4
	s_delay_alu instid0(SALU_CYCLE_1)
	s_xor_b32 s4, exec_lo, s5
; %bb.294:
	v_mov_b32_e32 v41, v2
; %bb.295:
	s_or_b32 exec_lo, exec_lo, s4
	s_and_saveexec_b32 s4, s0
	s_cbranch_execz .LBB6_297
; %bb.296:
	v_dual_mov_b32 v2, 0 :: v_dual_mov_b32 v3, s24
	ds_store_b32 v2, v3 offset:5140
.LBB6_297:
	s_or_b32 exec_lo, exec_lo, s4
	s_waitcnt lgkmcnt(0)
	s_barrier
	buffer_gl0_inv
	s_and_saveexec_b32 s4, s1
	s_cbranch_execz .LBB6_309
; %bb.298:
	v_mov_b32_e32 v2, 0
	v_and_b32_e32 v6, 0xff, v41
	s_mov_b32 s5, 0
                                        ; implicit-def: $sgpr6
                                        ; implicit-def: $sgpr7
                                        ; implicit-def: $sgpr8
	ds_load_b32 v4, v2 offset:5140
	s_waitcnt lgkmcnt(0)
	v_ashrrev_i32_e32 v5, 31, v4
	s_set_inst_prefetch_distance 0x1
	s_branch .LBB6_301
	.p2align	6
.LBB6_299:                              ;   in Loop: Header=BB6_301 Depth=1
	s_or_b32 exec_lo, exec_lo, s11
	s_delay_alu instid0(SALU_CYCLE_1)
	s_and_not1_b32 s8, s8, exec_lo
	s_and_b32 s10, s10, exec_lo
	s_and_not1_b32 s7, s7, exec_lo
	s_and_b32 s1, s1, exec_lo
	s_or_b32 s8, s8, s10
	s_or_b32 s7, s7, s1
.LBB6_300:                              ;   in Loop: Header=BB6_301 Depth=1
	s_or_b32 exec_lo, exec_lo, s9
	s_delay_alu instid0(SALU_CYCLE_1) | instskip(NEXT) | instid1(SALU_CYCLE_1)
	s_and_b32 s1, exec_lo, s7
	s_or_b32 s5, s1, s5
	s_and_not1_b32 s1, s6, exec_lo
	s_and_b32 s6, s8, exec_lo
	s_delay_alu instid0(SALU_CYCLE_1)
	s_or_b32 s6, s1, s6
	s_and_not1_b32 exec_lo, exec_lo, s5
	s_cbranch_execz .LBB6_304
.LBB6_301:                              ; =>This Inner Loop Header: Depth=1
	v_dual_mov_b32 v3, v1 :: v_dual_mov_b32 v2, v0
	s_or_b32 s8, s8, exec_lo
	s_or_b32 s7, s7, exec_lo
	s_mov_b32 s9, exec_lo
                                        ; implicit-def: $vgpr0_vgpr1
	s_delay_alu instid0(VALU_DEP_1)
	v_cmpx_lt_i64_e64 v[2:3], v[4:5]
	s_cbranch_execz .LBB6_300
; %bb.302:                              ;   in Loop: Header=BB6_301 Depth=1
	global_load_u8 v0, v[10:11], off
	s_mov_b32 s1, -1
	s_mov_b32 s10, 0
	s_waitcnt vmcnt(0)
	v_cmp_ne_u16_e32 vcc_lo, v0, v6
                                        ; implicit-def: $vgpr0_vgpr1
	s_and_saveexec_b32 s11, vcc_lo
	s_cbranch_execz .LBB6_299
; %bb.303:                              ;   in Loop: Header=BB6_301 Depth=1
	v_add_co_u32 v0, vcc_lo, v2, s33
	v_add_co_ci_u32_e32 v1, vcc_lo, 0, v3, vcc_lo
	v_add_co_u32 v10, s1, v10, s88
	s_delay_alu instid0(VALU_DEP_1) | instskip(NEXT) | instid1(VALU_DEP_3)
	v_add_co_ci_u32_e64 v11, s1, s35, v11, s1
	v_cmp_le_i64_e32 vcc_lo, s[24:25], v[0:1]
	s_mov_b32 s10, exec_lo
	s_or_not1_b32 s1, vcc_lo, exec_lo
	s_branch .LBB6_299
.LBB6_304:
	s_set_inst_prefetch_distance 0x2
	s_or_b32 exec_lo, exec_lo, s5
	s_xor_b32 s1, s6, -1
	s_delay_alu instid0(SALU_CYCLE_1) | instskip(NEXT) | instid1(SALU_CYCLE_1)
	s_and_saveexec_b32 s5, s1
	s_xor_b32 s5, exec_lo, s5
	s_cbranch_execz .LBB6_309
; %bb.305:
	s_mov_b32 s5, exec_lo
	s_brev_b32 s1, -2
.LBB6_306:                              ; =>This Inner Loop Header: Depth=1
	s_ctz_i32_b32 s6, s5
	s_delay_alu instid0(SALU_CYCLE_1) | instskip(SKIP_1) | instid1(SALU_CYCLE_1)
	v_readlane_b32 s7, v2, s6
	s_lshl_b32 s6, 1, s6
	s_and_not1_b32 s5, s5, s6
	s_delay_alu instid0(VALU_DEP_1)
	s_min_i32 s1, s1, s7
	s_cmp_lg_u32 s5, 0
	s_cbranch_scc1 .LBB6_306
; %bb.307:
	v_mbcnt_lo_u32_b32 v0, exec_lo, 0
	s_mov_b32 s5, exec_lo
	s_delay_alu instid0(VALU_DEP_1)
	v_cmpx_eq_u32_e32 0, v0
	s_xor_b32 s5, exec_lo, s5
	s_cbranch_execz .LBB6_309
; %bb.308:
	v_dual_mov_b32 v0, 0 :: v_dual_mov_b32 v1, s1
	ds_min_i32 v0, v1 offset:5140
.LBB6_309:
	s_or_b32 exec_lo, exec_lo, s4
	s_waitcnt lgkmcnt(0)
	s_barrier
	buffer_gl0_inv
	s_and_saveexec_b32 s4, s0
	s_cbranch_execz .LBB6_311
; %bb.310:
	s_mul_i32 s0, s54, s43
	s_mul_hi_u32 s1, s54, s42
	v_readlane_b32 s16, v44, 0
	s_add_i32 s0, s1, s0
	s_mul_i32 s1, s55, s42
	v_readlane_b32 s17, v44, 1
	s_mul_i32 s5, s54, s42
	s_add_i32 s0, s0, s1
	s_sub_u32 s5, s34, s5
	s_subb_u32 s0, 0, s0
	s_mul_i32 s1, s5, s17
	s_mul_hi_u32 s6, s5, s16
	s_mul_i32 s0, s0, s16
	s_add_i32 s1, s6, s1
	s_mul_i32 s6, s52, s37
	s_mul_hi_u32 s7, s52, s36
	s_add_i32 s1, s1, s0
	s_add_i32 s0, s7, s6
	s_mul_i32 s6, s53, s36
	s_mul_i32 s7, s52, s36
	s_add_i32 s0, s0, s6
	s_sub_u32 s6, s28, s7
	s_subb_u32 s0, s29, s0
	s_mul_i32 s7, s6, s51
	s_mul_hi_u32 s8, s6, s50
	s_mul_i32 s0, s0, s50
	s_add_i32 s7, s8, s7
	s_mul_hi_u32 s8, s52, s48
	s_add_i32 s0, s7, s0
	s_mul_i32 s7, s52, s49
	s_mul_i32 s9, s28, s39
	s_add_i32 s7, s8, s7
	s_mul_i32 s8, s53, s48
	s_mul_hi_u32 s10, s28, s38
	s_add_i32 s11, s7, s8
	s_add_i32 s7, s10, s9
	s_mul_i32 s8, s29, s38
	s_mul_i32 s9, s28, s38
	s_add_i32 s7, s7, s8
	s_sub_u32 s8, s34, s9
	s_subb_u32 s7, 0, s7
	s_mul_i32 s9, s8, s65
	s_mul_hi_u32 s12, s8, s64
	s_mul_i32 s7, s7, s64
	s_add_i32 s9, s12, s9
	s_mul_i32 s12, s58, s41
	s_mul_hi_u32 s13, s58, s40
	s_add_i32 s14, s9, s7
	s_add_i32 s7, s13, s12
	s_mul_i32 s9, s59, s40
	v_mov_b32_e32 v2, 0
	s_mul_i32 s12, s58, s40
	s_add_i32 s7, s7, s9
	s_sub_u32 s12, s54, s12
	s_mul_i32 s13, s8, s64
	s_mul_i32 s8, s12, s47
	s_mul_hi_u32 s9, s12, s46
	ds_load_b32 v0, v2 offset:5140
	s_subb_u32 s7, s55, s7
	s_add_i32 s8, s9, s8
	s_mul_i32 s9, s58, s45
	s_mul_hi_u32 s15, s58, s44
	v_readlane_b32 s18, v44, 4
	v_readlane_b32 s19, v44, 5
	s_mul_i32 s7, s7, s46
	s_add_i32 s9, s15, s9
	s_mul_i32 s15, s59, s44
	s_mul_i32 s10, s52, s48
	s_add_i32 s7, s8, s7
	s_add_i32 s9, s9, s15
	s_mul_i32 s6, s6, s50
	s_add_u32 s10, s18, s10
	s_addc_u32 s11, s19, s11
	s_add_u32 s6, s10, s6
	s_addc_u32 s0, s11, s0
	s_add_u32 s10, s6, s13
	s_mul_i32 s6, s12, s46
	v_readlane_b32 s12, v44, 2
	s_mul_i32 s8, s58, s44
	v_readlane_b32 s13, v44, 3
	s_addc_u32 s11, s0, s14
	s_lshl_b64 s[8:9], s[8:9], 3
	s_mul_i32 s0, s5, s16
	s_add_u32 s8, s12, s8
	s_addc_u32 s9, s13, s9
	s_lshl_b64 s[6:7], s[6:7], 3
	s_waitcnt lgkmcnt(0)
	v_ashrrev_i32_e32 v1, 31, v0
	s_add_u32 s5, s8, s6
	s_addc_u32 s6, s9, s7
	s_lshl_b64 s[0:1], s[0:1], 3
	s_delay_alu instid0(SALU_CYCLE_1)
	s_add_u32 s0, s5, s0
	s_addc_u32 s1, s6, s1
	s_clause 0x1
	global_store_b64 v2, v[0:1], s[0:1]
	global_store_b8 v2, v41, s[10:11]
.LBB6_311:
	s_or_b32 exec_lo, exec_lo, s4
.LBB6_312:
	s_or_saveexec_b32 s0, s3
	s_mov_b32 s1, 0
	s_xor_b32 exec_lo, exec_lo, s0
	s_cbranch_execnz .LBB6_320
.LBB6_313:
	s_or_b32 exec_lo, exec_lo, s0
	s_delay_alu instid0(SALU_CYCLE_1)
	s_and_b32 s3, s1, exec_lo
.LBB6_314:
	s_and_not1_saveexec_b32 s0, s2
	s_cbranch_execnz .LBB6_318
; %bb.315:
	s_or_b32 exec_lo, exec_lo, s0
	s_and_saveexec_b32 s0, s3
.LBB6_316:
	; divergent unreachable
.LBB6_317:
	s_nop 0
	s_sendmsg sendmsg(MSG_DEALLOC_VGPRS)
	s_endpgm
.LBB6_318:
	s_cbranch_execnz .LBB6_322
; %bb.319:
	s_or_b32 s3, s3, exec_lo
	s_or_b32 exec_lo, exec_lo, s0
	s_and_saveexec_b32 s0, s3
	s_cbranch_execnz .LBB6_316
	s_branch .LBB6_317
.LBB6_320:
	s_cbranch_execnz .LBB6_324
; %bb.321:
	s_mov_b32 s1, exec_lo
	s_branch .LBB6_313
.LBB6_322:
	s_trap 2
	s_sendmsg_rtn_b32 s0, sendmsg(MSG_RTN_GET_DOORBELL)
	s_mov_b32 ttmp2, m0
	s_waitcnt lgkmcnt(0)
	s_and_b32 s0, s0, 0x3ff
	s_delay_alu instid0(SALU_CYCLE_1) | instskip(NEXT) | instid1(SALU_CYCLE_1)
	s_bitset1_b32 s0, 10
	s_mov_b32 m0, s0
	s_sendmsg sendmsg(MSG_INTERRUPT)
	s_mov_b32 m0, ttmp2
.LBB6_323:                              ; =>This Inner Loop Header: Depth=1
	s_sethalt 5
	s_branch .LBB6_323
.LBB6_324:
	s_trap 2
	s_sendmsg_rtn_b32 s0, sendmsg(MSG_RTN_GET_DOORBELL)
	s_mov_b32 ttmp2, m0
	s_waitcnt lgkmcnt(0)
	s_and_b32 s0, s0, 0x3ff
	s_delay_alu instid0(SALU_CYCLE_1) | instskip(NEXT) | instid1(SALU_CYCLE_1)
	s_bitset1_b32 s0, 10
	s_mov_b32 m0, s0
	s_sendmsg sendmsg(MSG_INTERRUPT)
	s_mov_b32 m0, ttmp2
.LBB6_325:                              ; =>This Inner Loop Header: Depth=1
	s_sethalt 5
	s_branch .LBB6_325
	.section	.rodata,"a",@progbits
	.p2align	6, 0x0
	.amdhsa_kernel _ZN2at6native12_GLOBAL__N_114gatherKthValueIhlLi3EEEvNS_4cuda6detail10TensorInfoIKT_T0_EES8_S8_S8_S8_NS5_IS6_S8_EENS5_IlS8_EE
		.amdhsa_group_segment_fixed_size 5144
		.amdhsa_private_segment_fixed_size 0
		.amdhsa_kernarg_size 1536
		.amdhsa_user_sgpr_count 13
		.amdhsa_user_sgpr_dispatch_ptr 0
		.amdhsa_user_sgpr_queue_ptr 0
		.amdhsa_user_sgpr_kernarg_segment_ptr 1
		.amdhsa_user_sgpr_dispatch_id 0
		.amdhsa_user_sgpr_private_segment_size 0
		.amdhsa_wavefront_size32 1
		.amdhsa_uses_dynamic_stack 0
		.amdhsa_enable_private_segment 0
		.amdhsa_system_sgpr_workgroup_id_x 1
		.amdhsa_system_sgpr_workgroup_id_y 1
		.amdhsa_system_sgpr_workgroup_id_z 1
		.amdhsa_system_sgpr_workgroup_info 0
		.amdhsa_system_vgpr_workitem_id 0
		.amdhsa_next_free_vgpr 45
		.amdhsa_next_free_sgpr 105
		.amdhsa_reserve_vcc 1
		.amdhsa_float_round_mode_32 0
		.amdhsa_float_round_mode_16_64 0
		.amdhsa_float_denorm_mode_32 3
		.amdhsa_float_denorm_mode_16_64 3
		.amdhsa_dx10_clamp 1
		.amdhsa_ieee_mode 1
		.amdhsa_fp16_overflow 0
		.amdhsa_workgroup_processor_mode 1
		.amdhsa_memory_ordered 1
		.amdhsa_forward_progress 0
		.amdhsa_shared_vgpr_count 0
		.amdhsa_exception_fp_ieee_invalid_op 0
		.amdhsa_exception_fp_denorm_src 0
		.amdhsa_exception_fp_ieee_div_zero 0
		.amdhsa_exception_fp_ieee_overflow 0
		.amdhsa_exception_fp_ieee_underflow 0
		.amdhsa_exception_fp_ieee_inexact 0
		.amdhsa_exception_int_div_zero 0
	.end_amdhsa_kernel
	.section	.text._ZN2at6native12_GLOBAL__N_114gatherKthValueIhlLi3EEEvNS_4cuda6detail10TensorInfoIKT_T0_EES8_S8_S8_S8_NS5_IS6_S8_EENS5_IlS8_EE,"axG",@progbits,_ZN2at6native12_GLOBAL__N_114gatherKthValueIhlLi3EEEvNS_4cuda6detail10TensorInfoIKT_T0_EES8_S8_S8_S8_NS5_IS6_S8_EENS5_IlS8_EE,comdat
.Lfunc_end6:
	.size	_ZN2at6native12_GLOBAL__N_114gatherKthValueIhlLi3EEEvNS_4cuda6detail10TensorInfoIKT_T0_EES8_S8_S8_S8_NS5_IS6_S8_EENS5_IlS8_EE, .Lfunc_end6-_ZN2at6native12_GLOBAL__N_114gatherKthValueIhlLi3EEEvNS_4cuda6detail10TensorInfoIKT_T0_EES8_S8_S8_S8_NS5_IS6_S8_EENS5_IlS8_EE
                                        ; -- End function
	.section	.AMDGPU.csdata,"",@progbits
; Kernel info:
; codeLenInByte = 22228
; NumSgprs: 107
; NumVgprs: 45
; ScratchSize: 0
; MemoryBound: 0
; FloatMode: 240
; IeeeMode: 1
; LDSByteSize: 5144 bytes/workgroup (compile time only)
; SGPRBlocks: 13
; VGPRBlocks: 5
; NumSGPRsForWavesPerEU: 107
; NumVGPRsForWavesPerEU: 45
; Occupancy: 16
; WaveLimiterHint : 1
; COMPUTE_PGM_RSRC2:SCRATCH_EN: 0
; COMPUTE_PGM_RSRC2:USER_SGPR: 13
; COMPUTE_PGM_RSRC2:TRAP_HANDLER: 0
; COMPUTE_PGM_RSRC2:TGID_X_EN: 1
; COMPUTE_PGM_RSRC2:TGID_Y_EN: 1
; COMPUTE_PGM_RSRC2:TGID_Z_EN: 1
; COMPUTE_PGM_RSRC2:TIDIG_COMP_CNT: 0
	.section	.text._ZN2at6native12_GLOBAL__N_114gatherKthValueIhlLin1EEEvNS_4cuda6detail10TensorInfoIKT_T0_EES8_S8_S8_S8_NS5_IS6_S8_EENS5_IlS8_EE,"axG",@progbits,_ZN2at6native12_GLOBAL__N_114gatherKthValueIhlLin1EEEvNS_4cuda6detail10TensorInfoIKT_T0_EES8_S8_S8_S8_NS5_IS6_S8_EENS5_IlS8_EE,comdat
	.globl	_ZN2at6native12_GLOBAL__N_114gatherKthValueIhlLin1EEEvNS_4cuda6detail10TensorInfoIKT_T0_EES8_S8_S8_S8_NS5_IS6_S8_EENS5_IlS8_EE ; -- Begin function _ZN2at6native12_GLOBAL__N_114gatherKthValueIhlLin1EEEvNS_4cuda6detail10TensorInfoIKT_T0_EES8_S8_S8_S8_NS5_IS6_S8_EENS5_IlS8_EE
	.p2align	8
	.type	_ZN2at6native12_GLOBAL__N_114gatherKthValueIhlLin1EEEvNS_4cuda6detail10TensorInfoIKT_T0_EES8_S8_S8_S8_NS5_IS6_S8_EENS5_IlS8_EE,@function
_ZN2at6native12_GLOBAL__N_114gatherKthValueIhlLin1EEEvNS_4cuda6detail10TensorInfoIKT_T0_EES8_S8_S8_S8_NS5_IS6_S8_EENS5_IlS8_EE: ; @_ZN2at6native12_GLOBAL__N_114gatherKthValueIhlLin1EEEvNS_4cuda6detail10TensorInfoIKT_T0_EES8_S8_S8_S8_NS5_IS6_S8_EENS5_IlS8_EE
; %bb.0:
	s_clause 0x1
	s_load_b64 s[8:9], s[0:1], 0x500
	s_load_b256 s[24:31], s[0:1], 0x1a0
	s_add_u32 s6, s0, 0x500
	s_addc_u32 s7, s1, 0
	s_mov_b32 s3, 0
	s_waitcnt lgkmcnt(0)
	s_mul_i32 s2, s9, s15
	s_delay_alu instid0(SALU_CYCLE_1) | instskip(NEXT) | instid1(SALU_CYCLE_1)
	s_add_i32 s2, s2, s14
	s_mul_i32 s2, s2, s8
	s_delay_alu instid0(SALU_CYCLE_1) | instskip(NEXT) | instid1(SALU_CYCLE_1)
	s_add_i32 s2, s2, s13
	v_cmp_ge_i64_e64 s4, s[2:3], s[28:29]
	s_delay_alu instid0(VALU_DEP_1)
	s_and_b32 vcc_lo, exec_lo, s4
	s_cbranch_vccnz .LBB7_317
; %bb.1:
	s_load_b32 s9, s[0:1], 0x198
	s_mov_b64 s[4:5], 0
	s_mov_b64 s[10:11], s[2:3]
	s_waitcnt lgkmcnt(0)
	s_cmp_lt_i32 s9, 2
	s_cbranch_scc1 .LBB7_9
; %bb.2:
	s_mov_b32 s14, 0
	s_add_i32 s4, s9, -1
	s_mov_b32 s5, s14
	s_add_i32 s9, s9, 1
	s_lshl_b64 s[10:11], s[4:5], 3
	s_mov_b64 s[4:5], 0
	s_add_u32 s10, s10, s0
	s_addc_u32 s11, s11, s1
	s_add_u32 s16, s10, 8
	s_addc_u32 s17, s11, 0
	s_mov_b64 s[18:19], s[2:3]
.LBB7_3:                                ; =>This Inner Loop Header: Depth=1
	s_load_b64 s[20:21], s[16:17], 0x0
	s_mov_b32 s12, -1
	s_waitcnt lgkmcnt(0)
	s_or_b64 s[10:11], s[18:19], s[20:21]
	s_delay_alu instid0(SALU_CYCLE_1) | instskip(NEXT) | instid1(SALU_CYCLE_1)
	s_mov_b32 s15, s11
                                        ; implicit-def: $sgpr10_sgpr11
	s_cmp_lg_u64 s[14:15], 0
	s_cbranch_scc0 .LBB7_5
; %bb.4:                                ;   in Loop: Header=BB7_3 Depth=1
	s_ashr_i32 s10, s21, 31
	s_delay_alu instid0(SALU_CYCLE_1) | instskip(SKIP_2) | instid1(SALU_CYCLE_1)
	s_add_u32 s22, s20, s10
	s_mov_b32 s11, s10
	s_addc_u32 s23, s21, s10
	s_xor_b64 s[22:23], s[22:23], s[10:11]
	s_delay_alu instid0(SALU_CYCLE_1)
	v_cvt_f32_u32_e32 v1, s22
	v_cvt_f32_u32_e32 v2, s23
	s_sub_u32 s28, 0, s22
	s_subb_u32 s29, 0, s23
	s_waitcnt_depctr 0xfff
	v_fmac_f32_e32 v1, 0x4f800000, v2
	s_delay_alu instid0(VALU_DEP_1) | instskip(SKIP_2) | instid1(VALU_DEP_1)
	v_rcp_f32_e32 v1, v1
	s_waitcnt_depctr 0xfff
	v_mul_f32_e32 v1, 0x5f7ffffc, v1
	v_mul_f32_e32 v2, 0x2f800000, v1
	s_delay_alu instid0(VALU_DEP_1) | instskip(NEXT) | instid1(VALU_DEP_1)
	v_trunc_f32_e32 v2, v2
	v_fmac_f32_e32 v1, 0xcf800000, v2
	v_cvt_u32_f32_e32 v2, v2
	s_delay_alu instid0(VALU_DEP_2) | instskip(NEXT) | instid1(VALU_DEP_2)
	v_cvt_u32_f32_e32 v1, v1
	v_readfirstlane_b32 s12, v2
	s_delay_alu instid0(VALU_DEP_2) | instskip(NEXT) | instid1(VALU_DEP_2)
	v_readfirstlane_b32 s15, v1
	s_mul_i32 s33, s28, s12
	s_delay_alu instid0(VALU_DEP_1)
	s_mul_hi_u32 s35, s28, s15
	s_mul_i32 s34, s29, s15
	s_add_i32 s33, s35, s33
	s_mul_i32 s36, s28, s15
	s_add_i32 s33, s33, s34
	s_mul_hi_u32 s35, s15, s36
	s_mul_hi_u32 s37, s12, s36
	s_mul_i32 s34, s12, s36
	s_mul_hi_u32 s36, s15, s33
	s_mul_i32 s15, s15, s33
	s_mul_hi_u32 s38, s12, s33
	s_add_u32 s15, s35, s15
	s_addc_u32 s35, 0, s36
	s_add_u32 s15, s15, s34
	s_mul_i32 s33, s12, s33
	s_addc_u32 s15, s35, s37
	s_addc_u32 s34, s38, 0
	s_add_u32 s15, s15, s33
	s_addc_u32 s33, 0, s34
	v_add_co_u32 v1, s15, v1, s15
	s_delay_alu instid0(VALU_DEP_1) | instskip(SKIP_1) | instid1(VALU_DEP_1)
	s_cmp_lg_u32 s15, 0
	s_addc_u32 s12, s12, s33
	v_readfirstlane_b32 s15, v1
	s_mul_i32 s33, s28, s12
	s_delay_alu instid0(VALU_DEP_1)
	s_mul_hi_u32 s34, s28, s15
	s_mul_i32 s29, s29, s15
	s_add_i32 s33, s34, s33
	s_mul_i32 s28, s28, s15
	s_add_i32 s33, s33, s29
	s_mul_hi_u32 s34, s12, s28
	s_mul_i32 s35, s12, s28
	s_mul_hi_u32 s28, s15, s28
	s_mul_hi_u32 s36, s15, s33
	s_mul_i32 s15, s15, s33
	s_mul_hi_u32 s29, s12, s33
	s_add_u32 s15, s28, s15
	s_addc_u32 s28, 0, s36
	s_add_u32 s15, s15, s35
	s_mul_i32 s33, s12, s33
	s_addc_u32 s15, s28, s34
	s_addc_u32 s28, s29, 0
	s_add_u32 s15, s15, s33
	s_addc_u32 s28, 0, s28
	v_add_co_u32 v1, s15, v1, s15
	s_delay_alu instid0(VALU_DEP_1) | instskip(SKIP_2) | instid1(VALU_DEP_1)
	s_cmp_lg_u32 s15, 0
	s_addc_u32 s12, s12, s28
	s_ashr_i32 s28, s19, 31
	v_readfirstlane_b32 s15, v1
	s_add_u32 s34, s18, s28
	s_mov_b32 s29, s28
	s_addc_u32 s35, s19, s28
	s_delay_alu instid0(SALU_CYCLE_1) | instskip(NEXT) | instid1(SALU_CYCLE_1)
	s_xor_b64 s[34:35], s[34:35], s[28:29]
	s_mul_i32 s36, s34, s12
	s_mul_hi_u32 s37, s34, s15
	s_mul_hi_u32 s33, s34, s12
	;; [unrolled: 1-line block ×3, first 2 shown]
	s_mul_i32 s15, s35, s15
	s_add_u32 s36, s37, s36
	s_addc_u32 s33, 0, s33
	s_mul_hi_u32 s38, s35, s12
	s_add_u32 s15, s36, s15
	s_mul_i32 s12, s35, s12
	s_addc_u32 s15, s33, s39
	s_addc_u32 s33, s38, 0
	s_add_u32 s12, s15, s12
	s_addc_u32 s15, 0, s33
	s_mul_i32 s38, s22, s12
	s_mul_hi_u32 s33, s22, s12
	s_mul_i32 s37, s22, s15
	v_sub_co_u32 v1, s34, s34, s38
	s_mul_i32 s36, s23, s12
	s_add_i32 s33, s33, s37
	s_delay_alu instid0(SALU_CYCLE_1) | instskip(NEXT) | instid1(VALU_DEP_1)
	s_add_i32 s33, s33, s36
	v_sub_co_u32 v2, s37, v1, s22
	s_sub_i32 s36, s35, s33
	s_cmp_lg_u32 s34, 0
	s_subb_u32 s36, s36, s23
	s_cmp_lg_u32 s37, 0
	v_readfirstlane_b32 s37, v2
	s_subb_u32 s36, s36, 0
	s_delay_alu instid0(SALU_CYCLE_1) | instskip(SKIP_1) | instid1(VALU_DEP_1)
	s_cmp_ge_u32 s36, s23
	s_cselect_b32 s38, -1, 0
	s_cmp_ge_u32 s37, s22
	s_cselect_b32 s37, -1, 0
	s_cmp_eq_u32 s36, s23
	s_cselect_b32 s36, s37, s38
	s_add_u32 s37, s12, 1
	s_addc_u32 s38, s15, 0
	s_add_u32 s39, s12, 2
	s_addc_u32 s40, s15, 0
	s_cmp_lg_u32 s36, 0
	s_cselect_b32 s36, s39, s37
	s_cselect_b32 s37, s40, s38
	s_cmp_lg_u32 s34, 0
	v_readfirstlane_b32 s34, v1
	s_subb_u32 s33, s35, s33
	s_delay_alu instid0(SALU_CYCLE_1) | instskip(SKIP_1) | instid1(VALU_DEP_1)
	s_cmp_ge_u32 s33, s23
	s_cselect_b32 s35, -1, 0
	s_cmp_ge_u32 s34, s22
	s_cselect_b32 s22, -1, 0
	s_cmp_eq_u32 s33, s23
	s_cselect_b32 s22, s22, s35
	s_delay_alu instid0(SALU_CYCLE_1)
	s_cmp_lg_u32 s22, 0
	s_cselect_b32 s23, s37, s15
	s_cselect_b32 s22, s36, s12
	s_xor_b64 s[10:11], s[28:29], s[10:11]
	s_mov_b32 s12, 0
	s_xor_b64 s[22:23], s[22:23], s[10:11]
	s_delay_alu instid0(SALU_CYCLE_1)
	s_sub_u32 s10, s22, s10
	s_subb_u32 s11, s23, s11
.LBB7_5:                                ;   in Loop: Header=BB7_3 Depth=1
	s_and_not1_b32 vcc_lo, exec_lo, s12
	s_cbranch_vccnz .LBB7_7
; %bb.6:                                ;   in Loop: Header=BB7_3 Depth=1
	v_cvt_f32_u32_e32 v1, s20
	s_sub_i32 s11, 0, s20
	s_waitcnt_depctr 0xfff
	v_rcp_iflag_f32_e32 v1, v1
	s_waitcnt_depctr 0xfff
	v_mul_f32_e32 v1, 0x4f7ffffe, v1
	s_delay_alu instid0(VALU_DEP_1) | instskip(NEXT) | instid1(VALU_DEP_1)
	v_cvt_u32_f32_e32 v1, v1
	v_readfirstlane_b32 s10, v1
	s_delay_alu instid0(VALU_DEP_1) | instskip(NEXT) | instid1(SALU_CYCLE_1)
	s_mul_i32 s11, s11, s10
	s_mul_hi_u32 s11, s10, s11
	s_delay_alu instid0(SALU_CYCLE_1) | instskip(NEXT) | instid1(SALU_CYCLE_1)
	s_add_i32 s10, s10, s11
	s_mul_hi_u32 s10, s18, s10
	s_delay_alu instid0(SALU_CYCLE_1) | instskip(SKIP_2) | instid1(SALU_CYCLE_1)
	s_mul_i32 s11, s10, s20
	s_add_i32 s12, s10, 1
	s_sub_i32 s11, s18, s11
	s_sub_i32 s15, s11, s20
	s_cmp_ge_u32 s11, s20
	s_cselect_b32 s10, s12, s10
	s_cselect_b32 s11, s15, s11
	s_add_i32 s12, s10, 1
	s_cmp_ge_u32 s11, s20
	s_mov_b32 s11, s14
	s_cselect_b32 s10, s12, s10
.LBB7_7:                                ;   in Loop: Header=BB7_3 Depth=1
	s_load_b64 s[22:23], s[16:17], 0xc8
	s_mul_i32 s12, s10, s21
	s_mul_hi_u32 s15, s10, s20
	s_mul_i32 s21, s11, s20
	s_add_i32 s12, s15, s12
	s_mul_i32 s15, s10, s20
	s_add_i32 s12, s12, s21
	s_sub_u32 s15, s18, s15
	s_subb_u32 s12, s19, s12
	s_waitcnt lgkmcnt(0)
	s_mul_i32 s12, s22, s12
	s_mul_hi_u32 s18, s22, s15
	s_mul_i32 s19, s23, s15
	s_add_i32 s12, s18, s12
	s_mul_i32 s15, s22, s15
	s_add_i32 s12, s12, s19
	s_add_u32 s4, s15, s4
	s_addc_u32 s5, s12, s5
	s_add_i32 s9, s9, -1
	s_add_u32 s16, s16, -8
	s_addc_u32 s17, s17, -1
	s_cmp_gt_u32 s9, 2
	s_cbranch_scc0 .LBB7_9
; %bb.8:                                ;   in Loop: Header=BB7_3 Depth=1
	s_mov_b64 s[18:19], s[10:11]
	s_branch .LBB7_3
.LBB7_9:
	s_clause 0x1
	s_load_b32 s9, s[0:1], 0x358
	s_load_b64 s[14:15], s[0:1], 0xd0
	s_add_u32 s16, s0, 0x1c0
	s_addc_u32 s17, s1, 0
	s_mov_b64 s[28:29], 0
	s_mov_b64 s[34:35], s[2:3]
	s_waitcnt lgkmcnt(0)
	s_cmp_lt_i32 s9, 2
	s_cbranch_scc1 .LBB7_17
; %bb.10:
	s_mov_b32 s18, 0
	s_add_i32 s20, s9, -1
	s_mov_b32 s21, s18
	s_add_i32 s9, s9, 1
	s_lshl_b64 s[20:21], s[20:21], 3
	s_mov_b64 s[22:23], s[2:3]
	s_add_u32 s12, s20, s16
	s_addc_u32 s19, s21, s17
	s_add_u32 s20, s12, 8
	s_addc_u32 s21, s19, 0
.LBB7_11:                               ; =>This Inner Loop Header: Depth=1
	s_load_b64 s[36:37], s[20:21], 0x0
	s_mov_b32 s12, -1
	s_waitcnt lgkmcnt(0)
	s_or_b64 s[34:35], s[22:23], s[36:37]
	s_delay_alu instid0(SALU_CYCLE_1) | instskip(NEXT) | instid1(SALU_CYCLE_1)
	s_mov_b32 s19, s35
                                        ; implicit-def: $sgpr34_sgpr35
	s_cmp_lg_u64 s[18:19], 0
	s_cbranch_scc0 .LBB7_13
; %bb.12:                               ;   in Loop: Header=BB7_11 Depth=1
	s_ashr_i32 s34, s37, 31
	s_delay_alu instid0(SALU_CYCLE_1) | instskip(SKIP_2) | instid1(SALU_CYCLE_1)
	s_add_u32 s38, s36, s34
	s_mov_b32 s35, s34
	s_addc_u32 s39, s37, s34
	s_xor_b64 s[38:39], s[38:39], s[34:35]
	s_delay_alu instid0(SALU_CYCLE_1)
	v_cvt_f32_u32_e32 v1, s38
	v_cvt_f32_u32_e32 v2, s39
	s_sub_u32 s33, 0, s38
	s_subb_u32 s40, 0, s39
	s_waitcnt_depctr 0xfff
	v_fmac_f32_e32 v1, 0x4f800000, v2
	s_delay_alu instid0(VALU_DEP_1) | instskip(SKIP_2) | instid1(VALU_DEP_1)
	v_rcp_f32_e32 v1, v1
	s_waitcnt_depctr 0xfff
	v_mul_f32_e32 v1, 0x5f7ffffc, v1
	v_mul_f32_e32 v2, 0x2f800000, v1
	s_delay_alu instid0(VALU_DEP_1) | instskip(NEXT) | instid1(VALU_DEP_1)
	v_trunc_f32_e32 v2, v2
	v_fmac_f32_e32 v1, 0xcf800000, v2
	v_cvt_u32_f32_e32 v2, v2
	s_delay_alu instid0(VALU_DEP_2) | instskip(NEXT) | instid1(VALU_DEP_2)
	v_cvt_u32_f32_e32 v1, v1
	v_readfirstlane_b32 s12, v2
	s_delay_alu instid0(VALU_DEP_2) | instskip(NEXT) | instid1(VALU_DEP_2)
	v_readfirstlane_b32 s19, v1
	s_mul_i32 s41, s33, s12
	s_delay_alu instid0(VALU_DEP_1)
	s_mul_hi_u32 s43, s33, s19
	s_mul_i32 s42, s40, s19
	s_add_i32 s41, s43, s41
	s_mul_i32 s44, s33, s19
	s_add_i32 s41, s41, s42
	s_mul_hi_u32 s43, s19, s44
	s_mul_hi_u32 s45, s12, s44
	s_mul_i32 s42, s12, s44
	s_mul_hi_u32 s44, s19, s41
	s_mul_i32 s19, s19, s41
	s_mul_hi_u32 s46, s12, s41
	s_add_u32 s19, s43, s19
	s_addc_u32 s43, 0, s44
	s_add_u32 s19, s19, s42
	s_mul_i32 s41, s12, s41
	s_addc_u32 s19, s43, s45
	s_addc_u32 s42, s46, 0
	s_add_u32 s19, s19, s41
	s_addc_u32 s41, 0, s42
	v_add_co_u32 v1, s19, v1, s19
	s_delay_alu instid0(VALU_DEP_1) | instskip(SKIP_1) | instid1(VALU_DEP_1)
	s_cmp_lg_u32 s19, 0
	s_addc_u32 s12, s12, s41
	v_readfirstlane_b32 s19, v1
	s_mul_i32 s41, s33, s12
	s_delay_alu instid0(VALU_DEP_1)
	s_mul_hi_u32 s42, s33, s19
	s_mul_i32 s40, s40, s19
	s_add_i32 s41, s42, s41
	s_mul_i32 s33, s33, s19
	s_add_i32 s41, s41, s40
	s_mul_hi_u32 s42, s12, s33
	s_mul_i32 s43, s12, s33
	s_mul_hi_u32 s33, s19, s33
	s_mul_hi_u32 s44, s19, s41
	s_mul_i32 s19, s19, s41
	s_mul_hi_u32 s40, s12, s41
	s_add_u32 s19, s33, s19
	s_addc_u32 s33, 0, s44
	s_add_u32 s19, s19, s43
	s_mul_i32 s41, s12, s41
	s_addc_u32 s19, s33, s42
	s_addc_u32 s33, s40, 0
	s_add_u32 s19, s19, s41
	s_addc_u32 s33, 0, s33
	v_add_co_u32 v1, s19, v1, s19
	s_delay_alu instid0(VALU_DEP_1) | instskip(SKIP_2) | instid1(VALU_DEP_1)
	s_cmp_lg_u32 s19, 0
	s_addc_u32 s12, s12, s33
	s_ashr_i32 s40, s23, 31
	v_readfirstlane_b32 s19, v1
	s_add_u32 s42, s22, s40
	s_mov_b32 s41, s40
	s_addc_u32 s43, s23, s40
	s_delay_alu instid0(SALU_CYCLE_1) | instskip(NEXT) | instid1(SALU_CYCLE_1)
	s_xor_b64 s[42:43], s[42:43], s[40:41]
	s_mul_i32 s44, s42, s12
	s_mul_hi_u32 s45, s42, s19
	s_mul_hi_u32 s33, s42, s12
	;; [unrolled: 1-line block ×3, first 2 shown]
	s_mul_i32 s19, s43, s19
	s_add_u32 s44, s45, s44
	s_addc_u32 s33, 0, s33
	s_mul_hi_u32 s46, s43, s12
	s_add_u32 s19, s44, s19
	s_mul_i32 s12, s43, s12
	s_addc_u32 s19, s33, s47
	s_addc_u32 s33, s46, 0
	s_add_u32 s12, s19, s12
	s_addc_u32 s19, 0, s33
	s_mul_i32 s46, s38, s12
	s_mul_hi_u32 s33, s38, s12
	s_mul_i32 s45, s38, s19
	v_sub_co_u32 v1, s42, s42, s46
	s_mul_i32 s44, s39, s12
	s_add_i32 s33, s33, s45
	s_delay_alu instid0(SALU_CYCLE_1) | instskip(NEXT) | instid1(VALU_DEP_1)
	s_add_i32 s33, s33, s44
	v_sub_co_u32 v2, s45, v1, s38
	s_sub_i32 s44, s43, s33
	s_cmp_lg_u32 s42, 0
	s_subb_u32 s44, s44, s39
	s_cmp_lg_u32 s45, 0
	v_readfirstlane_b32 s45, v2
	s_subb_u32 s44, s44, 0
	s_delay_alu instid0(SALU_CYCLE_1) | instskip(SKIP_1) | instid1(VALU_DEP_1)
	s_cmp_ge_u32 s44, s39
	s_cselect_b32 s46, -1, 0
	s_cmp_ge_u32 s45, s38
	s_cselect_b32 s45, -1, 0
	s_cmp_eq_u32 s44, s39
	s_cselect_b32 s44, s45, s46
	s_add_u32 s45, s12, 1
	s_addc_u32 s46, s19, 0
	s_add_u32 s47, s12, 2
	s_addc_u32 s48, s19, 0
	s_cmp_lg_u32 s44, 0
	s_cselect_b32 s44, s47, s45
	s_cselect_b32 s45, s48, s46
	s_cmp_lg_u32 s42, 0
	v_readfirstlane_b32 s42, v1
	s_subb_u32 s33, s43, s33
	s_delay_alu instid0(SALU_CYCLE_1) | instskip(SKIP_1) | instid1(VALU_DEP_1)
	s_cmp_ge_u32 s33, s39
	s_cselect_b32 s43, -1, 0
	s_cmp_ge_u32 s42, s38
	s_cselect_b32 s38, -1, 0
	s_cmp_eq_u32 s33, s39
	s_cselect_b32 s33, s38, s43
	s_delay_alu instid0(SALU_CYCLE_1)
	s_cmp_lg_u32 s33, 0
	s_cselect_b32 s39, s45, s19
	s_cselect_b32 s38, s44, s12
	s_xor_b64 s[34:35], s[40:41], s[34:35]
	s_mov_b32 s12, 0
	s_xor_b64 s[38:39], s[38:39], s[34:35]
	s_delay_alu instid0(SALU_CYCLE_1)
	s_sub_u32 s34, s38, s34
	s_subb_u32 s35, s39, s35
.LBB7_13:                               ;   in Loop: Header=BB7_11 Depth=1
	s_and_not1_b32 vcc_lo, exec_lo, s12
	s_cbranch_vccnz .LBB7_15
; %bb.14:                               ;   in Loop: Header=BB7_11 Depth=1
	v_cvt_f32_u32_e32 v1, s36
	s_sub_i32 s19, 0, s36
	s_mov_b32 s35, s18
	s_waitcnt_depctr 0xfff
	v_rcp_iflag_f32_e32 v1, v1
	s_waitcnt_depctr 0xfff
	v_mul_f32_e32 v1, 0x4f7ffffe, v1
	s_delay_alu instid0(VALU_DEP_1) | instskip(NEXT) | instid1(VALU_DEP_1)
	v_cvt_u32_f32_e32 v1, v1
	v_readfirstlane_b32 s12, v1
	s_delay_alu instid0(VALU_DEP_1) | instskip(NEXT) | instid1(SALU_CYCLE_1)
	s_mul_i32 s19, s19, s12
	s_mul_hi_u32 s19, s12, s19
	s_delay_alu instid0(SALU_CYCLE_1) | instskip(NEXT) | instid1(SALU_CYCLE_1)
	s_add_i32 s12, s12, s19
	s_mul_hi_u32 s12, s22, s12
	s_delay_alu instid0(SALU_CYCLE_1) | instskip(SKIP_2) | instid1(SALU_CYCLE_1)
	s_mul_i32 s19, s12, s36
	s_add_i32 s33, s12, 1
	s_sub_i32 s19, s22, s19
	s_sub_i32 s34, s19, s36
	s_cmp_ge_u32 s19, s36
	s_cselect_b32 s12, s33, s12
	s_cselect_b32 s19, s34, s19
	s_add_i32 s33, s12, 1
	s_cmp_ge_u32 s19, s36
	s_cselect_b32 s34, s33, s12
.LBB7_15:                               ;   in Loop: Header=BB7_11 Depth=1
	s_load_b64 s[38:39], s[20:21], 0xc8
	s_mul_i32 s12, s34, s37
	s_mul_hi_u32 s19, s34, s36
	s_mul_i32 s33, s35, s36
	s_add_i32 s12, s19, s12
	s_mul_i32 s19, s34, s36
	s_add_i32 s12, s12, s33
	s_sub_u32 s19, s22, s19
	s_subb_u32 s12, s23, s12
	s_waitcnt lgkmcnt(0)
	s_mul_i32 s12, s38, s12
	s_mul_hi_u32 s22, s38, s19
	s_mul_i32 s23, s39, s19
	s_add_i32 s12, s22, s12
	s_mul_i32 s19, s38, s19
	s_add_i32 s12, s12, s23
	s_add_u32 s28, s19, s28
	s_addc_u32 s29, s12, s29
	s_add_i32 s9, s9, -1
	s_add_u32 s20, s20, -8
	s_addc_u32 s21, s21, -1
	s_cmp_gt_u32 s9, 2
	s_cbranch_scc0 .LBB7_17
; %bb.16:                               ;   in Loop: Header=BB7_11 Depth=1
	s_mov_b64 s[22:23], s[34:35]
	s_branch .LBB7_11
.LBB7_17:
	s_clause 0x1
	s_load_b32 s9, s[0:1], 0x4f8
	s_load_b64 s[36:37], s[16:17], 0xd0
	s_add_u32 s12, s0, 0x360
	s_addc_u32 s17, s1, 0
	s_mov_b64 s[38:39], 0
	s_waitcnt lgkmcnt(0)
	s_cmp_lt_i32 s9, 2
	s_cbranch_scc1 .LBB7_25
; %bb.18:
	s_mov_b32 s16, 0
	s_add_i32 s18, s9, -1
	s_mov_b32 s19, s16
	s_add_i32 s9, s9, 1
	s_lshl_b64 s[18:19], s[18:19], 3
	s_delay_alu instid0(SALU_CYCLE_1)
	s_add_u32 s12, s18, s12
	s_addc_u32 s17, s19, s17
	s_add_u32 s18, s12, 8
	s_addc_u32 s19, s17, 0
.LBB7_19:                               ; =>This Inner Loop Header: Depth=1
	s_load_b64 s[20:21], s[18:19], 0x0
	s_mov_b32 s12, -1
                                        ; implicit-def: $sgpr40_sgpr41
	s_waitcnt lgkmcnt(0)
	s_or_b64 s[22:23], s[2:3], s[20:21]
	s_delay_alu instid0(SALU_CYCLE_1) | instskip(NEXT) | instid1(SALU_CYCLE_1)
	s_mov_b32 s17, s23
	s_cmp_lg_u64 s[16:17], 0
	s_cbranch_scc0 .LBB7_21
; %bb.20:                               ;   in Loop: Header=BB7_19 Depth=1
	s_ashr_i32 s22, s21, 31
	s_delay_alu instid0(SALU_CYCLE_1) | instskip(SKIP_2) | instid1(SALU_CYCLE_1)
	s_add_u32 s40, s20, s22
	s_mov_b32 s23, s22
	s_addc_u32 s41, s21, s22
	s_xor_b64 s[40:41], s[40:41], s[22:23]
	s_delay_alu instid0(SALU_CYCLE_1)
	v_cvt_f32_u32_e32 v1, s40
	v_cvt_f32_u32_e32 v2, s41
	s_sub_u32 s33, 0, s40
	s_subb_u32 s42, 0, s41
	s_waitcnt_depctr 0xfff
	v_fmac_f32_e32 v1, 0x4f800000, v2
	s_delay_alu instid0(VALU_DEP_1) | instskip(SKIP_2) | instid1(VALU_DEP_1)
	v_rcp_f32_e32 v1, v1
	s_waitcnt_depctr 0xfff
	v_mul_f32_e32 v1, 0x5f7ffffc, v1
	v_mul_f32_e32 v2, 0x2f800000, v1
	s_delay_alu instid0(VALU_DEP_1) | instskip(NEXT) | instid1(VALU_DEP_1)
	v_trunc_f32_e32 v2, v2
	v_fmac_f32_e32 v1, 0xcf800000, v2
	v_cvt_u32_f32_e32 v2, v2
	s_delay_alu instid0(VALU_DEP_2) | instskip(NEXT) | instid1(VALU_DEP_2)
	v_cvt_u32_f32_e32 v1, v1
	v_readfirstlane_b32 s12, v2
	s_delay_alu instid0(VALU_DEP_2) | instskip(NEXT) | instid1(VALU_DEP_2)
	v_readfirstlane_b32 s17, v1
	s_mul_i32 s43, s33, s12
	s_delay_alu instid0(VALU_DEP_1)
	s_mul_hi_u32 s45, s33, s17
	s_mul_i32 s44, s42, s17
	s_add_i32 s43, s45, s43
	s_mul_i32 s46, s33, s17
	s_add_i32 s43, s43, s44
	s_mul_hi_u32 s45, s17, s46
	s_mul_hi_u32 s47, s12, s46
	s_mul_i32 s44, s12, s46
	s_mul_hi_u32 s46, s17, s43
	s_mul_i32 s17, s17, s43
	s_mul_hi_u32 s48, s12, s43
	s_add_u32 s17, s45, s17
	s_addc_u32 s45, 0, s46
	s_add_u32 s17, s17, s44
	s_mul_i32 s43, s12, s43
	s_addc_u32 s17, s45, s47
	s_addc_u32 s44, s48, 0
	s_add_u32 s17, s17, s43
	s_addc_u32 s43, 0, s44
	v_add_co_u32 v1, s17, v1, s17
	s_delay_alu instid0(VALU_DEP_1) | instskip(SKIP_1) | instid1(VALU_DEP_1)
	s_cmp_lg_u32 s17, 0
	s_addc_u32 s12, s12, s43
	v_readfirstlane_b32 s17, v1
	s_mul_i32 s43, s33, s12
	s_delay_alu instid0(VALU_DEP_1)
	s_mul_hi_u32 s44, s33, s17
	s_mul_i32 s42, s42, s17
	s_add_i32 s43, s44, s43
	s_mul_i32 s33, s33, s17
	s_add_i32 s43, s43, s42
	s_mul_hi_u32 s44, s12, s33
	s_mul_i32 s45, s12, s33
	s_mul_hi_u32 s33, s17, s33
	s_mul_hi_u32 s46, s17, s43
	s_mul_i32 s17, s17, s43
	s_mul_hi_u32 s42, s12, s43
	s_add_u32 s17, s33, s17
	s_addc_u32 s33, 0, s46
	s_add_u32 s17, s17, s45
	s_mul_i32 s43, s12, s43
	s_addc_u32 s17, s33, s44
	s_addc_u32 s33, s42, 0
	s_add_u32 s17, s17, s43
	s_addc_u32 s33, 0, s33
	v_add_co_u32 v1, s17, v1, s17
	s_delay_alu instid0(VALU_DEP_1) | instskip(SKIP_2) | instid1(VALU_DEP_1)
	s_cmp_lg_u32 s17, 0
	s_addc_u32 s12, s12, s33
	s_ashr_i32 s42, s3, 31
	v_readfirstlane_b32 s17, v1
	s_add_u32 s44, s2, s42
	s_mov_b32 s43, s42
	s_addc_u32 s45, s3, s42
	s_delay_alu instid0(SALU_CYCLE_1) | instskip(NEXT) | instid1(SALU_CYCLE_1)
	s_xor_b64 s[44:45], s[44:45], s[42:43]
	s_mul_i32 s46, s44, s12
	s_mul_hi_u32 s47, s44, s17
	s_mul_hi_u32 s33, s44, s12
	;; [unrolled: 1-line block ×3, first 2 shown]
	s_mul_i32 s17, s45, s17
	s_add_u32 s46, s47, s46
	s_addc_u32 s33, 0, s33
	s_mul_hi_u32 s48, s45, s12
	s_add_u32 s17, s46, s17
	s_mul_i32 s12, s45, s12
	s_addc_u32 s17, s33, s49
	s_addc_u32 s33, s48, 0
	s_add_u32 s12, s17, s12
	s_addc_u32 s17, 0, s33
	s_mul_i32 s48, s40, s12
	s_mul_hi_u32 s33, s40, s12
	s_mul_i32 s47, s40, s17
	v_sub_co_u32 v1, s44, s44, s48
	s_mul_i32 s46, s41, s12
	s_add_i32 s33, s33, s47
	s_delay_alu instid0(SALU_CYCLE_1) | instskip(NEXT) | instid1(VALU_DEP_1)
	s_add_i32 s33, s33, s46
	v_sub_co_u32 v2, s47, v1, s40
	s_sub_i32 s46, s45, s33
	s_cmp_lg_u32 s44, 0
	s_subb_u32 s46, s46, s41
	s_cmp_lg_u32 s47, 0
	v_readfirstlane_b32 s47, v2
	s_subb_u32 s46, s46, 0
	s_delay_alu instid0(SALU_CYCLE_1) | instskip(SKIP_1) | instid1(VALU_DEP_1)
	s_cmp_ge_u32 s46, s41
	s_cselect_b32 s48, -1, 0
	s_cmp_ge_u32 s47, s40
	s_cselect_b32 s47, -1, 0
	s_cmp_eq_u32 s46, s41
	s_cselect_b32 s46, s47, s48
	s_add_u32 s47, s12, 1
	s_addc_u32 s48, s17, 0
	s_add_u32 s49, s12, 2
	s_addc_u32 s50, s17, 0
	s_cmp_lg_u32 s46, 0
	s_cselect_b32 s46, s49, s47
	s_cselect_b32 s47, s50, s48
	s_cmp_lg_u32 s44, 0
	v_readfirstlane_b32 s44, v1
	s_subb_u32 s33, s45, s33
	s_delay_alu instid0(SALU_CYCLE_1) | instskip(SKIP_1) | instid1(VALU_DEP_1)
	s_cmp_ge_u32 s33, s41
	s_cselect_b32 s45, -1, 0
	s_cmp_ge_u32 s44, s40
	s_cselect_b32 s40, -1, 0
	s_cmp_eq_u32 s33, s41
	s_cselect_b32 s33, s40, s45
	s_delay_alu instid0(SALU_CYCLE_1)
	s_cmp_lg_u32 s33, 0
	s_cselect_b32 s41, s47, s17
	s_cselect_b32 s40, s46, s12
	s_xor_b64 s[22:23], s[42:43], s[22:23]
	s_mov_b32 s12, 0
	s_xor_b64 s[40:41], s[40:41], s[22:23]
	s_delay_alu instid0(SALU_CYCLE_1)
	s_sub_u32 s40, s40, s22
	s_subb_u32 s41, s41, s23
.LBB7_21:                               ;   in Loop: Header=BB7_19 Depth=1
	s_and_not1_b32 vcc_lo, exec_lo, s12
	s_cbranch_vccnz .LBB7_23
; %bb.22:                               ;   in Loop: Header=BB7_19 Depth=1
	v_cvt_f32_u32_e32 v1, s20
	s_sub_i32 s17, 0, s20
	s_mov_b32 s41, s16
	s_waitcnt_depctr 0xfff
	v_rcp_iflag_f32_e32 v1, v1
	s_waitcnt_depctr 0xfff
	v_mul_f32_e32 v1, 0x4f7ffffe, v1
	s_delay_alu instid0(VALU_DEP_1) | instskip(NEXT) | instid1(VALU_DEP_1)
	v_cvt_u32_f32_e32 v1, v1
	v_readfirstlane_b32 s12, v1
	s_delay_alu instid0(VALU_DEP_1) | instskip(NEXT) | instid1(SALU_CYCLE_1)
	s_mul_i32 s17, s17, s12
	s_mul_hi_u32 s17, s12, s17
	s_delay_alu instid0(SALU_CYCLE_1) | instskip(NEXT) | instid1(SALU_CYCLE_1)
	s_add_i32 s12, s12, s17
	s_mul_hi_u32 s12, s2, s12
	s_delay_alu instid0(SALU_CYCLE_1) | instskip(SKIP_2) | instid1(SALU_CYCLE_1)
	s_mul_i32 s17, s12, s20
	s_add_i32 s22, s12, 1
	s_sub_i32 s17, s2, s17
	s_sub_i32 s23, s17, s20
	s_cmp_ge_u32 s17, s20
	s_cselect_b32 s12, s22, s12
	s_cselect_b32 s17, s23, s17
	s_add_i32 s22, s12, 1
	s_cmp_ge_u32 s17, s20
	s_cselect_b32 s40, s22, s12
.LBB7_23:                               ;   in Loop: Header=BB7_19 Depth=1
	s_load_b64 s[22:23], s[18:19], 0xc8
	s_mul_i32 s12, s40, s21
	s_mul_hi_u32 s17, s40, s20
	s_mul_i32 s21, s41, s20
	s_add_i32 s12, s17, s12
	s_mul_i32 s17, s40, s20
	s_add_i32 s12, s12, s21
	s_sub_u32 s2, s2, s17
	s_subb_u32 s3, s3, s12
	s_waitcnt lgkmcnt(0)
	s_mul_i32 s3, s22, s3
	s_mul_hi_u32 s12, s22, s2
	s_mul_i32 s17, s23, s2
	s_add_i32 s3, s12, s3
	s_mul_i32 s2, s22, s2
	s_add_i32 s3, s3, s17
	s_add_u32 s38, s2, s38
	s_addc_u32 s39, s3, s39
	s_add_i32 s9, s9, -1
	s_add_u32 s18, s18, -8
	s_addc_u32 s19, s19, -1
	s_cmp_gt_u32 s9, 2
	s_cbranch_scc0 .LBB7_26
; %bb.24:                               ;   in Loop: Header=BB7_19 Depth=1
	s_mov_b64 s[2:3], s[40:41]
	s_branch .LBB7_19
.LBB7_25:
	s_mov_b64 s[40:41], s[2:3]
.LBB7_26:
	s_clause 0x3
	s_load_b64 s[16:17], s[0:1], 0x0
	s_load_b64 s[44:45], s[0:1], 0x1c0
	;; [unrolled: 1-line block ×4, first 2 shown]
	v_cmp_eq_u32_e64 s0, 0, v0
	s_mov_b32 s49, 0
	s_delay_alu instid0(VALU_DEP_1)
	s_and_saveexec_b32 s1, s0
	s_cbranch_execz .LBB7_28
; %bb.27:
	v_dual_mov_b32 v1, 0 :: v_dual_mov_b32 v4, s25
	s_delay_alu instid0(VALU_DEP_1)
	v_dual_mov_b32 v3, s24 :: v_dual_mov_b32 v2, v1
	ds_store_b32 v1, v1 offset:5136
	ds_store_b128 v1, v[1:4] offset:5120
.LBB7_28:
	s_or_b32 exec_lo, exec_lo, s1
	v_mad_u64_u32 v[2:3], null, v0, s30, 0
	s_mul_i32 s1, s14, s11
	s_waitcnt lgkmcnt(0)
	s_barrier
	buffer_gl0_inv
	s_load_b32 s11, s[6:7], 0xc
	s_mul_hi_u32 s2, s14, s10
	v_dual_mov_b32 v1, v3 :: v_dual_lshlrev_b32 v16, 2, v0
	s_mul_i32 s3, s15, s10
	s_add_i32 s1, s2, s1
	v_mbcnt_lo_u32_b32 v33, -1, 0
	s_delay_alu instid0(VALU_DEP_2)
	v_mad_u64_u32 v[3:4], null, v0, s31, v[1:2]
	v_or_b32_e32 v9, 3, v16
	v_or_b32_e32 v10, 2, v16
	s_mul_i32 s10, s14, s10
	v_lshrrev_b32_e32 v4, 3, v0
	s_add_i32 s9, s1, s3
	s_add_u32 s1, s16, s10
	s_addc_u32 s2, s17, s9
	v_mad_u64_u32 v[18:19], null, s30, v9, 0
	v_mad_u64_u32 v[20:21], null, s30, v10, 0
	s_add_u32 s50, s1, s4
	v_cmp_gt_u32_e32 vcc_lo, 32, v0
	v_cmp_gt_i32_e64 s1, 4, v33
	v_dual_mov_b32 v13, 0 :: v_dual_and_b32 v34, 0x7c, v4
	v_lshlrev_b64 v[4:5], v33, -1
	s_addc_u32 s51, s2, s5
	s_waitcnt lgkmcnt(0)
	s_and_b32 s33, s11, 0xffff
	s_and_b32 s72, vcc_lo, s1
	s_bfe_u32 s12, s11, 0xb0005
	s_add_u32 s74, s33, -1
	v_mov_b32_e32 v1, v13
	s_addc_u32 s75, 0, -1
	v_not_b32_e32 v35, v4
	v_mov_b32_e32 v4, v19
	v_mad_u64_u32 v[22:23], null, s30, v16, s[30:31]
	v_mov_b32_e32 v5, v21
	s_add_u32 s76, s74, s24
	s_addc_u32 s53, s75, s25
	s_cmp_lt_u32 s13, s8
	v_mov_b32_e32 v17, v13
	s_cselect_b32 s8, 12, 18
	s_delay_alu instid0(VALU_DEP_3)
	v_mov_b32_e32 v6, v23
	v_mad_u64_u32 v[7:8], null, s31, v9, v[4:5]
	s_add_u32 s54, s6, s8
	s_addc_u32 s55, s7, 0
	s_add_i32 s6, s12, -1
	s_bfe_u32 s78, s33, 0x30005
	s_cmp_gt_u32 s6, 6
	v_mad_u64_u32 v[8:9], null, s31, v10, v[5:6]
	s_cselect_b32 s79, -1, 0
	s_and_b32 s80, s12, 0x7f8
	s_cmp_lg_u32 s78, 0
	v_mad_u64_u32 v[4:5], null, s31, v16, v[6:7]
	s_cselect_b32 s81, -1, 0
	s_add_u32 s4, s4, s10
	v_add_co_u32 v14, vcc_lo, s50, v2
	s_addc_u32 s5, s5, s9
	s_add_u32 s56, s16, s4
	v_add_co_ci_u32_e32 v15, vcc_lo, s51, v3, vcc_lo
	s_addc_u32 s57, s17, s5
	v_add_co_u32 v37, s4, s24, v0
	v_add_co_u32 v10, vcc_lo, s56, v2
	v_cmp_lt_i64_e64 s73, 0xc00, s[24:25]
	v_cmp_gt_i64_e64 s1, s[24:25], v[0:1]
	v_lshlrev_b64 v[23:24], 2, v[2:3]
	v_cmp_eq_u32_e64 s2, 0, v33
	v_cmp_gt_u32_e64 s3, 2, v0
	v_cmp_gt_u16_e64 s77, s11, 31
	v_mov_b32_e32 v19, v7
	v_mov_b32_e32 v21, v8
	;; [unrolled: 1-line block ×3, first 2 shown]
	v_add_co_ci_u32_e64 v38, null, s25, 0, s4
	v_lshl_or_b32 v39, v33, 3, 0xc00
	v_add_co_ci_u32_e32 v11, vcc_lo, s57, v3, vcc_lo
	v_cvt_f32_ubyte0_e32 v40, 0
	v_mov_b32_e32 v41, 0
	s_mul_i32 s4, s31, s33
	s_mul_hi_u32 s5, s30, s33
	s_mov_b32 s82, 6
	s_lshl_b64 s[58:59], s[30:31], 2
	s_add_i32 s70, s5, s4
	s_mul_i32 s71, s30, s33
	s_mov_b32 s83, 0
	s_mov_b32 s87, 0
	;; [unrolled: 1-line block ×4, first 2 shown]
                                        ; implicit-def: $sgpr84
                                        ; implicit-def: $sgpr86
                                        ; implicit-def: $sgpr85
                                        ; implicit-def: $sgpr89
                                        ; implicit-def: $sgpr90
                                        ; implicit-def: $sgpr88
	s_branch .LBB7_33
.LBB7_29:                               ;   in Loop: Header=BB7_33 Depth=1
	s_xor_b32 s87, s87, 1
	s_add_i32 s7, s82, -2
	s_cmp_eq_u32 s82, 0
	s_mov_b32 s5, 0
	s_cselect_b32 s6, -1, 0
	s_mov_b32 s82, s7
.LBB7_30:                               ;   in Loop: Header=BB7_33 Depth=1
	s_and_not1_b32 s7, s20, exec_lo
	s_and_b32 s5, s5, exec_lo
	s_and_not1_b32 s21, s21, exec_lo
	s_or_b32 s20, s7, s5
	s_and_not1_b32 s19, s19, exec_lo
	s_or_not1_b32 s15, s6, exec_lo
.LBB7_31:                               ;   in Loop: Header=BB7_33 Depth=1
	s_or_b32 exec_lo, exec_lo, s4
	s_delay_alu instid0(SALU_CYCLE_1)
	s_and_not1_b32 s4, s88, exec_lo
	s_and_b32 s5, s20, exec_lo
	s_and_not1_b32 s6, s89, exec_lo
	s_or_b32 s88, s4, s5
	s_and_not1_b32 s4, s90, exec_lo
	s_and_b32 s5, s21, exec_lo
	s_and_b32 s7, s19, exec_lo
	s_or_b32 s90, s4, s5
	s_or_b32 s89, s6, s7
	s_or_not1_b32 s19, s15, exec_lo
.LBB7_32:                               ;   in Loop: Header=BB7_33 Depth=1
	s_or_b32 exec_lo, exec_lo, s14
	s_delay_alu instid0(SALU_CYCLE_1)
	s_and_b32 s4, exec_lo, s19
	v_mov_b32_e32 v2, s92
	s_or_b32 s83, s4, s83
	s_and_not1_b32 s4, s85, exec_lo
	s_and_b32 s5, s88, exec_lo
	s_and_not1_b32 s6, s84, exec_lo
	s_or_b32 s85, s4, s5
	s_and_not1_b32 s4, s86, exec_lo
	s_and_b32 s5, s90, exec_lo
	s_and_b32 s7, s89, exec_lo
	s_or_b32 s86, s4, s5
	s_or_b32 s84, s6, s7
	s_and_not1_b32 exec_lo, exec_lo, s83
	s_cbranch_execz .LBB7_291
.LBB7_33:                               ; =>This Loop Header: Depth=1
                                        ;     Child Loop BB7_38 Depth 2
                                        ;     Child Loop BB7_57 Depth 2
	;; [unrolled: 1-line block ×16, first 2 shown]
	ds_load_b128 v[2:5], v13 offset:5120
	s_waitcnt lgkmcnt(0)
	v_readfirstlane_b32 s61, v3
	v_readfirstlane_b32 s60, v2
	s_delay_alu instid0(VALU_DEP_1) | instskip(NEXT) | instid1(VALU_DEP_1)
	v_cmp_gt_i64_e64 s4, s[60:61], 0
	s_and_b32 vcc_lo, exec_lo, s4
	s_cbranch_vccnz .LBB7_64
; %bb.34:                               ;   in Loop: Header=BB7_33 Depth=1
	s_and_b32 vcc_lo, exec_lo, s73
	s_cbranch_vccz .LBB7_46
; %bb.35:                               ;   in Loop: Header=BB7_33 Depth=1
	v_cmp_gt_i64_e32 vcc_lo, 0xc01, v[4:5]
	s_mov_b32 s6, 0
	s_mov_b32 s4, 0
	s_cbranch_vccz .LBB7_51
; %bb.36:                               ;   in Loop: Header=BB7_33 Depth=1
	global_load_u16 v6, v13, s[54:55]
	global_load_u8 v7, v[14:15], off
	s_mov_b32 s8, 0
	s_waitcnt vmcnt(1)
	v_readfirstlane_b32 s4, v6
	v_and_b32_e32 v6, 0xffff, v6
	s_delay_alu instid0(VALU_DEP_2) | instskip(NEXT) | instid1(SALU_CYCLE_1)
	s_and_b32 s4, 0xffff, s4
	v_add_nc_u32_e32 v8, s4, v0
	s_mul_i32 s5, s31, s4
	s_mul_hi_u32 s7, s30, s4
	s_mul_i32 s9, s30, s4
	s_add_i32 s7, s7, s5
	v_mad_u64_u32 v[2:3], null, s30, v8, s[56:57]
	s_delay_alu instid0(VALU_DEP_1) | instskip(NEXT) | instid1(VALU_DEP_1)
	v_mad_u64_u32 v[4:5], null, s31, v8, v[3:4]
	v_mov_b32_e32 v3, v4
	v_dual_mov_b32 v5, v1 :: v_dual_mov_b32 v4, v0
	s_branch .LBB7_38
.LBB7_37:                               ;   in Loop: Header=BB7_38 Depth=2
	s_or_b32 exec_lo, exec_lo, s5
	v_add_co_u32 v2, vcc_lo, v2, s9
	v_add_co_ci_u32_e32 v3, vcc_lo, s7, v3, vcc_lo
	v_mov_b32_e32 v7, v8
	s_and_not1_b32 exec_lo, exec_lo, s8
	s_cbranch_execz .LBB7_47
.LBB7_38:                               ;   Parent Loop BB7_33 Depth=1
                                        ; =>  This Inner Loop Header: Depth=2
	s_delay_alu instid0(VALU_DEP_1) | instskip(NEXT) | instid1(VALU_DEP_2)
	v_add_co_u32 v4, vcc_lo, v4, v6
	v_add_co_ci_u32_e32 v5, vcc_lo, 0, v5, vcc_lo
	s_waitcnt lgkmcnt(0)
	v_dual_mov_b32 v9, 0 :: v_dual_mov_b32 v8, 0
	s_mov_b32 s5, exec_lo
	s_delay_alu instid0(VALU_DEP_2)
	v_cmp_le_i64_e32 vcc_lo, s[24:25], v[4:5]
	v_cmpx_gt_i64_e64 s[24:25], v[4:5]
	s_cbranch_execz .LBB7_40
; %bb.39:                               ;   in Loop: Header=BB7_38 Depth=2
	global_load_u8 v8, v[2:3], off
.LBB7_40:                               ;   in Loop: Header=BB7_38 Depth=2
	s_or_b32 exec_lo, exec_lo, s5
	s_waitcnt vmcnt(0)
	v_and_b32_e32 v12, s91, v7
	s_delay_alu instid0(VALU_DEP_1) | instskip(NEXT) | instid1(VALU_DEP_1)
	v_and_b32_e32 v12, 0xff, v12
	v_cmp_eq_u32_e64 s4, s92, v12
	s_delay_alu instid0(VALU_DEP_1) | instskip(SKIP_1) | instid1(SALU_CYCLE_1)
	s_cmp_lg_u32 s4, 0
	s_cselect_b32 s5, -1, 0
	s_and_b32 s5, s2, s5
	s_delay_alu instid0(SALU_CYCLE_1)
	s_and_saveexec_b32 s10, s5
	s_cbranch_execz .LBB7_44
; %bb.41:                               ;   in Loop: Header=BB7_38 Depth=2
	s_mov_b32 s13, exec_lo
	s_bcnt1_i32_b32 s11, s4
	v_mbcnt_lo_u32_b32 v9, s13, 0
	s_mov_b32 s12, exec_lo
                                        ; implicit-def: $vgpr12
	s_delay_alu instid0(VALU_DEP_1)
	v_cmpx_eq_u32_e32 0, v9
	s_cbranch_execz .LBB7_43
; %bb.42:                               ;   in Loop: Header=BB7_38 Depth=2
	s_bcnt1_i32_b32 s5, s13
	s_delay_alu instid0(SALU_CYCLE_1) | instskip(NEXT) | instid1(SALU_CYCLE_1)
	s_mul_i32 s5, s11, s5
	v_mov_b32_e32 v12, s5
	ds_add_rtn_u32 v12, v13, v12 offset:5136
.LBB7_43:                               ;   in Loop: Header=BB7_38 Depth=2
	s_or_b32 exec_lo, exec_lo, s12
	s_waitcnt lgkmcnt(0)
	v_readfirstlane_b32 s5, v12
	s_delay_alu instid0(VALU_DEP_1)
	v_mad_u32_u24 v9, s11, v9, s5
.LBB7_44:                               ;   in Loop: Header=BB7_38 Depth=2
	s_or_b32 exec_lo, exec_lo, s10
	ds_bpermute_b32 v9, v13, v9
	s_and_b32 s5, exec_lo, vcc_lo
	s_delay_alu instid0(SALU_CYCLE_1)
	s_or_b32 s8, s5, s8
	s_and_saveexec_b32 s5, s4
	s_cbranch_execz .LBB7_37
; %bb.45:                               ;   in Loop: Header=BB7_38 Depth=2
	v_and_b32_e32 v12, s4, v35
	s_waitcnt lgkmcnt(0)
	s_delay_alu instid0(VALU_DEP_1)
	v_bcnt_u32_b32 v9, v12, v9
	ds_store_b8 v9, v7
	s_branch .LBB7_37
.LBB7_46:                               ;   in Loop: Header=BB7_33 Depth=1
	s_mov_b32 s6, -1
	s_mov_b32 s4, 0
	s_branch .LBB7_50
.LBB7_47:                               ;   in Loop: Header=BB7_33 Depth=1
	s_or_b32 exec_lo, exec_lo, s8
	s_waitcnt lgkmcnt(0)
	s_barrier
	buffer_gl0_inv
	s_and_saveexec_b32 s4, s0
	s_cbranch_execz .LBB7_49
; %bb.48:                               ;   in Loop: Header=BB7_33 Depth=1
	ds_load_b32 v2, v13 offset:5136
	s_waitcnt lgkmcnt(0)
	v_ashrrev_i32_e32 v3, 31, v2
	ds_store_b64 v13, v[2:3] offset:5120
.LBB7_49:                               ;   in Loop: Header=BB7_33 Depth=1
	s_or_b32 exec_lo, exec_lo, s4
	s_waitcnt lgkmcnt(0)
	s_mov_b32 s4, -1
	s_barrier
.LBB7_50:                               ;   in Loop: Header=BB7_33 Depth=1
                                        ; implicit-def: $sgpr60_sgpr61
.LBB7_51:                               ;   in Loop: Header=BB7_33 Depth=1
	s_and_b32 vcc_lo, exec_lo, s6
	s_cbranch_vccz .LBB7_62
; %bb.52:                               ;   in Loop: Header=BB7_33 Depth=1
	v_mov_b32_e32 v6, 0
	s_and_saveexec_b32 s4, s1
	s_cbranch_execz .LBB7_54
; %bb.53:                               ;   in Loop: Header=BB7_33 Depth=1
	global_load_u8 v6, v[14:15], off
.LBB7_54:                               ;   in Loop: Header=BB7_33 Depth=1
	s_or_b32 exec_lo, exec_lo, s4
	s_and_saveexec_b32 s5, s1
	s_cbranch_execz .LBB7_59
; %bb.55:                               ;   in Loop: Header=BB7_33 Depth=1
	global_load_u16 v8, v13, s[54:55]
	s_mov_b32 s9, 0
	s_waitcnt vmcnt(0)
	v_readfirstlane_b32 s4, v8
	v_and_b32_e32 v8, 0xffff, v8
	s_delay_alu instid0(VALU_DEP_2) | instskip(NEXT) | instid1(SALU_CYCLE_1)
	s_and_b32 s6, 0xffff, s4
	v_add_nc_u32_e32 v7, s6, v0
	s_mul_i32 s4, s31, s6
	s_mul_hi_u32 s7, s30, s6
	s_mul_i32 s8, s30, s6
	s_add_i32 s7, s7, s4
	v_mad_u64_u32 v[2:3], null, s30, v7, s[56:57]
	s_delay_alu instid0(VALU_DEP_1) | instskip(SKIP_1) | instid1(VALU_DEP_2)
	v_mad_u64_u32 v[4:5], null, s31, v7, v[3:4]
	v_mov_b32_e32 v7, v0
	v_mov_b32_e32 v3, v4
	v_dual_mov_b32 v5, v1 :: v_dual_mov_b32 v4, v0
	s_branch .LBB7_57
	.p2align	6
.LBB7_56:                               ;   in Loop: Header=BB7_57 Depth=2
	s_or_b32 exec_lo, exec_lo, s10
	s_delay_alu instid0(SALU_CYCLE_1)
	s_and_b32 s4, exec_lo, vcc_lo
	v_add_co_u32 v2, vcc_lo, v2, s8
	ds_store_b8 v7, v6
	s_waitcnt vmcnt(0)
	v_dual_mov_b32 v6, v9 :: v_dual_add_nc_u32 v7, s6, v7
	v_add_co_ci_u32_e32 v3, vcc_lo, s7, v3, vcc_lo
	s_or_b32 s9, s4, s9
	s_delay_alu instid0(SALU_CYCLE_1)
	s_and_not1_b32 exec_lo, exec_lo, s9
	s_cbranch_execz .LBB7_59
.LBB7_57:                               ;   Parent Loop BB7_33 Depth=1
                                        ; =>  This Inner Loop Header: Depth=2
	s_delay_alu instid0(VALU_DEP_1) | instskip(NEXT) | instid1(VALU_DEP_2)
	v_add_co_u32 v4, vcc_lo, v4, v8
	v_add_co_ci_u32_e32 v5, vcc_lo, 0, v5, vcc_lo
	v_mov_b32_e32 v9, 0
	s_mov_b32 s10, exec_lo
	s_delay_alu instid0(VALU_DEP_2)
	v_cmp_le_i64_e32 vcc_lo, s[24:25], v[4:5]
	v_cmpx_gt_i64_e64 s[24:25], v[4:5]
	s_cbranch_execz .LBB7_56
; %bb.58:                               ;   in Loop: Header=BB7_57 Depth=2
	global_load_u8 v9, v[2:3], off
	s_branch .LBB7_56
.LBB7_59:                               ;   in Loop: Header=BB7_33 Depth=1
	s_or_b32 exec_lo, exec_lo, s5
	s_waitcnt vmcnt(0) lgkmcnt(0)
	s_barrier
	buffer_gl0_inv
	s_and_saveexec_b32 s4, s0
	s_cbranch_execz .LBB7_61
; %bb.60:                               ;   in Loop: Header=BB7_33 Depth=1
	v_dual_mov_b32 v2, s24 :: v_dual_mov_b32 v3, s25
	ds_store_b64 v13, v[2:3] offset:5120
.LBB7_61:                               ;   in Loop: Header=BB7_33 Depth=1
	s_or_b32 exec_lo, exec_lo, s4
	s_mov_b32 s4, -1
	s_waitcnt lgkmcnt(0)
	s_barrier
                                        ; implicit-def: $sgpr60_sgpr61
.LBB7_62:                               ;   in Loop: Header=BB7_33 Depth=1
	s_and_b32 vcc_lo, exec_lo, s4
	s_cbranch_vccz .LBB7_64
; %bb.63:                               ;   in Loop: Header=BB7_33 Depth=1
	buffer_gl0_inv
	ds_load_b64 v[2:3], v13 offset:5120
	s_waitcnt lgkmcnt(0)
	v_readfirstlane_b32 s60, v2
.LBB7_64:                               ;   in Loop: Header=BB7_33 Depth=1
	s_delay_alu instid0(VALU_DEP_1)
	s_cmp_lt_i32 s60, 1
	s_cbranch_scc0 .LBB7_79
; %bb.65:                               ;   in Loop: Header=BB7_33 Depth=1
	global_load_u16 v4, v13, s[54:55]
	s_mov_b32 s5, s25
	s_waitcnt vmcnt(0)
	v_readfirstlane_b32 s4, v4
	s_delay_alu instid0(VALU_DEP_1)
	s_and_b32 s6, 0xffff, s4
	s_mov_b32 s4, s49
	s_lshl_b32 s48, s6, 2
	s_cmp_lg_u64 s[4:5], 0
	s_cbranch_scc0 .LBB7_99
; %bb.66:                               ;   in Loop: Header=BB7_33 Depth=1
	v_cvt_f32_u32_e32 v2, s48
	s_sub_u32 s6, 0, s48
	s_subb_u32 s7, 0, 0
	s_delay_alu instid0(VALU_DEP_1) | instskip(NEXT) | instid1(VALU_DEP_1)
	v_fmac_f32_e32 v2, 0x4f800000, v40
	v_rcp_f32_e32 v2, v2
	s_waitcnt_depctr 0xfff
	v_mul_f32_e32 v2, 0x5f7ffffc, v2
	s_delay_alu instid0(VALU_DEP_1) | instskip(NEXT) | instid1(VALU_DEP_1)
	v_mul_f32_e32 v3, 0x2f800000, v2
	v_trunc_f32_e32 v3, v3
	s_delay_alu instid0(VALU_DEP_1) | instskip(SKIP_1) | instid1(VALU_DEP_2)
	v_fmac_f32_e32 v2, 0xcf800000, v3
	v_cvt_u32_f32_e32 v3, v3
	v_cvt_u32_f32_e32 v2, v2
	s_delay_alu instid0(VALU_DEP_2) | instskip(NEXT) | instid1(VALU_DEP_2)
	v_readfirstlane_b32 s4, v3
	v_readfirstlane_b32 s5, v2
	s_delay_alu instid0(VALU_DEP_2) | instskip(NEXT) | instid1(VALU_DEP_1)
	s_mul_i32 s8, s6, s4
	s_mul_hi_u32 s10, s6, s5
	s_mul_i32 s9, s7, s5
	s_add_i32 s8, s10, s8
	s_mul_i32 s11, s6, s5
	s_add_i32 s8, s8, s9
	s_mul_hi_u32 s10, s5, s11
	s_mul_hi_u32 s12, s4, s11
	s_mul_i32 s9, s4, s11
	s_mul_hi_u32 s11, s5, s8
	s_mul_i32 s5, s5, s8
	s_mul_hi_u32 s13, s4, s8
	s_add_u32 s5, s10, s5
	s_addc_u32 s10, 0, s11
	s_add_u32 s5, s5, s9
	s_mul_i32 s8, s4, s8
	s_addc_u32 s5, s10, s12
	s_addc_u32 s9, s13, 0
	s_add_u32 s5, s5, s8
	s_addc_u32 s8, 0, s9
	v_add_co_u32 v2, s5, v2, s5
	s_delay_alu instid0(VALU_DEP_1) | instskip(SKIP_1) | instid1(VALU_DEP_1)
	s_cmp_lg_u32 s5, 0
	s_addc_u32 s4, s4, s8
	v_readfirstlane_b32 s5, v2
	s_mul_i32 s8, s6, s4
	s_delay_alu instid0(VALU_DEP_1)
	s_mul_hi_u32 s9, s6, s5
	s_mul_i32 s7, s7, s5
	s_add_i32 s8, s9, s8
	s_mul_i32 s6, s6, s5
	s_add_i32 s8, s8, s7
	s_mul_hi_u32 s9, s4, s6
	s_mul_i32 s10, s4, s6
	s_mul_hi_u32 s6, s5, s6
	s_mul_hi_u32 s11, s5, s8
	s_mul_i32 s5, s5, s8
	s_mul_hi_u32 s7, s4, s8
	s_add_u32 s5, s6, s5
	s_addc_u32 s6, 0, s11
	s_add_u32 s5, s5, s10
	s_mul_i32 s8, s4, s8
	s_addc_u32 s5, s6, s9
	s_addc_u32 s6, s7, 0
	s_add_u32 s5, s5, s8
	s_addc_u32 s6, 0, s6
	v_add_co_u32 v2, s5, v2, s5
	s_delay_alu instid0(VALU_DEP_1) | instskip(SKIP_2) | instid1(VALU_DEP_1)
	s_cmp_lg_u32 s5, 0
	s_addc_u32 s8, s4, s6
	s_ashr_i32 s6, s25, 31
	v_readfirstlane_b32 s9, v2
	s_add_u32 s4, s24, s6
	s_mov_b32 s7, s6
	s_addc_u32 s5, s25, s6
	s_delay_alu instid0(SALU_CYCLE_1) | instskip(NEXT) | instid1(SALU_CYCLE_1)
	s_xor_b64 s[4:5], s[4:5], s[6:7]
	s_mul_i32 s10, s4, s8
	s_mul_hi_u32 s11, s4, s9
	s_mul_hi_u32 s7, s4, s8
	;; [unrolled: 1-line block ×3, first 2 shown]
	s_mul_i32 s9, s5, s9
	s_add_u32 s10, s11, s10
	s_addc_u32 s7, 0, s7
	s_mul_hi_u32 s12, s5, s8
	s_add_u32 s9, s10, s9
	s_mul_i32 s8, s5, s8
	s_addc_u32 s7, s7, s13
	s_addc_u32 s9, s12, 0
	s_add_u32 s7, s7, s8
	s_addc_u32 s8, 0, s9
	s_mul_hi_u32 s9, s48, s7
	s_mul_i32 s7, s48, s7
	s_mul_i32 s8, s48, s8
	v_sub_co_u32 v2, s4, s4, s7
	s_add_i32 s9, s9, s8
	s_cmp_lg_u32 s4, 0
	s_delay_alu instid0(VALU_DEP_1) | instskip(SKIP_2) | instid1(VALU_DEP_1)
	v_sub_co_u32 v3, s4, v2, s48
	s_subb_u32 s5, s5, s9
	s_cmp_lg_u32 s4, 0
	v_cmp_le_u32_e32 vcc_lo, s48, v3
	v_sub_co_u32 v5, s4, v3, s48
	s_subb_u32 s7, s5, 0
	s_cmp_lg_u32 s4, 0
	v_cndmask_b32_e64 v6, 0, -1, vcc_lo
	s_subb_u32 s4, s7, 0
	s_cmp_eq_u32 s7, 0
	v_mov_b32_e32 v8, s4
	s_cselect_b32 vcc_lo, -1, 0
	s_cmp_eq_u32 s5, 0
	v_cndmask_b32_e32 v6, -1, v6, vcc_lo
	v_cmp_le_u32_e32 vcc_lo, s48, v2
	s_cselect_b32 s4, -1, 0
	v_cndmask_b32_e64 v7, 0, -1, vcc_lo
	s_delay_alu instid0(VALU_DEP_3) | instskip(NEXT) | instid1(VALU_DEP_2)
	v_cmp_ne_u32_e32 vcc_lo, 0, v6
	v_cndmask_b32_e64 v6, -1, v7, s4
	v_cndmask_b32_e32 v7, s7, v8, vcc_lo
	v_cndmask_b32_e32 v3, v3, v5, vcc_lo
	s_delay_alu instid0(VALU_DEP_3) | instskip(NEXT) | instid1(VALU_DEP_2)
	v_cmp_ne_u32_e32 vcc_lo, 0, v6
	v_cndmask_b32_e32 v2, v2, v3, vcc_lo
	s_delay_alu instid0(VALU_DEP_4) | instskip(NEXT) | instid1(VALU_DEP_2)
	v_cndmask_b32_e32 v5, s5, v7, vcc_lo
	v_xor_b32_e32 v2, s6, v2
	s_delay_alu instid0(VALU_DEP_2) | instskip(NEXT) | instid1(VALU_DEP_2)
	v_xor_b32_e32 v3, s6, v5
	v_sub_co_u32 v25, vcc_lo, v2, s6
	s_delay_alu instid0(VALU_DEP_2)
	v_subrev_co_ci_u32_e32 v26, vcc_lo, s6, v3, vcc_lo
	s_cbranch_execnz .LBB7_68
.LBB7_67:                               ;   in Loop: Header=BB7_33 Depth=1
	v_cvt_f32_u32_e32 v2, s48
	s_sub_i32 s4, 0, s48
	s_delay_alu instid0(VALU_DEP_1) | instskip(SKIP_2) | instid1(VALU_DEP_1)
	v_rcp_iflag_f32_e32 v2, v2
	s_waitcnt_depctr 0xfff
	v_mul_f32_e32 v2, 0x4f7ffffe, v2
	v_cvt_u32_f32_e32 v2, v2
	s_delay_alu instid0(VALU_DEP_1) | instskip(NEXT) | instid1(VALU_DEP_1)
	v_mul_lo_u32 v3, s4, v2
	v_mul_hi_u32 v3, v2, v3
	s_delay_alu instid0(VALU_DEP_1) | instskip(NEXT) | instid1(VALU_DEP_1)
	v_add_nc_u32_e32 v2, v2, v3
	v_mul_hi_u32 v2, s24, v2
	s_delay_alu instid0(VALU_DEP_1) | instskip(NEXT) | instid1(VALU_DEP_1)
	v_mul_lo_u32 v2, v2, s48
	v_sub_nc_u32_e32 v2, s24, v2
	s_delay_alu instid0(VALU_DEP_1) | instskip(SKIP_1) | instid1(VALU_DEP_2)
	v_subrev_nc_u32_e32 v3, s48, v2
	v_cmp_le_u32_e32 vcc_lo, s48, v2
	v_cndmask_b32_e32 v2, v2, v3, vcc_lo
	s_delay_alu instid0(VALU_DEP_1) | instskip(SKIP_1) | instid1(VALU_DEP_2)
	v_subrev_nc_u32_e32 v3, s48, v2
	v_cmp_le_u32_e32 vcc_lo, s48, v2
	v_cndmask_b32_e32 v12, v2, v3, vcc_lo
	s_delay_alu instid0(VALU_DEP_1)
	v_dual_mov_b32 v26, v13 :: v_dual_mov_b32 v25, v12
.LBB7_68:                               ;   in Loop: Header=BB7_33 Depth=1
	v_mov_b32_e32 v2, 0
	v_dual_mov_b32 v3, 0 :: v_dual_and_b32 v12, 0xffff, v4
	s_delay_alu instid0(VALU_DEP_3) | instskip(NEXT) | instid1(VALU_DEP_4)
	v_sub_co_u32 v27, vcc_lo, s24, v25
	v_sub_co_ci_u32_e32 v28, vcc_lo, s25, v26, vcc_lo
	s_delay_alu instid0(VALU_DEP_3)
	v_dual_mov_b32 v5, v3 :: v_dual_mov_b32 v4, v2
	v_dual_mov_b32 v7, v3 :: v_dual_mov_b32 v6, v2
	;; [unrolled: 1-line block ×3, first 2 shown]
	s_mov_b64 s[62:63], 0
	s_mov_b32 s52, exec_lo
	v_cmpx_gt_i64_e64 v[27:28], v[16:17]
	s_cbranch_execz .LBB7_72
; %bb.69:                               ;   in Loop: Header=BB7_33 Depth=1
	v_mul_lo_u32 v2, s59, v12
	v_mul_hi_u32 v3, s58, v12
	v_mul_lo_u32 v42, s58, v12
	v_dual_mov_b32 v29, s50 :: v_dual_mov_b32 v30, s51
	s_and_b32 s61, s82, 0xfe
	s_mov_b32 s93, 0
	s_mov_b64 s[64:65], 0
	s_delay_alu instid0(VALU_DEP_3)
	v_dual_mov_b32 v32, v17 :: v_dual_add_nc_u32 v43, v3, v2
	v_mov_b32_e32 v31, v16
	s_mov_b64 s[66:67], 0
	s_mov_b64 s[68:69], 0
.LBB7_70:                               ;   Parent Loop BB7_33 Depth=1
                                        ; =>  This Inner Loop Header: Depth=2
	v_add_co_u32 v2, vcc_lo, v29, v23
	v_add_co_ci_u32_e32 v3, vcc_lo, v30, v24, vcc_lo
	v_add_co_u32 v4, vcc_lo, v29, v22
	v_add_co_ci_u32_e32 v5, vcc_lo, v30, v36, vcc_lo
	;; [unrolled: 2-line block ×4, first 2 shown]
	s_clause 0x3
	global_load_u8 v2, v[2:3], off
	global_load_u8 v3, v[4:5], off
	;; [unrolled: 1-line block ×4, first 2 shown]
	v_add_co_u32 v31, vcc_lo, v31, s48
	v_add_co_ci_u32_e32 v32, vcc_lo, 0, v32, vcc_lo
	v_add_co_u32 v29, vcc_lo, v29, v42
	v_add_co_ci_u32_e32 v30, vcc_lo, v30, v43, vcc_lo
	s_delay_alu instid0(VALU_DEP_3)
	v_cmp_ge_i64_e32 vcc_lo, v[31:32], v[27:28]
	s_waitcnt vmcnt(3)
	v_and_b32_e32 v6, s91, v2
	v_bfe_u32 v2, v2, s61, 2
	s_waitcnt vmcnt(2)
	v_and_b32_e32 v7, s91, v3
	v_bfe_u32 v3, v3, s61, 2
	;; [unrolled: 3-line block ×3, first 2 shown]
	v_cmp_eq_u32_e64 s4, s92, v6
	v_cmp_eq_u32_e64 s8, 0, v2
	s_waitcnt vmcnt(0)
	v_and_b32_e32 v9, s91, v5
	v_bfe_u32 v5, v5, s61, 2
	v_cmp_eq_u32_e64 s5, s92, v7
	v_cmp_eq_u32_e64 s9, 0, v3
	v_cmp_eq_u32_e64 s6, s92, v8
	v_cmp_eq_u32_e64 s10, 0, v4
	s_and_b32 s8, s4, s8
	v_cmp_eq_u32_e64 s7, s92, v9
	v_cmp_eq_u32_e64 s11, 0, v5
	;; [unrolled: 1-line block ×5, first 2 shown]
	v_cndmask_b32_e64 v2, 0, 1, s8
	s_and_b32 s8, s5, s9
	v_cmp_eq_u32_e64 s13, 1, v3
	v_cmp_eq_u32_e64 s17, 2, v3
	v_cmp_eq_u32_e64 s21, 3, v3
	v_cndmask_b32_e64 v3, 0, 1, s8
	s_and_b32 s8, s6, s10
	v_cmp_eq_u32_e64 s14, 1, v4
	v_cmp_eq_u32_e64 s18, 2, v4
	v_cmp_eq_u32_e64 s22, 3, v4
	;; [unrolled: 5-line block ×3, first 2 shown]
	v_cndmask_b32_e64 v5, 0, 1, s8
	v_cmp_ne_u32_e64 s8, 0, v2
	v_cmp_ne_u32_e64 s9, 0, v3
	;; [unrolled: 1-line block ×3, first 2 shown]
	s_delay_alu instid0(VALU_DEP_4) | instskip(NEXT) | instid1(VALU_DEP_4)
	v_cmp_ne_u32_e64 s11, 0, v5
	s_bcnt1_i32_b32 s8, s8
	s_delay_alu instid0(VALU_DEP_3) | instskip(NEXT) | instid1(VALU_DEP_2)
	s_bcnt1_i32_b32 s9, s9
	s_bcnt1_i32_b32 s10, s10
	s_add_i32 s8, s9, s8
	s_bcnt1_i32_b32 s11, s11
	s_add_i32 s8, s8, s10
	s_delay_alu instid0(SALU_CYCLE_1) | instskip(NEXT) | instid1(SALU_CYCLE_1)
	s_add_i32 s8, s8, s11
	s_add_u32 s68, s68, s8
	s_addc_u32 s69, s69, 0
	s_and_b32 s8, s4, s12
	s_delay_alu instid0(SALU_CYCLE_1) | instskip(SKIP_1) | instid1(SALU_CYCLE_1)
	v_cndmask_b32_e64 v2, 0, 1, s8
	s_and_b32 s8, s5, s13
	v_cndmask_b32_e64 v3, 0, 1, s8
	s_and_b32 s8, s6, s14
	s_delay_alu instid0(SALU_CYCLE_1) | instskip(SKIP_1) | instid1(VALU_DEP_2)
	v_cndmask_b32_e64 v4, 0, 1, s8
	s_and_b32 s8, s7, s15
	v_cmp_ne_u32_e64 s9, 0, v3
	v_cndmask_b32_e64 v5, 0, 1, s8
	v_cmp_ne_u32_e64 s8, 0, v2
	v_cmp_ne_u32_e64 s10, 0, v4
	s_delay_alu instid0(VALU_DEP_4) | instskip(NEXT) | instid1(VALU_DEP_3)
	s_bcnt1_i32_b32 s9, s9
	v_cmp_ne_u32_e64 s11, 0, v5
	s_delay_alu instid0(VALU_DEP_3) | instskip(NEXT) | instid1(VALU_DEP_2)
	s_bcnt1_i32_b32 s8, s8
	s_bcnt1_i32_b32 s10, s10
	s_add_i32 s8, s9, s8
	s_delay_alu instid0(VALU_DEP_1) | instskip(SKIP_1) | instid1(SALU_CYCLE_1)
	s_bcnt1_i32_b32 s11, s11
	s_add_i32 s8, s8, s10
	s_add_i32 s8, s8, s11
	s_delay_alu instid0(SALU_CYCLE_1) | instskip(SKIP_2) | instid1(SALU_CYCLE_1)
	s_add_u32 s66, s66, s8
	s_addc_u32 s67, s67, 0
	s_and_b32 s8, s4, s16
	v_cndmask_b32_e64 v2, 0, 1, s8
	s_and_b32 s8, s5, s17
	s_delay_alu instid0(SALU_CYCLE_1) | instskip(SKIP_1) | instid1(SALU_CYCLE_1)
	v_cndmask_b32_e64 v3, 0, 1, s8
	s_and_b32 s8, s6, s18
	v_cndmask_b32_e64 v4, 0, 1, s8
	s_and_b32 s8, s7, s19
	s_delay_alu instid0(VALU_DEP_2) | instskip(SKIP_3) | instid1(VALU_DEP_4)
	v_cmp_ne_u32_e64 s9, 0, v3
	v_cndmask_b32_e64 v5, 0, 1, s8
	v_cmp_ne_u32_e64 s8, 0, v2
	v_cmp_ne_u32_e64 s10, 0, v4
	s_bcnt1_i32_b32 s9, s9
	s_delay_alu instid0(VALU_DEP_3) | instskip(NEXT) | instid1(VALU_DEP_3)
	v_cmp_ne_u32_e64 s11, 0, v5
	s_bcnt1_i32_b32 s8, s8
	s_delay_alu instid0(VALU_DEP_2) | instskip(SKIP_1) | instid1(VALU_DEP_1)
	s_bcnt1_i32_b32 s10, s10
	s_add_i32 s8, s9, s8
	s_bcnt1_i32_b32 s11, s11
	s_add_i32 s8, s8, s10
	s_delay_alu instid0(SALU_CYCLE_1) | instskip(NEXT) | instid1(SALU_CYCLE_1)
	s_add_i32 s8, s8, s11
	s_add_u32 s64, s64, s8
	s_addc_u32 s65, s65, 0
	s_and_b32 s4, s4, s20
	v_dual_mov_b32 v6, s64 :: v_dual_mov_b32 v7, s65
	v_cndmask_b32_e64 v2, 0, 1, s4
	s_and_b32 s4, s5, s21
	s_delay_alu instid0(SALU_CYCLE_1) | instskip(SKIP_1) | instid1(SALU_CYCLE_1)
	v_cndmask_b32_e64 v3, 0, 1, s4
	s_and_b32 s4, s6, s22
	v_cndmask_b32_e64 v4, 0, 1, s4
	s_and_b32 s4, s7, s23
	s_delay_alu instid0(VALU_DEP_2)
	v_cmp_ne_u32_e64 s5, 0, v3
	v_cndmask_b32_e64 v5, 0, 1, s4
	v_cmp_ne_u32_e64 s4, 0, v2
	v_cmp_ne_u32_e64 s6, 0, v4
	v_mov_b32_e32 v2, s68
	s_bcnt1_i32_b32 s5, s5
	v_cmp_ne_u32_e64 s7, 0, v5
	s_bcnt1_i32_b32 s4, s4
	s_bcnt1_i32_b32 s6, s6
	s_add_i32 s4, s5, s4
	v_mov_b32_e32 v4, s66
	s_bcnt1_i32_b32 s5, s7
	s_add_i32 s4, s4, s6
	v_mov_b32_e32 v3, s69
	s_add_i32 s4, s4, s5
	v_mov_b32_e32 v5, s67
	s_add_u32 s62, s62, s4
	s_addc_u32 s63, s63, 0
	s_delay_alu instid0(SALU_CYCLE_1) | instskip(SKIP_1) | instid1(SALU_CYCLE_1)
	v_dual_mov_b32 v8, s62 :: v_dual_mov_b32 v9, s63
	s_or_b32 s93, vcc_lo, s93
	s_and_not1_b32 exec_lo, exec_lo, s93
	s_cbranch_execnz .LBB7_70
; %bb.71:                               ;   in Loop: Header=BB7_33 Depth=1
	s_or_b32 exec_lo, exec_lo, s93
.LBB7_72:                               ;   in Loop: Header=BB7_33 Depth=1
	s_delay_alu instid0(SALU_CYCLE_1) | instskip(SKIP_3) | instid1(VALU_DEP_2)
	s_or_b32 exec_lo, exec_lo, s52
	v_add_co_u32 v27, vcc_lo, v27, v0
	v_add_co_ci_u32_e32 v28, vcc_lo, 0, v28, vcc_lo
	v_mov_b32_e32 v31, 0
	v_cmp_gt_i64_e32 vcc_lo, s[24:25], v[27:28]
	s_and_saveexec_b32 s4, vcc_lo
	s_cbranch_execz .LBB7_74
; %bb.73:                               ;   in Loop: Header=BB7_33 Depth=1
	v_mad_u64_u32 v[29:30], null, v27, s30, s[50:51]
	v_mul_lo_u32 v31, v27, s31
	v_mul_lo_u32 v32, v28, s30
	s_delay_alu instid0(VALU_DEP_1)
	v_add3_u32 v30, v32, v30, v31
	global_load_u8 v31, v[29:30], off
.LBB7_74:                               ;   in Loop: Header=BB7_33 Depth=1
	s_or_b32 exec_lo, exec_lo, s4
	s_and_saveexec_b32 s7, vcc_lo
	s_cbranch_execz .LBB7_81
; %bb.75:                               ;   in Loop: Header=BB7_33 Depth=1
	v_add_co_u32 v29, vcc_lo, v37, v12
	v_add_co_ci_u32_e32 v30, vcc_lo, 0, v38, vcc_lo
	v_mul_lo_u32 v42, s31, v12
	s_delay_alu instid0(VALU_DEP_3) | instskip(NEXT) | instid1(VALU_DEP_3)
	v_sub_co_u32 v29, vcc_lo, v29, v25
	v_sub_co_ci_u32_e32 v25, vcc_lo, v30, v26, vcc_lo
	v_mul_hi_u32 v43, s30, v12
	s_delay_alu instid0(VALU_DEP_3) | instskip(SKIP_1) | instid1(VALU_DEP_3)
	v_mul_lo_u32 v32, s31, v29
	s_and_b32 s9, s82, 0xfe
	v_mul_lo_u32 v30, s30, v25
	v_mad_u64_u32 v[25:26], null, s30, v29, s[56:57]
	v_mul_lo_u32 v29, s30, v12
	s_mov_b32 s8, 0
	s_delay_alu instid0(VALU_DEP_2)
	v_add3_u32 v26, v32, v26, v30
	v_add_nc_u32_e32 v30, v43, v42
	s_branch .LBB7_77
.LBB7_76:                               ;   in Loop: Header=BB7_77 Depth=2
	s_or_b32 exec_lo, exec_lo, s5
	s_waitcnt vmcnt(0)
	v_and_b32_e32 v31, 0xff, v31
	s_and_b32 s6, exec_lo, vcc_lo
	s_delay_alu instid0(SALU_CYCLE_1) | instskip(NEXT) | instid1(VALU_DEP_1)
	s_or_b32 s8, s6, s8
	v_and_b32_e32 v42, s91, v31
	v_bfe_u32 v31, v31, s9, 2
	s_delay_alu instid0(VALU_DEP_2) | instskip(NEXT) | instid1(VALU_DEP_2)
	v_cmp_eq_u32_e64 s4, s92, v42
	v_cmp_eq_u32_e64 s5, 0, v31
	v_cmp_eq_u32_e32 vcc_lo, 1, v31
	v_cmp_eq_u32_e64 s6, 2, v31
	s_delay_alu instid0(VALU_DEP_3) | instskip(NEXT) | instid1(SALU_CYCLE_1)
	s_and_b32 s5, s4, s5
	v_cndmask_b32_e64 v42, 0, 1, s5
	s_and_b32 s5, s4, vcc_lo
	v_cmp_eq_u32_e32 vcc_lo, 3, v31
	v_cndmask_b32_e64 v43, 0, 1, s5
	s_and_b32 s5, s4, s6
	s_delay_alu instid0(SALU_CYCLE_1) | instskip(SKIP_1) | instid1(VALU_DEP_3)
	v_cndmask_b32_e64 v31, 0, 1, s5
	v_cmp_ne_u32_e64 s5, 0, v42
	v_cmp_ne_u32_e64 s6, 0, v43
	s_and_b32 s4, s4, vcc_lo
	s_delay_alu instid0(SALU_CYCLE_1) | instskip(NEXT) | instid1(VALU_DEP_3)
	v_cndmask_b32_e64 v42, 0, 1, s4
	s_bcnt1_i32_b32 s4, s5
	v_cmp_ne_u32_e32 vcc_lo, 0, v31
	v_mov_b32_e32 v31, v32
	v_add_co_u32 v2, s4, v2, s4
	s_bcnt1_i32_b32 s5, s6
	v_add_co_ci_u32_e64 v3, s4, 0, v3, s4
	v_add_co_u32 v4, s4, v4, s5
	s_delay_alu instid0(VALU_DEP_1) | instskip(SKIP_3) | instid1(VALU_DEP_1)
	v_add_co_ci_u32_e64 v5, s4, 0, v5, s4
	s_bcnt1_i32_b32 s4, vcc_lo
	v_cmp_ne_u32_e32 vcc_lo, 0, v42
	v_add_co_u32 v6, s4, v6, s4
	v_add_co_ci_u32_e64 v7, s4, 0, v7, s4
	s_bcnt1_i32_b32 s4, vcc_lo
	s_delay_alu instid0(SALU_CYCLE_1)
	v_add_co_u32 v8, vcc_lo, v8, s4
	v_add_co_ci_u32_e32 v9, vcc_lo, 0, v9, vcc_lo
	v_add_co_u32 v25, vcc_lo, v25, v29
	v_add_co_ci_u32_e32 v26, vcc_lo, v26, v30, vcc_lo
	s_and_not1_b32 exec_lo, exec_lo, s8
	s_cbranch_execz .LBB7_80
.LBB7_77:                               ;   Parent Loop BB7_33 Depth=1
                                        ; =>  This Inner Loop Header: Depth=2
	v_add_co_u32 v27, vcc_lo, v27, v12
	v_add_co_ci_u32_e32 v28, vcc_lo, 0, v28, vcc_lo
	v_mov_b32_e32 v32, 0
	s_mov_b32 s5, exec_lo
	s_delay_alu instid0(VALU_DEP_2)
	v_cmp_le_i64_e32 vcc_lo, s[24:25], v[27:28]
	v_cmpx_gt_i64_e64 s[24:25], v[27:28]
	s_cbranch_execz .LBB7_76
; %bb.78:                               ;   in Loop: Header=BB7_77 Depth=2
	global_load_u8 v32, v[25:26], off
	s_branch .LBB7_76
.LBB7_79:                               ;   in Loop: Header=BB7_33 Depth=1
                                        ; implicit-def: $vgpr8_vgpr9
                                        ; implicit-def: $vgpr4_vgpr5
	s_cbranch_execnz .LBB7_82
	s_branch .LBB7_91
.LBB7_80:                               ;   in Loop: Header=BB7_33 Depth=1
	s_or_b32 exec_lo, exec_lo, s8
.LBB7_81:                               ;   in Loop: Header=BB7_33 Depth=1
	s_delay_alu instid0(SALU_CYCLE_1)
	s_or_b32 exec_lo, exec_lo, s7
	s_branch .LBB7_91
.LBB7_82:                               ;   in Loop: Header=BB7_33 Depth=1
	global_load_u16 v12, v13, s[54:55]
	s_mov_b64 s[62:63], 0
	s_mov_b32 s61, exec_lo
	s_waitcnt vmcnt(0)
	v_readfirstlane_b32 s4, v12
	s_delay_alu instid0(VALU_DEP_1) | instskip(NEXT) | instid1(SALU_CYCLE_1)
	s_and_b32 s4, 0xffff, s4
	s_lshl_b32 s52, s4, 2
	s_delay_alu instid0(SALU_CYCLE_1) | instskip(SKIP_1) | instid1(VALU_DEP_1)
	v_cvt_f32_u32_e32 v2, s52
	s_sub_i32 s5, 0, s52
	v_rcp_iflag_f32_e32 v2, v2
	s_waitcnt_depctr 0xfff
	v_mul_f32_e32 v2, 0x4f7ffffe, v2
	s_delay_alu instid0(VALU_DEP_1) | instskip(NEXT) | instid1(VALU_DEP_1)
	v_cvt_u32_f32_e32 v2, v2
	v_readfirstlane_b32 s4, v2
	v_mov_b32_e32 v2, 0
	v_mov_b32_e32 v3, 0
	s_delay_alu instid0(VALU_DEP_3) | instskip(NEXT) | instid1(VALU_DEP_1)
	s_mul_i32 s5, s5, s4
	v_dual_mov_b32 v5, v3 :: v_dual_mov_b32 v4, v2
	s_mul_hi_u32 s5, s4, s5
	v_dual_mov_b32 v7, v3 :: v_dual_mov_b32 v6, v2
	s_add_i32 s4, s4, s5
	v_dual_mov_b32 v9, v3 :: v_dual_mov_b32 v8, v2
	s_mul_hi_u32 s4, s60, s4
	s_delay_alu instid0(SALU_CYCLE_1) | instskip(NEXT) | instid1(SALU_CYCLE_1)
	s_mul_i32 s4, s4, s52
	s_sub_i32 s4, s60, s4
	s_delay_alu instid0(SALU_CYCLE_1) | instskip(SKIP_2) | instid1(SALU_CYCLE_1)
	s_sub_i32 s5, s4, s52
	s_cmp_ge_u32 s4, s52
	s_cselect_b32 s4, s5, s4
	s_sub_i32 s5, s4, s52
	s_cmp_ge_u32 s4, s52
	s_cselect_b32 s4, s5, s4
	s_delay_alu instid0(SALU_CYCLE_1) | instskip(NEXT) | instid1(SALU_CYCLE_1)
	s_sub_i32 s48, s60, s4
	v_cmpx_gt_u32_e64 s48, v16
	s_cbranch_execz .LBB7_86
; %bb.83:                               ;   in Loop: Header=BB7_33 Depth=1
	v_dual_mov_b32 v27, v16 :: v_dual_mov_b32 v26, v17
	v_mov_b32_e32 v25, v16
	s_and_b32 s94, s82, 0xfe
	s_mov_b32 s93, 0
	s_mov_b64 s[64:65], 0
	s_mov_b64 s[66:67], 0
	;; [unrolled: 1-line block ×3, first 2 shown]
.LBB7_84:                               ;   Parent Loop BB7_33 Depth=1
                                        ; =>  This Inner Loop Header: Depth=2
	ds_load_b32 v2, v27
	v_add_co_u32 v25, vcc_lo, v25, s52
	v_add_co_ci_u32_e32 v26, vcc_lo, 0, v26, vcc_lo
	s_delay_alu instid0(VALU_DEP_1)
	v_cmp_le_u64_e32 vcc_lo, s[48:49], v[25:26]
	s_waitcnt lgkmcnt(0)
	v_and_b32_e32 v3, 0xff, v2
	v_bfe_u32 v4, v2, 8, 8
	v_bfe_u32 v5, v2, 16, 8
	v_lshrrev_b32_e32 v2, 24, v2
	s_delay_alu instid0(VALU_DEP_4)
	v_and_b32_e32 v6, s91, v3
	v_bfe_u32 v3, v3, s94, 2
	v_and_b32_e32 v7, s91, v4
	v_bfe_u32 v4, v4, s94, 2
	;; [unrolled: 2-line block ×3, first 2 shown]
	v_cmp_eq_u32_e64 s4, s92, v6
	v_cmp_eq_u32_e64 s8, 0, v3
	v_and_b32_e32 v9, s91, v2
	v_bfe_u32 v2, v2, s94, 2
	v_cmp_eq_u32_e64 s5, s92, v7
	v_cmp_eq_u32_e64 s9, 0, v4
	;; [unrolled: 1-line block ×4, first 2 shown]
	s_and_b32 s8, s4, s8
	v_cmp_eq_u32_e64 s7, s92, v9
	v_cmp_eq_u32_e64 s11, 0, v2
	;; [unrolled: 1-line block ×5, first 2 shown]
	v_cndmask_b32_e64 v2, 0, 1, s8
	s_and_b32 s8, s5, s9
	v_cmp_eq_u32_e64 s12, 1, v3
	v_cmp_eq_u32_e64 s16, 2, v3
	v_cmp_eq_u32_e64 s20, 3, v3
	v_cndmask_b32_e64 v3, 0, 1, s8
	s_and_b32 s8, s6, s10
	v_cmp_eq_u32_e64 s13, 1, v4
	v_cmp_eq_u32_e64 s17, 2, v4
	v_cmp_eq_u32_e64 s21, 3, v4
	;; [unrolled: 5-line block ×3, first 2 shown]
	v_cndmask_b32_e64 v5, 0, 1, s8
	v_cmp_ne_u32_e64 s8, 0, v2
	v_cmp_ne_u32_e64 s9, 0, v3
	;; [unrolled: 1-line block ×3, first 2 shown]
	s_delay_alu instid0(VALU_DEP_4) | instskip(NEXT) | instid1(VALU_DEP_4)
	v_cmp_ne_u32_e64 s11, 0, v5
	s_bcnt1_i32_b32 s8, s8
	s_delay_alu instid0(VALU_DEP_3) | instskip(NEXT) | instid1(VALU_DEP_2)
	s_bcnt1_i32_b32 s9, s9
	s_bcnt1_i32_b32 s10, s10
	s_add_i32 s8, s9, s8
	s_bcnt1_i32_b32 s11, s11
	s_add_i32 s8, s8, s10
	s_delay_alu instid0(SALU_CYCLE_1) | instskip(NEXT) | instid1(SALU_CYCLE_1)
	s_add_i32 s8, s8, s11
	s_add_u32 s68, s68, s8
	s_addc_u32 s69, s69, 0
	s_and_b32 s8, s4, s12
	v_add_nc_u32_e32 v27, s52, v27
	v_cndmask_b32_e64 v2, 0, 1, s8
	s_and_b32 s8, s5, s13
	s_delay_alu instid0(SALU_CYCLE_1) | instskip(SKIP_1) | instid1(SALU_CYCLE_1)
	v_cndmask_b32_e64 v3, 0, 1, s8
	s_and_b32 s8, s6, s14
	v_cndmask_b32_e64 v4, 0, 1, s8
	s_and_b32 s8, s7, s15
	s_delay_alu instid0(VALU_DEP_2) | instskip(SKIP_3) | instid1(VALU_DEP_4)
	v_cmp_ne_u32_e64 s9, 0, v3
	v_cndmask_b32_e64 v5, 0, 1, s8
	v_cmp_ne_u32_e64 s8, 0, v2
	v_cmp_ne_u32_e64 s10, 0, v4
	s_bcnt1_i32_b32 s9, s9
	s_delay_alu instid0(VALU_DEP_3) | instskip(NEXT) | instid1(VALU_DEP_3)
	v_cmp_ne_u32_e64 s11, 0, v5
	s_bcnt1_i32_b32 s8, s8
	s_delay_alu instid0(VALU_DEP_2) | instskip(SKIP_1) | instid1(VALU_DEP_1)
	s_bcnt1_i32_b32 s10, s10
	s_add_i32 s8, s9, s8
	s_bcnt1_i32_b32 s11, s11
	s_add_i32 s8, s8, s10
	s_delay_alu instid0(SALU_CYCLE_1) | instskip(NEXT) | instid1(SALU_CYCLE_1)
	s_add_i32 s8, s8, s11
	s_add_u32 s66, s66, s8
	s_addc_u32 s67, s67, 0
	s_and_b32 s8, s4, s16
	s_delay_alu instid0(SALU_CYCLE_1) | instskip(SKIP_1) | instid1(SALU_CYCLE_1)
	v_cndmask_b32_e64 v2, 0, 1, s8
	s_and_b32 s8, s5, s17
	v_cndmask_b32_e64 v3, 0, 1, s8
	s_and_b32 s8, s6, s18
	s_delay_alu instid0(SALU_CYCLE_1) | instskip(SKIP_1) | instid1(VALU_DEP_2)
	v_cndmask_b32_e64 v4, 0, 1, s8
	s_and_b32 s8, s7, s19
	v_cmp_ne_u32_e64 s9, 0, v3
	v_cndmask_b32_e64 v5, 0, 1, s8
	v_cmp_ne_u32_e64 s8, 0, v2
	v_cmp_ne_u32_e64 s10, 0, v4
	s_delay_alu instid0(VALU_DEP_4) | instskip(NEXT) | instid1(VALU_DEP_3)
	s_bcnt1_i32_b32 s9, s9
	v_cmp_ne_u32_e64 s11, 0, v5
	s_delay_alu instid0(VALU_DEP_3) | instskip(NEXT) | instid1(VALU_DEP_2)
	s_bcnt1_i32_b32 s8, s8
	s_bcnt1_i32_b32 s10, s10
	s_add_i32 s8, s9, s8
	s_delay_alu instid0(VALU_DEP_1) | instskip(SKIP_1) | instid1(SALU_CYCLE_1)
	s_bcnt1_i32_b32 s11, s11
	s_add_i32 s8, s8, s10
	s_add_i32 s8, s8, s11
	s_delay_alu instid0(SALU_CYCLE_1)
	s_add_u32 s64, s64, s8
	s_addc_u32 s65, s65, 0
	s_and_b32 s4, s4, s20
	v_mov_b32_e32 v6, s64
	v_cndmask_b32_e64 v2, 0, 1, s4
	s_and_b32 s4, s5, s21
	v_mov_b32_e32 v7, s65
	v_cndmask_b32_e64 v3, 0, 1, s4
	s_and_b32 s4, s6, s22
	s_delay_alu instid0(SALU_CYCLE_1) | instskip(SKIP_1) | instid1(VALU_DEP_2)
	v_cndmask_b32_e64 v4, 0, 1, s4
	s_and_b32 s4, s7, s23
	v_cmp_ne_u32_e64 s5, 0, v3
	v_cndmask_b32_e64 v5, 0, 1, s4
	v_cmp_ne_u32_e64 s4, 0, v2
	v_mov_b32_e32 v2, s68
	v_cmp_ne_u32_e64 s6, 0, v4
	s_bcnt1_i32_b32 s5, s5
	v_cmp_ne_u32_e64 s7, 0, v5
	s_bcnt1_i32_b32 s4, s4
	v_mov_b32_e32 v4, s66
	s_bcnt1_i32_b32 s6, s6
	s_add_i32 s4, s5, s4
	s_bcnt1_i32_b32 s5, s7
	s_add_i32 s4, s4, s6
	v_mov_b32_e32 v3, s69
	s_add_i32 s4, s4, s5
	v_mov_b32_e32 v5, s67
	s_add_u32 s62, s62, s4
	s_addc_u32 s63, s63, 0
	s_delay_alu instid0(SALU_CYCLE_1) | instskip(SKIP_1) | instid1(SALU_CYCLE_1)
	v_dual_mov_b32 v8, s62 :: v_dual_mov_b32 v9, s63
	s_or_b32 s93, vcc_lo, s93
	s_and_not1_b32 exec_lo, exec_lo, s93
	s_cbranch_execnz .LBB7_84
; %bb.85:                               ;   in Loop: Header=BB7_33 Depth=1
	s_or_b32 exec_lo, exec_lo, s93
.LBB7_86:                               ;   in Loop: Header=BB7_33 Depth=1
	s_delay_alu instid0(SALU_CYCLE_1) | instskip(SKIP_3) | instid1(VALU_DEP_1)
	s_or_b32 exec_lo, exec_lo, s61
	v_and_b32_e32 v27, 0xffff, v12
	v_add_nc_u32_e32 v12, s48, v0
	s_mov_b32 s9, exec_lo
	v_cmpx_gt_u32_e64 s60, v12
	s_cbranch_execz .LBB7_90
; %bb.87:                               ;   in Loop: Header=BB7_33 Depth=1
	v_dual_mov_b32 v26, v13 :: v_dual_mov_b32 v25, v12
	s_mov_b32 s11, 0
	s_and_b32 s10, s60, 0x7fffffff
	s_and_b32 s13, s82, 0xfe
	s_mov_b32 s12, s11
.LBB7_88:                               ;   Parent Loop BB7_33 Depth=1
                                        ; =>  This Inner Loop Header: Depth=2
	ds_load_u8 v28, v12
	v_add_co_u32 v25, vcc_lo, v25, v27
	v_add_co_ci_u32_e32 v26, vcc_lo, 0, v26, vcc_lo
	v_add_nc_u32_e32 v12, v12, v27
	s_delay_alu instid0(VALU_DEP_2) | instskip(SKIP_3) | instid1(VALU_DEP_2)
	v_cmp_le_u64_e32 vcc_lo, s[10:11], v[25:26]
	s_waitcnt lgkmcnt(0)
	v_and_b32_e32 v29, s91, v28
	v_bfe_u32 v28, v28, s13, 2
	v_cmp_eq_u32_e64 s4, s92, v29
	s_delay_alu instid0(VALU_DEP_2) | instskip(SKIP_3) | instid1(VALU_DEP_4)
	v_cmp_eq_u32_e64 s5, 0, v28
	v_cmp_eq_u32_e64 s6, 1, v28
	;; [unrolled: 1-line block ×4, first 2 shown]
	s_and_b32 s5, s4, s5
	s_delay_alu instid0(SALU_CYCLE_1) | instskip(SKIP_1) | instid1(SALU_CYCLE_1)
	v_cndmask_b32_e64 v28, 0, 1, s5
	s_and_b32 s5, s4, s6
	v_cndmask_b32_e64 v29, 0, 1, s5
	s_and_b32 s5, s4, s7
	s_and_b32 s4, s4, s8
	v_cndmask_b32_e64 v30, 0, 1, s5
	v_cndmask_b32_e64 v31, 0, 1, s4
	v_cmp_ne_u32_e64 s4, 0, v28
	v_cmp_ne_u32_e64 s5, 0, v29
	s_delay_alu instid0(VALU_DEP_4) | instskip(NEXT) | instid1(VALU_DEP_4)
	v_cmp_ne_u32_e64 s6, 0, v30
	v_cmp_ne_u32_e64 s7, 0, v31
	s_delay_alu instid0(VALU_DEP_4) | instskip(NEXT) | instid1(VALU_DEP_3)
	s_bcnt1_i32_b32 s4, s4
	s_bcnt1_i32_b32 s5, s5
	v_add_co_u32 v2, s4, v2, s4
	s_delay_alu instid0(VALU_DEP_1)
	v_add_co_ci_u32_e64 v3, s4, 0, v3, s4
	v_add_co_u32 v4, s4, v4, s5
	s_bcnt1_i32_b32 s6, s6
	v_add_co_ci_u32_e64 v5, s4, 0, v5, s4
	v_add_co_u32 v6, s4, v6, s6
	s_bcnt1_i32_b32 s7, s7
	v_add_co_ci_u32_e64 v7, s4, 0, v7, s4
	v_add_co_u32 v8, s4, v8, s7
	s_delay_alu instid0(VALU_DEP_1) | instskip(SKIP_1) | instid1(SALU_CYCLE_1)
	v_add_co_ci_u32_e64 v9, s4, 0, v9, s4
	s_or_b32 s12, vcc_lo, s12
	s_and_not1_b32 exec_lo, exec_lo, s12
	s_cbranch_execnz .LBB7_88
; %bb.89:                               ;   in Loop: Header=BB7_33 Depth=1
	s_or_b32 exec_lo, exec_lo, s12
.LBB7_90:                               ;   in Loop: Header=BB7_33 Depth=1
	s_delay_alu instid0(SALU_CYCLE_1)
	s_or_b32 exec_lo, exec_lo, s9
.LBB7_91:                               ;   in Loop: Header=BB7_33 Depth=1
	s_lshl_b32 s4, s87, 7
	s_and_saveexec_b32 s5, s2
	s_cbranch_execz .LBB7_93
; %bb.92:                               ;   in Loop: Header=BB7_33 Depth=1
	v_or_b32_e32 v12, s4, v34
	s_delay_alu instid0(VALU_DEP_1)
	v_lshlrev_b32_e32 v12, 3, v12
	ds_store_b128 v12, v[2:5] offset:3072
	ds_store_b128 v12, v[6:9] offset:3088
.LBB7_93:                               ;   in Loop: Header=BB7_33 Depth=1
	s_or_b32 exec_lo, exec_lo, s5
	s_waitcnt vmcnt(0) lgkmcnt(0)
	s_barrier
	buffer_gl0_inv
	s_and_saveexec_b32 s5, s72
	s_cbranch_execz .LBB7_104
; %bb.94:                               ;   in Loop: Header=BB7_33 Depth=1
	v_mov_b32_e32 v2, 0
	v_mov_b32_e32 v3, 0
	s_and_not1_b32 vcc_lo, exec_lo, s77
	s_cbranch_vccnz .LBB7_103
; %bb.95:                               ;   in Loop: Header=BB7_33 Depth=1
	v_mov_b32_e32 v2, 0
	v_mov_b32_e32 v3, 0
	s_and_not1_b32 vcc_lo, exec_lo, s79
	s_cbranch_vccnz .LBB7_100
; %bb.96:                               ;   in Loop: Header=BB7_33 Depth=1
	v_lshl_add_u32 v4, s87, 10, v39
	s_mov_b32 s6, 0
	s_set_inst_prefetch_distance 0x1
	.p2align	6
.LBB7_97:                               ;   Parent Loop BB7_33 Depth=1
                                        ; =>  This Inner Loop Header: Depth=2
	ds_load_2addr_b64 v[5:8], v4 offset1:4
	ds_load_2addr_b64 v[25:28], v4 offset0:8 offset1:12
	ds_load_2addr_b64 v[29:32], v4 offset0:16 offset1:20
	s_add_i32 s6, s6, 8
	s_delay_alu instid0(SALU_CYCLE_1) | instskip(SKIP_3) | instid1(VALU_DEP_2)
	s_cmp_eq_u32 s80, s6
	s_waitcnt lgkmcnt(2)
	v_add_co_u32 v2, vcc_lo, v5, v2
	v_add_co_ci_u32_e32 v3, vcc_lo, v6, v3, vcc_lo
	v_add_co_u32 v2, vcc_lo, v7, v2
	s_delay_alu instid0(VALU_DEP_2)
	v_add_co_ci_u32_e32 v3, vcc_lo, v8, v3, vcc_lo
	ds_load_2addr_b64 v[5:8], v4 offset0:24 offset1:28
	s_waitcnt lgkmcnt(2)
	v_add_co_u32 v2, vcc_lo, v25, v2
	v_add_co_ci_u32_e32 v3, vcc_lo, v26, v3, vcc_lo
	v_add_nc_u32_e32 v4, 0x100, v4
	s_delay_alu instid0(VALU_DEP_3) | instskip(NEXT) | instid1(VALU_DEP_3)
	v_add_co_u32 v2, vcc_lo, v27, v2
	v_add_co_ci_u32_e32 v3, vcc_lo, v28, v3, vcc_lo
	s_waitcnt lgkmcnt(1)
	s_delay_alu instid0(VALU_DEP_2) | instskip(NEXT) | instid1(VALU_DEP_2)
	v_add_co_u32 v2, vcc_lo, v29, v2
	v_add_co_ci_u32_e32 v3, vcc_lo, v30, v3, vcc_lo
	s_delay_alu instid0(VALU_DEP_2) | instskip(NEXT) | instid1(VALU_DEP_2)
	v_add_co_u32 v2, vcc_lo, v31, v2
	v_add_co_ci_u32_e32 v3, vcc_lo, v32, v3, vcc_lo
	s_waitcnt lgkmcnt(0)
	s_delay_alu instid0(VALU_DEP_2) | instskip(NEXT) | instid1(VALU_DEP_2)
	v_add_co_u32 v2, vcc_lo, v5, v2
	v_add_co_ci_u32_e32 v3, vcc_lo, v6, v3, vcc_lo
	s_delay_alu instid0(VALU_DEP_2) | instskip(NEXT) | instid1(VALU_DEP_2)
	v_add_co_u32 v2, vcc_lo, v7, v2
	v_add_co_ci_u32_e32 v3, vcc_lo, v8, v3, vcc_lo
	s_cbranch_scc0 .LBB7_97
; %bb.98:                               ;   in Loop: Header=BB7_33 Depth=1
	s_set_inst_prefetch_distance 0x2
	s_mov_b32 s6, s80
	s_and_not1_b32 vcc_lo, exec_lo, s81
	s_cbranch_vccz .LBB7_101
	s_branch .LBB7_103
.LBB7_99:                               ;   in Loop: Header=BB7_33 Depth=1
                                        ; implicit-def: $vgpr25_vgpr26
	s_branch .LBB7_67
.LBB7_100:                              ;   in Loop: Header=BB7_33 Depth=1
	s_mov_b32 s6, 0
	s_and_not1_b32 vcc_lo, exec_lo, s81
	s_cbranch_vccnz .LBB7_103
.LBB7_101:                              ;   in Loop: Header=BB7_33 Depth=1
	s_lshl_b32 s7, s87, 10
	s_lshl_b32 s6, s6, 5
	s_delay_alu instid0(SALU_CYCLE_1)
	v_add3_u32 v4, s7, s6, v39
	s_mov_b32 s6, s78
.LBB7_102:                              ;   Parent Loop BB7_33 Depth=1
                                        ; =>  This Inner Loop Header: Depth=2
	ds_load_b64 v[5:6], v4
	v_add_nc_u32_e32 v4, 32, v4
	s_add_i32 s6, s6, -1
	s_delay_alu instid0(SALU_CYCLE_1)
	s_cmp_lg_u32 s6, 0
	s_waitcnt lgkmcnt(0)
	v_add_co_u32 v2, vcc_lo, v5, v2
	v_add_co_ci_u32_e32 v3, vcc_lo, v6, v3, vcc_lo
	s_cbranch_scc1 .LBB7_102
.LBB7_103:                              ;   in Loop: Header=BB7_33 Depth=1
	v_add_lshl_u32 v4, s4, v33, 3
	ds_store_b64 v4, v[2:3] offset:3072
.LBB7_104:                              ;   in Loop: Header=BB7_33 Depth=1
	s_or_b32 exec_lo, exec_lo, s5
	s_lshl_b32 s4, s4, 3
	s_waitcnt lgkmcnt(0)
	v_mov_b32_e32 v6, s4
	s_barrier
	buffer_gl0_inv
	s_and_b32 s17, s82, 0xfe
	s_mov_b32 s19, -1
	ds_load_b128 v[2:5], v6 offset:3072
	ds_load_b128 v[6:9], v6 offset:3088
	s_lshl_b32 s16, 3, s17
	s_delay_alu instid0(SALU_CYCLE_1)
	s_not_b32 s18, s16
	s_waitcnt lgkmcnt(1)
	v_readfirstlane_b32 s13, v3
	v_readfirstlane_b32 s12, v2
	;; [unrolled: 1-line block ×4, first 2 shown]
	s_waitcnt lgkmcnt(0)
	v_readfirstlane_b32 s8, v6
	v_readfirstlane_b32 s9, v7
	s_cmp_eq_u64 s[12:13], 1
	v_readfirstlane_b32 s6, v8
	s_cselect_b32 s4, -1, 0
	s_cmp_eq_u64 s[26:27], 1
	v_readfirstlane_b32 s7, v9
	s_cselect_b32 s5, -1, 0
	s_delay_alu instid0(SALU_CYCLE_1) | instskip(NEXT) | instid1(SALU_CYCLE_1)
	s_and_b32 s20, s4, s5
	s_and_b32 vcc_lo, exec_lo, s20
	s_cbranch_vccz .LBB7_118
; %bb.105:                              ;   in Loop: Header=BB7_33 Depth=1
	ds_load_b64 v[2:3], v13 offset:5120
	s_waitcnt lgkmcnt(0)
	s_barrier
	buffer_gl0_inv
	v_readfirstlane_b32 s14, v2
	v_readfirstlane_b32 s15, v3
	s_and_saveexec_b32 s4, s3
	s_cbranch_execz .LBB7_107
; %bb.106:                              ;   in Loop: Header=BB7_33 Depth=1
	ds_store_b8 v0, v13 offset:3072
.LBB7_107:                              ;   in Loop: Header=BB7_33 Depth=1
	s_or_b32 exec_lo, exec_lo, s4
	s_delay_alu instid0(VALU_DEP_1)
	v_cmp_lt_i64_e64 s4, s[14:15], 1
	s_and_b32 s92, s92, s18
	s_or_b32 s91, s91, s16
	s_waitcnt lgkmcnt(0)
	s_barrier
	buffer_gl0_inv
	s_and_b32 vcc_lo, exec_lo, s4
	s_cbranch_vccz .LBB7_119
; %bb.108:                              ;   in Loop: Header=BB7_33 Depth=1
	s_mov_b32 s52, s49
	s_delay_alu instid0(SALU_CYCLE_1)
	s_cmp_lg_u64 s[52:53], 0
	s_cbranch_scc0 .LBB7_162
; %bb.109:                              ;   in Loop: Header=BB7_33 Depth=1
	v_cvt_f32_u32_e32 v2, s33
	s_sub_u32 s21, 0, s33
	s_subb_u32 s22, 0, 0
	s_delay_alu instid0(VALU_DEP_1) | instskip(NEXT) | instid1(VALU_DEP_1)
	v_fmac_f32_e32 v2, 0x4f800000, v40
	v_rcp_f32_e32 v2, v2
	s_waitcnt_depctr 0xfff
	v_mul_f32_e32 v2, 0x5f7ffffc, v2
	s_delay_alu instid0(VALU_DEP_1) | instskip(NEXT) | instid1(VALU_DEP_1)
	v_mul_f32_e32 v3, 0x2f800000, v2
	v_trunc_f32_e32 v3, v3
	s_delay_alu instid0(VALU_DEP_1) | instskip(SKIP_1) | instid1(VALU_DEP_2)
	v_fmac_f32_e32 v2, 0xcf800000, v3
	v_cvt_u32_f32_e32 v3, v3
	v_cvt_u32_f32_e32 v2, v2
	s_delay_alu instid0(VALU_DEP_2) | instskip(NEXT) | instid1(VALU_DEP_2)
	v_readfirstlane_b32 s4, v3
	v_readfirstlane_b32 s5, v2
	s_delay_alu instid0(VALU_DEP_2) | instskip(NEXT) | instid1(VALU_DEP_1)
	s_mul_i32 s23, s21, s4
	s_mul_hi_u32 s52, s21, s5
	s_mul_i32 s48, s22, s5
	s_add_i32 s23, s52, s23
	s_mul_i32 s60, s21, s5
	s_add_i32 s23, s23, s48
	s_mul_hi_u32 s52, s5, s60
	s_mul_hi_u32 s61, s4, s60
	s_mul_i32 s48, s4, s60
	s_mul_hi_u32 s60, s5, s23
	s_mul_i32 s5, s5, s23
	s_mul_hi_u32 s62, s4, s23
	s_add_u32 s5, s52, s5
	s_addc_u32 s52, 0, s60
	s_add_u32 s5, s5, s48
	s_mul_i32 s23, s4, s23
	s_addc_u32 s5, s52, s61
	s_addc_u32 s48, s62, 0
	s_add_u32 s5, s5, s23
	s_addc_u32 s23, 0, s48
	v_add_co_u32 v2, s5, v2, s5
	s_delay_alu instid0(VALU_DEP_1) | instskip(SKIP_1) | instid1(VALU_DEP_1)
	s_cmp_lg_u32 s5, 0
	s_addc_u32 s4, s4, s23
	v_readfirstlane_b32 s5, v2
	s_mul_i32 s23, s21, s4
	s_delay_alu instid0(VALU_DEP_1)
	s_mul_hi_u32 s48, s21, s5
	s_mul_i32 s22, s22, s5
	s_add_i32 s23, s48, s23
	s_mul_i32 s21, s21, s5
	s_add_i32 s23, s23, s22
	s_mul_hi_u32 s48, s4, s21
	s_mul_i32 s52, s4, s21
	s_mul_hi_u32 s21, s5, s21
	s_mul_hi_u32 s60, s5, s23
	s_mul_i32 s5, s5, s23
	s_mul_hi_u32 s22, s4, s23
	s_add_u32 s5, s21, s5
	s_addc_u32 s21, 0, s60
	s_add_u32 s5, s5, s52
	s_mul_i32 s23, s4, s23
	s_addc_u32 s5, s21, s48
	s_addc_u32 s21, s22, 0
	s_add_u32 s5, s5, s23
	s_addc_u32 s21, 0, s21
	v_add_co_u32 v2, s5, v2, s5
	s_delay_alu instid0(VALU_DEP_1) | instskip(SKIP_2) | instid1(VALU_DEP_1)
	s_cmp_lg_u32 s5, 0
	s_addc_u32 s21, s4, s21
	s_ashr_i32 s22, s53, 31
	v_readfirstlane_b32 s48, v2
	s_add_u32 s4, s76, s22
	s_mov_b32 s23, s22
	s_addc_u32 s5, s53, s22
	s_delay_alu instid0(SALU_CYCLE_1) | instskip(NEXT) | instid1(SALU_CYCLE_1)
	s_xor_b64 s[4:5], s[4:5], s[22:23]
	s_mul_i32 s52, s4, s21
	s_mul_hi_u32 s60, s4, s48
	s_mul_hi_u32 s23, s4, s21
	;; [unrolled: 1-line block ×3, first 2 shown]
	s_mul_i32 s48, s5, s48
	s_add_u32 s52, s60, s52
	s_addc_u32 s23, 0, s23
	s_mul_hi_u32 s61, s5, s21
	s_add_u32 s48, s52, s48
	s_mul_i32 s21, s5, s21
	s_addc_u32 s23, s23, s62
	s_addc_u32 s48, s61, 0
	s_add_u32 s21, s23, s21
	s_addc_u32 s23, 0, s48
	s_mul_hi_u32 s48, s33, s21
	s_mul_i32 s21, s33, s21
	s_mul_i32 s23, s33, s23
	v_sub_co_u32 v2, s4, s4, s21
	s_add_i32 s48, s48, s23
	s_cmp_lg_u32 s4, 0
	s_delay_alu instid0(VALU_DEP_1) | instskip(SKIP_2) | instid1(VALU_DEP_1)
	v_sub_co_u32 v3, s4, v2, s33
	s_subb_u32 s5, s5, s48
	s_cmp_lg_u32 s4, 0
	v_cmp_le_u32_e32 vcc_lo, s33, v3
	v_sub_co_u32 v4, s4, v3, s33
	s_subb_u32 s21, s5, 0
	s_cmp_lg_u32 s4, 0
	v_cndmask_b32_e64 v5, 0, -1, vcc_lo
	s_subb_u32 s4, s21, 0
	s_cmp_eq_u32 s21, 0
	v_mov_b32_e32 v7, s4
	s_cselect_b32 vcc_lo, -1, 0
	s_cmp_eq_u32 s5, 0
	v_cndmask_b32_e32 v5, -1, v5, vcc_lo
	v_cmp_le_u32_e32 vcc_lo, s33, v2
	s_cselect_b32 s4, -1, 0
	v_cndmask_b32_e64 v6, 0, -1, vcc_lo
	s_delay_alu instid0(VALU_DEP_3) | instskip(NEXT) | instid1(VALU_DEP_2)
	v_cmp_ne_u32_e32 vcc_lo, 0, v5
	v_cndmask_b32_e64 v5, -1, v6, s4
	v_cndmask_b32_e32 v3, v3, v4, vcc_lo
	v_cndmask_b32_e32 v6, s21, v7, vcc_lo
	s_delay_alu instid0(VALU_DEP_3) | instskip(NEXT) | instid1(VALU_DEP_3)
	v_cmp_ne_u32_e32 vcc_lo, 0, v5
	v_cndmask_b32_e32 v2, v2, v3, vcc_lo
	s_delay_alu instid0(VALU_DEP_3) | instskip(NEXT) | instid1(VALU_DEP_2)
	v_cndmask_b32_e32 v4, s5, v6, vcc_lo
	v_xor_b32_e32 v2, s22, v2
	s_delay_alu instid0(VALU_DEP_2) | instskip(NEXT) | instid1(VALU_DEP_2)
	v_xor_b32_e32 v3, s22, v4
	v_sub_co_u32 v2, vcc_lo, v2, s22
	s_delay_alu instid0(VALU_DEP_2)
	v_subrev_co_ci_u32_e32 v3, vcc_lo, s22, v3, vcc_lo
	s_cbranch_execnz .LBB7_111
.LBB7_110:                              ;   in Loop: Header=BB7_33 Depth=1
	v_cvt_f32_u32_e32 v2, s33
	s_sub_i32 s4, 0, s33
	s_delay_alu instid0(VALU_DEP_1) | instskip(SKIP_2) | instid1(VALU_DEP_1)
	v_rcp_iflag_f32_e32 v2, v2
	s_waitcnt_depctr 0xfff
	v_mul_f32_e32 v2, 0x4f7ffffe, v2
	v_cvt_u32_f32_e32 v2, v2
	s_delay_alu instid0(VALU_DEP_1) | instskip(NEXT) | instid1(VALU_DEP_1)
	v_mul_lo_u32 v3, s4, v2
	v_mul_hi_u32 v3, v2, v3
	s_delay_alu instid0(VALU_DEP_1) | instskip(NEXT) | instid1(VALU_DEP_1)
	v_add_nc_u32_e32 v2, v2, v3
	v_mul_hi_u32 v2, s76, v2
	s_delay_alu instid0(VALU_DEP_1) | instskip(NEXT) | instid1(VALU_DEP_1)
	v_mul_lo_u32 v2, v2, s33
	v_sub_nc_u32_e32 v2, s76, v2
	s_delay_alu instid0(VALU_DEP_1) | instskip(SKIP_1) | instid1(VALU_DEP_2)
	v_subrev_nc_u32_e32 v3, s33, v2
	v_cmp_le_u32_e32 vcc_lo, s33, v2
	v_cndmask_b32_e32 v2, v2, v3, vcc_lo
	s_delay_alu instid0(VALU_DEP_1) | instskip(SKIP_1) | instid1(VALU_DEP_2)
	v_subrev_nc_u32_e32 v3, s33, v2
	v_cmp_le_u32_e32 vcc_lo, s33, v2
	v_cndmask_b32_e32 v12, v2, v3, vcc_lo
	s_delay_alu instid0(VALU_DEP_1)
	v_dual_mov_b32 v2, v12 :: v_dual_mov_b32 v3, v13
.LBB7_111:                              ;   in Loop: Header=BB7_33 Depth=1
	s_delay_alu instid0(VALU_DEP_1) | instskip(NEXT) | instid1(VALU_DEP_2)
	v_sub_co_u32 v2, vcc_lo, s76, v2
	v_sub_co_ci_u32_e32 v3, vcc_lo, s53, v3, vcc_lo
	s_mov_b32 s4, 0
	s_mov_b32 s5, exec_lo
                                        ; implicit-def: $vgpr41
	s_delay_alu instid0(VALU_DEP_1)
	v_cmpx_gt_i64_e64 v[2:3], v[0:1]
	s_cbranch_execz .LBB7_121
; %bb.112:                              ;   in Loop: Header=BB7_33 Depth=1
	v_dual_mov_b32 v4, v10 :: v_dual_mov_b32 v5, v11
	v_dual_mov_b32 v7, v1 :: v_dual_mov_b32 v6, v0
	s_mov_b32 s21, 0
                                        ; implicit-def: $sgpr22
	s_set_inst_prefetch_distance 0x1
	s_branch .LBB7_114
	.p2align	6
.LBB7_113:                              ;   in Loop: Header=BB7_114 Depth=2
	s_or_b32 exec_lo, exec_lo, s4
	s_waitcnt lgkmcnt(0)
	s_barrier
	buffer_gl0_inv
	ds_load_u16 v8, v13 offset:3072
	v_add_co_u32 v6, vcc_lo, v6, s33
	v_add_co_ci_u32_e32 v7, vcc_lo, 0, v7, vcc_lo
	s_waitcnt lgkmcnt(0)
	s_barrier
	buffer_gl0_inv
	v_cmp_ge_i64_e32 vcc_lo, v[6:7], v[2:3]
	v_and_b32_e32 v9, 0xff, v8
	s_delay_alu instid0(VALU_DEP_1) | instskip(NEXT) | instid1(VALU_DEP_1)
	v_cmp_ne_u16_e64 s4, 0, v9
	s_or_b32 s23, s4, vcc_lo
	v_add_co_u32 v4, vcc_lo, v4, s71
	s_and_b32 s23, exec_lo, s23
	v_add_co_ci_u32_e32 v5, vcc_lo, s70, v5, vcc_lo
	s_or_b32 s21, s23, s21
	s_and_not1_b32 s22, s22, exec_lo
	s_and_b32 s4, s4, exec_lo
	s_delay_alu instid0(SALU_CYCLE_1)
	s_or_b32 s22, s22, s4
	s_and_not1_b32 exec_lo, exec_lo, s21
	s_cbranch_execz .LBB7_120
.LBB7_114:                              ;   Parent Loop BB7_33 Depth=1
                                        ; =>  This Inner Loop Header: Depth=2
	s_delay_alu instid0(VALU_DEP_1)
	v_cmp_gt_i64_e32 vcc_lo, s[24:25], v[6:7]
	v_mov_b32_e32 v8, 0
	s_and_saveexec_b32 s4, vcc_lo
	s_cbranch_execz .LBB7_116
; %bb.115:                              ;   in Loop: Header=BB7_114 Depth=2
	global_load_u8 v8, v[4:5], off
.LBB7_116:                              ;   in Loop: Header=BB7_114 Depth=2
	s_or_b32 exec_lo, exec_lo, s4
	s_waitcnt vmcnt(0)
	v_and_b32_e32 v9, s91, v8
	s_delay_alu instid0(VALU_DEP_1) | instskip(NEXT) | instid1(VALU_DEP_1)
	v_and_b32_e32 v9, 0xff, v9
	v_cmp_eq_u32_e64 s4, s92, v9
	s_delay_alu instid0(VALU_DEP_1) | instskip(NEXT) | instid1(SALU_CYCLE_1)
	s_and_b32 s23, vcc_lo, s4
	s_and_saveexec_b32 s4, s23
	s_cbranch_execz .LBB7_113
; %bb.117:                              ;   in Loop: Header=BB7_114 Depth=2
	v_lshlrev_b16 v8, 8, v8
	s_delay_alu instid0(VALU_DEP_1)
	v_or_b32_e32 v8, 1, v8
	ds_store_b16 v13, v8 offset:3072
	s_branch .LBB7_113
.LBB7_118:                              ;   in Loop: Header=BB7_33 Depth=1
	s_mov_b32 s4, -1
                                        ; implicit-def: $sgpr5
                                        ; implicit-def: $sgpr22
                                        ; implicit-def: $sgpr21
	s_branch .LBB7_134
.LBB7_119:                              ;   in Loop: Header=BB7_33 Depth=1
	s_mov_b32 s5, -1
	s_mov_b32 s4, 0
                                        ; implicit-def: $sgpr21
                                        ; implicit-def: $vgpr41
	s_mov_b32 s22, s5
	s_cbranch_execnz .LBB7_122
	s_branch .LBB7_134
.LBB7_120:                              ;   in Loop: Header=BB7_33 Depth=1
	s_set_inst_prefetch_distance 0x2
	s_or_b32 exec_lo, exec_lo, s21
	v_lshrrev_b16 v41, 8, v8
	s_and_b32 s4, s22, exec_lo
.LBB7_121:                              ;   in Loop: Header=BB7_33 Depth=1
	s_or_b32 exec_lo, exec_lo, s5
	s_mov_b32 s21, -1
	s_mov_b32 s5, 0
	s_delay_alu instid0(SALU_CYCLE_1)
	s_mov_b32 s22, s5
	s_branch .LBB7_134
.LBB7_122:                              ;   in Loop: Header=BB7_33 Depth=1
	s_add_u32 s21, s74, s14
	s_addc_u32 s5, s75, s15
	s_mov_b32 s4, s49
	s_delay_alu instid0(SALU_CYCLE_1)
	s_cmp_lg_u64 s[4:5], 0
	s_cbranch_scc0 .LBB7_163
; %bb.123:                              ;   in Loop: Header=BB7_33 Depth=1
	v_cvt_f32_u32_e32 v2, s33
	s_sub_u32 s23, 0, s33
	s_subb_u32 s48, 0, 0
	s_delay_alu instid0(VALU_DEP_1) | instskip(NEXT) | instid1(VALU_DEP_1)
	v_fmac_f32_e32 v2, 0x4f800000, v40
	v_rcp_f32_e32 v2, v2
	s_waitcnt_depctr 0xfff
	v_mul_f32_e32 v2, 0x5f7ffffc, v2
	s_delay_alu instid0(VALU_DEP_1) | instskip(NEXT) | instid1(VALU_DEP_1)
	v_mul_f32_e32 v3, 0x2f800000, v2
	v_trunc_f32_e32 v3, v3
	s_delay_alu instid0(VALU_DEP_1) | instskip(SKIP_1) | instid1(VALU_DEP_2)
	v_fmac_f32_e32 v2, 0xcf800000, v3
	v_cvt_u32_f32_e32 v3, v3
	v_cvt_u32_f32_e32 v2, v2
	s_delay_alu instid0(VALU_DEP_2) | instskip(NEXT) | instid1(VALU_DEP_2)
	v_readfirstlane_b32 s4, v3
	v_readfirstlane_b32 s22, v2
	s_delay_alu instid0(VALU_DEP_2) | instskip(NEXT) | instid1(VALU_DEP_1)
	s_mul_i32 s52, s23, s4
	s_mul_hi_u32 s61, s23, s22
	s_mul_i32 s60, s48, s22
	s_add_i32 s52, s61, s52
	s_mul_i32 s62, s23, s22
	s_add_i32 s52, s52, s60
	s_mul_hi_u32 s61, s22, s62
	s_mul_hi_u32 s63, s4, s62
	s_mul_i32 s60, s4, s62
	s_mul_hi_u32 s62, s22, s52
	s_mul_i32 s22, s22, s52
	s_mul_hi_u32 s64, s4, s52
	s_add_u32 s22, s61, s22
	s_addc_u32 s61, 0, s62
	s_add_u32 s22, s22, s60
	s_mul_i32 s52, s4, s52
	s_addc_u32 s22, s61, s63
	s_addc_u32 s60, s64, 0
	s_add_u32 s22, s22, s52
	s_addc_u32 s52, 0, s60
	v_add_co_u32 v2, s22, v2, s22
	s_delay_alu instid0(VALU_DEP_1) | instskip(SKIP_1) | instid1(VALU_DEP_1)
	s_cmp_lg_u32 s22, 0
	s_addc_u32 s4, s4, s52
	v_readfirstlane_b32 s22, v2
	s_mul_i32 s52, s23, s4
	s_delay_alu instid0(VALU_DEP_1)
	s_mul_hi_u32 s60, s23, s22
	s_mul_i32 s48, s48, s22
	s_add_i32 s52, s60, s52
	s_mul_i32 s23, s23, s22
	s_add_i32 s52, s52, s48
	s_mul_hi_u32 s60, s4, s23
	s_mul_i32 s61, s4, s23
	s_mul_hi_u32 s23, s22, s23
	s_mul_hi_u32 s62, s22, s52
	s_mul_i32 s22, s22, s52
	s_mul_hi_u32 s48, s4, s52
	s_add_u32 s22, s23, s22
	s_addc_u32 s23, 0, s62
	s_add_u32 s22, s22, s61
	s_mul_i32 s52, s4, s52
	s_addc_u32 s22, s23, s60
	s_addc_u32 s23, s48, 0
	s_add_u32 s22, s22, s52
	s_addc_u32 s23, 0, s23
	v_add_co_u32 v2, s22, v2, s22
	s_delay_alu instid0(VALU_DEP_1) | instskip(SKIP_2) | instid1(VALU_DEP_1)
	s_cmp_lg_u32 s22, 0
	s_addc_u32 s4, s4, s23
	s_ashr_i32 s22, s5, 31
	v_readfirstlane_b32 s48, v2
	s_add_u32 s60, s21, s22
	s_mov_b32 s23, s22
	s_addc_u32 s61, s5, s22
	s_delay_alu instid0(SALU_CYCLE_1) | instskip(NEXT) | instid1(SALU_CYCLE_1)
	s_xor_b64 s[60:61], s[60:61], s[22:23]
	s_mul_i32 s52, s60, s4
	s_mul_hi_u32 s62, s60, s48
	s_mul_hi_u32 s23, s60, s4
	;; [unrolled: 1-line block ×3, first 2 shown]
	s_mul_i32 s48, s61, s48
	s_add_u32 s52, s62, s52
	s_addc_u32 s23, 0, s23
	s_mul_hi_u32 s63, s61, s4
	s_add_u32 s48, s52, s48
	s_mul_i32 s4, s61, s4
	s_addc_u32 s23, s23, s64
	s_addc_u32 s48, s63, 0
	s_add_u32 s4, s23, s4
	s_addc_u32 s23, 0, s48
	s_mul_hi_u32 s48, s33, s4
	s_mul_i32 s4, s33, s4
	s_mul_i32 s23, s33, s23
	v_sub_co_u32 v2, s4, s60, s4
	s_add_i32 s48, s48, s23
	s_cmp_lg_u32 s4, 0
	s_delay_alu instid0(VALU_DEP_1) | instskip(SKIP_2) | instid1(VALU_DEP_1)
	v_sub_co_u32 v3, s4, v2, s33
	s_subb_u32 s23, s61, s48
	s_cmp_lg_u32 s4, 0
	v_cmp_le_u32_e32 vcc_lo, s33, v3
	v_sub_co_u32 v4, s4, v3, s33
	s_subb_u32 s48, s23, 0
	s_cmp_lg_u32 s4, 0
	v_cndmask_b32_e64 v5, 0, -1, vcc_lo
	s_subb_u32 s4, s48, 0
	s_cmp_eq_u32 s48, 0
	v_mov_b32_e32 v7, s4
	s_cselect_b32 vcc_lo, -1, 0
	s_cmp_eq_u32 s23, 0
	v_cndmask_b32_e32 v5, -1, v5, vcc_lo
	v_cmp_le_u32_e32 vcc_lo, s33, v2
	s_cselect_b32 s4, -1, 0
	v_cndmask_b32_e64 v6, 0, -1, vcc_lo
	s_delay_alu instid0(VALU_DEP_3) | instskip(NEXT) | instid1(VALU_DEP_2)
	v_cmp_ne_u32_e32 vcc_lo, 0, v5
	v_cndmask_b32_e64 v5, -1, v6, s4
	v_cndmask_b32_e32 v3, v3, v4, vcc_lo
	v_cndmask_b32_e32 v6, s48, v7, vcc_lo
	s_delay_alu instid0(VALU_DEP_3) | instskip(NEXT) | instid1(VALU_DEP_3)
	v_cmp_ne_u32_e32 vcc_lo, 0, v5
	v_cndmask_b32_e32 v2, v2, v3, vcc_lo
	s_delay_alu instid0(VALU_DEP_3) | instskip(NEXT) | instid1(VALU_DEP_2)
	v_cndmask_b32_e32 v4, s23, v6, vcc_lo
	v_xor_b32_e32 v2, s22, v2
	s_delay_alu instid0(VALU_DEP_2) | instskip(NEXT) | instid1(VALU_DEP_2)
	v_xor_b32_e32 v3, s22, v4
	v_sub_co_u32 v2, vcc_lo, v2, s22
	s_delay_alu instid0(VALU_DEP_2)
	v_subrev_co_ci_u32_e32 v3, vcc_lo, s22, v3, vcc_lo
	s_cbranch_execnz .LBB7_125
.LBB7_124:                              ;   in Loop: Header=BB7_33 Depth=1
	v_cvt_f32_u32_e32 v2, s33
	s_sub_i32 s4, 0, s33
	s_delay_alu instid0(VALU_DEP_1) | instskip(SKIP_2) | instid1(VALU_DEP_1)
	v_rcp_iflag_f32_e32 v2, v2
	s_waitcnt_depctr 0xfff
	v_mul_f32_e32 v2, 0x4f7ffffe, v2
	v_cvt_u32_f32_e32 v2, v2
	s_delay_alu instid0(VALU_DEP_1) | instskip(NEXT) | instid1(VALU_DEP_1)
	v_mul_lo_u32 v3, s4, v2
	v_mul_hi_u32 v3, v2, v3
	s_delay_alu instid0(VALU_DEP_1) | instskip(NEXT) | instid1(VALU_DEP_1)
	v_add_nc_u32_e32 v2, v2, v3
	v_mul_hi_u32 v2, s21, v2
	s_delay_alu instid0(VALU_DEP_1) | instskip(NEXT) | instid1(VALU_DEP_1)
	v_mul_lo_u32 v2, v2, s33
	v_sub_nc_u32_e32 v2, s21, v2
	s_delay_alu instid0(VALU_DEP_1) | instskip(SKIP_1) | instid1(VALU_DEP_2)
	v_subrev_nc_u32_e32 v3, s33, v2
	v_cmp_le_u32_e32 vcc_lo, s33, v2
	v_cndmask_b32_e32 v2, v2, v3, vcc_lo
	s_delay_alu instid0(VALU_DEP_1) | instskip(SKIP_1) | instid1(VALU_DEP_2)
	v_subrev_nc_u32_e32 v3, s33, v2
	v_cmp_le_u32_e32 vcc_lo, s33, v2
	v_cndmask_b32_e32 v12, v2, v3, vcc_lo
	s_delay_alu instid0(VALU_DEP_1)
	v_dual_mov_b32 v2, v12 :: v_dual_mov_b32 v3, v13
.LBB7_125:                              ;   in Loop: Header=BB7_33 Depth=1
	s_delay_alu instid0(VALU_DEP_1) | instskip(NEXT) | instid1(VALU_DEP_2)
	v_sub_co_u32 v2, vcc_lo, s21, v2
	v_sub_co_ci_u32_e32 v3, vcc_lo, s5, v3, vcc_lo
	s_mov_b32 s4, 0
	s_mov_b32 s5, exec_lo
                                        ; implicit-def: $vgpr41
	s_delay_alu instid0(VALU_DEP_1)
	v_cmpx_gt_i64_e64 v[2:3], v[0:1]
	s_cbranch_execz .LBB7_133
; %bb.126:                              ;   in Loop: Header=BB7_33 Depth=1
	v_dual_mov_b32 v6, v0 :: v_dual_mov_b32 v5, v1
	v_mov_b32_e32 v4, v0
	s_mov_b32 s21, 0
                                        ; implicit-def: $sgpr22
	s_set_inst_prefetch_distance 0x1
	s_branch .LBB7_128
	.p2align	6
.LBB7_127:                              ;   in Loop: Header=BB7_128 Depth=2
	s_or_b32 exec_lo, exec_lo, s4
	s_waitcnt lgkmcnt(0)
	s_barrier
	buffer_gl0_inv
	ds_load_u16 v7, v13 offset:3072
	v_add_co_u32 v4, vcc_lo, v4, s33
	v_add_co_ci_u32_e32 v5, vcc_lo, 0, v5, vcc_lo
	v_add_nc_u32_e32 v6, s33, v6
	s_waitcnt lgkmcnt(0)
	s_barrier
	s_delay_alu instid0(VALU_DEP_2) | instskip(SKIP_2) | instid1(VALU_DEP_1)
	v_cmp_ge_i64_e32 vcc_lo, v[4:5], v[2:3]
	buffer_gl0_inv
	v_and_b32_e32 v8, 0xff, v7
	v_cmp_ne_u16_e64 s4, 0, v8
	s_delay_alu instid0(VALU_DEP_1) | instskip(NEXT) | instid1(SALU_CYCLE_1)
	s_or_b32 s23, s4, vcc_lo
	s_and_b32 s23, exec_lo, s23
	s_delay_alu instid0(SALU_CYCLE_1) | instskip(SKIP_2) | instid1(SALU_CYCLE_1)
	s_or_b32 s21, s23, s21
	s_and_not1_b32 s22, s22, exec_lo
	s_and_b32 s4, s4, exec_lo
	s_or_b32 s22, s22, s4
	s_and_not1_b32 exec_lo, exec_lo, s21
	s_cbranch_execz .LBB7_132
.LBB7_128:                              ;   Parent Loop BB7_33 Depth=1
                                        ; =>  This Inner Loop Header: Depth=2
	s_delay_alu instid0(VALU_DEP_1)
	v_cmp_gt_i64_e32 vcc_lo, s[14:15], v[4:5]
	v_mov_b32_e32 v7, 0
	s_and_saveexec_b32 s4, vcc_lo
	s_cbranch_execz .LBB7_130
; %bb.129:                              ;   in Loop: Header=BB7_128 Depth=2
	ds_load_u8 v7, v6
.LBB7_130:                              ;   in Loop: Header=BB7_128 Depth=2
	s_or_b32 exec_lo, exec_lo, s4
	s_waitcnt lgkmcnt(0)
	v_and_b32_e32 v8, s91, v7
	s_delay_alu instid0(VALU_DEP_1) | instskip(NEXT) | instid1(VALU_DEP_1)
	v_and_b32_e32 v8, 0xff, v8
	v_cmp_eq_u32_e64 s4, s92, v8
	s_delay_alu instid0(VALU_DEP_1) | instskip(NEXT) | instid1(SALU_CYCLE_1)
	s_and_b32 s23, vcc_lo, s4
	s_and_saveexec_b32 s4, s23
	s_cbranch_execz .LBB7_127
; %bb.131:                              ;   in Loop: Header=BB7_128 Depth=2
	v_lshlrev_b16 v7, 8, v7
	s_delay_alu instid0(VALU_DEP_1)
	v_or_b32_e32 v7, 1, v7
	ds_store_b16 v13, v7 offset:3072
	s_branch .LBB7_127
.LBB7_132:                              ;   in Loop: Header=BB7_33 Depth=1
	s_set_inst_prefetch_distance 0x2
	s_or_b32 exec_lo, exec_lo, s21
	v_lshrrev_b16 v41, 8, v7
	s_and_b32 s4, s22, exec_lo
.LBB7_133:                              ;   in Loop: Header=BB7_33 Depth=1
	s_or_b32 exec_lo, exec_lo, s5
	s_mov_b32 s22, -1
	s_mov_b32 s5, 0
	s_mov_b32 s21, 0
.LBB7_134:                              ;   in Loop: Header=BB7_33 Depth=1
	s_and_not1_b32 s14, s88, exec_lo
	s_and_b32 s5, s5, exec_lo
	s_and_not1_b32 s15, s89, exec_lo
	s_or_b32 s88, s14, s5
	s_and_not1_b32 s5, s90, exec_lo
	s_and_b32 s14, s22, exec_lo
	s_and_b32 s21, s21, exec_lo
	s_or_b32 s90, s5, s14
	s_or_b32 s89, s15, s21
	s_and_saveexec_b32 s14, s4
	s_cbranch_execz .LBB7_32
; %bb.135:                              ;   in Loop: Header=BB7_33 Depth=1
	s_xor_b32 s4, s20, -1
	s_mov_b32 s52, 1
	s_and_not1_b32 vcc_lo, exec_lo, s4
	s_cbranch_vccnz .LBB7_146
; %bb.136:                              ;   in Loop: Header=BB7_33 Depth=1
	v_cmp_gt_i64_e64 s4, s[26:27], s[12:13]
                                        ; implicit-def: $sgpr52
                                        ; implicit-def: $sgpr5
                                        ; implicit-def: $sgpr15
	s_delay_alu instid0(VALU_DEP_1)
	s_and_b32 vcc_lo, exec_lo, s4
	s_mov_b32 s4, -1
	s_cbranch_vccnz .LBB7_142
; %bb.137:                              ;   in Loop: Header=BB7_33 Depth=1
	ds_load_b64 v[2:3], v13 offset:5120
	s_waitcnt lgkmcnt(0)
	v_cmp_ne_u64_e32 vcc_lo, 0, v[2:3]
	s_cbranch_vccnz .LBB7_141
; %bb.138:                              ;   in Loop: Header=BB7_33 Depth=1
	s_and_saveexec_b32 s4, s0
	s_cbranch_execz .LBB7_140
; %bb.139:                              ;   in Loop: Header=BB7_33 Depth=1
	v_dual_mov_b32 v2, s12 :: v_dual_mov_b32 v3, s13
	ds_store_b64 v13, v[2:3] offset:5128
.LBB7_140:                              ;   in Loop: Header=BB7_33 Depth=1
	s_or_b32 exec_lo, exec_lo, s4
	s_waitcnt lgkmcnt(0)
	s_barrier
	buffer_gl0_inv
.LBB7_141:                              ;   in Loop: Header=BB7_33 Depth=1
	s_and_b32 s5, s92, s18
	s_or_b32 s15, s91, s16
	s_mov_b32 s4, 0
	s_mov_b32 s52, 8
.LBB7_142:                              ;   in Loop: Header=BB7_33 Depth=1
	s_and_not1_b32 vcc_lo, exec_lo, s4
	s_cbranch_vccnz .LBB7_144
; %bb.143:                              ;   in Loop: Header=BB7_33 Depth=1
	s_sub_u32 s26, s26, s12
	s_subb_u32 s27, s27, s13
	s_mov_b32 s4, -1
	s_mov_b32 s52, 0
	s_mov_b32 s5, s92
	;; [unrolled: 1-line block ×3, first 2 shown]
.LBB7_144:                              ;   in Loop: Header=BB7_33 Depth=1
	s_delay_alu instid0(SALU_CYCLE_1)
	s_mov_b32 s91, s15
	s_mov_b32 s92, s5
	s_and_b32 vcc_lo, exec_lo, s4
	s_mov_b32 s15, -1
	s_cbranch_vccnz .LBB7_147
.LBB7_145:                              ;   in Loop: Header=BB7_33 Depth=1
	s_mov_b32 s5, -1
                                        ; implicit-def: $sgpr19
                                        ; implicit-def: $sgpr21
                                        ; implicit-def: $sgpr20
	s_delay_alu instid0(SALU_CYCLE_1) | instskip(NEXT) | instid1(SALU_CYCLE_1)
	s_and_saveexec_b32 s4, s5
	s_xor_b32 s4, exec_lo, s4
	s_cbranch_execz .LBB7_31
	s_branch .LBB7_287
.LBB7_146:                              ;   in Loop: Header=BB7_33 Depth=1
	s_mov_b64 s[26:27], 1
	s_mov_b32 s15, -1
	s_branch .LBB7_145
.LBB7_147:                              ;   in Loop: Header=BB7_33 Depth=1
	s_cmp_eq_u64 s[10:11], 1
	s_cselect_b32 s4, -1, 0
	s_cmp_eq_u64 s[26:27], 1
	s_cselect_b32 s5, -1, 0
	s_delay_alu instid0(SALU_CYCLE_1)
	s_and_b32 s22, s4, s5
	s_mov_b32 s4, -1
	s_and_b32 vcc_lo, exec_lo, s22
	s_cbranch_vccz .LBB7_161
; %bb.148:                              ;   in Loop: Header=BB7_33 Depth=1
	ds_load_b64 v[2:3], v13 offset:5120
	s_waitcnt lgkmcnt(0)
	s_barrier
	buffer_gl0_inv
	v_readfirstlane_b32 s12, v2
	v_readfirstlane_b32 s13, v3
	s_and_saveexec_b32 s4, s3
	s_cbranch_execz .LBB7_150
; %bb.149:                              ;   in Loop: Header=BB7_33 Depth=1
	ds_store_b8 v0, v13 offset:3072
.LBB7_150:                              ;   in Loop: Header=BB7_33 Depth=1
	s_or_b32 exec_lo, exec_lo, s4
	s_delay_alu instid0(VALU_DEP_1)
	v_cmp_gt_i64_e64 s19, s[12:13], 0
	s_lshl_b32 s4, 1, s17
	s_and_b32 s5, s92, s18
	s_or_b32 s91, s91, s16
	s_or_b32 s92, s5, s4
	s_waitcnt lgkmcnt(0)
	s_and_b32 vcc_lo, exec_lo, s19
	s_barrier
	buffer_gl0_inv
	s_cbranch_vccnz .LBB7_164
; %bb.151:                              ;   in Loop: Header=BB7_33 Depth=1
	s_mov_b32 s52, s49
	s_delay_alu instid0(SALU_CYCLE_1)
	s_cmp_lg_u64 s[52:53], 0
	s_cbranch_scc0 .LBB7_207
; %bb.152:                              ;   in Loop: Header=BB7_33 Depth=1
	v_cvt_f32_u32_e32 v2, s33
	s_sub_u32 s19, 0, s33
	s_subb_u32 s20, 0, 0
	s_delay_alu instid0(VALU_DEP_1) | instskip(NEXT) | instid1(VALU_DEP_1)
	v_fmac_f32_e32 v2, 0x4f800000, v40
	v_rcp_f32_e32 v2, v2
	s_waitcnt_depctr 0xfff
	v_mul_f32_e32 v2, 0x5f7ffffc, v2
	s_delay_alu instid0(VALU_DEP_1) | instskip(NEXT) | instid1(VALU_DEP_1)
	v_mul_f32_e32 v3, 0x2f800000, v2
	v_trunc_f32_e32 v3, v3
	s_delay_alu instid0(VALU_DEP_1) | instskip(SKIP_1) | instid1(VALU_DEP_2)
	v_fmac_f32_e32 v2, 0xcf800000, v3
	v_cvt_u32_f32_e32 v3, v3
	v_cvt_u32_f32_e32 v2, v2
	s_delay_alu instid0(VALU_DEP_2) | instskip(NEXT) | instid1(VALU_DEP_2)
	v_readfirstlane_b32 s4, v3
	v_readfirstlane_b32 s5, v2
	s_delay_alu instid0(VALU_DEP_2) | instskip(NEXT) | instid1(VALU_DEP_1)
	s_mul_i32 s21, s19, s4
	s_mul_hi_u32 s48, s19, s5
	s_mul_i32 s23, s20, s5
	s_add_i32 s21, s48, s21
	s_mul_i32 s52, s19, s5
	s_add_i32 s21, s21, s23
	s_mul_hi_u32 s48, s5, s52
	s_mul_hi_u32 s60, s4, s52
	s_mul_i32 s23, s4, s52
	s_mul_hi_u32 s52, s5, s21
	s_mul_i32 s5, s5, s21
	s_mul_hi_u32 s61, s4, s21
	s_add_u32 s5, s48, s5
	s_addc_u32 s48, 0, s52
	s_add_u32 s5, s5, s23
	s_mul_i32 s21, s4, s21
	s_addc_u32 s5, s48, s60
	s_addc_u32 s23, s61, 0
	s_add_u32 s5, s5, s21
	s_addc_u32 s21, 0, s23
	v_add_co_u32 v2, s5, v2, s5
	s_delay_alu instid0(VALU_DEP_1) | instskip(SKIP_1) | instid1(VALU_DEP_1)
	s_cmp_lg_u32 s5, 0
	s_addc_u32 s4, s4, s21
	v_readfirstlane_b32 s5, v2
	s_mul_i32 s21, s19, s4
	s_delay_alu instid0(VALU_DEP_1)
	s_mul_hi_u32 s23, s19, s5
	s_mul_i32 s20, s20, s5
	s_add_i32 s21, s23, s21
	s_mul_i32 s19, s19, s5
	s_add_i32 s21, s21, s20
	s_mul_hi_u32 s23, s4, s19
	s_mul_i32 s48, s4, s19
	s_mul_hi_u32 s19, s5, s19
	s_mul_hi_u32 s52, s5, s21
	s_mul_i32 s5, s5, s21
	s_mul_hi_u32 s20, s4, s21
	s_add_u32 s5, s19, s5
	s_addc_u32 s19, 0, s52
	s_add_u32 s5, s5, s48
	s_mul_i32 s21, s4, s21
	s_addc_u32 s5, s19, s23
	s_addc_u32 s19, s20, 0
	s_add_u32 s5, s5, s21
	s_addc_u32 s19, 0, s19
	v_add_co_u32 v2, s5, v2, s5
	s_delay_alu instid0(VALU_DEP_1) | instskip(SKIP_2) | instid1(VALU_DEP_1)
	s_cmp_lg_u32 s5, 0
	s_addc_u32 s19, s4, s19
	s_ashr_i32 s20, s53, 31
	v_readfirstlane_b32 s23, v2
	s_add_u32 s4, s76, s20
	s_mov_b32 s21, s20
	s_addc_u32 s5, s53, s20
	s_delay_alu instid0(SALU_CYCLE_1) | instskip(NEXT) | instid1(SALU_CYCLE_1)
	s_xor_b64 s[4:5], s[4:5], s[20:21]
	s_mul_i32 s48, s4, s19
	s_mul_hi_u32 s52, s4, s23
	s_mul_hi_u32 s21, s4, s19
	;; [unrolled: 1-line block ×3, first 2 shown]
	s_mul_i32 s23, s5, s23
	s_add_u32 s48, s52, s48
	s_addc_u32 s21, 0, s21
	s_mul_hi_u32 s60, s5, s19
	s_add_u32 s23, s48, s23
	s_mul_i32 s19, s5, s19
	s_addc_u32 s21, s21, s61
	s_addc_u32 s23, s60, 0
	s_add_u32 s19, s21, s19
	s_addc_u32 s21, 0, s23
	s_mul_hi_u32 s23, s33, s19
	s_mul_i32 s19, s33, s19
	s_mul_i32 s21, s33, s21
	v_sub_co_u32 v2, s4, s4, s19
	s_add_i32 s23, s23, s21
	s_cmp_lg_u32 s4, 0
	s_delay_alu instid0(VALU_DEP_1) | instskip(SKIP_2) | instid1(VALU_DEP_1)
	v_sub_co_u32 v3, s4, v2, s33
	s_subb_u32 s5, s5, s23
	s_cmp_lg_u32 s4, 0
	v_cmp_le_u32_e32 vcc_lo, s33, v3
	v_sub_co_u32 v4, s4, v3, s33
	s_subb_u32 s19, s5, 0
	s_cmp_lg_u32 s4, 0
	v_cndmask_b32_e64 v5, 0, -1, vcc_lo
	s_subb_u32 s4, s19, 0
	s_cmp_eq_u32 s19, 0
	v_mov_b32_e32 v7, s4
	s_cselect_b32 vcc_lo, -1, 0
	s_cmp_eq_u32 s5, 0
	v_cndmask_b32_e32 v5, -1, v5, vcc_lo
	v_cmp_le_u32_e32 vcc_lo, s33, v2
	s_cselect_b32 s4, -1, 0
	v_cndmask_b32_e64 v6, 0, -1, vcc_lo
	s_delay_alu instid0(VALU_DEP_3) | instskip(NEXT) | instid1(VALU_DEP_2)
	v_cmp_ne_u32_e32 vcc_lo, 0, v5
	v_cndmask_b32_e64 v5, -1, v6, s4
	v_cndmask_b32_e32 v3, v3, v4, vcc_lo
	v_cndmask_b32_e32 v6, s19, v7, vcc_lo
	s_delay_alu instid0(VALU_DEP_3) | instskip(NEXT) | instid1(VALU_DEP_3)
	v_cmp_ne_u32_e32 vcc_lo, 0, v5
	v_cndmask_b32_e32 v2, v2, v3, vcc_lo
	s_delay_alu instid0(VALU_DEP_3) | instskip(NEXT) | instid1(VALU_DEP_2)
	v_cndmask_b32_e32 v4, s5, v6, vcc_lo
	v_xor_b32_e32 v2, s20, v2
	s_delay_alu instid0(VALU_DEP_2) | instskip(NEXT) | instid1(VALU_DEP_2)
	v_xor_b32_e32 v3, s20, v4
	v_sub_co_u32 v2, vcc_lo, v2, s20
	s_delay_alu instid0(VALU_DEP_2)
	v_subrev_co_ci_u32_e32 v3, vcc_lo, s20, v3, vcc_lo
	s_cbranch_execnz .LBB7_154
.LBB7_153:                              ;   in Loop: Header=BB7_33 Depth=1
	v_cvt_f32_u32_e32 v2, s33
	s_sub_i32 s4, 0, s33
	s_delay_alu instid0(VALU_DEP_1) | instskip(SKIP_2) | instid1(VALU_DEP_1)
	v_rcp_iflag_f32_e32 v2, v2
	s_waitcnt_depctr 0xfff
	v_mul_f32_e32 v2, 0x4f7ffffe, v2
	v_cvt_u32_f32_e32 v2, v2
	s_delay_alu instid0(VALU_DEP_1) | instskip(NEXT) | instid1(VALU_DEP_1)
	v_mul_lo_u32 v3, s4, v2
	v_mul_hi_u32 v3, v2, v3
	s_delay_alu instid0(VALU_DEP_1) | instskip(NEXT) | instid1(VALU_DEP_1)
	v_add_nc_u32_e32 v2, v2, v3
	v_mul_hi_u32 v2, s76, v2
	s_delay_alu instid0(VALU_DEP_1) | instskip(NEXT) | instid1(VALU_DEP_1)
	v_mul_lo_u32 v2, v2, s33
	v_sub_nc_u32_e32 v2, s76, v2
	s_delay_alu instid0(VALU_DEP_1) | instskip(SKIP_1) | instid1(VALU_DEP_2)
	v_subrev_nc_u32_e32 v3, s33, v2
	v_cmp_le_u32_e32 vcc_lo, s33, v2
	v_cndmask_b32_e32 v2, v2, v3, vcc_lo
	s_delay_alu instid0(VALU_DEP_1) | instskip(SKIP_1) | instid1(VALU_DEP_2)
	v_subrev_nc_u32_e32 v3, s33, v2
	v_cmp_le_u32_e32 vcc_lo, s33, v2
	v_cndmask_b32_e32 v12, v2, v3, vcc_lo
	s_delay_alu instid0(VALU_DEP_1)
	v_dual_mov_b32 v2, v12 :: v_dual_mov_b32 v3, v13
.LBB7_154:                              ;   in Loop: Header=BB7_33 Depth=1
	s_delay_alu instid0(VALU_DEP_1) | instskip(NEXT) | instid1(VALU_DEP_2)
	v_sub_co_u32 v2, vcc_lo, s76, v2
	v_sub_co_ci_u32_e32 v3, vcc_lo, s53, v3, vcc_lo
	s_mov_b32 s4, 0
	s_mov_b32 s5, exec_lo
                                        ; implicit-def: $vgpr41
	s_delay_alu instid0(VALU_DEP_1)
	v_cmpx_gt_i64_e64 v[2:3], v[0:1]
	s_cbranch_execz .LBB7_166
; %bb.155:                              ;   in Loop: Header=BB7_33 Depth=1
	v_dual_mov_b32 v4, v10 :: v_dual_mov_b32 v5, v11
	v_dual_mov_b32 v7, v1 :: v_dual_mov_b32 v6, v0
	s_mov_b32 s19, 0
                                        ; implicit-def: $sgpr20
	s_set_inst_prefetch_distance 0x1
	s_branch .LBB7_157
	.p2align	6
.LBB7_156:                              ;   in Loop: Header=BB7_157 Depth=2
	s_or_b32 exec_lo, exec_lo, s4
	s_waitcnt lgkmcnt(0)
	s_barrier
	buffer_gl0_inv
	ds_load_u16 v8, v13 offset:3072
	v_add_co_u32 v6, vcc_lo, v6, s33
	v_add_co_ci_u32_e32 v7, vcc_lo, 0, v7, vcc_lo
	s_waitcnt lgkmcnt(0)
	s_barrier
	buffer_gl0_inv
	v_cmp_ge_i64_e32 vcc_lo, v[6:7], v[2:3]
	v_and_b32_e32 v9, 0xff, v8
	s_delay_alu instid0(VALU_DEP_1) | instskip(NEXT) | instid1(VALU_DEP_1)
	v_cmp_ne_u16_e64 s4, 0, v9
	s_or_b32 s21, s4, vcc_lo
	v_add_co_u32 v4, vcc_lo, v4, s71
	s_and_b32 s21, exec_lo, s21
	v_add_co_ci_u32_e32 v5, vcc_lo, s70, v5, vcc_lo
	s_or_b32 s19, s21, s19
	s_and_not1_b32 s20, s20, exec_lo
	s_and_b32 s4, s4, exec_lo
	s_delay_alu instid0(SALU_CYCLE_1)
	s_or_b32 s20, s20, s4
	s_and_not1_b32 exec_lo, exec_lo, s19
	s_cbranch_execz .LBB7_165
.LBB7_157:                              ;   Parent Loop BB7_33 Depth=1
                                        ; =>  This Inner Loop Header: Depth=2
	s_delay_alu instid0(VALU_DEP_1)
	v_cmp_gt_i64_e32 vcc_lo, s[24:25], v[6:7]
	v_mov_b32_e32 v8, 0
	s_and_saveexec_b32 s4, vcc_lo
	s_cbranch_execz .LBB7_159
; %bb.158:                              ;   in Loop: Header=BB7_157 Depth=2
	global_load_u8 v8, v[4:5], off
.LBB7_159:                              ;   in Loop: Header=BB7_157 Depth=2
	s_or_b32 exec_lo, exec_lo, s4
	s_waitcnt vmcnt(0)
	v_and_b32_e32 v9, s91, v8
	s_delay_alu instid0(VALU_DEP_1) | instskip(NEXT) | instid1(VALU_DEP_1)
	v_and_b32_e32 v9, 0xff, v9
	v_cmp_eq_u32_e64 s4, s92, v9
	s_delay_alu instid0(VALU_DEP_1) | instskip(NEXT) | instid1(SALU_CYCLE_1)
	s_and_b32 s21, vcc_lo, s4
	s_and_saveexec_b32 s4, s21
	s_cbranch_execz .LBB7_156
; %bb.160:                              ;   in Loop: Header=BB7_157 Depth=2
	v_lshlrev_b16 v8, 8, v8
	s_delay_alu instid0(VALU_DEP_1)
	v_or_b32_e32 v8, 1, v8
	ds_store_b16 v13, v8 offset:3072
	s_branch .LBB7_156
.LBB7_161:                              ;   in Loop: Header=BB7_33 Depth=1
                                        ; implicit-def: $sgpr20
                                        ; implicit-def: $sgpr21
                                        ; implicit-def: $sgpr19
	s_branch .LBB7_179
.LBB7_162:                              ;   in Loop: Header=BB7_33 Depth=1
                                        ; implicit-def: $vgpr2_vgpr3
	s_branch .LBB7_110
.LBB7_163:                              ;   in Loop: Header=BB7_33 Depth=1
                                        ; implicit-def: $vgpr2_vgpr3
	s_branch .LBB7_124
.LBB7_164:                              ;   in Loop: Header=BB7_33 Depth=1
	s_mov_b32 s20, -1
	s_mov_b32 s4, 0
                                        ; implicit-def: $sgpr19
                                        ; implicit-def: $vgpr41
	s_mov_b32 s21, s20
	s_cbranch_execnz .LBB7_167
	s_branch .LBB7_179
.LBB7_165:                              ;   in Loop: Header=BB7_33 Depth=1
	s_set_inst_prefetch_distance 0x2
	s_or_b32 exec_lo, exec_lo, s19
	v_lshrrev_b16 v41, 8, v8
	s_and_b32 s4, s20, exec_lo
.LBB7_166:                              ;   in Loop: Header=BB7_33 Depth=1
	s_or_b32 exec_lo, exec_lo, s5
	s_mov_b32 s19, -1
	s_mov_b32 s20, 0
	s_delay_alu instid0(SALU_CYCLE_1)
	s_mov_b32 s21, s20
	s_branch .LBB7_179
.LBB7_167:                              ;   in Loop: Header=BB7_33 Depth=1
	s_add_u32 s19, s74, s12
	s_addc_u32 s5, s75, s13
	s_mov_b32 s4, s49
	s_delay_alu instid0(SALU_CYCLE_1)
	s_cmp_lg_u64 s[4:5], 0
	s_cbranch_scc0 .LBB7_208
; %bb.168:                              ;   in Loop: Header=BB7_33 Depth=1
	v_cvt_f32_u32_e32 v2, s33
	s_sub_u32 s21, 0, s33
	s_subb_u32 s23, 0, 0
	s_delay_alu instid0(VALU_DEP_1) | instskip(NEXT) | instid1(VALU_DEP_1)
	v_fmac_f32_e32 v2, 0x4f800000, v40
	v_rcp_f32_e32 v2, v2
	s_waitcnt_depctr 0xfff
	v_mul_f32_e32 v2, 0x5f7ffffc, v2
	s_delay_alu instid0(VALU_DEP_1) | instskip(NEXT) | instid1(VALU_DEP_1)
	v_mul_f32_e32 v3, 0x2f800000, v2
	v_trunc_f32_e32 v3, v3
	s_delay_alu instid0(VALU_DEP_1) | instskip(SKIP_1) | instid1(VALU_DEP_2)
	v_fmac_f32_e32 v2, 0xcf800000, v3
	v_cvt_u32_f32_e32 v3, v3
	v_cvt_u32_f32_e32 v2, v2
	s_delay_alu instid0(VALU_DEP_2) | instskip(NEXT) | instid1(VALU_DEP_2)
	v_readfirstlane_b32 s4, v3
	v_readfirstlane_b32 s20, v2
	s_delay_alu instid0(VALU_DEP_2) | instskip(NEXT) | instid1(VALU_DEP_1)
	s_mul_i32 s48, s21, s4
	s_mul_hi_u32 s60, s21, s20
	s_mul_i32 s52, s23, s20
	s_add_i32 s48, s60, s48
	s_mul_i32 s61, s21, s20
	s_add_i32 s48, s48, s52
	s_mul_hi_u32 s60, s20, s61
	s_mul_hi_u32 s62, s4, s61
	s_mul_i32 s52, s4, s61
	s_mul_hi_u32 s61, s20, s48
	s_mul_i32 s20, s20, s48
	s_mul_hi_u32 s63, s4, s48
	s_add_u32 s20, s60, s20
	s_addc_u32 s60, 0, s61
	s_add_u32 s20, s20, s52
	s_mul_i32 s48, s4, s48
	s_addc_u32 s20, s60, s62
	s_addc_u32 s52, s63, 0
	s_add_u32 s20, s20, s48
	s_addc_u32 s48, 0, s52
	v_add_co_u32 v2, s20, v2, s20
	s_delay_alu instid0(VALU_DEP_1) | instskip(SKIP_1) | instid1(VALU_DEP_1)
	s_cmp_lg_u32 s20, 0
	s_addc_u32 s4, s4, s48
	v_readfirstlane_b32 s20, v2
	s_mul_i32 s48, s21, s4
	s_delay_alu instid0(VALU_DEP_1)
	s_mul_hi_u32 s52, s21, s20
	s_mul_i32 s23, s23, s20
	s_add_i32 s48, s52, s48
	s_mul_i32 s21, s21, s20
	s_add_i32 s48, s48, s23
	s_mul_hi_u32 s52, s4, s21
	s_mul_i32 s60, s4, s21
	s_mul_hi_u32 s21, s20, s21
	s_mul_hi_u32 s61, s20, s48
	s_mul_i32 s20, s20, s48
	s_mul_hi_u32 s23, s4, s48
	s_add_u32 s20, s21, s20
	s_addc_u32 s21, 0, s61
	s_add_u32 s20, s20, s60
	s_mul_i32 s48, s4, s48
	s_addc_u32 s20, s21, s52
	s_addc_u32 s21, s23, 0
	s_add_u32 s20, s20, s48
	s_addc_u32 s21, 0, s21
	v_add_co_u32 v2, s20, v2, s20
	s_delay_alu instid0(VALU_DEP_1) | instskip(SKIP_2) | instid1(VALU_DEP_1)
	s_cmp_lg_u32 s20, 0
	s_addc_u32 s4, s4, s21
	s_ashr_i32 s20, s5, 31
	v_readfirstlane_b32 s23, v2
	s_add_u32 s60, s19, s20
	s_mov_b32 s21, s20
	s_addc_u32 s61, s5, s20
	s_delay_alu instid0(SALU_CYCLE_1) | instskip(NEXT) | instid1(SALU_CYCLE_1)
	s_xor_b64 s[60:61], s[60:61], s[20:21]
	s_mul_i32 s48, s60, s4
	s_mul_hi_u32 s52, s60, s23
	s_mul_hi_u32 s21, s60, s4
	;; [unrolled: 1-line block ×3, first 2 shown]
	s_mul_i32 s23, s61, s23
	s_add_u32 s48, s52, s48
	s_addc_u32 s21, 0, s21
	s_mul_hi_u32 s62, s61, s4
	s_add_u32 s23, s48, s23
	s_mul_i32 s4, s61, s4
	s_addc_u32 s21, s21, s63
	s_addc_u32 s23, s62, 0
	s_add_u32 s4, s21, s4
	s_addc_u32 s21, 0, s23
	s_mul_hi_u32 s23, s33, s4
	s_mul_i32 s4, s33, s4
	s_mul_i32 s21, s33, s21
	v_sub_co_u32 v2, s4, s60, s4
	s_add_i32 s23, s23, s21
	s_cmp_lg_u32 s4, 0
	s_delay_alu instid0(VALU_DEP_1) | instskip(SKIP_2) | instid1(VALU_DEP_1)
	v_sub_co_u32 v3, s4, v2, s33
	s_subb_u32 s21, s61, s23
	s_cmp_lg_u32 s4, 0
	v_cmp_le_u32_e32 vcc_lo, s33, v3
	v_sub_co_u32 v4, s4, v3, s33
	s_subb_u32 s23, s21, 0
	s_cmp_lg_u32 s4, 0
	v_cndmask_b32_e64 v5, 0, -1, vcc_lo
	s_subb_u32 s4, s23, 0
	s_cmp_eq_u32 s23, 0
	v_mov_b32_e32 v7, s4
	s_cselect_b32 vcc_lo, -1, 0
	s_cmp_eq_u32 s21, 0
	v_cndmask_b32_e32 v5, -1, v5, vcc_lo
	v_cmp_le_u32_e32 vcc_lo, s33, v2
	s_cselect_b32 s4, -1, 0
	v_cndmask_b32_e64 v6, 0, -1, vcc_lo
	s_delay_alu instid0(VALU_DEP_3) | instskip(NEXT) | instid1(VALU_DEP_2)
	v_cmp_ne_u32_e32 vcc_lo, 0, v5
	v_cndmask_b32_e64 v5, -1, v6, s4
	v_cndmask_b32_e32 v3, v3, v4, vcc_lo
	v_cndmask_b32_e32 v6, s23, v7, vcc_lo
	s_delay_alu instid0(VALU_DEP_3) | instskip(NEXT) | instid1(VALU_DEP_3)
	v_cmp_ne_u32_e32 vcc_lo, 0, v5
	v_cndmask_b32_e32 v2, v2, v3, vcc_lo
	s_delay_alu instid0(VALU_DEP_3) | instskip(NEXT) | instid1(VALU_DEP_2)
	v_cndmask_b32_e32 v4, s21, v6, vcc_lo
	v_xor_b32_e32 v2, s20, v2
	s_delay_alu instid0(VALU_DEP_2) | instskip(NEXT) | instid1(VALU_DEP_2)
	v_xor_b32_e32 v3, s20, v4
	v_sub_co_u32 v2, vcc_lo, v2, s20
	s_delay_alu instid0(VALU_DEP_2)
	v_subrev_co_ci_u32_e32 v3, vcc_lo, s20, v3, vcc_lo
	s_cbranch_execnz .LBB7_170
.LBB7_169:                              ;   in Loop: Header=BB7_33 Depth=1
	v_cvt_f32_u32_e32 v2, s33
	s_sub_i32 s4, 0, s33
	s_delay_alu instid0(VALU_DEP_1) | instskip(SKIP_2) | instid1(VALU_DEP_1)
	v_rcp_iflag_f32_e32 v2, v2
	s_waitcnt_depctr 0xfff
	v_mul_f32_e32 v2, 0x4f7ffffe, v2
	v_cvt_u32_f32_e32 v2, v2
	s_delay_alu instid0(VALU_DEP_1) | instskip(NEXT) | instid1(VALU_DEP_1)
	v_mul_lo_u32 v3, s4, v2
	v_mul_hi_u32 v3, v2, v3
	s_delay_alu instid0(VALU_DEP_1) | instskip(NEXT) | instid1(VALU_DEP_1)
	v_add_nc_u32_e32 v2, v2, v3
	v_mul_hi_u32 v2, s19, v2
	s_delay_alu instid0(VALU_DEP_1) | instskip(NEXT) | instid1(VALU_DEP_1)
	v_mul_lo_u32 v2, v2, s33
	v_sub_nc_u32_e32 v2, s19, v2
	s_delay_alu instid0(VALU_DEP_1) | instskip(SKIP_1) | instid1(VALU_DEP_2)
	v_subrev_nc_u32_e32 v3, s33, v2
	v_cmp_le_u32_e32 vcc_lo, s33, v2
	v_cndmask_b32_e32 v2, v2, v3, vcc_lo
	s_delay_alu instid0(VALU_DEP_1) | instskip(SKIP_1) | instid1(VALU_DEP_2)
	v_subrev_nc_u32_e32 v3, s33, v2
	v_cmp_le_u32_e32 vcc_lo, s33, v2
	v_cndmask_b32_e32 v12, v2, v3, vcc_lo
	s_delay_alu instid0(VALU_DEP_1)
	v_dual_mov_b32 v2, v12 :: v_dual_mov_b32 v3, v13
.LBB7_170:                              ;   in Loop: Header=BB7_33 Depth=1
	s_delay_alu instid0(VALU_DEP_1) | instskip(NEXT) | instid1(VALU_DEP_2)
	v_sub_co_u32 v2, vcc_lo, s19, v2
	v_sub_co_ci_u32_e32 v3, vcc_lo, s5, v3, vcc_lo
	s_mov_b32 s4, 0
	s_mov_b32 s5, exec_lo
                                        ; implicit-def: $vgpr41
	s_delay_alu instid0(VALU_DEP_1)
	v_cmpx_gt_i64_e64 v[2:3], v[0:1]
	s_cbranch_execz .LBB7_178
; %bb.171:                              ;   in Loop: Header=BB7_33 Depth=1
	v_dual_mov_b32 v6, v0 :: v_dual_mov_b32 v5, v1
	v_mov_b32_e32 v4, v0
	s_mov_b32 s19, 0
                                        ; implicit-def: $sgpr20
	s_set_inst_prefetch_distance 0x1
	s_branch .LBB7_173
	.p2align	6
.LBB7_172:                              ;   in Loop: Header=BB7_173 Depth=2
	s_or_b32 exec_lo, exec_lo, s4
	s_waitcnt lgkmcnt(0)
	s_barrier
	buffer_gl0_inv
	ds_load_u16 v7, v13 offset:3072
	v_add_co_u32 v4, vcc_lo, v4, s33
	v_add_co_ci_u32_e32 v5, vcc_lo, 0, v5, vcc_lo
	v_add_nc_u32_e32 v6, s33, v6
	s_waitcnt lgkmcnt(0)
	s_barrier
	s_delay_alu instid0(VALU_DEP_2) | instskip(SKIP_2) | instid1(VALU_DEP_1)
	v_cmp_ge_i64_e32 vcc_lo, v[4:5], v[2:3]
	buffer_gl0_inv
	v_and_b32_e32 v8, 0xff, v7
	v_cmp_ne_u16_e64 s4, 0, v8
	s_delay_alu instid0(VALU_DEP_1) | instskip(NEXT) | instid1(SALU_CYCLE_1)
	s_or_b32 s21, s4, vcc_lo
	s_and_b32 s21, exec_lo, s21
	s_delay_alu instid0(SALU_CYCLE_1) | instskip(SKIP_2) | instid1(SALU_CYCLE_1)
	s_or_b32 s19, s21, s19
	s_and_not1_b32 s20, s20, exec_lo
	s_and_b32 s4, s4, exec_lo
	s_or_b32 s20, s20, s4
	s_and_not1_b32 exec_lo, exec_lo, s19
	s_cbranch_execz .LBB7_177
.LBB7_173:                              ;   Parent Loop BB7_33 Depth=1
                                        ; =>  This Inner Loop Header: Depth=2
	s_delay_alu instid0(VALU_DEP_1)
	v_cmp_gt_i64_e32 vcc_lo, s[12:13], v[4:5]
	v_mov_b32_e32 v7, 0
	s_and_saveexec_b32 s4, vcc_lo
	s_cbranch_execz .LBB7_175
; %bb.174:                              ;   in Loop: Header=BB7_173 Depth=2
	ds_load_u8 v7, v6
.LBB7_175:                              ;   in Loop: Header=BB7_173 Depth=2
	s_or_b32 exec_lo, exec_lo, s4
	s_waitcnt lgkmcnt(0)
	v_and_b32_e32 v8, s91, v7
	s_delay_alu instid0(VALU_DEP_1) | instskip(NEXT) | instid1(VALU_DEP_1)
	v_and_b32_e32 v8, 0xff, v8
	v_cmp_eq_u32_e64 s4, s92, v8
	s_delay_alu instid0(VALU_DEP_1) | instskip(NEXT) | instid1(SALU_CYCLE_1)
	s_and_b32 s21, vcc_lo, s4
	s_and_saveexec_b32 s4, s21
	s_cbranch_execz .LBB7_172
; %bb.176:                              ;   in Loop: Header=BB7_173 Depth=2
	v_lshlrev_b16 v7, 8, v7
	s_delay_alu instid0(VALU_DEP_1)
	v_or_b32_e32 v7, 1, v7
	ds_store_b16 v13, v7 offset:3072
	s_branch .LBB7_172
.LBB7_177:                              ;   in Loop: Header=BB7_33 Depth=1
	s_set_inst_prefetch_distance 0x2
	s_or_b32 exec_lo, exec_lo, s19
	v_lshrrev_b16 v41, 8, v7
	s_and_b32 s4, s20, exec_lo
.LBB7_178:                              ;   in Loop: Header=BB7_33 Depth=1
	s_or_b32 exec_lo, exec_lo, s5
	s_mov_b32 s21, -1
	s_mov_b32 s20, 0
	s_mov_b32 s19, 0
.LBB7_179:                              ;   in Loop: Header=BB7_33 Depth=1
	s_mov_b32 s5, 0
                                        ; implicit-def: $sgpr52
	s_and_saveexec_b32 s12, s4
	s_cbranch_execz .LBB7_286
; %bb.180:                              ;   in Loop: Header=BB7_33 Depth=1
	s_xor_b32 s4, s22, -1
	s_mov_b32 s52, 1
	s_and_not1_b32 vcc_lo, exec_lo, s4
	s_cbranch_vccnz .LBB7_191
; %bb.181:                              ;   in Loop: Header=BB7_33 Depth=1
	v_cmp_gt_i64_e64 s4, s[26:27], s[10:11]
                                        ; implicit-def: $sgpr52
                                        ; implicit-def: $sgpr5
                                        ; implicit-def: $sgpr13
	s_delay_alu instid0(VALU_DEP_1)
	s_and_b32 vcc_lo, exec_lo, s4
	s_mov_b32 s4, -1
	s_cbranch_vccnz .LBB7_187
; %bb.182:                              ;   in Loop: Header=BB7_33 Depth=1
	ds_load_b64 v[2:3], v13 offset:5120
	s_waitcnt lgkmcnt(0)
	v_cmp_ne_u64_e32 vcc_lo, 0, v[2:3]
	s_cbranch_vccnz .LBB7_186
; %bb.183:                              ;   in Loop: Header=BB7_33 Depth=1
	s_and_saveexec_b32 s4, s0
	s_cbranch_execz .LBB7_185
; %bb.184:                              ;   in Loop: Header=BB7_33 Depth=1
	v_dual_mov_b32 v2, s10 :: v_dual_mov_b32 v3, s11
	ds_store_b64 v13, v[2:3] offset:5128
.LBB7_185:                              ;   in Loop: Header=BB7_33 Depth=1
	s_or_b32 exec_lo, exec_lo, s4
	s_waitcnt lgkmcnt(0)
	s_barrier
	buffer_gl0_inv
.LBB7_186:                              ;   in Loop: Header=BB7_33 Depth=1
	s_lshl_b32 s4, 1, s17
	s_and_b32 s5, s92, s18
	s_or_b32 s13, s91, s16
	s_or_b32 s5, s5, s4
	s_mov_b32 s4, 0
	s_mov_b32 s52, 8
.LBB7_187:                              ;   in Loop: Header=BB7_33 Depth=1
	s_and_not1_b32 vcc_lo, exec_lo, s4
	s_cbranch_vccnz .LBB7_189
; %bb.188:                              ;   in Loop: Header=BB7_33 Depth=1
	s_sub_u32 s26, s26, s10
	s_subb_u32 s27, s27, s11
	s_mov_b32 s4, -1
	s_mov_b32 s52, 0
	s_mov_b32 s5, s92
	;; [unrolled: 1-line block ×3, first 2 shown]
.LBB7_189:                              ;   in Loop: Header=BB7_33 Depth=1
	s_delay_alu instid0(SALU_CYCLE_1)
	s_mov_b32 s91, s13
	s_mov_b32 s92, s5
	s_and_not1_b32 vcc_lo, exec_lo, s4
	s_mov_b32 s5, -1
	s_cbranch_vccz .LBB7_192
.LBB7_190:                              ;   in Loop: Header=BB7_33 Depth=1
                                        ; implicit-def: $sgpr22
                                        ; implicit-def: $sgpr23
                                        ; implicit-def: $sgpr13
	s_branch .LBB7_285
.LBB7_191:                              ;   in Loop: Header=BB7_33 Depth=1
	s_mov_b64 s[26:27], 1
	s_mov_b32 s5, -1
	s_cbranch_execnz .LBB7_190
.LBB7_192:                              ;   in Loop: Header=BB7_33 Depth=1
	s_cmp_eq_u64 s[8:9], 1
	s_cselect_b32 s4, -1, 0
	s_cmp_eq_u64 s[26:27], 1
	s_cselect_b32 s5, -1, 0
	s_delay_alu instid0(SALU_CYCLE_1)
	s_and_b32 s48, s4, s5
	s_mov_b32 s4, -1
	s_and_b32 vcc_lo, exec_lo, s48
	s_cbranch_vccz .LBB7_206
; %bb.193:                              ;   in Loop: Header=BB7_33 Depth=1
	ds_load_b64 v[2:3], v13 offset:5120
	s_waitcnt lgkmcnt(0)
	s_barrier
	buffer_gl0_inv
	v_readfirstlane_b32 s10, v2
	v_readfirstlane_b32 s11, v3
	s_and_saveexec_b32 s4, s3
	s_cbranch_execz .LBB7_195
; %bb.194:                              ;   in Loop: Header=BB7_33 Depth=1
	ds_store_b8 v0, v13 offset:3072
.LBB7_195:                              ;   in Loop: Header=BB7_33 Depth=1
	s_or_b32 exec_lo, exec_lo, s4
	s_delay_alu instid0(VALU_DEP_1)
	v_cmp_gt_i64_e64 s13, s[10:11], 0
	s_lshl_b32 s4, 2, s17
	s_and_b32 s5, s92, s18
	s_or_b32 s91, s91, s16
	s_or_b32 s92, s5, s4
	s_waitcnt lgkmcnt(0)
	s_and_b32 vcc_lo, exec_lo, s13
	s_barrier
	buffer_gl0_inv
	s_cbranch_vccnz .LBB7_209
; %bb.196:                              ;   in Loop: Header=BB7_33 Depth=1
	s_mov_b32 s52, s49
	s_delay_alu instid0(SALU_CYCLE_1)
	s_cmp_lg_u64 s[52:53], 0
	s_cbranch_scc0 .LBB7_252
; %bb.197:                              ;   in Loop: Header=BB7_33 Depth=1
	v_cvt_f32_u32_e32 v2, s33
	s_sub_u32 s13, 0, s33
	s_subb_u32 s22, 0, 0
	s_delay_alu instid0(VALU_DEP_1) | instskip(NEXT) | instid1(VALU_DEP_1)
	v_fmac_f32_e32 v2, 0x4f800000, v40
	v_rcp_f32_e32 v2, v2
	s_waitcnt_depctr 0xfff
	v_mul_f32_e32 v2, 0x5f7ffffc, v2
	s_delay_alu instid0(VALU_DEP_1) | instskip(NEXT) | instid1(VALU_DEP_1)
	v_mul_f32_e32 v3, 0x2f800000, v2
	v_trunc_f32_e32 v3, v3
	s_delay_alu instid0(VALU_DEP_1) | instskip(SKIP_1) | instid1(VALU_DEP_2)
	v_fmac_f32_e32 v2, 0xcf800000, v3
	v_cvt_u32_f32_e32 v3, v3
	v_cvt_u32_f32_e32 v2, v2
	s_delay_alu instid0(VALU_DEP_2) | instskip(NEXT) | instid1(VALU_DEP_2)
	v_readfirstlane_b32 s4, v3
	v_readfirstlane_b32 s5, v2
	s_delay_alu instid0(VALU_DEP_2) | instskip(NEXT) | instid1(VALU_DEP_1)
	s_mul_i32 s23, s13, s4
	s_mul_hi_u32 s60, s13, s5
	s_mul_i32 s52, s22, s5
	s_add_i32 s23, s60, s23
	s_mul_i32 s61, s13, s5
	s_add_i32 s23, s23, s52
	s_mul_hi_u32 s60, s5, s61
	s_mul_hi_u32 s62, s4, s61
	s_mul_i32 s52, s4, s61
	s_mul_hi_u32 s61, s5, s23
	s_mul_i32 s5, s5, s23
	s_mul_hi_u32 s63, s4, s23
	s_add_u32 s5, s60, s5
	s_addc_u32 s60, 0, s61
	s_add_u32 s5, s5, s52
	s_mul_i32 s23, s4, s23
	s_addc_u32 s5, s60, s62
	s_addc_u32 s52, s63, 0
	s_add_u32 s5, s5, s23
	s_addc_u32 s23, 0, s52
	v_add_co_u32 v2, s5, v2, s5
	s_delay_alu instid0(VALU_DEP_1) | instskip(SKIP_1) | instid1(VALU_DEP_1)
	s_cmp_lg_u32 s5, 0
	s_addc_u32 s4, s4, s23
	v_readfirstlane_b32 s5, v2
	s_mul_i32 s23, s13, s4
	s_delay_alu instid0(VALU_DEP_1)
	s_mul_hi_u32 s52, s13, s5
	s_mul_i32 s22, s22, s5
	s_add_i32 s23, s52, s23
	s_mul_i32 s13, s13, s5
	s_add_i32 s23, s23, s22
	s_mul_hi_u32 s52, s4, s13
	s_mul_i32 s60, s4, s13
	s_mul_hi_u32 s13, s5, s13
	s_mul_hi_u32 s61, s5, s23
	s_mul_i32 s5, s5, s23
	s_mul_hi_u32 s22, s4, s23
	s_add_u32 s5, s13, s5
	s_addc_u32 s13, 0, s61
	s_add_u32 s5, s5, s60
	s_mul_i32 s23, s4, s23
	s_addc_u32 s5, s13, s52
	s_addc_u32 s13, s22, 0
	s_add_u32 s5, s5, s23
	s_addc_u32 s13, 0, s13
	v_add_co_u32 v2, s5, v2, s5
	s_delay_alu instid0(VALU_DEP_1) | instskip(SKIP_2) | instid1(VALU_DEP_1)
	s_cmp_lg_u32 s5, 0
	s_addc_u32 s13, s4, s13
	s_ashr_i32 s22, s53, 31
	v_readfirstlane_b32 s52, v2
	s_add_u32 s4, s76, s22
	s_mov_b32 s23, s22
	s_addc_u32 s5, s53, s22
	s_delay_alu instid0(SALU_CYCLE_1) | instskip(NEXT) | instid1(SALU_CYCLE_1)
	s_xor_b64 s[4:5], s[4:5], s[22:23]
	s_mul_i32 s60, s4, s13
	s_mul_hi_u32 s61, s4, s52
	s_mul_hi_u32 s23, s4, s13
	;; [unrolled: 1-line block ×3, first 2 shown]
	s_mul_i32 s52, s5, s52
	s_add_u32 s60, s61, s60
	s_addc_u32 s23, 0, s23
	s_mul_hi_u32 s62, s5, s13
	s_add_u32 s52, s60, s52
	s_mul_i32 s13, s5, s13
	s_addc_u32 s23, s23, s63
	s_addc_u32 s52, s62, 0
	s_add_u32 s13, s23, s13
	s_addc_u32 s23, 0, s52
	s_mul_hi_u32 s52, s33, s13
	s_mul_i32 s13, s33, s13
	s_mul_i32 s23, s33, s23
	v_sub_co_u32 v2, s4, s4, s13
	s_add_i32 s52, s52, s23
	s_cmp_lg_u32 s4, 0
	s_delay_alu instid0(VALU_DEP_1) | instskip(SKIP_2) | instid1(VALU_DEP_1)
	v_sub_co_u32 v3, s4, v2, s33
	s_subb_u32 s5, s5, s52
	s_cmp_lg_u32 s4, 0
	v_cmp_le_u32_e32 vcc_lo, s33, v3
	v_sub_co_u32 v4, s4, v3, s33
	s_subb_u32 s13, s5, 0
	s_cmp_lg_u32 s4, 0
	v_cndmask_b32_e64 v5, 0, -1, vcc_lo
	s_subb_u32 s4, s13, 0
	s_cmp_eq_u32 s13, 0
	v_mov_b32_e32 v7, s4
	s_cselect_b32 vcc_lo, -1, 0
	s_cmp_eq_u32 s5, 0
	v_cndmask_b32_e32 v5, -1, v5, vcc_lo
	v_cmp_le_u32_e32 vcc_lo, s33, v2
	s_cselect_b32 s4, -1, 0
	v_cndmask_b32_e64 v6, 0, -1, vcc_lo
	s_delay_alu instid0(VALU_DEP_3) | instskip(NEXT) | instid1(VALU_DEP_2)
	v_cmp_ne_u32_e32 vcc_lo, 0, v5
	v_cndmask_b32_e64 v5, -1, v6, s4
	v_cndmask_b32_e32 v3, v3, v4, vcc_lo
	v_cndmask_b32_e32 v6, s13, v7, vcc_lo
	s_delay_alu instid0(VALU_DEP_3) | instskip(NEXT) | instid1(VALU_DEP_3)
	v_cmp_ne_u32_e32 vcc_lo, 0, v5
	v_cndmask_b32_e32 v2, v2, v3, vcc_lo
	s_delay_alu instid0(VALU_DEP_3) | instskip(NEXT) | instid1(VALU_DEP_2)
	v_cndmask_b32_e32 v4, s5, v6, vcc_lo
	v_xor_b32_e32 v2, s22, v2
	s_delay_alu instid0(VALU_DEP_2) | instskip(NEXT) | instid1(VALU_DEP_2)
	v_xor_b32_e32 v3, s22, v4
	v_sub_co_u32 v2, vcc_lo, v2, s22
	s_delay_alu instid0(VALU_DEP_2)
	v_subrev_co_ci_u32_e32 v3, vcc_lo, s22, v3, vcc_lo
	s_cbranch_execnz .LBB7_199
.LBB7_198:                              ;   in Loop: Header=BB7_33 Depth=1
	v_cvt_f32_u32_e32 v2, s33
	s_sub_i32 s4, 0, s33
	s_delay_alu instid0(VALU_DEP_1) | instskip(SKIP_2) | instid1(VALU_DEP_1)
	v_rcp_iflag_f32_e32 v2, v2
	s_waitcnt_depctr 0xfff
	v_mul_f32_e32 v2, 0x4f7ffffe, v2
	v_cvt_u32_f32_e32 v2, v2
	s_delay_alu instid0(VALU_DEP_1) | instskip(NEXT) | instid1(VALU_DEP_1)
	v_mul_lo_u32 v3, s4, v2
	v_mul_hi_u32 v3, v2, v3
	s_delay_alu instid0(VALU_DEP_1) | instskip(NEXT) | instid1(VALU_DEP_1)
	v_add_nc_u32_e32 v2, v2, v3
	v_mul_hi_u32 v2, s76, v2
	s_delay_alu instid0(VALU_DEP_1) | instskip(NEXT) | instid1(VALU_DEP_1)
	v_mul_lo_u32 v2, v2, s33
	v_sub_nc_u32_e32 v2, s76, v2
	s_delay_alu instid0(VALU_DEP_1) | instskip(SKIP_1) | instid1(VALU_DEP_2)
	v_subrev_nc_u32_e32 v3, s33, v2
	v_cmp_le_u32_e32 vcc_lo, s33, v2
	v_cndmask_b32_e32 v2, v2, v3, vcc_lo
	s_delay_alu instid0(VALU_DEP_1) | instskip(SKIP_1) | instid1(VALU_DEP_2)
	v_subrev_nc_u32_e32 v3, s33, v2
	v_cmp_le_u32_e32 vcc_lo, s33, v2
	v_cndmask_b32_e32 v12, v2, v3, vcc_lo
	s_delay_alu instid0(VALU_DEP_1)
	v_dual_mov_b32 v2, v12 :: v_dual_mov_b32 v3, v13
.LBB7_199:                              ;   in Loop: Header=BB7_33 Depth=1
	s_delay_alu instid0(VALU_DEP_1) | instskip(NEXT) | instid1(VALU_DEP_2)
	v_sub_co_u32 v2, vcc_lo, s76, v2
	v_sub_co_ci_u32_e32 v3, vcc_lo, s53, v3, vcc_lo
	s_mov_b32 s4, 0
	s_mov_b32 s5, exec_lo
                                        ; implicit-def: $vgpr41
	s_delay_alu instid0(VALU_DEP_1)
	v_cmpx_gt_i64_e64 v[2:3], v[0:1]
	s_cbranch_execz .LBB7_211
; %bb.200:                              ;   in Loop: Header=BB7_33 Depth=1
	v_dual_mov_b32 v4, v10 :: v_dual_mov_b32 v5, v11
	v_dual_mov_b32 v7, v1 :: v_dual_mov_b32 v6, v0
	s_mov_b32 s13, 0
                                        ; implicit-def: $sgpr22
	s_set_inst_prefetch_distance 0x1
	s_branch .LBB7_202
	.p2align	6
.LBB7_201:                              ;   in Loop: Header=BB7_202 Depth=2
	s_or_b32 exec_lo, exec_lo, s4
	s_waitcnt lgkmcnt(0)
	s_barrier
	buffer_gl0_inv
	ds_load_u16 v8, v13 offset:3072
	v_add_co_u32 v6, vcc_lo, v6, s33
	v_add_co_ci_u32_e32 v7, vcc_lo, 0, v7, vcc_lo
	s_waitcnt lgkmcnt(0)
	s_barrier
	buffer_gl0_inv
	v_cmp_ge_i64_e32 vcc_lo, v[6:7], v[2:3]
	v_and_b32_e32 v9, 0xff, v8
	s_delay_alu instid0(VALU_DEP_1) | instskip(NEXT) | instid1(VALU_DEP_1)
	v_cmp_ne_u16_e64 s4, 0, v9
	s_or_b32 s23, s4, vcc_lo
	v_add_co_u32 v4, vcc_lo, v4, s71
	s_and_b32 s23, exec_lo, s23
	v_add_co_ci_u32_e32 v5, vcc_lo, s70, v5, vcc_lo
	s_or_b32 s13, s23, s13
	s_and_not1_b32 s22, s22, exec_lo
	s_and_b32 s4, s4, exec_lo
	s_delay_alu instid0(SALU_CYCLE_1)
	s_or_b32 s22, s22, s4
	s_and_not1_b32 exec_lo, exec_lo, s13
	s_cbranch_execz .LBB7_210
.LBB7_202:                              ;   Parent Loop BB7_33 Depth=1
                                        ; =>  This Inner Loop Header: Depth=2
	s_delay_alu instid0(VALU_DEP_1)
	v_cmp_gt_i64_e32 vcc_lo, s[24:25], v[6:7]
	v_mov_b32_e32 v8, 0
	s_and_saveexec_b32 s4, vcc_lo
	s_cbranch_execz .LBB7_204
; %bb.203:                              ;   in Loop: Header=BB7_202 Depth=2
	global_load_u8 v8, v[4:5], off
.LBB7_204:                              ;   in Loop: Header=BB7_202 Depth=2
	s_or_b32 exec_lo, exec_lo, s4
	s_waitcnt vmcnt(0)
	v_and_b32_e32 v9, s91, v8
	s_delay_alu instid0(VALU_DEP_1) | instskip(NEXT) | instid1(VALU_DEP_1)
	v_and_b32_e32 v9, 0xff, v9
	v_cmp_eq_u32_e64 s4, s92, v9
	s_delay_alu instid0(VALU_DEP_1) | instskip(NEXT) | instid1(SALU_CYCLE_1)
	s_and_b32 s23, vcc_lo, s4
	s_and_saveexec_b32 s4, s23
	s_cbranch_execz .LBB7_201
; %bb.205:                              ;   in Loop: Header=BB7_202 Depth=2
	v_lshlrev_b16 v8, 8, v8
	s_delay_alu instid0(VALU_DEP_1)
	v_or_b32_e32 v8, 1, v8
	ds_store_b16 v13, v8 offset:3072
	s_branch .LBB7_201
.LBB7_206:                              ;   in Loop: Header=BB7_33 Depth=1
                                        ; implicit-def: $sgpr13
                                        ; implicit-def: $sgpr23
                                        ; implicit-def: $sgpr22
	s_branch .LBB7_224
.LBB7_207:                              ;   in Loop: Header=BB7_33 Depth=1
                                        ; implicit-def: $vgpr2_vgpr3
	s_branch .LBB7_153
.LBB7_208:                              ;   in Loop: Header=BB7_33 Depth=1
                                        ; implicit-def: $vgpr2_vgpr3
	s_branch .LBB7_169
.LBB7_209:                              ;   in Loop: Header=BB7_33 Depth=1
	s_mov_b32 s13, -1
	s_mov_b32 s4, 0
                                        ; implicit-def: $sgpr22
                                        ; implicit-def: $vgpr41
	s_mov_b32 s23, s13
	s_cbranch_execnz .LBB7_212
	s_branch .LBB7_224
.LBB7_210:                              ;   in Loop: Header=BB7_33 Depth=1
	s_set_inst_prefetch_distance 0x2
	s_or_b32 exec_lo, exec_lo, s13
	v_lshrrev_b16 v41, 8, v8
	s_and_b32 s4, s22, exec_lo
.LBB7_211:                              ;   in Loop: Header=BB7_33 Depth=1
	s_or_b32 exec_lo, exec_lo, s5
	s_mov_b32 s22, -1
	s_mov_b32 s13, 0
	s_delay_alu instid0(SALU_CYCLE_1)
	s_mov_b32 s23, s13
	s_branch .LBB7_224
.LBB7_212:                              ;   in Loop: Header=BB7_33 Depth=1
	s_add_u32 s13, s74, s10
	s_addc_u32 s5, s75, s11
	s_mov_b32 s4, s49
	s_delay_alu instid0(SALU_CYCLE_1)
	s_cmp_lg_u64 s[4:5], 0
	s_cbranch_scc0 .LBB7_253
; %bb.213:                              ;   in Loop: Header=BB7_33 Depth=1
	v_cvt_f32_u32_e32 v2, s33
	s_sub_u32 s23, 0, s33
	s_subb_u32 s52, 0, 0
	s_delay_alu instid0(VALU_DEP_1) | instskip(NEXT) | instid1(VALU_DEP_1)
	v_fmac_f32_e32 v2, 0x4f800000, v40
	v_rcp_f32_e32 v2, v2
	s_waitcnt_depctr 0xfff
	v_mul_f32_e32 v2, 0x5f7ffffc, v2
	s_delay_alu instid0(VALU_DEP_1) | instskip(NEXT) | instid1(VALU_DEP_1)
	v_mul_f32_e32 v3, 0x2f800000, v2
	v_trunc_f32_e32 v3, v3
	s_delay_alu instid0(VALU_DEP_1) | instskip(SKIP_1) | instid1(VALU_DEP_2)
	v_fmac_f32_e32 v2, 0xcf800000, v3
	v_cvt_u32_f32_e32 v3, v3
	v_cvt_u32_f32_e32 v2, v2
	s_delay_alu instid0(VALU_DEP_2) | instskip(NEXT) | instid1(VALU_DEP_2)
	v_readfirstlane_b32 s4, v3
	v_readfirstlane_b32 s22, v2
	s_delay_alu instid0(VALU_DEP_2) | instskip(NEXT) | instid1(VALU_DEP_1)
	s_mul_i32 s60, s23, s4
	s_mul_hi_u32 s62, s23, s22
	s_mul_i32 s61, s52, s22
	s_add_i32 s60, s62, s60
	s_mul_i32 s63, s23, s22
	s_add_i32 s60, s60, s61
	s_mul_hi_u32 s62, s22, s63
	s_mul_hi_u32 s64, s4, s63
	s_mul_i32 s61, s4, s63
	s_mul_hi_u32 s63, s22, s60
	s_mul_i32 s22, s22, s60
	s_mul_hi_u32 s65, s4, s60
	s_add_u32 s22, s62, s22
	s_addc_u32 s62, 0, s63
	s_add_u32 s22, s22, s61
	s_mul_i32 s60, s4, s60
	s_addc_u32 s22, s62, s64
	s_addc_u32 s61, s65, 0
	s_add_u32 s22, s22, s60
	s_addc_u32 s60, 0, s61
	v_add_co_u32 v2, s22, v2, s22
	s_delay_alu instid0(VALU_DEP_1) | instskip(SKIP_1) | instid1(VALU_DEP_1)
	s_cmp_lg_u32 s22, 0
	s_addc_u32 s4, s4, s60
	v_readfirstlane_b32 s22, v2
	s_mul_i32 s60, s23, s4
	s_delay_alu instid0(VALU_DEP_1)
	s_mul_hi_u32 s61, s23, s22
	s_mul_i32 s52, s52, s22
	s_add_i32 s60, s61, s60
	s_mul_i32 s23, s23, s22
	s_add_i32 s60, s60, s52
	s_mul_hi_u32 s61, s4, s23
	s_mul_i32 s62, s4, s23
	s_mul_hi_u32 s23, s22, s23
	s_mul_hi_u32 s63, s22, s60
	s_mul_i32 s22, s22, s60
	s_mul_hi_u32 s52, s4, s60
	s_add_u32 s22, s23, s22
	s_addc_u32 s23, 0, s63
	s_add_u32 s22, s22, s62
	s_mul_i32 s60, s4, s60
	s_addc_u32 s22, s23, s61
	s_addc_u32 s23, s52, 0
	s_add_u32 s22, s22, s60
	s_addc_u32 s23, 0, s23
	v_add_co_u32 v2, s22, v2, s22
	s_delay_alu instid0(VALU_DEP_1) | instskip(SKIP_2) | instid1(VALU_DEP_1)
	s_cmp_lg_u32 s22, 0
	s_addc_u32 s4, s4, s23
	s_ashr_i32 s22, s5, 31
	v_readfirstlane_b32 s52, v2
	s_add_u32 s60, s13, s22
	s_mov_b32 s23, s22
	s_addc_u32 s61, s5, s22
	s_delay_alu instid0(SALU_CYCLE_1) | instskip(NEXT) | instid1(SALU_CYCLE_1)
	s_xor_b64 s[60:61], s[60:61], s[22:23]
	s_mul_i32 s62, s60, s4
	s_mul_hi_u32 s63, s60, s52
	s_mul_hi_u32 s23, s60, s4
	;; [unrolled: 1-line block ×3, first 2 shown]
	s_mul_i32 s52, s61, s52
	s_add_u32 s62, s63, s62
	s_addc_u32 s23, 0, s23
	s_mul_hi_u32 s64, s61, s4
	s_add_u32 s52, s62, s52
	s_mul_i32 s4, s61, s4
	s_addc_u32 s23, s23, s65
	s_addc_u32 s52, s64, 0
	s_add_u32 s4, s23, s4
	s_addc_u32 s23, 0, s52
	s_mul_hi_u32 s52, s33, s4
	s_mul_i32 s4, s33, s4
	s_mul_i32 s23, s33, s23
	v_sub_co_u32 v2, s4, s60, s4
	s_add_i32 s52, s52, s23
	s_cmp_lg_u32 s4, 0
	s_delay_alu instid0(VALU_DEP_1) | instskip(SKIP_2) | instid1(VALU_DEP_1)
	v_sub_co_u32 v3, s4, v2, s33
	s_subb_u32 s23, s61, s52
	s_cmp_lg_u32 s4, 0
	v_cmp_le_u32_e32 vcc_lo, s33, v3
	v_sub_co_u32 v4, s4, v3, s33
	s_subb_u32 s52, s23, 0
	s_cmp_lg_u32 s4, 0
	v_cndmask_b32_e64 v5, 0, -1, vcc_lo
	s_subb_u32 s4, s52, 0
	s_cmp_eq_u32 s52, 0
	v_mov_b32_e32 v7, s4
	s_cselect_b32 vcc_lo, -1, 0
	s_cmp_eq_u32 s23, 0
	v_cndmask_b32_e32 v5, -1, v5, vcc_lo
	v_cmp_le_u32_e32 vcc_lo, s33, v2
	s_cselect_b32 s4, -1, 0
	v_cndmask_b32_e64 v6, 0, -1, vcc_lo
	s_delay_alu instid0(VALU_DEP_3) | instskip(NEXT) | instid1(VALU_DEP_2)
	v_cmp_ne_u32_e32 vcc_lo, 0, v5
	v_cndmask_b32_e64 v5, -1, v6, s4
	v_cndmask_b32_e32 v3, v3, v4, vcc_lo
	v_cndmask_b32_e32 v6, s52, v7, vcc_lo
	s_delay_alu instid0(VALU_DEP_3) | instskip(NEXT) | instid1(VALU_DEP_3)
	v_cmp_ne_u32_e32 vcc_lo, 0, v5
	v_cndmask_b32_e32 v2, v2, v3, vcc_lo
	s_delay_alu instid0(VALU_DEP_3) | instskip(NEXT) | instid1(VALU_DEP_2)
	v_cndmask_b32_e32 v4, s23, v6, vcc_lo
	v_xor_b32_e32 v2, s22, v2
	s_delay_alu instid0(VALU_DEP_2) | instskip(NEXT) | instid1(VALU_DEP_2)
	v_xor_b32_e32 v3, s22, v4
	v_sub_co_u32 v2, vcc_lo, v2, s22
	s_delay_alu instid0(VALU_DEP_2)
	v_subrev_co_ci_u32_e32 v3, vcc_lo, s22, v3, vcc_lo
	s_cbranch_execnz .LBB7_215
.LBB7_214:                              ;   in Loop: Header=BB7_33 Depth=1
	v_cvt_f32_u32_e32 v2, s33
	s_sub_i32 s4, 0, s33
	s_delay_alu instid0(VALU_DEP_1) | instskip(SKIP_2) | instid1(VALU_DEP_1)
	v_rcp_iflag_f32_e32 v2, v2
	s_waitcnt_depctr 0xfff
	v_mul_f32_e32 v2, 0x4f7ffffe, v2
	v_cvt_u32_f32_e32 v2, v2
	s_delay_alu instid0(VALU_DEP_1) | instskip(NEXT) | instid1(VALU_DEP_1)
	v_mul_lo_u32 v3, s4, v2
	v_mul_hi_u32 v3, v2, v3
	s_delay_alu instid0(VALU_DEP_1) | instskip(NEXT) | instid1(VALU_DEP_1)
	v_add_nc_u32_e32 v2, v2, v3
	v_mul_hi_u32 v2, s13, v2
	s_delay_alu instid0(VALU_DEP_1) | instskip(NEXT) | instid1(VALU_DEP_1)
	v_mul_lo_u32 v2, v2, s33
	v_sub_nc_u32_e32 v2, s13, v2
	s_delay_alu instid0(VALU_DEP_1) | instskip(SKIP_1) | instid1(VALU_DEP_2)
	v_subrev_nc_u32_e32 v3, s33, v2
	v_cmp_le_u32_e32 vcc_lo, s33, v2
	v_cndmask_b32_e32 v2, v2, v3, vcc_lo
	s_delay_alu instid0(VALU_DEP_1) | instskip(SKIP_1) | instid1(VALU_DEP_2)
	v_subrev_nc_u32_e32 v3, s33, v2
	v_cmp_le_u32_e32 vcc_lo, s33, v2
	v_cndmask_b32_e32 v12, v2, v3, vcc_lo
	s_delay_alu instid0(VALU_DEP_1)
	v_dual_mov_b32 v2, v12 :: v_dual_mov_b32 v3, v13
.LBB7_215:                              ;   in Loop: Header=BB7_33 Depth=1
	s_delay_alu instid0(VALU_DEP_1) | instskip(NEXT) | instid1(VALU_DEP_2)
	v_sub_co_u32 v2, vcc_lo, s13, v2
	v_sub_co_ci_u32_e32 v3, vcc_lo, s5, v3, vcc_lo
	s_mov_b32 s4, 0
	s_mov_b32 s5, exec_lo
                                        ; implicit-def: $vgpr41
	s_delay_alu instid0(VALU_DEP_1)
	v_cmpx_gt_i64_e64 v[2:3], v[0:1]
	s_cbranch_execz .LBB7_223
; %bb.216:                              ;   in Loop: Header=BB7_33 Depth=1
	v_dual_mov_b32 v6, v0 :: v_dual_mov_b32 v5, v1
	v_mov_b32_e32 v4, v0
	s_mov_b32 s13, 0
                                        ; implicit-def: $sgpr22
	s_set_inst_prefetch_distance 0x1
	s_branch .LBB7_218
	.p2align	6
.LBB7_217:                              ;   in Loop: Header=BB7_218 Depth=2
	s_or_b32 exec_lo, exec_lo, s4
	s_waitcnt lgkmcnt(0)
	s_barrier
	buffer_gl0_inv
	ds_load_u16 v7, v13 offset:3072
	v_add_co_u32 v4, vcc_lo, v4, s33
	v_add_co_ci_u32_e32 v5, vcc_lo, 0, v5, vcc_lo
	v_add_nc_u32_e32 v6, s33, v6
	s_waitcnt lgkmcnt(0)
	s_barrier
	s_delay_alu instid0(VALU_DEP_2) | instskip(SKIP_2) | instid1(VALU_DEP_1)
	v_cmp_ge_i64_e32 vcc_lo, v[4:5], v[2:3]
	buffer_gl0_inv
	v_and_b32_e32 v8, 0xff, v7
	v_cmp_ne_u16_e64 s4, 0, v8
	s_delay_alu instid0(VALU_DEP_1) | instskip(NEXT) | instid1(SALU_CYCLE_1)
	s_or_b32 s23, s4, vcc_lo
	s_and_b32 s23, exec_lo, s23
	s_delay_alu instid0(SALU_CYCLE_1) | instskip(SKIP_2) | instid1(SALU_CYCLE_1)
	s_or_b32 s13, s23, s13
	s_and_not1_b32 s22, s22, exec_lo
	s_and_b32 s4, s4, exec_lo
	s_or_b32 s22, s22, s4
	s_and_not1_b32 exec_lo, exec_lo, s13
	s_cbranch_execz .LBB7_222
.LBB7_218:                              ;   Parent Loop BB7_33 Depth=1
                                        ; =>  This Inner Loop Header: Depth=2
	s_delay_alu instid0(VALU_DEP_1)
	v_cmp_gt_i64_e32 vcc_lo, s[10:11], v[4:5]
	v_mov_b32_e32 v7, 0
	s_and_saveexec_b32 s4, vcc_lo
	s_cbranch_execz .LBB7_220
; %bb.219:                              ;   in Loop: Header=BB7_218 Depth=2
	ds_load_u8 v7, v6
.LBB7_220:                              ;   in Loop: Header=BB7_218 Depth=2
	s_or_b32 exec_lo, exec_lo, s4
	s_waitcnt lgkmcnt(0)
	v_and_b32_e32 v8, s91, v7
	s_delay_alu instid0(VALU_DEP_1) | instskip(NEXT) | instid1(VALU_DEP_1)
	v_and_b32_e32 v8, 0xff, v8
	v_cmp_eq_u32_e64 s4, s92, v8
	s_delay_alu instid0(VALU_DEP_1) | instskip(NEXT) | instid1(SALU_CYCLE_1)
	s_and_b32 s23, vcc_lo, s4
	s_and_saveexec_b32 s4, s23
	s_cbranch_execz .LBB7_217
; %bb.221:                              ;   in Loop: Header=BB7_218 Depth=2
	v_lshlrev_b16 v7, 8, v7
	s_delay_alu instid0(VALU_DEP_1)
	v_or_b32_e32 v7, 1, v7
	ds_store_b16 v13, v7 offset:3072
	s_branch .LBB7_217
.LBB7_222:                              ;   in Loop: Header=BB7_33 Depth=1
	s_set_inst_prefetch_distance 0x2
	s_or_b32 exec_lo, exec_lo, s13
	v_lshrrev_b16 v41, 8, v7
	s_and_b32 s4, s22, exec_lo
.LBB7_223:                              ;   in Loop: Header=BB7_33 Depth=1
	s_or_b32 exec_lo, exec_lo, s5
	s_mov_b32 s23, -1
	s_mov_b32 s13, 0
	s_mov_b32 s22, 0
.LBB7_224:                              ;   in Loop: Header=BB7_33 Depth=1
	s_mov_b32 s5, 0
                                        ; implicit-def: $sgpr52
	s_and_saveexec_b32 s10, s4
	s_cbranch_execz .LBB7_284
; %bb.225:                              ;   in Loop: Header=BB7_33 Depth=1
	s_xor_b32 s4, s48, -1
	s_mov_b32 s52, 1
	s_and_not1_b32 vcc_lo, exec_lo, s4
	s_cbranch_vccnz .LBB7_236
; %bb.226:                              ;   in Loop: Header=BB7_33 Depth=1
	v_cmp_gt_i64_e64 s4, s[26:27], s[8:9]
                                        ; implicit-def: $sgpr52
                                        ; implicit-def: $sgpr5
                                        ; implicit-def: $sgpr11
	s_delay_alu instid0(VALU_DEP_1)
	s_and_b32 vcc_lo, exec_lo, s4
	s_mov_b32 s4, -1
	s_cbranch_vccnz .LBB7_232
; %bb.227:                              ;   in Loop: Header=BB7_33 Depth=1
	ds_load_b64 v[2:3], v13 offset:5120
	s_waitcnt lgkmcnt(0)
	v_cmp_ne_u64_e32 vcc_lo, 0, v[2:3]
	s_cbranch_vccnz .LBB7_231
; %bb.228:                              ;   in Loop: Header=BB7_33 Depth=1
	s_and_saveexec_b32 s4, s0
	s_cbranch_execz .LBB7_230
; %bb.229:                              ;   in Loop: Header=BB7_33 Depth=1
	v_dual_mov_b32 v2, s8 :: v_dual_mov_b32 v3, s9
	ds_store_b64 v13, v[2:3] offset:5128
.LBB7_230:                              ;   in Loop: Header=BB7_33 Depth=1
	s_or_b32 exec_lo, exec_lo, s4
	s_waitcnt lgkmcnt(0)
	s_barrier
	buffer_gl0_inv
.LBB7_231:                              ;   in Loop: Header=BB7_33 Depth=1
	s_lshl_b32 s4, 2, s17
	s_and_b32 s5, s92, s18
	s_or_b32 s11, s91, s16
	s_or_b32 s5, s5, s4
	s_mov_b32 s4, 0
	s_mov_b32 s52, 8
.LBB7_232:                              ;   in Loop: Header=BB7_33 Depth=1
	s_and_not1_b32 vcc_lo, exec_lo, s4
	s_cbranch_vccnz .LBB7_234
; %bb.233:                              ;   in Loop: Header=BB7_33 Depth=1
	s_sub_u32 s26, s26, s8
	s_subb_u32 s27, s27, s9
	s_mov_b32 s4, -1
	s_mov_b32 s52, 0
	s_mov_b32 s5, s92
	;; [unrolled: 1-line block ×3, first 2 shown]
.LBB7_234:                              ;   in Loop: Header=BB7_33 Depth=1
	s_delay_alu instid0(SALU_CYCLE_1)
	s_mov_b32 s91, s11
	s_mov_b32 s92, s5
	s_and_not1_b32 vcc_lo, exec_lo, s4
	s_mov_b32 s9, -1
	s_cbranch_vccz .LBB7_237
.LBB7_235:                              ;   in Loop: Header=BB7_33 Depth=1
                                        ; implicit-def: $sgpr17
                                        ; implicit-def: $sgpr48
                                        ; implicit-def: $sgpr18
	s_branch .LBB7_283
.LBB7_236:                              ;   in Loop: Header=BB7_33 Depth=1
	s_mov_b64 s[26:27], 1
	s_mov_b32 s9, -1
	s_cbranch_execnz .LBB7_235
.LBB7_237:                              ;   in Loop: Header=BB7_33 Depth=1
	s_cmp_eq_u64 s[6:7], 1
	s_mov_b32 s60, -1
	s_cselect_b32 s4, -1, 0
	s_cmp_eq_u64 s[26:27], 1
	s_cselect_b32 s5, -1, 0
	s_delay_alu instid0(SALU_CYCLE_1) | instskip(NEXT) | instid1(SALU_CYCLE_1)
	s_and_b32 s11, s4, s5
	s_and_b32 vcc_lo, exec_lo, s11
	s_cbranch_vccz .LBB7_251
; %bb.238:                              ;   in Loop: Header=BB7_33 Depth=1
	ds_load_b64 v[2:3], v13 offset:5120
	s_waitcnt lgkmcnt(0)
	s_barrier
	buffer_gl0_inv
	v_readfirstlane_b32 s8, v2
	v_readfirstlane_b32 s9, v3
	s_and_saveexec_b32 s4, s3
	s_cbranch_execz .LBB7_240
; %bb.239:                              ;   in Loop: Header=BB7_33 Depth=1
	ds_store_b8 v0, v13 offset:3072
.LBB7_240:                              ;   in Loop: Header=BB7_33 Depth=1
	s_or_b32 exec_lo, exec_lo, s4
	s_delay_alu instid0(VALU_DEP_1)
	v_cmp_gt_i64_e64 s4, s[8:9], 0
	s_or_b32 s92, s92, s16
	s_or_b32 s91, s91, s16
	s_waitcnt lgkmcnt(0)
	s_barrier
	buffer_gl0_inv
	s_and_b32 vcc_lo, exec_lo, s4
	s_cbranch_vccnz .LBB7_254
; %bb.241:                              ;   in Loop: Header=BB7_33 Depth=1
	s_mov_b32 s52, s49
	s_delay_alu instid0(SALU_CYCLE_1)
	s_cmp_lg_u64 s[52:53], 0
	s_cbranch_scc0 .LBB7_289
; %bb.242:                              ;   in Loop: Header=BB7_33 Depth=1
	v_cvt_f32_u32_e32 v2, s33
	s_sub_u32 s17, 0, s33
	s_subb_u32 s18, 0, 0
	s_delay_alu instid0(VALU_DEP_1) | instskip(NEXT) | instid1(VALU_DEP_1)
	v_fmac_f32_e32 v2, 0x4f800000, v40
	v_rcp_f32_e32 v2, v2
	s_waitcnt_depctr 0xfff
	v_mul_f32_e32 v2, 0x5f7ffffc, v2
	s_delay_alu instid0(VALU_DEP_1) | instskip(NEXT) | instid1(VALU_DEP_1)
	v_mul_f32_e32 v3, 0x2f800000, v2
	v_trunc_f32_e32 v3, v3
	s_delay_alu instid0(VALU_DEP_1) | instskip(SKIP_1) | instid1(VALU_DEP_2)
	v_fmac_f32_e32 v2, 0xcf800000, v3
	v_cvt_u32_f32_e32 v3, v3
	v_cvt_u32_f32_e32 v2, v2
	s_delay_alu instid0(VALU_DEP_2) | instskip(NEXT) | instid1(VALU_DEP_2)
	v_readfirstlane_b32 s4, v3
	v_readfirstlane_b32 s5, v2
	s_delay_alu instid0(VALU_DEP_2) | instskip(NEXT) | instid1(VALU_DEP_1)
	s_mul_i32 s48, s17, s4
	s_mul_hi_u32 s60, s17, s5
	s_mul_i32 s52, s18, s5
	s_add_i32 s48, s60, s48
	s_mul_i32 s61, s17, s5
	s_add_i32 s48, s48, s52
	s_mul_hi_u32 s60, s5, s61
	s_mul_hi_u32 s62, s4, s61
	s_mul_i32 s52, s4, s61
	s_mul_hi_u32 s61, s5, s48
	s_mul_i32 s5, s5, s48
	s_mul_hi_u32 s63, s4, s48
	s_add_u32 s5, s60, s5
	s_addc_u32 s60, 0, s61
	s_add_u32 s5, s5, s52
	s_mul_i32 s48, s4, s48
	s_addc_u32 s5, s60, s62
	s_addc_u32 s52, s63, 0
	s_add_u32 s5, s5, s48
	s_addc_u32 s48, 0, s52
	v_add_co_u32 v2, s5, v2, s5
	s_delay_alu instid0(VALU_DEP_1) | instskip(SKIP_1) | instid1(VALU_DEP_1)
	s_cmp_lg_u32 s5, 0
	s_addc_u32 s4, s4, s48
	v_readfirstlane_b32 s5, v2
	s_mul_i32 s48, s17, s4
	s_delay_alu instid0(VALU_DEP_1)
	s_mul_hi_u32 s52, s17, s5
	s_mul_i32 s18, s18, s5
	s_add_i32 s48, s52, s48
	s_mul_i32 s17, s17, s5
	s_add_i32 s48, s48, s18
	s_mul_hi_u32 s52, s4, s17
	s_mul_i32 s60, s4, s17
	s_mul_hi_u32 s17, s5, s17
	s_mul_hi_u32 s61, s5, s48
	s_mul_i32 s5, s5, s48
	s_mul_hi_u32 s18, s4, s48
	s_add_u32 s5, s17, s5
	s_addc_u32 s17, 0, s61
	s_add_u32 s5, s5, s60
	s_mul_i32 s48, s4, s48
	s_addc_u32 s5, s17, s52
	s_addc_u32 s17, s18, 0
	s_add_u32 s5, s5, s48
	s_addc_u32 s17, 0, s17
	v_add_co_u32 v2, s5, v2, s5
	s_delay_alu instid0(VALU_DEP_1) | instskip(SKIP_2) | instid1(VALU_DEP_1)
	s_cmp_lg_u32 s5, 0
	s_addc_u32 s17, s4, s17
	s_ashr_i32 s60, s53, 31
	v_readfirstlane_b32 s18, v2
	s_add_u32 s4, s76, s60
	s_mov_b32 s61, s60
	s_addc_u32 s5, s53, s60
	s_delay_alu instid0(SALU_CYCLE_1) | instskip(NEXT) | instid1(SALU_CYCLE_1)
	s_xor_b64 s[4:5], s[4:5], s[60:61]
	s_mul_i32 s52, s4, s17
	s_mul_hi_u32 s61, s4, s18
	s_mul_hi_u32 s48, s4, s17
	;; [unrolled: 1-line block ×3, first 2 shown]
	s_mul_i32 s18, s5, s18
	s_add_u32 s52, s61, s52
	s_addc_u32 s48, 0, s48
	s_mul_hi_u32 s62, s5, s17
	s_add_u32 s18, s52, s18
	s_mul_i32 s17, s5, s17
	s_addc_u32 s18, s48, s63
	s_addc_u32 s48, s62, 0
	s_add_u32 s17, s18, s17
	s_addc_u32 s18, 0, s48
	s_mul_hi_u32 s48, s33, s17
	s_mul_i32 s17, s33, s17
	s_mul_i32 s18, s33, s18
	v_sub_co_u32 v2, s4, s4, s17
	s_add_i32 s48, s48, s18
	s_cmp_lg_u32 s4, 0
	s_delay_alu instid0(VALU_DEP_1) | instskip(SKIP_2) | instid1(VALU_DEP_1)
	v_sub_co_u32 v3, s4, v2, s33
	s_subb_u32 s5, s5, s48
	s_cmp_lg_u32 s4, 0
	v_cmp_le_u32_e32 vcc_lo, s33, v3
	v_sub_co_u32 v4, s4, v3, s33
	s_subb_u32 s17, s5, 0
	s_cmp_lg_u32 s4, 0
	v_cndmask_b32_e64 v5, 0, -1, vcc_lo
	s_subb_u32 s4, s17, 0
	s_cmp_eq_u32 s17, 0
	v_mov_b32_e32 v7, s4
	s_cselect_b32 vcc_lo, -1, 0
	s_cmp_eq_u32 s5, 0
	v_cndmask_b32_e32 v5, -1, v5, vcc_lo
	v_cmp_le_u32_e32 vcc_lo, s33, v2
	s_cselect_b32 s4, -1, 0
	v_cndmask_b32_e64 v6, 0, -1, vcc_lo
	s_delay_alu instid0(VALU_DEP_3) | instskip(NEXT) | instid1(VALU_DEP_2)
	v_cmp_ne_u32_e32 vcc_lo, 0, v5
	v_cndmask_b32_e64 v5, -1, v6, s4
	v_cndmask_b32_e32 v3, v3, v4, vcc_lo
	v_cndmask_b32_e32 v6, s17, v7, vcc_lo
	s_delay_alu instid0(VALU_DEP_3) | instskip(NEXT) | instid1(VALU_DEP_3)
	v_cmp_ne_u32_e32 vcc_lo, 0, v5
	v_cndmask_b32_e32 v2, v2, v3, vcc_lo
	s_delay_alu instid0(VALU_DEP_3) | instskip(NEXT) | instid1(VALU_DEP_2)
	v_cndmask_b32_e32 v4, s5, v6, vcc_lo
	v_xor_b32_e32 v2, s60, v2
	s_delay_alu instid0(VALU_DEP_2) | instskip(NEXT) | instid1(VALU_DEP_2)
	v_xor_b32_e32 v3, s60, v4
	v_sub_co_u32 v2, vcc_lo, v2, s60
	s_delay_alu instid0(VALU_DEP_2)
	v_subrev_co_ci_u32_e32 v3, vcc_lo, s60, v3, vcc_lo
	s_cbranch_execnz .LBB7_244
.LBB7_243:                              ;   in Loop: Header=BB7_33 Depth=1
	v_cvt_f32_u32_e32 v2, s33
	s_sub_i32 s4, 0, s33
	s_delay_alu instid0(VALU_DEP_1) | instskip(SKIP_2) | instid1(VALU_DEP_1)
	v_rcp_iflag_f32_e32 v2, v2
	s_waitcnt_depctr 0xfff
	v_mul_f32_e32 v2, 0x4f7ffffe, v2
	v_cvt_u32_f32_e32 v2, v2
	s_delay_alu instid0(VALU_DEP_1) | instskip(NEXT) | instid1(VALU_DEP_1)
	v_mul_lo_u32 v3, s4, v2
	v_mul_hi_u32 v3, v2, v3
	s_delay_alu instid0(VALU_DEP_1) | instskip(NEXT) | instid1(VALU_DEP_1)
	v_add_nc_u32_e32 v2, v2, v3
	v_mul_hi_u32 v2, s76, v2
	s_delay_alu instid0(VALU_DEP_1) | instskip(NEXT) | instid1(VALU_DEP_1)
	v_mul_lo_u32 v2, v2, s33
	v_sub_nc_u32_e32 v2, s76, v2
	s_delay_alu instid0(VALU_DEP_1) | instskip(SKIP_1) | instid1(VALU_DEP_2)
	v_subrev_nc_u32_e32 v3, s33, v2
	v_cmp_le_u32_e32 vcc_lo, s33, v2
	v_cndmask_b32_e32 v2, v2, v3, vcc_lo
	s_delay_alu instid0(VALU_DEP_1) | instskip(SKIP_1) | instid1(VALU_DEP_2)
	v_subrev_nc_u32_e32 v3, s33, v2
	v_cmp_le_u32_e32 vcc_lo, s33, v2
	v_cndmask_b32_e32 v12, v2, v3, vcc_lo
	s_delay_alu instid0(VALU_DEP_1)
	v_dual_mov_b32 v2, v12 :: v_dual_mov_b32 v3, v13
.LBB7_244:                              ;   in Loop: Header=BB7_33 Depth=1
	s_delay_alu instid0(VALU_DEP_1) | instskip(NEXT) | instid1(VALU_DEP_2)
	v_sub_co_u32 v2, vcc_lo, s76, v2
	v_sub_co_ci_u32_e32 v3, vcc_lo, s53, v3, vcc_lo
	s_mov_b32 s60, 0
	s_mov_b32 s5, exec_lo
                                        ; implicit-def: $vgpr41
	s_delay_alu instid0(VALU_DEP_1)
	v_cmpx_gt_i64_e64 v[2:3], v[0:1]
	s_cbranch_execz .LBB7_256
; %bb.245:                              ;   in Loop: Header=BB7_33 Depth=1
	v_dual_mov_b32 v4, v10 :: v_dual_mov_b32 v5, v11
	v_dual_mov_b32 v7, v1 :: v_dual_mov_b32 v6, v0
	s_mov_b32 s17, 0
                                        ; implicit-def: $sgpr18
	s_set_inst_prefetch_distance 0x1
	s_branch .LBB7_247
	.p2align	6
.LBB7_246:                              ;   in Loop: Header=BB7_247 Depth=2
	s_or_b32 exec_lo, exec_lo, s4
	s_waitcnt lgkmcnt(0)
	s_barrier
	buffer_gl0_inv
	ds_load_u16 v8, v13 offset:3072
	v_add_co_u32 v6, vcc_lo, v6, s33
	v_add_co_ci_u32_e32 v7, vcc_lo, 0, v7, vcc_lo
	s_waitcnt lgkmcnt(0)
	s_barrier
	buffer_gl0_inv
	v_cmp_ge_i64_e32 vcc_lo, v[6:7], v[2:3]
	v_and_b32_e32 v9, 0xff, v8
	s_delay_alu instid0(VALU_DEP_1) | instskip(NEXT) | instid1(VALU_DEP_1)
	v_cmp_ne_u16_e64 s4, 0, v9
	s_or_b32 s48, s4, vcc_lo
	v_add_co_u32 v4, vcc_lo, v4, s71
	s_and_b32 s48, exec_lo, s48
	v_add_co_ci_u32_e32 v5, vcc_lo, s70, v5, vcc_lo
	s_or_b32 s17, s48, s17
	s_and_not1_b32 s18, s18, exec_lo
	s_and_b32 s4, s4, exec_lo
	s_delay_alu instid0(SALU_CYCLE_1)
	s_or_b32 s18, s18, s4
	s_and_not1_b32 exec_lo, exec_lo, s17
	s_cbranch_execz .LBB7_255
.LBB7_247:                              ;   Parent Loop BB7_33 Depth=1
                                        ; =>  This Inner Loop Header: Depth=2
	s_delay_alu instid0(VALU_DEP_1)
	v_cmp_gt_i64_e32 vcc_lo, s[24:25], v[6:7]
	v_mov_b32_e32 v8, 0
	s_and_saveexec_b32 s4, vcc_lo
	s_cbranch_execz .LBB7_249
; %bb.248:                              ;   in Loop: Header=BB7_247 Depth=2
	global_load_u8 v8, v[4:5], off
.LBB7_249:                              ;   in Loop: Header=BB7_247 Depth=2
	s_or_b32 exec_lo, exec_lo, s4
	s_waitcnt vmcnt(0)
	v_and_b32_e32 v9, s91, v8
	s_delay_alu instid0(VALU_DEP_1) | instskip(NEXT) | instid1(VALU_DEP_1)
	v_and_b32_e32 v9, 0xff, v9
	v_cmp_eq_u32_e64 s4, s92, v9
	s_delay_alu instid0(VALU_DEP_1) | instskip(NEXT) | instid1(SALU_CYCLE_1)
	s_and_b32 s48, vcc_lo, s4
	s_and_saveexec_b32 s4, s48
	s_cbranch_execz .LBB7_246
; %bb.250:                              ;   in Loop: Header=BB7_247 Depth=2
	v_lshlrev_b16 v8, 8, v8
	s_delay_alu instid0(VALU_DEP_1)
	v_or_b32_e32 v8, 1, v8
	ds_store_b16 v13, v8 offset:3072
	s_branch .LBB7_246
.LBB7_251:                              ;   in Loop: Header=BB7_33 Depth=1
                                        ; implicit-def: $sgpr17
                                        ; implicit-def: $sgpr48
                                        ; implicit-def: $sgpr18
	s_branch .LBB7_269
.LBB7_252:                              ;   in Loop: Header=BB7_33 Depth=1
                                        ; implicit-def: $vgpr2_vgpr3
	s_branch .LBB7_198
.LBB7_253:                              ;   in Loop: Header=BB7_33 Depth=1
                                        ; implicit-def: $vgpr2_vgpr3
	s_branch .LBB7_214
.LBB7_254:                              ;   in Loop: Header=BB7_33 Depth=1
	s_mov_b32 s17, -1
	s_mov_b32 s60, 0
                                        ; implicit-def: $sgpr18
                                        ; implicit-def: $vgpr41
	s_mov_b32 s48, s17
	s_cbranch_execnz .LBB7_257
	s_branch .LBB7_269
.LBB7_255:                              ;   in Loop: Header=BB7_33 Depth=1
	s_set_inst_prefetch_distance 0x2
	s_or_b32 exec_lo, exec_lo, s17
	v_lshrrev_b16 v41, 8, v8
	s_and_b32 s60, s18, exec_lo
.LBB7_256:                              ;   in Loop: Header=BB7_33 Depth=1
	s_or_b32 exec_lo, exec_lo, s5
	s_mov_b32 s18, -1
	s_mov_b32 s17, 0
	s_delay_alu instid0(SALU_CYCLE_1)
	s_mov_b32 s48, s17
	s_branch .LBB7_269
.LBB7_257:                              ;   in Loop: Header=BB7_33 Depth=1
	s_add_u32 s17, s74, s8
	s_addc_u32 s5, s75, s9
	s_mov_b32 s4, s49
	s_delay_alu instid0(SALU_CYCLE_1)
	s_cmp_lg_u64 s[4:5], 0
	s_cbranch_scc0 .LBB7_290
; %bb.258:                              ;   in Loop: Header=BB7_33 Depth=1
	v_cvt_f32_u32_e32 v2, s33
	s_sub_u32 s48, 0, s33
	s_subb_u32 s52, 0, 0
	s_delay_alu instid0(VALU_DEP_1) | instskip(NEXT) | instid1(VALU_DEP_1)
	v_fmac_f32_e32 v2, 0x4f800000, v40
	v_rcp_f32_e32 v2, v2
	s_waitcnt_depctr 0xfff
	v_mul_f32_e32 v2, 0x5f7ffffc, v2
	s_delay_alu instid0(VALU_DEP_1) | instskip(NEXT) | instid1(VALU_DEP_1)
	v_mul_f32_e32 v3, 0x2f800000, v2
	v_trunc_f32_e32 v3, v3
	s_delay_alu instid0(VALU_DEP_1) | instskip(SKIP_1) | instid1(VALU_DEP_2)
	v_fmac_f32_e32 v2, 0xcf800000, v3
	v_cvt_u32_f32_e32 v3, v3
	v_cvt_u32_f32_e32 v2, v2
	s_delay_alu instid0(VALU_DEP_2) | instskip(NEXT) | instid1(VALU_DEP_2)
	v_readfirstlane_b32 s4, v3
	v_readfirstlane_b32 s18, v2
	s_delay_alu instid0(VALU_DEP_2) | instskip(NEXT) | instid1(VALU_DEP_1)
	s_mul_i32 s60, s48, s4
	s_mul_hi_u32 s62, s48, s18
	s_mul_i32 s61, s52, s18
	s_add_i32 s60, s62, s60
	s_mul_i32 s63, s48, s18
	s_add_i32 s60, s60, s61
	s_mul_hi_u32 s62, s18, s63
	s_mul_hi_u32 s64, s4, s63
	s_mul_i32 s61, s4, s63
	s_mul_hi_u32 s63, s18, s60
	s_mul_i32 s18, s18, s60
	s_mul_hi_u32 s65, s4, s60
	s_add_u32 s18, s62, s18
	s_addc_u32 s62, 0, s63
	s_add_u32 s18, s18, s61
	s_mul_i32 s60, s4, s60
	s_addc_u32 s18, s62, s64
	s_addc_u32 s61, s65, 0
	s_add_u32 s18, s18, s60
	s_addc_u32 s60, 0, s61
	v_add_co_u32 v2, s18, v2, s18
	s_delay_alu instid0(VALU_DEP_1) | instskip(SKIP_1) | instid1(VALU_DEP_1)
	s_cmp_lg_u32 s18, 0
	s_addc_u32 s4, s4, s60
	v_readfirstlane_b32 s18, v2
	s_mul_i32 s60, s48, s4
	s_delay_alu instid0(VALU_DEP_1)
	s_mul_hi_u32 s61, s48, s18
	s_mul_i32 s52, s52, s18
	s_add_i32 s60, s61, s60
	s_mul_i32 s48, s48, s18
	s_add_i32 s60, s60, s52
	s_mul_hi_u32 s61, s4, s48
	s_mul_i32 s62, s4, s48
	s_mul_hi_u32 s48, s18, s48
	s_mul_hi_u32 s63, s18, s60
	s_mul_i32 s18, s18, s60
	s_mul_hi_u32 s52, s4, s60
	s_add_u32 s18, s48, s18
	s_addc_u32 s48, 0, s63
	s_add_u32 s18, s18, s62
	s_mul_i32 s60, s4, s60
	s_addc_u32 s18, s48, s61
	s_addc_u32 s48, s52, 0
	s_add_u32 s18, s18, s60
	s_addc_u32 s48, 0, s48
	v_add_co_u32 v2, s18, v2, s18
	s_delay_alu instid0(VALU_DEP_1) | instskip(SKIP_2) | instid1(VALU_DEP_1)
	s_cmp_lg_u32 s18, 0
	s_addc_u32 s4, s4, s48
	s_ashr_i32 s60, s5, 31
	v_readfirstlane_b32 s18, v2
	s_add_u32 s62, s17, s60
	s_mov_b32 s61, s60
	s_addc_u32 s63, s5, s60
	s_delay_alu instid0(SALU_CYCLE_1) | instskip(NEXT) | instid1(SALU_CYCLE_1)
	s_xor_b64 s[62:63], s[62:63], s[60:61]
	s_mul_i32 s52, s62, s4
	s_mul_hi_u32 s61, s62, s18
	s_mul_hi_u32 s48, s62, s4
	;; [unrolled: 1-line block ×3, first 2 shown]
	s_mul_i32 s18, s63, s18
	s_add_u32 s52, s61, s52
	s_addc_u32 s48, 0, s48
	s_mul_hi_u32 s64, s63, s4
	s_add_u32 s18, s52, s18
	s_mul_i32 s4, s63, s4
	s_addc_u32 s18, s48, s65
	s_addc_u32 s48, s64, 0
	s_add_u32 s4, s18, s4
	s_addc_u32 s18, 0, s48
	s_mul_hi_u32 s48, s33, s4
	s_mul_i32 s4, s33, s4
	s_mul_i32 s18, s33, s18
	v_sub_co_u32 v2, s4, s62, s4
	s_add_i32 s48, s48, s18
	s_cmp_lg_u32 s4, 0
	s_delay_alu instid0(VALU_DEP_1) | instskip(SKIP_2) | instid1(VALU_DEP_1)
	v_sub_co_u32 v3, s4, v2, s33
	s_subb_u32 s18, s63, s48
	s_cmp_lg_u32 s4, 0
	v_cmp_le_u32_e32 vcc_lo, s33, v3
	v_sub_co_u32 v4, s4, v3, s33
	s_subb_u32 s48, s18, 0
	s_cmp_lg_u32 s4, 0
	v_cndmask_b32_e64 v5, 0, -1, vcc_lo
	s_subb_u32 s4, s48, 0
	s_cmp_eq_u32 s48, 0
	v_mov_b32_e32 v7, s4
	s_cselect_b32 vcc_lo, -1, 0
	s_cmp_eq_u32 s18, 0
	v_cndmask_b32_e32 v5, -1, v5, vcc_lo
	v_cmp_le_u32_e32 vcc_lo, s33, v2
	s_cselect_b32 s4, -1, 0
	v_cndmask_b32_e64 v6, 0, -1, vcc_lo
	s_delay_alu instid0(VALU_DEP_3) | instskip(NEXT) | instid1(VALU_DEP_2)
	v_cmp_ne_u32_e32 vcc_lo, 0, v5
	v_cndmask_b32_e64 v5, -1, v6, s4
	v_cndmask_b32_e32 v3, v3, v4, vcc_lo
	v_cndmask_b32_e32 v6, s48, v7, vcc_lo
	s_delay_alu instid0(VALU_DEP_3) | instskip(NEXT) | instid1(VALU_DEP_3)
	v_cmp_ne_u32_e32 vcc_lo, 0, v5
	v_cndmask_b32_e32 v2, v2, v3, vcc_lo
	s_delay_alu instid0(VALU_DEP_3) | instskip(NEXT) | instid1(VALU_DEP_2)
	v_cndmask_b32_e32 v4, s18, v6, vcc_lo
	v_xor_b32_e32 v2, s60, v2
	s_delay_alu instid0(VALU_DEP_2) | instskip(NEXT) | instid1(VALU_DEP_2)
	v_xor_b32_e32 v3, s60, v4
	v_sub_co_u32 v2, vcc_lo, v2, s60
	s_delay_alu instid0(VALU_DEP_2)
	v_subrev_co_ci_u32_e32 v3, vcc_lo, s60, v3, vcc_lo
	s_cbranch_execnz .LBB7_260
.LBB7_259:                              ;   in Loop: Header=BB7_33 Depth=1
	v_cvt_f32_u32_e32 v2, s33
	s_sub_i32 s4, 0, s33
	s_delay_alu instid0(VALU_DEP_1) | instskip(SKIP_2) | instid1(VALU_DEP_1)
	v_rcp_iflag_f32_e32 v2, v2
	s_waitcnt_depctr 0xfff
	v_mul_f32_e32 v2, 0x4f7ffffe, v2
	v_cvt_u32_f32_e32 v2, v2
	s_delay_alu instid0(VALU_DEP_1) | instskip(NEXT) | instid1(VALU_DEP_1)
	v_mul_lo_u32 v3, s4, v2
	v_mul_hi_u32 v3, v2, v3
	s_delay_alu instid0(VALU_DEP_1) | instskip(NEXT) | instid1(VALU_DEP_1)
	v_add_nc_u32_e32 v2, v2, v3
	v_mul_hi_u32 v2, s17, v2
	s_delay_alu instid0(VALU_DEP_1) | instskip(NEXT) | instid1(VALU_DEP_1)
	v_mul_lo_u32 v2, v2, s33
	v_sub_nc_u32_e32 v2, s17, v2
	s_delay_alu instid0(VALU_DEP_1) | instskip(SKIP_1) | instid1(VALU_DEP_2)
	v_subrev_nc_u32_e32 v3, s33, v2
	v_cmp_le_u32_e32 vcc_lo, s33, v2
	v_cndmask_b32_e32 v2, v2, v3, vcc_lo
	s_delay_alu instid0(VALU_DEP_1) | instskip(SKIP_1) | instid1(VALU_DEP_2)
	v_subrev_nc_u32_e32 v3, s33, v2
	v_cmp_le_u32_e32 vcc_lo, s33, v2
	v_cndmask_b32_e32 v12, v2, v3, vcc_lo
	s_delay_alu instid0(VALU_DEP_1)
	v_dual_mov_b32 v2, v12 :: v_dual_mov_b32 v3, v13
.LBB7_260:                              ;   in Loop: Header=BB7_33 Depth=1
	s_delay_alu instid0(VALU_DEP_1) | instskip(NEXT) | instid1(VALU_DEP_2)
	v_sub_co_u32 v2, vcc_lo, s17, v2
	v_sub_co_ci_u32_e32 v3, vcc_lo, s5, v3, vcc_lo
	s_mov_b32 s60, 0
	s_mov_b32 s5, exec_lo
                                        ; implicit-def: $vgpr41
	s_delay_alu instid0(VALU_DEP_1)
	v_cmpx_gt_i64_e64 v[2:3], v[0:1]
	s_cbranch_execz .LBB7_268
; %bb.261:                              ;   in Loop: Header=BB7_33 Depth=1
	v_dual_mov_b32 v6, v0 :: v_dual_mov_b32 v5, v1
	v_mov_b32_e32 v4, v0
	s_mov_b32 s17, 0
                                        ; implicit-def: $sgpr18
	s_set_inst_prefetch_distance 0x1
	s_branch .LBB7_263
	.p2align	6
.LBB7_262:                              ;   in Loop: Header=BB7_263 Depth=2
	s_or_b32 exec_lo, exec_lo, s4
	s_waitcnt lgkmcnt(0)
	s_barrier
	buffer_gl0_inv
	ds_load_u16 v7, v13 offset:3072
	v_add_co_u32 v4, vcc_lo, v4, s33
	v_add_co_ci_u32_e32 v5, vcc_lo, 0, v5, vcc_lo
	v_add_nc_u32_e32 v6, s33, v6
	s_waitcnt lgkmcnt(0)
	s_barrier
	s_delay_alu instid0(VALU_DEP_2) | instskip(SKIP_2) | instid1(VALU_DEP_1)
	v_cmp_ge_i64_e32 vcc_lo, v[4:5], v[2:3]
	buffer_gl0_inv
	v_and_b32_e32 v8, 0xff, v7
	v_cmp_ne_u16_e64 s4, 0, v8
	s_delay_alu instid0(VALU_DEP_1) | instskip(NEXT) | instid1(SALU_CYCLE_1)
	s_or_b32 s48, s4, vcc_lo
	s_and_b32 s48, exec_lo, s48
	s_delay_alu instid0(SALU_CYCLE_1) | instskip(SKIP_2) | instid1(SALU_CYCLE_1)
	s_or_b32 s17, s48, s17
	s_and_not1_b32 s18, s18, exec_lo
	s_and_b32 s4, s4, exec_lo
	s_or_b32 s18, s18, s4
	s_and_not1_b32 exec_lo, exec_lo, s17
	s_cbranch_execz .LBB7_267
.LBB7_263:                              ;   Parent Loop BB7_33 Depth=1
                                        ; =>  This Inner Loop Header: Depth=2
	s_delay_alu instid0(VALU_DEP_1)
	v_cmp_gt_i64_e32 vcc_lo, s[8:9], v[4:5]
	v_mov_b32_e32 v7, 0
	s_and_saveexec_b32 s4, vcc_lo
	s_cbranch_execz .LBB7_265
; %bb.264:                              ;   in Loop: Header=BB7_263 Depth=2
	ds_load_u8 v7, v6
.LBB7_265:                              ;   in Loop: Header=BB7_263 Depth=2
	s_or_b32 exec_lo, exec_lo, s4
	s_waitcnt lgkmcnt(0)
	v_and_b32_e32 v8, s91, v7
	s_delay_alu instid0(VALU_DEP_1) | instskip(NEXT) | instid1(VALU_DEP_1)
	v_and_b32_e32 v8, 0xff, v8
	v_cmp_eq_u32_e64 s4, s92, v8
	s_delay_alu instid0(VALU_DEP_1) | instskip(NEXT) | instid1(SALU_CYCLE_1)
	s_and_b32 s48, vcc_lo, s4
	s_and_saveexec_b32 s4, s48
	s_cbranch_execz .LBB7_262
; %bb.266:                              ;   in Loop: Header=BB7_263 Depth=2
	v_lshlrev_b16 v7, 8, v7
	s_delay_alu instid0(VALU_DEP_1)
	v_or_b32_e32 v7, 1, v7
	ds_store_b16 v13, v7 offset:3072
	s_branch .LBB7_262
.LBB7_267:                              ;   in Loop: Header=BB7_33 Depth=1
	s_set_inst_prefetch_distance 0x2
	s_or_b32 exec_lo, exec_lo, s17
	v_lshrrev_b16 v41, 8, v7
	s_and_b32 s60, s18, exec_lo
.LBB7_268:                              ;   in Loop: Header=BB7_33 Depth=1
	s_or_b32 exec_lo, exec_lo, s5
	s_mov_b32 s48, -1
	s_mov_b32 s17, 0
	s_mov_b32 s18, 0
.LBB7_269:                              ;   in Loop: Header=BB7_33 Depth=1
	s_mov_b32 s9, 0
                                        ; implicit-def: $sgpr52
                                        ; implicit-def: $sgpr4_sgpr5
	s_and_saveexec_b32 s8, s60
	s_cbranch_execz .LBB7_282
; %bb.270:                              ;   in Loop: Header=BB7_33 Depth=1
	s_xor_b32 s9, s11, -1
	s_mov_b64 s[4:5], 1
	s_and_not1_b32 vcc_lo, exec_lo, s9
	s_mov_b32 s52, 1
	s_cbranch_vccnz .LBB7_281
; %bb.271:                              ;   in Loop: Header=BB7_33 Depth=1
	v_cmp_gt_i64_e64 s4, s[26:27], s[6:7]
	s_delay_alu instid0(VALU_DEP_1)
	s_and_b32 vcc_lo, exec_lo, s4
	s_cbranch_vccnz .LBB7_277
; %bb.272:                              ;   in Loop: Header=BB7_33 Depth=1
	ds_load_b64 v[2:3], v13 offset:5120
	s_waitcnt lgkmcnt(0)
	v_cmp_ne_u64_e32 vcc_lo, 0, v[2:3]
	s_cbranch_vccnz .LBB7_276
; %bb.273:                              ;   in Loop: Header=BB7_33 Depth=1
	s_and_saveexec_b32 s4, s0
	s_cbranch_execz .LBB7_275
; %bb.274:                              ;   in Loop: Header=BB7_33 Depth=1
	v_dual_mov_b32 v2, s6 :: v_dual_mov_b32 v3, s7
	ds_store_b64 v13, v[2:3] offset:5128
.LBB7_275:                              ;   in Loop: Header=BB7_33 Depth=1
	s_or_b32 exec_lo, exec_lo, s4
	s_waitcnt lgkmcnt(0)
	s_barrier
	buffer_gl0_inv
.LBB7_276:                              ;   in Loop: Header=BB7_33 Depth=1
	s_or_b32 s9, s92, s16
	s_or_b32 s11, s91, s16
	s_mov_b32 s4, 0
	s_mov_b32 s52, 8
	s_branch .LBB7_278
.LBB7_277:                              ;   in Loop: Header=BB7_33 Depth=1
	s_mov_b32 s4, -1
                                        ; implicit-def: $sgpr52
                                        ; implicit-def: $sgpr9
                                        ; implicit-def: $sgpr11
.LBB7_278:                              ;   in Loop: Header=BB7_33 Depth=1
	s_delay_alu instid0(SALU_CYCLE_1)
	s_and_not1_b32 vcc_lo, exec_lo, s4
	s_cbranch_vccnz .LBB7_280
; %bb.279:                              ;   in Loop: Header=BB7_33 Depth=1
	s_sub_u32 s26, s26, s6
	s_subb_u32 s27, s27, s7
	s_mov_b32 s52, 8
	s_mov_b32 s9, s92
	;; [unrolled: 1-line block ×3, first 2 shown]
.LBB7_280:                              ;   in Loop: Header=BB7_33 Depth=1
	s_mov_b64 s[4:5], s[26:27]
	s_mov_b32 s92, s9
	s_mov_b32 s91, s11
.LBB7_281:                              ;   in Loop: Header=BB7_33 Depth=1
	s_mov_b32 s9, exec_lo
.LBB7_282:                              ;   in Loop: Header=BB7_33 Depth=1
	s_or_b32 exec_lo, exec_lo, s8
	s_mov_b64 s[26:27], s[4:5]
.LBB7_283:                              ;   in Loop: Header=BB7_33 Depth=1
	s_and_not1_b32 s4, s13, exec_lo
	s_and_b32 s5, s17, exec_lo
	s_and_not1_b32 s6, s22, exec_lo
	s_or_b32 s13, s4, s5
	s_and_not1_b32 s4, s23, exec_lo
	s_and_b32 s5, s48, exec_lo
	s_and_b32 s7, s18, exec_lo
	s_or_b32 s23, s4, s5
	s_or_b32 s22, s6, s7
	s_and_b32 s5, s9, exec_lo
.LBB7_284:                              ;   in Loop: Header=BB7_33 Depth=1
	s_or_b32 exec_lo, exec_lo, s10
.LBB7_285:                              ;   in Loop: Header=BB7_33 Depth=1
	s_delay_alu instid0(SALU_CYCLE_1)
	s_and_not1_b32 s4, s20, exec_lo
	s_and_b32 s6, s13, exec_lo
	s_and_not1_b32 s7, s19, exec_lo
	s_or_b32 s20, s4, s6
	s_and_not1_b32 s4, s21, exec_lo
	s_and_b32 s6, s23, exec_lo
	s_and_b32 s8, s22, exec_lo
	s_or_b32 s21, s4, s6
	s_or_b32 s19, s7, s8
	s_and_b32 s5, s5, exec_lo
.LBB7_286:                              ;   in Loop: Header=BB7_33 Depth=1
	s_or_b32 exec_lo, exec_lo, s12
	s_and_saveexec_b32 s4, s5
	s_delay_alu instid0(SALU_CYCLE_1)
	s_xor_b32 s4, exec_lo, s4
	s_cbranch_execz .LBB7_31
.LBB7_287:                              ;   in Loop: Header=BB7_33 Depth=1
	s_and_b32 s5, s52, -9
	s_delay_alu instid0(SALU_CYCLE_1)
	s_cmp_eq_u32 s5, 0
	s_cbranch_scc1 .LBB7_29
; %bb.288:                              ;   in Loop: Header=BB7_33 Depth=1
	s_mov_b32 s5, -1
	s_mov_b32 s6, -1
                                        ; implicit-def: $sgpr91
                                        ; implicit-def: $sgpr82
                                        ; implicit-def: $sgpr87
	s_branch .LBB7_30
.LBB7_289:                              ;   in Loop: Header=BB7_33 Depth=1
                                        ; implicit-def: $vgpr2_vgpr3
	s_branch .LBB7_243
.LBB7_290:                              ;   in Loop: Header=BB7_33 Depth=1
                                        ; implicit-def: $vgpr2_vgpr3
	s_branch .LBB7_259
.LBB7_291:
	s_or_b32 exec_lo, exec_lo, s83
	s_xor_b32 s5, s86, -1
	s_xor_b32 s2, s84, -1
	;; [unrolled: 1-line block ×3, first 2 shown]
	s_mov_b32 s3, 0
	s_and_saveexec_b32 s6, s2
	s_delay_alu instid0(SALU_CYCLE_1)
	s_xor_b32 s2, exec_lo, s6
	s_cbranch_execz .LBB7_314
; %bb.292:
	s_and_saveexec_b32 s3, s5
	s_delay_alu instid0(SALU_CYCLE_1)
	s_xor_b32 s3, exec_lo, s3
	s_cbranch_execz .LBB7_312
; %bb.293:
	s_and_saveexec_b32 s5, s4
	s_delay_alu instid0(SALU_CYCLE_1)
	s_xor_b32 s4, exec_lo, s5
; %bb.294:
	v_mov_b32_e32 v41, v2
; %bb.295:
	s_or_b32 exec_lo, exec_lo, s4
	s_and_saveexec_b32 s4, s0
	s_cbranch_execz .LBB7_297
; %bb.296:
	v_dual_mov_b32 v2, 0 :: v_dual_mov_b32 v3, s24
	ds_store_b32 v2, v3 offset:5140
.LBB7_297:
	s_or_b32 exec_lo, exec_lo, s4
	s_waitcnt lgkmcnt(0)
	s_barrier
	buffer_gl0_inv
	s_and_saveexec_b32 s4, s1
	s_cbranch_execz .LBB7_309
; %bb.298:
	v_mov_b32_e32 v2, 0
	v_and_b32_e32 v6, 0xff, v41
	s_mov_b32 s5, 0
                                        ; implicit-def: $sgpr6
                                        ; implicit-def: $sgpr7
                                        ; implicit-def: $sgpr8
	ds_load_b32 v4, v2 offset:5140
	s_waitcnt lgkmcnt(0)
	v_ashrrev_i32_e32 v5, 31, v4
	s_set_inst_prefetch_distance 0x1
	s_branch .LBB7_301
	.p2align	6
.LBB7_299:                              ;   in Loop: Header=BB7_301 Depth=1
	s_or_b32 exec_lo, exec_lo, s11
	s_delay_alu instid0(SALU_CYCLE_1)
	s_and_not1_b32 s8, s8, exec_lo
	s_and_b32 s10, s10, exec_lo
	s_and_not1_b32 s7, s7, exec_lo
	s_and_b32 s1, s1, exec_lo
	s_or_b32 s8, s8, s10
	s_or_b32 s7, s7, s1
.LBB7_300:                              ;   in Loop: Header=BB7_301 Depth=1
	s_or_b32 exec_lo, exec_lo, s9
	s_delay_alu instid0(SALU_CYCLE_1) | instskip(NEXT) | instid1(SALU_CYCLE_1)
	s_and_b32 s1, exec_lo, s7
	s_or_b32 s5, s1, s5
	s_and_not1_b32 s1, s6, exec_lo
	s_and_b32 s6, s8, exec_lo
	s_delay_alu instid0(SALU_CYCLE_1)
	s_or_b32 s6, s1, s6
	s_and_not1_b32 exec_lo, exec_lo, s5
	s_cbranch_execz .LBB7_304
.LBB7_301:                              ; =>This Inner Loop Header: Depth=1
	v_dual_mov_b32 v3, v1 :: v_dual_mov_b32 v2, v0
	s_or_b32 s8, s8, exec_lo
	s_or_b32 s7, s7, exec_lo
	s_mov_b32 s9, exec_lo
                                        ; implicit-def: $vgpr0_vgpr1
	s_delay_alu instid0(VALU_DEP_1)
	v_cmpx_lt_i64_e64 v[2:3], v[4:5]
	s_cbranch_execz .LBB7_300
; %bb.302:                              ;   in Loop: Header=BB7_301 Depth=1
	global_load_u8 v0, v[10:11], off
	s_mov_b32 s1, -1
	s_mov_b32 s10, 0
	s_waitcnt vmcnt(0)
	v_cmp_ne_u16_e32 vcc_lo, v0, v6
                                        ; implicit-def: $vgpr0_vgpr1
	s_and_saveexec_b32 s11, vcc_lo
	s_cbranch_execz .LBB7_299
; %bb.303:                              ;   in Loop: Header=BB7_301 Depth=1
	v_add_co_u32 v0, vcc_lo, v2, s33
	v_add_co_ci_u32_e32 v1, vcc_lo, 0, v3, vcc_lo
	v_add_co_u32 v10, s1, v10, s71
	s_delay_alu instid0(VALU_DEP_1) | instskip(NEXT) | instid1(VALU_DEP_3)
	v_add_co_ci_u32_e64 v11, s1, s70, v11, s1
	v_cmp_le_i64_e32 vcc_lo, s[24:25], v[0:1]
	s_mov_b32 s10, exec_lo
	s_or_not1_b32 s1, vcc_lo, exec_lo
	s_branch .LBB7_299
.LBB7_304:
	s_set_inst_prefetch_distance 0x2
	s_or_b32 exec_lo, exec_lo, s5
	s_xor_b32 s1, s6, -1
	s_delay_alu instid0(SALU_CYCLE_1) | instskip(NEXT) | instid1(SALU_CYCLE_1)
	s_and_saveexec_b32 s5, s1
	s_xor_b32 s5, exec_lo, s5
	s_cbranch_execz .LBB7_309
; %bb.305:
	s_mov_b32 s5, exec_lo
	s_brev_b32 s1, -2
.LBB7_306:                              ; =>This Inner Loop Header: Depth=1
	s_ctz_i32_b32 s6, s5
	s_delay_alu instid0(SALU_CYCLE_1) | instskip(SKIP_1) | instid1(SALU_CYCLE_1)
	v_readlane_b32 s7, v2, s6
	s_lshl_b32 s6, 1, s6
	s_and_not1_b32 s5, s5, s6
	s_delay_alu instid0(VALU_DEP_1)
	s_min_i32 s1, s1, s7
	s_cmp_lg_u32 s5, 0
	s_cbranch_scc1 .LBB7_306
; %bb.307:
	v_mbcnt_lo_u32_b32 v0, exec_lo, 0
	s_mov_b32 s5, exec_lo
	s_delay_alu instid0(VALU_DEP_1)
	v_cmpx_eq_u32_e32 0, v0
	s_xor_b32 s5, exec_lo, s5
	s_cbranch_execz .LBB7_309
; %bb.308:
	v_dual_mov_b32 v0, 0 :: v_dual_mov_b32 v1, s1
	ds_min_i32 v0, v1 offset:5140
.LBB7_309:
	s_or_b32 exec_lo, exec_lo, s4
	s_waitcnt lgkmcnt(0)
	s_barrier
	buffer_gl0_inv
	s_and_saveexec_b32 s1, s0
	s_cbranch_execz .LBB7_311
; %bb.310:
	v_mov_b32_e32 v2, 0
	s_mul_i32 s0, s36, s35
	s_mul_hi_u32 s5, s36, s34
	s_mul_i32 s8, s46, s41
	s_mul_hi_u32 s9, s46, s40
	ds_load_b32 v0, v2 offset:5140
	s_mul_i32 s6, s37, s34
	s_mul_i32 s10, s47, s40
	s_add_i32 s0, s5, s0
	s_add_i32 s5, s9, s8
	s_mul_i32 s7, s36, s34
	s_add_i32 s0, s0, s6
	s_add_i32 s5, s5, s10
	s_add_u32 s6, s44, s7
	s_mul_i32 s4, s46, s40
	s_addc_u32 s0, s45, s0
	s_add_u32 s6, s6, s28
	s_addc_u32 s7, s0, s29
	s_lshl_b64 s[4:5], s[4:5], 3
	s_delay_alu instid0(SALU_CYCLE_1) | instskip(SKIP_2) | instid1(SALU_CYCLE_1)
	s_add_u32 s0, s42, s4
	s_addc_u32 s8, s43, s5
	s_lshl_b64 s[4:5], s[38:39], 3
	s_add_u32 s4, s0, s4
	s_waitcnt lgkmcnt(0)
	v_ashrrev_i32_e32 v1, 31, v0
	s_addc_u32 s5, s8, s5
	s_clause 0x1
	global_store_b64 v2, v[0:1], s[4:5]
	global_store_b8 v2, v41, s[6:7]
.LBB7_311:
	s_or_b32 exec_lo, exec_lo, s1
.LBB7_312:
	s_or_saveexec_b32 s0, s3
	s_mov_b32 s1, 0
	s_xor_b32 exec_lo, exec_lo, s0
	s_cbranch_execnz .LBB7_320
.LBB7_313:
	s_or_b32 exec_lo, exec_lo, s0
	s_delay_alu instid0(SALU_CYCLE_1)
	s_and_b32 s3, s1, exec_lo
.LBB7_314:
	s_and_not1_saveexec_b32 s0, s2
	s_cbranch_execnz .LBB7_318
; %bb.315:
	s_or_b32 exec_lo, exec_lo, s0
	s_and_saveexec_b32 s0, s3
.LBB7_316:
	; divergent unreachable
.LBB7_317:
	s_nop 0
	s_sendmsg sendmsg(MSG_DEALLOC_VGPRS)
	s_endpgm
.LBB7_318:
	s_cbranch_execnz .LBB7_322
; %bb.319:
	s_or_b32 s3, s3, exec_lo
	s_or_b32 exec_lo, exec_lo, s0
	s_and_saveexec_b32 s0, s3
	s_cbranch_execnz .LBB7_316
	s_branch .LBB7_317
.LBB7_320:
	s_cbranch_execnz .LBB7_324
; %bb.321:
	s_mov_b32 s1, exec_lo
	s_branch .LBB7_313
.LBB7_322:
	s_trap 2
	s_sendmsg_rtn_b32 s0, sendmsg(MSG_RTN_GET_DOORBELL)
	s_mov_b32 ttmp2, m0
	s_waitcnt lgkmcnt(0)
	s_and_b32 s0, s0, 0x3ff
	s_delay_alu instid0(SALU_CYCLE_1) | instskip(NEXT) | instid1(SALU_CYCLE_1)
	s_bitset1_b32 s0, 10
	s_mov_b32 m0, s0
	s_sendmsg sendmsg(MSG_INTERRUPT)
	s_mov_b32 m0, ttmp2
.LBB7_323:                              ; =>This Inner Loop Header: Depth=1
	s_sethalt 5
	s_branch .LBB7_323
.LBB7_324:
	s_trap 2
	s_sendmsg_rtn_b32 s0, sendmsg(MSG_RTN_GET_DOORBELL)
	s_mov_b32 ttmp2, m0
	s_waitcnt lgkmcnt(0)
	s_and_b32 s0, s0, 0x3ff
	s_delay_alu instid0(SALU_CYCLE_1) | instskip(NEXT) | instid1(SALU_CYCLE_1)
	s_bitset1_b32 s0, 10
	s_mov_b32 m0, s0
	s_sendmsg sendmsg(MSG_INTERRUPT)
	s_mov_b32 m0, ttmp2
.LBB7_325:                              ; =>This Inner Loop Header: Depth=1
	s_sethalt 5
	s_branch .LBB7_325
	.section	.rodata,"a",@progbits
	.p2align	6, 0x0
	.amdhsa_kernel _ZN2at6native12_GLOBAL__N_114gatherKthValueIhlLin1EEEvNS_4cuda6detail10TensorInfoIKT_T0_EES8_S8_S8_S8_NS5_IS6_S8_EENS5_IlS8_EE
		.amdhsa_group_segment_fixed_size 5144
		.amdhsa_private_segment_fixed_size 0
		.amdhsa_kernarg_size 1536
		.amdhsa_user_sgpr_count 13
		.amdhsa_user_sgpr_dispatch_ptr 0
		.amdhsa_user_sgpr_queue_ptr 0
		.amdhsa_user_sgpr_kernarg_segment_ptr 1
		.amdhsa_user_sgpr_dispatch_id 0
		.amdhsa_user_sgpr_private_segment_size 0
		.amdhsa_wavefront_size32 1
		.amdhsa_uses_dynamic_stack 0
		.amdhsa_enable_private_segment 0
		.amdhsa_system_sgpr_workgroup_id_x 1
		.amdhsa_system_sgpr_workgroup_id_y 1
		.amdhsa_system_sgpr_workgroup_id_z 1
		.amdhsa_system_sgpr_workgroup_info 0
		.amdhsa_system_vgpr_workitem_id 0
		.amdhsa_next_free_vgpr 44
		.amdhsa_next_free_sgpr 95
		.amdhsa_reserve_vcc 1
		.amdhsa_float_round_mode_32 0
		.amdhsa_float_round_mode_16_64 0
		.amdhsa_float_denorm_mode_32 3
		.amdhsa_float_denorm_mode_16_64 3
		.amdhsa_dx10_clamp 1
		.amdhsa_ieee_mode 1
		.amdhsa_fp16_overflow 0
		.amdhsa_workgroup_processor_mode 1
		.amdhsa_memory_ordered 1
		.amdhsa_forward_progress 0
		.amdhsa_shared_vgpr_count 0
		.amdhsa_exception_fp_ieee_invalid_op 0
		.amdhsa_exception_fp_denorm_src 0
		.amdhsa_exception_fp_ieee_div_zero 0
		.amdhsa_exception_fp_ieee_overflow 0
		.amdhsa_exception_fp_ieee_underflow 0
		.amdhsa_exception_fp_ieee_inexact 0
		.amdhsa_exception_int_div_zero 0
	.end_amdhsa_kernel
	.section	.text._ZN2at6native12_GLOBAL__N_114gatherKthValueIhlLin1EEEvNS_4cuda6detail10TensorInfoIKT_T0_EES8_S8_S8_S8_NS5_IS6_S8_EENS5_IlS8_EE,"axG",@progbits,_ZN2at6native12_GLOBAL__N_114gatherKthValueIhlLin1EEEvNS_4cuda6detail10TensorInfoIKT_T0_EES8_S8_S8_S8_NS5_IS6_S8_EENS5_IlS8_EE,comdat
.Lfunc_end7:
	.size	_ZN2at6native12_GLOBAL__N_114gatherKthValueIhlLin1EEEvNS_4cuda6detail10TensorInfoIKT_T0_EES8_S8_S8_S8_NS5_IS6_S8_EENS5_IlS8_EE, .Lfunc_end7-_ZN2at6native12_GLOBAL__N_114gatherKthValueIhlLin1EEEvNS_4cuda6detail10TensorInfoIKT_T0_EES8_S8_S8_S8_NS5_IS6_S8_EENS5_IlS8_EE
                                        ; -- End function
	.section	.AMDGPU.csdata,"",@progbits
; Kernel info:
; codeLenInByte = 20000
; NumSgprs: 97
; NumVgprs: 44
; ScratchSize: 0
; MemoryBound: 0
; FloatMode: 240
; IeeeMode: 1
; LDSByteSize: 5144 bytes/workgroup (compile time only)
; SGPRBlocks: 12
; VGPRBlocks: 5
; NumSGPRsForWavesPerEU: 97
; NumVGPRsForWavesPerEU: 44
; Occupancy: 16
; WaveLimiterHint : 1
; COMPUTE_PGM_RSRC2:SCRATCH_EN: 0
; COMPUTE_PGM_RSRC2:USER_SGPR: 13
; COMPUTE_PGM_RSRC2:TRAP_HANDLER: 0
; COMPUTE_PGM_RSRC2:TGID_X_EN: 1
; COMPUTE_PGM_RSRC2:TGID_Y_EN: 1
; COMPUTE_PGM_RSRC2:TGID_Z_EN: 1
; COMPUTE_PGM_RSRC2:TIDIG_COMP_CNT: 0
	.section	.text._ZN2at6native12_GLOBAL__N_114gatherKthValueIaiLi1EEEvNS_4cuda6detail10TensorInfoIKT_T0_EES8_S8_S8_S8_NS5_IS6_S8_EENS5_IlS8_EE,"axG",@progbits,_ZN2at6native12_GLOBAL__N_114gatherKthValueIaiLi1EEEvNS_4cuda6detail10TensorInfoIKT_T0_EES8_S8_S8_S8_NS5_IS6_S8_EENS5_IlS8_EE,comdat
	.globl	_ZN2at6native12_GLOBAL__N_114gatherKthValueIaiLi1EEEvNS_4cuda6detail10TensorInfoIKT_T0_EES8_S8_S8_S8_NS5_IS6_S8_EENS5_IlS8_EE ; -- Begin function _ZN2at6native12_GLOBAL__N_114gatherKthValueIaiLi1EEEvNS_4cuda6detail10TensorInfoIKT_T0_EES8_S8_S8_S8_NS5_IS6_S8_EENS5_IlS8_EE
	.p2align	8
	.type	_ZN2at6native12_GLOBAL__N_114gatherKthValueIaiLi1EEEvNS_4cuda6detail10TensorInfoIKT_T0_EES8_S8_S8_S8_NS5_IS6_S8_EENS5_IlS8_EE,@function
_ZN2at6native12_GLOBAL__N_114gatherKthValueIaiLi1EEEvNS_4cuda6detail10TensorInfoIKT_T0_EES8_S8_S8_S8_NS5_IS6_S8_EENS5_IlS8_EE: ; @_ZN2at6native12_GLOBAL__N_114gatherKthValueIaiLi1EEEvNS_4cuda6detail10TensorInfoIKT_T0_EES8_S8_S8_S8_NS5_IS6_S8_EENS5_IlS8_EE
; %bb.0:
	s_clause 0x1
	s_load_b64 s[6:7], s[0:1], 0x298
	s_load_b128 s[36:39], s[0:1], 0xd8
	s_add_u32 s4, s0, 0x298
	s_addc_u32 s5, s1, 0
	s_waitcnt lgkmcnt(0)
	s_mul_i32 s2, s7, s15
	s_delay_alu instid0(SALU_CYCLE_1) | instskip(NEXT) | instid1(SALU_CYCLE_1)
	s_add_i32 s2, s2, s14
	s_mul_i32 s29, s2, s6
	s_delay_alu instid0(SALU_CYCLE_1) | instskip(NEXT) | instid1(SALU_CYCLE_1)
	s_add_i32 s29, s29, s13
	s_cmp_ge_i32 s29, s38
	s_cbranch_scc1 .LBB8_263
; %bb.1:
	s_clause 0x3
	s_load_b64 s[30:31], s[0:1], 0x1c0
	s_load_b64 s[34:35], s[0:1], 0xe8
	s_load_b32 s3, s[0:1], 0x6c
	s_load_b64 s[8:9], s[0:1], 0x0
	v_cmp_eq_u32_e64 s2, 0, v0
	s_mov_b32 s45, 0
	s_delay_alu instid0(VALU_DEP_1)
	s_and_saveexec_b32 s7, s2
	s_cbranch_execz .LBB8_3
; %bb.2:
	v_dual_mov_b32 v1, 0 :: v_dual_mov_b32 v2, s36
	s_delay_alu instid0(VALU_DEP_1)
	v_mov_b32_e32 v3, v1
	ds_store_b96 v1, v[1:3] offset:4096
.LBB8_3:
	s_or_b32 exec_lo, exec_lo, s7
	s_waitcnt lgkmcnt(0)
	s_barrier
	buffer_gl0_inv
	s_load_b32 s7, s[4:5], 0xc
	s_mul_i32 s3, s3, s29
	v_mbcnt_lo_u32_b32 v12, -1, 0
	s_ashr_i32 s10, s3, 31
	s_add_u32 s40, s8, s3
	s_addc_u32 s41, s9, s10
	v_cmp_gt_u32_e32 vcc_lo, 32, v0
	v_cmp_gt_i32_e64 s3, 4, v12
	s_clause 0x1
	s_load_b32 s33, s[0:1], 0x22c
	s_load_b32 s38, s[0:1], 0x154
	v_mul_lo_u32 v11, v0, s39
	s_mov_b32 s10, s39
	v_cmp_gt_u32_e64 s0, 2, v0
	s_and_b32 s47, vcc_lo, s3
	v_lshl_or_b32 v20, v12, 2, 0xc00
	v_mov_b32_e32 v22, 0
	s_mov_b32 s57, 6
	s_mov_b32 s67, 0
	v_lshlrev_b32_e32 v18, 2, v11
	s_mov_b32 s69, 0
	s_mov_b32 s70, 0
	s_waitcnt lgkmcnt(0)
	s_and_b32 s44, s7, 0xffff
	s_bfe_u32 s1, s7, 0xb0005
	s_lshl_b32 s46, s44, 2
	s_add_i32 s48, s44, -1
	v_cvt_f32_u32_e32 v1, s46
	s_add_i32 s60, s48, s36
	s_cmpk_gt_i32 s36, 0xc00
	v_cvt_f32_u32_e32 v2, s44
	s_cselect_b32 s49, -1, 0
	v_rcp_iflag_f32_e32 v1, v1
	s_cmp_gt_u32 s44, 31
	s_mul_i32 s51, s39, s44
	s_cselect_b32 s50, -1, 0
	s_cmp_lt_u32 s13, s6
	v_rcp_iflag_f32_e32 v2, v2
	s_cselect_b32 s3, 12, 18
	v_lshlrev_b32_e32 v13, 2, v0
	s_add_u32 s42, s4, s3
	s_addc_u32 s43, s5, 0
	s_waitcnt_depctr 0xfff
	v_mul_f32_e32 v1, 0x4f7ffffe, v1
	s_add_i32 s3, s1, -1
	s_bfe_u32 s52, s44, 0x30005
	s_cmp_gt_u32 s3, 6
                                        ; implicit-def: $sgpr62
                                        ; implicit-def: $sgpr64
                                        ; implicit-def: $sgpr63
                                        ; implicit-def: $sgpr66
                                        ; implicit-def: $sgpr68
                                        ; implicit-def: $sgpr65
	v_mov_b32_e32 v21, 0
	v_cvt_u32_f32_e32 v1, v1
	s_cselect_b32 s53, -1, 0
	s_and_b32 s54, s1, 0x7f8
	s_cmp_lg_u32 s52, 0
	v_mul_f32_e32 v2, 0x4f7ffffe, v2
	v_readfirstlane_b32 s4, v1
	s_cselect_b32 s55, -1, 0
	s_sub_i32 s3, 0, s46
	v_lshrrev_b32_e32 v1, 3, v0
	v_cvt_u32_f32_e32 v2, v2
	s_mul_i32 s5, s3, s4
	v_cmp_gt_u32_e64 s1, s36, v0
	s_mul_hi_u32 s5, s4, s5
	v_and_b32_e32 v14, 0x7c, v1
	s_add_i32 s56, s4, s5
	v_cmp_gt_i32_e64 s3, s36, v0
	s_mul_hi_u32 s4, s36, s56
	s_delay_alu instid0(SALU_CYCLE_1) | instskip(NEXT) | instid1(SALU_CYCLE_1)
	s_mul_i32 s4, s4, s46
	s_sub_i32 s5, s36, s4
	v_cmp_eq_u32_e64 s4, 0, v12
	s_sub_i32 s6, s5, s46
	s_cmp_ge_u32 s5, s46
	s_cselect_b32 s5, s6, s5
	v_readfirstlane_b32 s6, v2
	s_sub_i32 s7, s5, s46
	s_cmp_ge_u32 s5, s46
	v_lshlrev_b64 v[1:2], v12, -1
	s_cselect_b32 s9, s7, s5
	s_sub_i32 s5, 0, s44
	s_sub_i32 s59, s36, s9
	s_mul_i32 s5, s5, s6
	v_add_co_u32 v5, s7, s40, v11
	s_mul_hi_u32 s5, s6, s5
	v_add_nc_u32_e32 v16, s59, v0
	v_add_co_ci_u32_e64 v6, null, s41, 0, s7
	s_abs_i32 s7, s60
	s_add_i32 s58, s6, s5
	s_delay_alu instid0(VALU_DEP_2)
	v_mul_lo_u32 v2, v16, s39
	s_mul_hi_u32 s5, s7, s58
	s_ashr_i32 s8, s60, 31
	s_mul_i32 s5, s5, s44
	v_not_b32_e32 v15, v1
	s_sub_i32 s5, s7, s5
	v_add3_u32 v1, s44, s36, v0
	s_sub_i32 s6, s5, s44
	s_cmp_ge_u32 s5, s44
	v_ashrrev_i32_e32 v3, 31, v2
	s_cselect_b32 s6, s6, s5
	v_add_co_u32 v7, vcc_lo, s40, v2
	s_sub_i32 s7, s6, s44
	s_cmp_ge_u32 s6, s44
	v_add_co_ci_u32_e32 v8, vcc_lo, s41, v3, vcc_lo
	s_cselect_b32 s7, s7, s6
	v_or_b32_e32 v2, 2, v13
	v_or_b32_e32 v3, 3, v13
	v_subrev_nc_u32_e32 v1, s9, v1
	s_xor_b32 s11, s7, s8
	v_cmp_gt_i32_e64 s5, s59, v13
	s_sub_i32 s8, s8, s11
	v_mad_u64_u32 v[9:10], null, s39, v13, s[10:11]
	v_mul_lo_u32 v10, s39, v2
	v_mul_lo_u32 v17, s39, v3
	v_mul_lo_u32 v19, s39, v1
	s_add_i32 s60, s60, s8
	v_cmp_gt_u32_e64 s6, s36, v16
	v_cmp_gt_i32_e64 s7, s36, v16
	v_cmp_gt_i32_e64 s8, s60, v0
	s_lshl_b32 s61, s51, 2
	s_branch .LBB8_8
.LBB8_4:                                ;   in Loop: Header=BB8_8 Depth=1
	s_xor_b32 s67, s67, 1
	s_add_i32 s13, s57, -2
	s_cmp_eq_u32 s57, 0
	s_mov_b32 s9, 0
	s_cselect_b32 s11, -1, 0
	s_mov_b32 s57, s13
.LBB8_5:                                ;   in Loop: Header=BB8_8 Depth=1
	s_and_not1_b32 s13, s15, exec_lo
	s_and_b32 s9, s9, exec_lo
	s_and_not1_b32 s17, s17, exec_lo
	s_or_b32 s15, s13, s9
	s_and_not1_b32 s14, s14, exec_lo
	s_or_not1_b32 s13, s11, exec_lo
	s_mov_b32 s37, s22
.LBB8_6:                                ;   in Loop: Header=BB8_8 Depth=1
	s_or_b32 exec_lo, exec_lo, s10
	s_delay_alu instid0(SALU_CYCLE_1)
	s_and_not1_b32 s9, s65, exec_lo
	s_and_b32 s10, s15, exec_lo
	s_and_not1_b32 s11, s66, exec_lo
	s_or_b32 s65, s9, s10
	s_and_not1_b32 s9, s68, exec_lo
	s_and_b32 s10, s17, exec_lo
	s_and_b32 s14, s14, exec_lo
	s_or_b32 s68, s9, s10
	s_or_b32 s66, s11, s14
	s_or_not1_b32 s14, s13, exec_lo
.LBB8_7:                                ;   in Loop: Header=BB8_8 Depth=1
	s_or_b32 exec_lo, exec_lo, s12
	s_delay_alu instid0(SALU_CYCLE_1)
	s_and_b32 s9, exec_lo, s14
	v_mov_b32_e32 v1, s69
	s_or_b32 s45, s9, s45
	s_and_not1_b32 s9, s63, exec_lo
	s_and_b32 s10, s65, exec_lo
	s_and_not1_b32 s11, s62, exec_lo
	s_or_b32 s63, s9, s10
	s_and_not1_b32 s9, s64, exec_lo
	s_and_b32 s10, s68, exec_lo
	s_and_b32 s12, s66, exec_lo
	s_or_b32 s64, s9, s10
	s_or_b32 s62, s11, s12
	s_and_not1_b32 exec_lo, exec_lo, s45
	s_cbranch_execz .LBB8_239
.LBB8_8:                                ; =>This Loop Header: Depth=1
                                        ;     Child Loop BB8_13 Depth 2
                                        ;     Child Loop BB8_32 Depth 2
	;; [unrolled: 1-line block ×16, first 2 shown]
	ds_load_b64 v[1:2], v21 offset:4096
	s_waitcnt lgkmcnt(0)
	v_readfirstlane_b32 s71, v1
	s_delay_alu instid0(VALU_DEP_1)
	s_cmp_gt_i32 s71, 0
	s_cbranch_scc1 .LBB8_39
; %bb.9:                                ;   in Loop: Header=BB8_8 Depth=1
	s_and_b32 vcc_lo, exec_lo, s49
	s_cbranch_vccz .LBB8_21
; %bb.10:                               ;   in Loop: Header=BB8_8 Depth=1
	v_cmp_gt_i32_e32 vcc_lo, 0xc01, v2
	s_mov_b32 s10, 0
	s_mov_b32 s9, 0
	s_cbranch_vccz .LBB8_26
; %bb.11:                               ;   in Loop: Header=BB8_8 Depth=1
	global_load_u16 v1, v21, s[42:43]
	global_load_u8 v23, v[5:6], off
	v_mov_b32_e32 v4, v0
	s_mov_b32 s11, 0
	s_waitcnt vmcnt(1)
	v_add_nc_u32_e32 v2, v0, v1
	v_mul_lo_u32 v3, s39, v1
	s_delay_alu instid0(VALU_DEP_2)
	v_mul_lo_u32 v2, s39, v2
	s_branch .LBB8_13
.LBB8_12:                               ;   in Loop: Header=BB8_13 Depth=2
	s_or_b32 exec_lo, exec_lo, s9
	v_cmp_le_i32_e32 vcc_lo, s36, v4
	v_dual_mov_b32 v23, v24 :: v_dual_add_nc_u32 v2, v2, v3
	s_or_b32 s11, vcc_lo, s11
	s_delay_alu instid0(SALU_CYCLE_1)
	s_and_not1_b32 exec_lo, exec_lo, s11
	s_cbranch_execz .LBB8_22
.LBB8_13:                               ;   Parent Loop BB8_8 Depth=1
                                        ; =>  This Inner Loop Header: Depth=2
	s_waitcnt lgkmcnt(0)
	v_dual_mov_b32 v25, 0 :: v_dual_add_nc_u32 v4, v4, v1
	v_mov_b32_e32 v24, 0
	s_mov_b32 s9, exec_lo
	s_delay_alu instid0(VALU_DEP_2)
	v_cmpx_gt_u32_e64 s36, v4
	s_cbranch_execz .LBB8_15
; %bb.14:                               ;   in Loop: Header=BB8_13 Depth=2
	global_load_u8 v24, v2, s[40:41]
.LBB8_15:                               ;   in Loop: Header=BB8_13 Depth=2
	s_or_b32 exec_lo, exec_lo, s9
	s_waitcnt vmcnt(0)
	v_bfe_i32 v26, v23, 0, 8
	s_delay_alu instid0(VALU_DEP_1) | instskip(NEXT) | instid1(VALU_DEP_1)
	v_add_nc_u32_e32 v26, 0x80, v26
	v_and_b32_e32 v26, s70, v26
	s_delay_alu instid0(VALU_DEP_1) | instskip(SKIP_2) | instid1(SALU_CYCLE_1)
	v_cmp_eq_u32_e32 vcc_lo, s69, v26
	s_cmp_lg_u32 vcc_lo, 0
	s_cselect_b32 s9, -1, 0
	s_and_b32 s9, s4, s9
	s_delay_alu instid0(SALU_CYCLE_1)
	s_and_saveexec_b32 s12, s9
	s_cbranch_execz .LBB8_19
; %bb.16:                               ;   in Loop: Header=BB8_13 Depth=2
	s_mov_b32 s15, exec_lo
	s_bcnt1_i32_b32 s13, vcc_lo
	v_mbcnt_lo_u32_b32 v25, s15, 0
	s_mov_b32 s14, exec_lo
                                        ; implicit-def: $vgpr26
	s_delay_alu instid0(VALU_DEP_1)
	v_cmpx_eq_u32_e32 0, v25
	s_cbranch_execz .LBB8_18
; %bb.17:                               ;   in Loop: Header=BB8_13 Depth=2
	s_bcnt1_i32_b32 s9, s15
	s_delay_alu instid0(SALU_CYCLE_1) | instskip(NEXT) | instid1(SALU_CYCLE_1)
	s_mul_i32 s9, s13, s9
	v_mov_b32_e32 v26, s9
	ds_add_rtn_u32 v26, v21, v26 offset:4104
.LBB8_18:                               ;   in Loop: Header=BB8_13 Depth=2
	s_or_b32 exec_lo, exec_lo, s14
	s_waitcnt lgkmcnt(0)
	v_readfirstlane_b32 s9, v26
	s_delay_alu instid0(VALU_DEP_1)
	v_mad_u32_u24 v25, s13, v25, s9
.LBB8_19:                               ;   in Loop: Header=BB8_13 Depth=2
	s_or_b32 exec_lo, exec_lo, s12
	ds_bpermute_b32 v25, v21, v25
	s_and_saveexec_b32 s9, vcc_lo
	s_cbranch_execz .LBB8_12
; %bb.20:                               ;   in Loop: Header=BB8_13 Depth=2
	v_and_b32_e32 v26, vcc_lo, v15
	s_waitcnt lgkmcnt(0)
	s_delay_alu instid0(VALU_DEP_1)
	v_bcnt_u32_b32 v25, v26, v25
	ds_store_b8 v25, v23
	s_branch .LBB8_12
.LBB8_21:                               ;   in Loop: Header=BB8_8 Depth=1
	s_mov_b32 s10, -1
	s_mov_b32 s9, 0
	s_branch .LBB8_25
.LBB8_22:                               ;   in Loop: Header=BB8_8 Depth=1
	s_or_b32 exec_lo, exec_lo, s11
	s_waitcnt lgkmcnt(0)
	s_barrier
	buffer_gl0_inv
	s_and_saveexec_b32 s9, s2
	s_cbranch_execz .LBB8_24
; %bb.23:                               ;   in Loop: Header=BB8_8 Depth=1
	ds_load_b32 v1, v21 offset:4104
	s_waitcnt lgkmcnt(0)
	ds_store_b32 v21, v1 offset:4096
.LBB8_24:                               ;   in Loop: Header=BB8_8 Depth=1
	s_or_b32 exec_lo, exec_lo, s9
	s_waitcnt lgkmcnt(0)
	s_mov_b32 s9, -1
	s_barrier
.LBB8_25:                               ;   in Loop: Header=BB8_8 Depth=1
                                        ; implicit-def: $sgpr71
.LBB8_26:                               ;   in Loop: Header=BB8_8 Depth=1
	s_and_b32 vcc_lo, exec_lo, s10
	s_cbranch_vccz .LBB8_37
; %bb.27:                               ;   in Loop: Header=BB8_8 Depth=1
	v_mov_b32_e32 v1, 0
	s_and_saveexec_b32 s9, s1
	s_cbranch_execz .LBB8_29
; %bb.28:                               ;   in Loop: Header=BB8_8 Depth=1
	global_load_u8 v1, v[5:6], off
.LBB8_29:                               ;   in Loop: Header=BB8_8 Depth=1
	s_or_b32 exec_lo, exec_lo, s9
	s_and_saveexec_b32 s9, s3
	s_cbranch_execz .LBB8_34
; %bb.30:                               ;   in Loop: Header=BB8_8 Depth=1
	global_load_u16 v2, v21, s[42:43]
	v_mov_b32_e32 v23, v0
	s_mov_b32 s10, 0
	s_waitcnt vmcnt(0)
	v_add_nc_u32_e32 v3, v0, v2
	v_mul_lo_u32 v4, s39, v2
	s_delay_alu instid0(VALU_DEP_2)
	v_mul_lo_u32 v3, s39, v3
	s_branch .LBB8_32
	.p2align	6
.LBB8_31:                               ;   in Loop: Header=BB8_32 Depth=2
	s_or_b32 exec_lo, exec_lo, s11
	v_cmp_le_i32_e32 vcc_lo, s36, v24
	ds_store_b8 v23, v1
	v_add_nc_u32_e32 v3, v3, v4
	s_waitcnt vmcnt(0)
	v_mov_b32_e32 v1, v25
	v_mov_b32_e32 v23, v24
	s_or_b32 s10, vcc_lo, s10
	s_delay_alu instid0(SALU_CYCLE_1)
	s_and_not1_b32 exec_lo, exec_lo, s10
	s_cbranch_execz .LBB8_34
.LBB8_32:                               ;   Parent Loop BB8_8 Depth=1
                                        ; =>  This Inner Loop Header: Depth=2
	s_delay_alu instid0(VALU_DEP_1) | instskip(SKIP_1) | instid1(VALU_DEP_1)
	v_dual_mov_b32 v25, 0 :: v_dual_add_nc_u32 v24, v23, v2
	s_mov_b32 s11, exec_lo
	v_cmpx_gt_u32_e64 s36, v24
	s_cbranch_execz .LBB8_31
; %bb.33:                               ;   in Loop: Header=BB8_32 Depth=2
	global_load_u8 v25, v3, s[40:41]
	s_branch .LBB8_31
.LBB8_34:                               ;   in Loop: Header=BB8_8 Depth=1
	s_or_b32 exec_lo, exec_lo, s9
	s_waitcnt vmcnt(0) lgkmcnt(0)
	s_barrier
	buffer_gl0_inv
	s_and_saveexec_b32 s9, s2
	s_cbranch_execz .LBB8_36
; %bb.35:                               ;   in Loop: Header=BB8_8 Depth=1
	v_mov_b32_e32 v1, s36
	ds_store_b32 v21, v1 offset:4096
.LBB8_36:                               ;   in Loop: Header=BB8_8 Depth=1
	s_or_b32 exec_lo, exec_lo, s9
	s_mov_b32 s9, -1
	s_waitcnt lgkmcnt(0)
	s_barrier
                                        ; implicit-def: $sgpr71
.LBB8_37:                               ;   in Loop: Header=BB8_8 Depth=1
	s_and_b32 vcc_lo, exec_lo, s9
	s_cbranch_vccz .LBB8_39
; %bb.38:                               ;   in Loop: Header=BB8_8 Depth=1
	buffer_gl0_inv
	ds_load_b32 v1, v21 offset:4096
	s_waitcnt lgkmcnt(0)
	v_readfirstlane_b32 s71, v1
.LBB8_39:                               ;   in Loop: Header=BB8_8 Depth=1
	s_delay_alu instid0(VALU_DEP_1)
	s_cmp_lt_i32 s71, 1
	s_cbranch_scc0 .LBB8_43
; %bb.40:                               ;   in Loop: Header=BB8_8 Depth=1
	v_dual_mov_b32 v1, 0 :: v_dual_mov_b32 v2, 0
	v_dual_mov_b32 v3, 0 :: v_dual_mov_b32 v4, 0
	s_mov_b32 s73, 0
	s_and_saveexec_b32 s72, s5
	s_cbranch_execnz .LBB8_44
; %bb.41:                               ;   in Loop: Header=BB8_8 Depth=1
	s_or_b32 exec_lo, exec_lo, s72
	v_mov_b32_e32 v25, 0
	s_and_saveexec_b32 s9, s6
	s_cbranch_execnz .LBB8_47
.LBB8_42:                               ;   in Loop: Header=BB8_8 Depth=1
	s_or_b32 exec_lo, exec_lo, s9
	s_and_saveexec_b32 s13, s7
	s_cbranch_execnz .LBB8_48
	s_branch .LBB8_53
.LBB8_43:                               ;   in Loop: Header=BB8_8 Depth=1
                                        ; implicit-def: $vgpr4
	s_cbranch_execnz .LBB8_54
	s_branch .LBB8_63
.LBB8_44:                               ;   in Loop: Header=BB8_8 Depth=1
	v_mov_b32_e32 v23, v13
	s_and_b32 s74, s57, 0xfe
	s_mov_b32 s75, 0
	s_mov_b32 s76, 0
	;; [unrolled: 1-line block ×5, first 2 shown]
.LBB8_45:                               ;   Parent Loop BB8_8 Depth=1
                                        ; =>  This Inner Loop Header: Depth=2
	v_add_nc_u32_e32 v2, s75, v18
	v_add_nc_u32_e32 v1, s75, v9
	;; [unrolled: 1-line block ×5, first 2 shown]
	v_ashrrev_i32_e32 v25, 31, v2
	v_ashrrev_i32_e32 v28, 31, v1
	;; [unrolled: 1-line block ×4, first 2 shown]
	v_add_co_u32 v26, s11, s40, v2
	v_add_co_u32 v1, vcc_lo, s40, v1
	v_add_co_u32 v3, s9, s40, v3
	v_add_co_ci_u32_e64 v27, s11, s41, v25, s11
	v_add_co_u32 v24, s10, s40, v4
	v_add_co_ci_u32_e32 v2, vcc_lo, s41, v28, vcc_lo
	v_add_co_ci_u32_e64 v4, vcc_lo, s41, v29, s9
	v_add_co_ci_u32_e64 v25, vcc_lo, s41, v30, s10
	s_clause 0x3
	global_load_i8 v26, v[26:27], off
	global_load_i8 v1, v[1:2], off
	;; [unrolled: 1-line block ×4, first 2 shown]
	v_cmp_le_i32_e32 vcc_lo, s59, v23
	s_add_i32 s75, s75, s61
	s_waitcnt vmcnt(3)
	v_add_nc_u32_e32 v4, 0x80, v26
	s_waitcnt vmcnt(2)
	v_add_nc_u32_e32 v1, 0x80, v1
	;; [unrolled: 2-line block ×4, first 2 shown]
	v_and_b32_e32 v24, s70, v4
	v_bfe_u32 v4, v4, s74, 2
	v_and_b32_e32 v25, s70, v1
	v_bfe_u32 v1, v1, s74, 2
	;; [unrolled: 2-line block ×3, first 2 shown]
	v_cmp_eq_u32_e64 s9, s69, v24
	v_cmp_eq_u32_e64 s13, 0, v4
	v_and_b32_e32 v27, s70, v3
	v_bfe_u32 v3, v3, s74, 2
	v_cmp_eq_u32_e64 s10, s69, v25
	v_cmp_eq_u32_e64 s14, 0, v1
	;; [unrolled: 1-line block ×4, first 2 shown]
	s_and_b32 s13, s9, s13
	v_cmp_eq_u32_e64 s12, s69, v27
	v_cmp_eq_u32_e64 s16, 0, v3
	;; [unrolled: 1-line block ×5, first 2 shown]
	v_cndmask_b32_e64 v1, 0, 1, s13
	s_and_b32 s13, s10, s14
	v_cmp_eq_u32_e64 s17, 1, v4
	v_cmp_eq_u32_e64 s19, 1, v2
	;; [unrolled: 1-line block ×4, first 2 shown]
	v_cndmask_b32_e64 v2, 0, 1, s13
	s_and_b32 s13, s11, s15
	v_cmp_eq_u32_e64 s20, 1, v3
	v_cmp_eq_u32_e64 s24, 2, v3
	;; [unrolled: 1-line block ×3, first 2 shown]
	v_cndmask_b32_e64 v3, 0, 1, s13
	s_and_b32 s13, s12, s16
	v_cmp_eq_u32_e64 s21, 2, v4
	v_cmp_eq_u32_e64 s25, 3, v4
	v_cndmask_b32_e64 v4, 0, 1, s13
	s_and_b32 s13, s9, s17
	s_delay_alu instid0(SALU_CYCLE_1) | instskip(SKIP_1) | instid1(SALU_CYCLE_1)
	v_cndmask_b32_e64 v24, 0, 1, s13
	s_and_b32 s13, s10, s18
	v_cndmask_b32_e64 v25, 0, 1, s13
	s_and_b32 s13, s11, s19
	s_delay_alu instid0(SALU_CYCLE_1) | instskip(SKIP_1) | instid1(VALU_DEP_2)
	v_cndmask_b32_e64 v26, 0, 1, s13
	s_and_b32 s13, s12, s20
	v_cmp_ne_u32_e64 s14, 0, v25
	v_cndmask_b32_e64 v27, 0, 1, s13
	s_and_b32 s13, s9, s21
	s_and_b32 s9, s9, s25
	v_cndmask_b32_e64 v28, 0, 1, s13
	s_and_b32 s13, s10, s22
	v_cndmask_b32_e64 v32, 0, 1, s9
	;; [unrolled: 2-line block ×7, first 2 shown]
	v_cndmask_b32_e64 v35, 0, 1, s9
	v_cmp_ne_u32_e64 s9, 0, v1
	v_cmp_ne_u32_e64 s13, 0, v24
	;; [unrolled: 1-line block ×11, first 2 shown]
	s_bcnt1_i32_b32 s9, s9
	s_bcnt1_i32_b32 s13, s13
	;; [unrolled: 1-line block ×4, first 2 shown]
	v_cmp_ne_u32_e64 s12, 0, v4
	v_cmp_ne_u32_e64 s16, 0, v27
	;; [unrolled: 1-line block ×4, first 2 shown]
	s_bcnt1_i32_b32 s10, s10
	s_bcnt1_i32_b32 s14, s14
	s_bcnt1_i32_b32 s18, s18
	s_bcnt1_i32_b32 s22, s22
	s_add_i32 s9, s9, s79
	s_add_i32 s13, s13, s78
	s_add_i32 s17, s17, s77
	s_add_i32 s21, s21, s76
	s_bcnt1_i32_b32 s11, s11
	s_bcnt1_i32_b32 s15, s15
	s_bcnt1_i32_b32 s19, s19
	s_bcnt1_i32_b32 s23, s23
	s_add_i32 s9, s9, s10
	s_add_i32 s10, s13, s14
	s_add_i32 s13, s17, s18
	s_add_i32 s14, s21, s22
	;; [unrolled: 8-line block ×3, first 2 shown]
	s_add_i32 s79, s9, s12
	s_add_i32 s78, s10, s16
	;; [unrolled: 1-line block ×4, first 2 shown]
	v_mov_b32_e32 v3, s77
	v_dual_mov_b32 v1, s79 :: v_dual_mov_b32 v2, s78
	v_mov_b32_e32 v4, s76
	s_or_b32 s73, vcc_lo, s73
	s_delay_alu instid0(SALU_CYCLE_1)
	s_and_not1_b32 exec_lo, exec_lo, s73
	s_cbranch_execnz .LBB8_45
; %bb.46:                               ;   in Loop: Header=BB8_8 Depth=1
	s_or_b32 exec_lo, exec_lo, s73
	s_delay_alu instid0(SALU_CYCLE_1)
	s_or_b32 exec_lo, exec_lo, s72
	v_mov_b32_e32 v25, 0
	s_and_saveexec_b32 s9, s6
	s_cbranch_execz .LBB8_42
.LBB8_47:                               ;   in Loop: Header=BB8_8 Depth=1
	global_load_u8 v25, v[7:8], off
	s_or_b32 exec_lo, exec_lo, s9
	s_and_saveexec_b32 s13, s7
	s_cbranch_execz .LBB8_53
.LBB8_48:                               ;   in Loop: Header=BB8_8 Depth=1
	v_dual_mov_b32 v23, v19 :: v_dual_mov_b32 v24, v16
	s_and_b32 s15, s57, 0xfe
	s_mov_b32 s14, 0
	s_branch .LBB8_50
.LBB8_49:                               ;   in Loop: Header=BB8_50 Depth=2
	s_or_b32 exec_lo, exec_lo, s9
	s_waitcnt vmcnt(0)
	v_bfe_i32 v25, v25, 0, 8
	v_add_nc_u32_e32 v23, s51, v23
	s_delay_alu instid0(VALU_DEP_2) | instskip(NEXT) | instid1(VALU_DEP_1)
	v_add_nc_u32_e32 v25, 0x80, v25
	v_and_b32_e32 v27, s70, v25
	v_bfe_u32 v25, v25, s15, 2
	s_delay_alu instid0(VALU_DEP_2) | instskip(NEXT) | instid1(VALU_DEP_2)
	v_cmp_eq_u32_e32 vcc_lo, s69, v27
	v_cmp_eq_u32_e64 s9, 0, v25
	v_cmp_eq_u32_e64 s10, 1, v25
	;; [unrolled: 1-line block ×4, first 2 shown]
	s_delay_alu instid0(VALU_DEP_4) | instskip(NEXT) | instid1(SALU_CYCLE_1)
	s_and_b32 s9, vcc_lo, s9
	v_cndmask_b32_e64 v25, 0, 1, s9
	s_and_b32 s9, vcc_lo, s10
	s_delay_alu instid0(SALU_CYCLE_1) | instskip(SKIP_1) | instid1(SALU_CYCLE_1)
	v_cndmask_b32_e64 v27, 0, 1, s9
	s_and_b32 s9, vcc_lo, s11
	v_cndmask_b32_e64 v28, 0, 1, s9
	s_and_b32 s9, vcc_lo, s12
	v_cmp_ne_u32_e32 vcc_lo, 0, v25
	v_cndmask_b32_e64 v29, 0, 1, s9
	v_cmp_ne_u32_e64 s9, 0, v27
	v_cmp_ne_u32_e64 s10, 0, v28
	v_cmp_le_i32_e64 s12, s36, v24
	s_bcnt1_i32_b32 s16, vcc_lo
	v_cmp_ne_u32_e64 s11, 0, v29
	s_bcnt1_i32_b32 s9, s9
	s_bcnt1_i32_b32 s10, s10
	v_add_nc_u32_e32 v1, s16, v1
	v_dual_mov_b32 v25, v26 :: v_dual_add_nc_u32 v2, s9, v2
	s_bcnt1_i32_b32 s11, s11
	v_add_nc_u32_e32 v3, s10, v3
	v_add_nc_u32_e32 v4, s11, v4
	s_or_b32 s14, s12, s14
	s_delay_alu instid0(SALU_CYCLE_1)
	s_and_not1_b32 exec_lo, exec_lo, s14
	s_cbranch_execz .LBB8_52
.LBB8_50:                               ;   Parent Loop BB8_8 Depth=1
                                        ; =>  This Inner Loop Header: Depth=2
	s_delay_alu instid0(VALU_DEP_1) | instskip(SKIP_2) | instid1(VALU_DEP_2)
	v_add_nc_u32_e32 v24, s44, v24
	v_mov_b32_e32 v26, 0
	s_mov_b32 s9, exec_lo
	v_cmpx_gt_u32_e64 s36, v24
	s_cbranch_execz .LBB8_49
; %bb.51:                               ;   in Loop: Header=BB8_50 Depth=2
	v_ashrrev_i32_e32 v27, 31, v23
	v_add_co_u32 v26, vcc_lo, s40, v23
	s_delay_alu instid0(VALU_DEP_2)
	v_add_co_ci_u32_e32 v27, vcc_lo, s41, v27, vcc_lo
	global_load_u8 v26, v[26:27], off
	s_branch .LBB8_49
.LBB8_52:                               ;   in Loop: Header=BB8_8 Depth=1
	s_or_b32 exec_lo, exec_lo, s14
.LBB8_53:                               ;   in Loop: Header=BB8_8 Depth=1
	s_delay_alu instid0(SALU_CYCLE_1)
	s_or_b32 exec_lo, exec_lo, s13
	s_branch .LBB8_63
.LBB8_54:                               ;   in Loop: Header=BB8_8 Depth=1
	s_mul_hi_u32 s9, s71, s56
	v_dual_mov_b32 v1, 0 :: v_dual_mov_b32 v2, 0
	s_mul_i32 s9, s9, s46
	v_dual_mov_b32 v3, 0 :: v_dual_mov_b32 v4, 0
	s_sub_i32 s9, s71, s9
	s_mov_b32 s74, 0
	s_sub_i32 s10, s9, s46
	s_cmp_ge_u32 s9, s46
	s_mov_b32 s73, exec_lo
	s_cselect_b32 s9, s10, s9
	s_delay_alu instid0(SALU_CYCLE_1) | instskip(SKIP_2) | instid1(SALU_CYCLE_1)
	s_sub_i32 s10, s9, s46
	s_cmp_ge_u32 s9, s46
	s_cselect_b32 s9, s10, s9
	s_sub_i32 s72, s71, s9
	s_delay_alu instid0(SALU_CYCLE_1)
	v_cmpx_gt_u32_e64 s72, v13
	s_cbranch_execz .LBB8_58
; %bb.55:                               ;   in Loop: Header=BB8_8 Depth=1
	v_mov_b32_e32 v23, v13
	s_and_b32 s75, s57, 0xfe
	s_mov_b32 s76, 0
	s_mov_b32 s77, 0
	;; [unrolled: 1-line block ×4, first 2 shown]
.LBB8_56:                               ;   Parent Loop BB8_8 Depth=1
                                        ; =>  This Inner Loop Header: Depth=2
	ds_load_b32 v1, v23
	s_waitcnt lgkmcnt(0)
	v_bfe_i32 v2, v1, 0, 8
	v_bfe_i32 v3, v1, 8, 8
	;; [unrolled: 1-line block ×3, first 2 shown]
	v_ashrrev_i32_e32 v1, 24, v1
	s_delay_alu instid0(VALU_DEP_4) | instskip(NEXT) | instid1(VALU_DEP_4)
	v_add_nc_u32_e32 v2, 0x80, v2
	v_add_nc_u32_e32 v3, 0x80, v3
	s_delay_alu instid0(VALU_DEP_4) | instskip(NEXT) | instid1(VALU_DEP_4)
	v_add_nc_u32_e32 v4, 0x80, v4
	v_add_nc_u32_e32 v1, 0x80, v1
	s_delay_alu instid0(VALU_DEP_4)
	v_and_b32_e32 v24, s70, v2
	v_bfe_u32 v2, v2, s75, 2
	s_waitcnt vmcnt(0)
	v_and_b32_e32 v25, s70, v3
	v_bfe_u32 v3, v3, s75, 2
	v_and_b32_e32 v26, s70, v4
	v_bfe_u32 v4, v4, s75, 2
	v_cmp_eq_u32_e64 s9, s69, v24
	v_cmp_eq_u32_e64 s13, 0, v2
	v_and_b32_e32 v27, s70, v1
	v_bfe_u32 v1, v1, s75, 2
	v_cmp_eq_u32_e64 s10, s69, v25
	v_cmp_eq_u32_e64 s14, 0, v3
	;; [unrolled: 1-line block ×4, first 2 shown]
	s_and_b32 s13, s9, s13
	v_cmp_eq_u32_e64 s12, s69, v27
	v_cmp_eq_u32_e64 s16, 0, v1
	;; [unrolled: 1-line block ×5, first 2 shown]
	v_cndmask_b32_e64 v1, 0, 1, s13
	s_and_b32 s13, s10, s14
	v_cmp_eq_u32_e64 s17, 1, v2
	v_cmp_eq_u32_e64 s21, 2, v2
	v_cmp_eq_u32_e64 s25, 3, v2
	v_cndmask_b32_e64 v2, 0, 1, s13
	s_and_b32 s13, s11, s15
	v_cmp_eq_u32_e64 s18, 1, v3
	v_cmp_eq_u32_e64 s22, 2, v3
	v_cmp_eq_u32_e64 s26, 3, v3
	;; [unrolled: 5-line block ×3, first 2 shown]
	v_cndmask_b32_e64 v4, 0, 1, s13
	s_and_b32 s13, s9, s17
	s_delay_alu instid0(SALU_CYCLE_1) | instskip(SKIP_1) | instid1(SALU_CYCLE_1)
	v_cndmask_b32_e64 v24, 0, 1, s13
	s_and_b32 s13, s10, s18
	v_cndmask_b32_e64 v25, 0, 1, s13
	s_and_b32 s13, s11, s19
	s_delay_alu instid0(SALU_CYCLE_1) | instskip(SKIP_1) | instid1(VALU_DEP_2)
	v_cndmask_b32_e64 v26, 0, 1, s13
	s_and_b32 s13, s12, s20
	v_cmp_ne_u32_e64 s14, 0, v25
	v_cndmask_b32_e64 v27, 0, 1, s13
	s_and_b32 s13, s9, s21
	s_and_b32 s9, s9, s25
	v_cndmask_b32_e64 v28, 0, 1, s13
	s_and_b32 s13, s10, s22
	v_cndmask_b32_e64 v32, 0, 1, s9
	;; [unrolled: 2-line block ×7, first 2 shown]
	v_cndmask_b32_e64 v35, 0, 1, s9
	v_cmp_ne_u32_e64 s9, 0, v1
	v_cmp_ne_u32_e64 s13, 0, v24
	;; [unrolled: 1-line block ×6, first 2 shown]
	s_bcnt1_i32_b32 s9, s9
	s_bcnt1_i32_b32 s13, s13
	v_cmp_ne_u32_e64 s16, 0, v27
	v_cmp_ne_u32_e64 s18, 0, v29
	;; [unrolled: 1-line block ×3, first 2 shown]
	s_bcnt1_i32_b32 s10, s10
	s_bcnt1_i32_b32 s14, s14
	s_add_i32 s9, s9, s79
	s_add_i32 s13, s13, s78
	v_cmp_ne_u32_e64 s11, 0, v3
	v_cmp_ne_u32_e64 s19, 0, v30
	v_cmp_ne_u32_e64 s23, 0, v34
	s_bcnt1_i32_b32 s15, s15
	s_add_i32 s9, s9, s10
	s_add_i32 s10, s13, s14
	s_bcnt1_i32_b32 s17, s17
	s_bcnt1_i32_b32 s21, s21
	v_cmp_ne_u32_e64 s12, 0, v4
	v_cmp_ne_u32_e64 s20, 0, v31
	;; [unrolled: 1-line block ×3, first 2 shown]
	s_bcnt1_i32_b32 s16, s16
	s_add_i32 s10, s10, s15
	s_bcnt1_i32_b32 s18, s18
	s_bcnt1_i32_b32 s22, s22
	s_add_i32 s17, s17, s77
	s_add_i32 s21, s21, s76
	;; [unrolled: 1-line block ×3, first 2 shown]
	s_delay_alu instid0(SALU_CYCLE_1)
	v_dual_mov_b32 v2, s78 :: v_dual_add_nc_u32 v23, s46, v23
	s_bcnt1_i32_b32 s11, s11
	s_bcnt1_i32_b32 s19, s19
	;; [unrolled: 1-line block ×3, first 2 shown]
	s_add_i32 s13, s17, s18
	s_add_i32 s14, s21, s22
	s_bcnt1_i32_b32 s12, s12
	s_bcnt1_i32_b32 s20, s20
	;; [unrolled: 1-line block ×3, first 2 shown]
	s_add_i32 s9, s9, s11
	s_add_i32 s11, s13, s19
	;; [unrolled: 1-line block ×3, first 2 shown]
	v_cmp_le_i32_e32 vcc_lo, s72, v23
	s_add_i32 s79, s9, s12
	s_add_i32 s77, s11, s20
	;; [unrolled: 1-line block ×3, first 2 shown]
	v_mov_b32_e32 v1, s79
	v_dual_mov_b32 v3, s77 :: v_dual_mov_b32 v4, s76
	s_or_b32 s74, vcc_lo, s74
	s_delay_alu instid0(SALU_CYCLE_1)
	s_and_not1_b32 exec_lo, exec_lo, s74
	s_cbranch_execnz .LBB8_56
; %bb.57:                               ;   in Loop: Header=BB8_8 Depth=1
	s_or_b32 exec_lo, exec_lo, s74
.LBB8_58:                               ;   in Loop: Header=BB8_8 Depth=1
	s_delay_alu instid0(SALU_CYCLE_1) | instskip(SKIP_2) | instid1(VALU_DEP_1)
	s_or_b32 exec_lo, exec_lo, s73
	v_add_nc_u32_e32 v23, s72, v0
	s_mov_b32 s14, exec_lo
	v_cmpx_gt_i32_e64 s71, v23
	s_cbranch_execz .LBB8_62
; %bb.59:                               ;   in Loop: Header=BB8_8 Depth=1
	s_and_b32 s16, s57, 0xfe
	s_mov_b32 s15, 0
.LBB8_60:                               ;   Parent Loop BB8_8 Depth=1
                                        ; =>  This Inner Loop Header: Depth=2
	ds_load_i8 v24, v23
	v_add_nc_u32_e32 v23, s44, v23
	s_delay_alu instid0(VALU_DEP_1) | instskip(SKIP_3) | instid1(VALU_DEP_1)
	v_cmp_le_i32_e32 vcc_lo, s71, v23
	s_waitcnt lgkmcnt(0)
	v_add_nc_u32_e32 v24, 0x80, v24
	s_waitcnt vmcnt(0)
	v_and_b32_e32 v25, s70, v24
	v_bfe_u32 v24, v24, s16, 2
	s_delay_alu instid0(VALU_DEP_2) | instskip(NEXT) | instid1(VALU_DEP_2)
	v_cmp_eq_u32_e64 s9, s69, v25
	v_cmp_eq_u32_e64 s10, 0, v24
	;; [unrolled: 1-line block ×5, first 2 shown]
	s_delay_alu instid0(VALU_DEP_4) | instskip(NEXT) | instid1(SALU_CYCLE_1)
	s_and_b32 s10, s9, s10
	v_cndmask_b32_e64 v24, 0, 1, s10
	s_and_b32 s10, s9, s11
	s_delay_alu instid0(SALU_CYCLE_1)
	v_cndmask_b32_e64 v25, 0, 1, s10
	s_and_b32 s10, s9, s12
	s_and_b32 s9, s9, s13
	v_cndmask_b32_e64 v26, 0, 1, s10
	v_cndmask_b32_e64 v27, 0, 1, s9
	v_cmp_ne_u32_e64 s9, 0, v24
	v_cmp_ne_u32_e64 s10, 0, v25
	s_delay_alu instid0(VALU_DEP_4) | instskip(NEXT) | instid1(VALU_DEP_4)
	v_cmp_ne_u32_e64 s11, 0, v26
	v_cmp_ne_u32_e64 s12, 0, v27
	s_delay_alu instid0(VALU_DEP_4) | instskip(NEXT) | instid1(VALU_DEP_3)
	s_bcnt1_i32_b32 s9, s9
	s_bcnt1_i32_b32 s10, s10
	v_add_nc_u32_e32 v1, s9, v1
	s_bcnt1_i32_b32 s11, s11
	s_bcnt1_i32_b32 s12, s12
	v_add_nc_u32_e32 v2, s10, v2
	v_add_nc_u32_e32 v3, s11, v3
	;; [unrolled: 1-line block ×3, first 2 shown]
	s_or_b32 s15, vcc_lo, s15
	s_delay_alu instid0(SALU_CYCLE_1)
	s_and_not1_b32 exec_lo, exec_lo, s15
	s_cbranch_execnz .LBB8_60
; %bb.61:                               ;   in Loop: Header=BB8_8 Depth=1
	s_or_b32 exec_lo, exec_lo, s15
.LBB8_62:                               ;   in Loop: Header=BB8_8 Depth=1
	s_delay_alu instid0(SALU_CYCLE_1)
	s_or_b32 exec_lo, exec_lo, s14
.LBB8_63:                               ;   in Loop: Header=BB8_8 Depth=1
	s_lshl_b32 s9, s67, 7
	s_and_saveexec_b32 s10, s4
	s_cbranch_execz .LBB8_65
; %bb.64:                               ;   in Loop: Header=BB8_8 Depth=1
	v_or_b32_e32 v23, s9, v14
	s_delay_alu instid0(VALU_DEP_1)
	v_lshlrev_b32_e32 v23, 2, v23
	ds_store_b128 v23, v[1:4] offset:3072
.LBB8_65:                               ;   in Loop: Header=BB8_8 Depth=1
	s_or_b32 exec_lo, exec_lo, s10
	s_waitcnt vmcnt(0) lgkmcnt(0)
	s_barrier
	buffer_gl0_inv
	s_and_saveexec_b32 s10, s47
	s_cbranch_execz .LBB8_75
; %bb.66:                               ;   in Loop: Header=BB8_8 Depth=1
	v_mov_b32_e32 v1, 0
	s_and_not1_b32 vcc_lo, exec_lo, s50
	s_cbranch_vccnz .LBB8_74
; %bb.67:                               ;   in Loop: Header=BB8_8 Depth=1
	v_mov_b32_e32 v1, 0
	s_and_not1_b32 vcc_lo, exec_lo, s53
	s_mov_b32 s11, 0
	s_cbranch_vccnz .LBB8_71
; %bb.68:                               ;   in Loop: Header=BB8_8 Depth=1
	v_lshl_add_u32 v2, s67, 9, v20
	v_mov_b32_e32 v1, 0
	.p2align	6
.LBB8_69:                               ;   Parent Loop BB8_8 Depth=1
                                        ; =>  This Inner Loop Header: Depth=2
	ds_load_2addr_b32 v[3:4], v2 offset1:4
	ds_load_2addr_b32 v[23:24], v2 offset0:8 offset1:12
	ds_load_2addr_b32 v[25:26], v2 offset0:16 offset1:20
	;; [unrolled: 1-line block ×3, first 2 shown]
	v_add_nc_u32_e32 v2, 0x80, v2
	s_add_i32 s11, s11, 8
	s_delay_alu instid0(SALU_CYCLE_1) | instskip(SKIP_3) | instid1(VALU_DEP_1)
	s_cmp_eq_u32 s54, s11
	s_waitcnt lgkmcnt(3)
	v_add3_u32 v1, v3, v1, v4
	s_waitcnt lgkmcnt(2)
	v_add3_u32 v1, v23, v1, v24
	s_waitcnt lgkmcnt(1)
	s_delay_alu instid0(VALU_DEP_1) | instskip(SKIP_1) | instid1(VALU_DEP_1)
	v_add3_u32 v1, v25, v1, v26
	s_waitcnt lgkmcnt(0)
	v_add3_u32 v1, v27, v1, v28
	s_cbranch_scc0 .LBB8_69
; %bb.70:                               ;   in Loop: Header=BB8_8 Depth=1
	s_mov_b32 s11, s54
.LBB8_71:                               ;   in Loop: Header=BB8_8 Depth=1
	s_and_not1_b32 vcc_lo, exec_lo, s55
	s_cbranch_vccnz .LBB8_74
; %bb.72:                               ;   in Loop: Header=BB8_8 Depth=1
	s_lshl_b32 s12, s67, 9
	s_lshl_b32 s11, s11, 4
	s_delay_alu instid0(SALU_CYCLE_1)
	v_add3_u32 v2, s12, s11, v20
	s_mov_b32 s11, s52
.LBB8_73:                               ;   Parent Loop BB8_8 Depth=1
                                        ; =>  This Inner Loop Header: Depth=2
	ds_load_b32 v3, v2
	v_add_nc_u32_e32 v2, 16, v2
	s_add_i32 s11, s11, -1
	s_delay_alu instid0(SALU_CYCLE_1)
	s_cmp_lg_u32 s11, 0
	s_waitcnt lgkmcnt(0)
	v_add_nc_u32_e32 v1, v3, v1
	s_cbranch_scc1 .LBB8_73
.LBB8_74:                               ;   in Loop: Header=BB8_8 Depth=1
	v_add_lshl_u32 v2, s9, v12, 2
	ds_store_b32 v2, v1 offset:3072
.LBB8_75:                               ;   in Loop: Header=BB8_8 Depth=1
	s_or_b32 exec_lo, exec_lo, s10
	s_lshl_b32 s9, s9, 2
	s_waitcnt lgkmcnt(0)
	v_mov_b32_e32 v1, s9
	s_barrier
	buffer_gl0_inv
	s_and_b32 s18, s57, 0xfe
	s_mov_b32 s14, -1
	ds_load_b128 v[1:4], v1 offset:3072
	s_lshl_b32 s11, 3, s18
	s_delay_alu instid0(SALU_CYCLE_1) | instskip(SKIP_4) | instid1(VALU_DEP_3)
	s_not_b32 s19, s11
	s_waitcnt lgkmcnt(0)
	v_readfirstlane_b32 s13, v1
	v_readfirstlane_b32 s21, v2
	;; [unrolled: 1-line block ×3, first 2 shown]
	s_cmp_eq_u32 s13, 1
	s_cselect_b32 s9, -1, 0
	s_cmp_eq_u32 s37, 1
	s_cselect_b32 s10, -1, 0
	s_delay_alu instid0(SALU_CYCLE_1)
	s_and_b32 s15, s9, s10
	v_readfirstlane_b32 s10, v4
	s_and_b32 vcc_lo, exec_lo, s15
	s_cbranch_vccz .LBB8_87
; %bb.76:                               ;   in Loop: Header=BB8_8 Depth=1
	ds_load_b32 v1, v21 offset:4096
	s_waitcnt lgkmcnt(0)
	s_barrier
	buffer_gl0_inv
	v_readfirstlane_b32 s12, v1
	s_and_saveexec_b32 s9, s0
	s_cbranch_execz .LBB8_78
; %bb.77:                               ;   in Loop: Header=BB8_8 Depth=1
	ds_store_b8 v0, v21 offset:3072
.LBB8_78:                               ;   in Loop: Header=BB8_8 Depth=1
	s_or_b32 exec_lo, exec_lo, s9
	s_and_b32 s69, s69, s19
	s_or_b32 s70, s70, s11
	s_cmp_lt_i32 s12, 1
	s_waitcnt lgkmcnt(0)
	s_barrier
	buffer_gl0_inv
	s_cbranch_scc0 .LBB8_88
; %bb.79:                               ;   in Loop: Header=BB8_8 Depth=1
	s_mov_b32 s9, 0
                                        ; implicit-def: $vgpr22
	s_and_saveexec_b32 s17, s8
	s_cbranch_execz .LBB8_90
; %bb.80:                               ;   in Loop: Header=BB8_8 Depth=1
	v_dual_mov_b32 v1, v11 :: v_dual_mov_b32 v2, v0
	s_mov_b32 s20, 0
                                        ; implicit-def: $sgpr22
	s_set_inst_prefetch_distance 0x1
	s_branch .LBB8_82
	.p2align	6
.LBB8_81:                               ;   in Loop: Header=BB8_82 Depth=2
	s_or_b32 exec_lo, exec_lo, s9
	s_waitcnt vmcnt(0) lgkmcnt(0)
	s_barrier
	buffer_gl0_inv
	ds_load_u16 v3, v21 offset:3072
	v_add_nc_u32_e32 v2, s44, v2
	v_add_nc_u32_e32 v1, s51, v1
	s_waitcnt lgkmcnt(0)
	s_barrier
	buffer_gl0_inv
	v_cmp_le_i32_e32 vcc_lo, s60, v2
	v_and_b32_e32 v4, 0xff, v3
	s_delay_alu instid0(VALU_DEP_1) | instskip(NEXT) | instid1(VALU_DEP_1)
	v_cmp_ne_u16_e64 s9, 0, v4
	s_or_b32 s23, vcc_lo, s9
	s_delay_alu instid0(SALU_CYCLE_1) | instskip(NEXT) | instid1(SALU_CYCLE_1)
	s_and_b32 s23, exec_lo, s23
	s_or_b32 s20, s23, s20
	s_and_not1_b32 s22, s22, exec_lo
	s_and_b32 s9, s9, exec_lo
	s_delay_alu instid0(SALU_CYCLE_1)
	s_or_b32 s22, s22, s9
	s_and_not1_b32 exec_lo, exec_lo, s20
	s_cbranch_execz .LBB8_89
.LBB8_82:                               ;   Parent Loop BB8_8 Depth=1
                                        ; =>  This Inner Loop Header: Depth=2
	s_delay_alu instid0(VALU_DEP_1)
	v_cmp_gt_i32_e32 vcc_lo, s36, v2
	v_mov_b32_e32 v3, 0
	s_and_saveexec_b32 s23, vcc_lo
	s_cbranch_execz .LBB8_84
; %bb.83:                               ;   in Loop: Header=BB8_82 Depth=2
	v_ashrrev_i32_e32 v4, 31, v1
	v_add_co_u32 v3, s9, s40, v1
	s_delay_alu instid0(VALU_DEP_1)
	v_add_co_ci_u32_e64 v4, s9, s41, v4, s9
	global_load_u8 v3, v[3:4], off
.LBB8_84:                               ;   in Loop: Header=BB8_82 Depth=2
	s_or_b32 exec_lo, exec_lo, s23
	s_and_saveexec_b32 s9, vcc_lo
	s_cbranch_execz .LBB8_81
; %bb.85:                               ;   in Loop: Header=BB8_82 Depth=2
	s_waitcnt vmcnt(0)
	v_bfe_i32 v4, v3, 0, 8
	s_delay_alu instid0(VALU_DEP_1) | instskip(NEXT) | instid1(VALU_DEP_1)
	v_add_nc_u32_e32 v4, 0x80, v4
	v_and_b32_e32 v4, s70, v4
	s_delay_alu instid0(VALU_DEP_1)
	v_cmp_eq_u32_e32 vcc_lo, s69, v4
	s_and_b32 exec_lo, exec_lo, vcc_lo
	s_cbranch_execz .LBB8_81
; %bb.86:                               ;   in Loop: Header=BB8_82 Depth=2
	v_lshlrev_b16 v3, 8, v3
	s_delay_alu instid0(VALU_DEP_1)
	v_or_b32_e32 v3, 1, v3
	ds_store_b16 v21, v3 offset:3072
	s_branch .LBB8_81
.LBB8_87:                               ;   in Loop: Header=BB8_8 Depth=1
	s_mov_b32 s9, -1
                                        ; implicit-def: $sgpr17
                                        ; implicit-def: $sgpr22
                                        ; implicit-def: $sgpr20
	s_branch .LBB8_101
.LBB8_88:                               ;   in Loop: Header=BB8_8 Depth=1
	s_mov_b32 s17, -1
	s_mov_b32 s9, 0
                                        ; implicit-def: $sgpr20
                                        ; implicit-def: $vgpr22
	s_mov_b32 s22, s17
	s_cbranch_execnz .LBB8_91
	s_branch .LBB8_101
.LBB8_89:                               ;   in Loop: Header=BB8_8 Depth=1
	s_set_inst_prefetch_distance 0x2
	s_or_b32 exec_lo, exec_lo, s20
	v_lshrrev_b16 v22, 8, v3
	s_and_b32 s9, s22, exec_lo
.LBB8_90:                               ;   in Loop: Header=BB8_8 Depth=1
	s_or_b32 exec_lo, exec_lo, s17
	s_mov_b32 s20, -1
	s_mov_b32 s17, 0
	s_delay_alu instid0(SALU_CYCLE_1)
	s_mov_b32 s22, s17
	s_branch .LBB8_101
.LBB8_91:                               ;   in Loop: Header=BB8_8 Depth=1
	s_add_i32 s20, s12, s48
                                        ; implicit-def: $vgpr22
	s_delay_alu instid0(SALU_CYCLE_1) | instskip(NEXT) | instid1(SALU_CYCLE_1)
	s_abs_i32 s9, s20
	s_mul_hi_u32 s17, s9, s58
	s_delay_alu instid0(SALU_CYCLE_1) | instskip(NEXT) | instid1(SALU_CYCLE_1)
	s_mul_i32 s17, s17, s44
	s_sub_i32 s9, s9, s17
	s_ashr_i32 s17, s20, 31
	s_sub_i32 s22, s9, s44
	s_cmp_ge_u32 s9, s44
	s_cselect_b32 s9, s22, s9
	s_delay_alu instid0(SALU_CYCLE_1) | instskip(SKIP_2) | instid1(SALU_CYCLE_1)
	s_sub_i32 s22, s9, s44
	s_cmp_ge_u32 s9, s44
	s_cselect_b32 s9, s22, s9
	s_xor_b32 s9, s9, s17
	s_delay_alu instid0(SALU_CYCLE_1)
	s_sub_i32 s9, s17, s9
	s_mov_b32 s17, exec_lo
	s_add_i32 s20, s20, s9
	s_mov_b32 s9, 0
	v_cmpx_gt_i32_e64 s20, v0
	s_cbranch_execz .LBB8_100
; %bb.92:                               ;   in Loop: Header=BB8_8 Depth=1
	v_mov_b32_e32 v1, v0
	s_mov_b32 s22, 0
                                        ; implicit-def: $sgpr23
	s_set_inst_prefetch_distance 0x1
	s_branch .LBB8_94
	.p2align	6
.LBB8_93:                               ;   in Loop: Header=BB8_94 Depth=2
	s_or_b32 exec_lo, exec_lo, s9
	s_waitcnt lgkmcnt(0)
	s_barrier
	buffer_gl0_inv
	ds_load_u16 v2, v21 offset:3072
	v_add_nc_u32_e32 v1, s44, v1
	s_waitcnt lgkmcnt(0)
	s_barrier
	buffer_gl0_inv
	v_cmp_le_i32_e32 vcc_lo, s20, v1
	v_and_b32_e32 v3, 0xff, v2
	s_delay_alu instid0(VALU_DEP_1) | instskip(NEXT) | instid1(VALU_DEP_1)
	v_cmp_ne_u16_e64 s9, 0, v3
	s_or_b32 s24, vcc_lo, s9
	s_delay_alu instid0(SALU_CYCLE_1) | instskip(NEXT) | instid1(SALU_CYCLE_1)
	s_and_b32 s24, exec_lo, s24
	s_or_b32 s22, s24, s22
	s_and_not1_b32 s23, s23, exec_lo
	s_and_b32 s9, s9, exec_lo
	s_delay_alu instid0(SALU_CYCLE_1)
	s_or_b32 s23, s23, s9
	s_and_not1_b32 exec_lo, exec_lo, s22
	s_cbranch_execz .LBB8_99
.LBB8_94:                               ;   Parent Loop BB8_8 Depth=1
                                        ; =>  This Inner Loop Header: Depth=2
	s_delay_alu instid0(VALU_DEP_1)
	v_cmp_gt_i32_e32 vcc_lo, s12, v1
	v_mov_b32_e32 v2, 0
	s_and_saveexec_b32 s9, vcc_lo
	s_cbranch_execz .LBB8_96
; %bb.95:                               ;   in Loop: Header=BB8_94 Depth=2
	ds_load_u8 v2, v1
.LBB8_96:                               ;   in Loop: Header=BB8_94 Depth=2
	s_or_b32 exec_lo, exec_lo, s9
	s_and_saveexec_b32 s9, vcc_lo
	s_cbranch_execz .LBB8_93
; %bb.97:                               ;   in Loop: Header=BB8_94 Depth=2
	s_waitcnt lgkmcnt(0)
	v_bfe_i32 v3, v2, 0, 8
	s_delay_alu instid0(VALU_DEP_1) | instskip(NEXT) | instid1(VALU_DEP_1)
	v_add_nc_u32_e32 v3, 0x80, v3
	v_and_b32_e32 v3, s70, v3
	s_delay_alu instid0(VALU_DEP_1)
	v_cmp_eq_u32_e32 vcc_lo, s69, v3
	s_and_b32 exec_lo, exec_lo, vcc_lo
	s_cbranch_execz .LBB8_93
; %bb.98:                               ;   in Loop: Header=BB8_94 Depth=2
	v_lshlrev_b16 v2, 8, v2
	s_delay_alu instid0(VALU_DEP_1)
	v_or_b32_e32 v2, 1, v2
	ds_store_b16 v21, v2 offset:3072
	s_branch .LBB8_93
.LBB8_99:                               ;   in Loop: Header=BB8_8 Depth=1
	s_set_inst_prefetch_distance 0x2
	s_or_b32 exec_lo, exec_lo, s22
	v_lshrrev_b16 v22, 8, v2
	s_and_b32 s9, s23, exec_lo
.LBB8_100:                              ;   in Loop: Header=BB8_8 Depth=1
	s_or_b32 exec_lo, exec_lo, s17
	s_mov_b32 s22, -1
	s_mov_b32 s17, 0
	s_mov_b32 s20, 0
.LBB8_101:                              ;   in Loop: Header=BB8_8 Depth=1
	s_and_not1_b32 s12, s65, exec_lo
	s_and_b32 s17, s17, exec_lo
	s_and_b32 s20, s20, exec_lo
	s_or_b32 s65, s12, s17
	s_and_not1_b32 s12, s68, exec_lo
	s_and_b32 s17, s22, exec_lo
	s_and_not1_b32 s22, s66, exec_lo
	s_or_b32 s68, s12, s17
	s_or_b32 s66, s22, s20
	s_and_saveexec_b32 s12, s9
	s_cbranch_execz .LBB8_7
; %bb.102:                              ;   in Loop: Header=BB8_8 Depth=1
	s_xor_b32 s9, s15, -1
	s_mov_b32 s14, 0
	s_and_not1_b32 vcc_lo, exec_lo, s9
	s_mov_b32 s22, 1
	s_cbranch_vccnz .LBB8_113
; %bb.103:                              ;   in Loop: Header=BB8_8 Depth=1
	s_cmp_gt_i32 s37, s13
	s_mov_b32 s14, -1
                                        ; implicit-def: $sgpr9
                                        ; implicit-def: $sgpr15
                                        ; implicit-def: $sgpr17
	s_cbranch_scc1 .LBB8_109
; %bb.104:                              ;   in Loop: Header=BB8_8 Depth=1
	ds_load_b32 v1, v21 offset:4096
	s_waitcnt lgkmcnt(0)
	v_cmp_ne_u32_e32 vcc_lo, 0, v1
	s_cbranch_vccnz .LBB8_108
; %bb.105:                              ;   in Loop: Header=BB8_8 Depth=1
	s_and_saveexec_b32 s9, s2
	s_cbranch_execz .LBB8_107
; %bb.106:                              ;   in Loop: Header=BB8_8 Depth=1
	v_mov_b32_e32 v1, s13
	ds_store_b32 v21, v1 offset:4100
.LBB8_107:                              ;   in Loop: Header=BB8_8 Depth=1
	s_or_b32 exec_lo, exec_lo, s9
	s_waitcnt lgkmcnt(0)
	s_barrier
	buffer_gl0_inv
.LBB8_108:                              ;   in Loop: Header=BB8_8 Depth=1
	s_and_b32 s15, s69, s19
	s_or_b32 s17, s70, s11
	s_mov_b32 s14, 0
	s_mov_b32 s9, 8
.LBB8_109:                              ;   in Loop: Header=BB8_8 Depth=1
	s_and_not1_b32 vcc_lo, exec_lo, s14
	s_cbranch_vccnz .LBB8_111
; %bb.110:                              ;   in Loop: Header=BB8_8 Depth=1
	s_sub_i32 s37, s37, s13
	s_mov_b32 s14, -1
	s_mov_b32 s9, 0
	s_mov_b32 s15, s69
	s_mov_b32 s17, s70
.LBB8_111:                              ;   in Loop: Header=BB8_8 Depth=1
	s_delay_alu instid0(SALU_CYCLE_1)
	s_mov_b32 s70, s17
	s_mov_b32 s69, s15
	s_mov_b32 s22, s37
	s_and_b32 vcc_lo, exec_lo, s14
	s_mov_b32 s13, -1
	s_cbranch_vccnz .LBB8_114
.LBB8_112:                              ;   in Loop: Header=BB8_8 Depth=1
	s_mov_b32 s25, -1
                                        ; implicit-def: $sgpr14
                                        ; implicit-def: $sgpr17
                                        ; implicit-def: $sgpr15
	s_delay_alu instid0(SALU_CYCLE_1) | instskip(NEXT) | instid1(SALU_CYCLE_1)
	s_and_saveexec_b32 s10, s25
	s_xor_b32 s10, exec_lo, s10
	s_cbranch_execz .LBB8_6
	s_branch .LBB8_237
.LBB8_113:                              ;   in Loop: Header=BB8_8 Depth=1
	s_mov_b32 s9, 1
	s_and_b32 vcc_lo, exec_lo, s14
	s_mov_b32 s13, -1
	s_cbranch_vccz .LBB8_112
.LBB8_114:                              ;   in Loop: Header=BB8_8 Depth=1
	s_cmp_eq_u32 s21, 1
	s_mov_b32 s24, -1
	s_cselect_b32 s9, -1, 0
	s_cmp_eq_u32 s22, 1
	s_cselect_b32 s14, -1, 0
	s_delay_alu instid0(SALU_CYCLE_1) | instskip(NEXT) | instid1(SALU_CYCLE_1)
	s_and_b32 s23, s9, s14
	s_and_b32 vcc_lo, exec_lo, s23
	s_cbranch_vccz .LBB8_126
; %bb.115:                              ;   in Loop: Header=BB8_8 Depth=1
	ds_load_b32 v1, v21 offset:4096
	s_waitcnt lgkmcnt(0)
	s_barrier
	buffer_gl0_inv
	v_readfirstlane_b32 s20, v1
	s_and_saveexec_b32 s9, s0
	s_cbranch_execz .LBB8_117
; %bb.116:                              ;   in Loop: Header=BB8_8 Depth=1
	ds_store_b8 v0, v21 offset:3072
.LBB8_117:                              ;   in Loop: Header=BB8_8 Depth=1
	s_or_b32 exec_lo, exec_lo, s9
	s_lshl_b32 s9, 1, s18
	s_and_b32 s14, s69, s19
	s_or_b32 s70, s70, s11
	s_or_b32 s69, s14, s9
	s_cmp_gt_i32 s20, 0
	s_waitcnt lgkmcnt(0)
	s_barrier
	buffer_gl0_inv
	s_cbranch_scc1 .LBB8_127
; %bb.118:                              ;   in Loop: Header=BB8_8 Depth=1
	s_mov_b32 s24, 0
                                        ; implicit-def: $vgpr22
	s_and_saveexec_b32 s14, s8
	s_cbranch_execz .LBB8_129
; %bb.119:                              ;   in Loop: Header=BB8_8 Depth=1
	v_dual_mov_b32 v1, v11 :: v_dual_mov_b32 v2, v0
	s_mov_b32 s15, 0
                                        ; implicit-def: $sgpr17
	s_set_inst_prefetch_distance 0x1
	s_branch .LBB8_121
	.p2align	6
.LBB8_120:                              ;   in Loop: Header=BB8_121 Depth=2
	s_or_b32 exec_lo, exec_lo, s9
	s_waitcnt vmcnt(0) lgkmcnt(0)
	s_barrier
	buffer_gl0_inv
	ds_load_u16 v3, v21 offset:3072
	v_add_nc_u32_e32 v2, s44, v2
	v_add_nc_u32_e32 v1, s51, v1
	s_waitcnt lgkmcnt(0)
	s_barrier
	buffer_gl0_inv
	v_cmp_le_i32_e32 vcc_lo, s60, v2
	v_and_b32_e32 v4, 0xff, v3
	s_delay_alu instid0(VALU_DEP_1) | instskip(NEXT) | instid1(VALU_DEP_1)
	v_cmp_ne_u16_e64 s9, 0, v4
	s_or_b32 s24, vcc_lo, s9
	s_delay_alu instid0(SALU_CYCLE_1) | instskip(NEXT) | instid1(SALU_CYCLE_1)
	s_and_b32 s24, exec_lo, s24
	s_or_b32 s15, s24, s15
	s_and_not1_b32 s17, s17, exec_lo
	s_and_b32 s9, s9, exec_lo
	s_delay_alu instid0(SALU_CYCLE_1)
	s_or_b32 s17, s17, s9
	s_and_not1_b32 exec_lo, exec_lo, s15
	s_cbranch_execz .LBB8_128
.LBB8_121:                              ;   Parent Loop BB8_8 Depth=1
                                        ; =>  This Inner Loop Header: Depth=2
	s_delay_alu instid0(VALU_DEP_1)
	v_cmp_gt_i32_e32 vcc_lo, s36, v2
	v_mov_b32_e32 v3, 0
	s_and_saveexec_b32 s24, vcc_lo
	s_cbranch_execz .LBB8_123
; %bb.122:                              ;   in Loop: Header=BB8_121 Depth=2
	v_ashrrev_i32_e32 v4, 31, v1
	v_add_co_u32 v3, s9, s40, v1
	s_delay_alu instid0(VALU_DEP_1)
	v_add_co_ci_u32_e64 v4, s9, s41, v4, s9
	global_load_u8 v3, v[3:4], off
.LBB8_123:                              ;   in Loop: Header=BB8_121 Depth=2
	s_or_b32 exec_lo, exec_lo, s24
	s_and_saveexec_b32 s9, vcc_lo
	s_cbranch_execz .LBB8_120
; %bb.124:                              ;   in Loop: Header=BB8_121 Depth=2
	s_waitcnt vmcnt(0)
	v_bfe_i32 v4, v3, 0, 8
	s_delay_alu instid0(VALU_DEP_1) | instskip(NEXT) | instid1(VALU_DEP_1)
	v_add_nc_u32_e32 v4, 0x80, v4
	v_and_b32_e32 v4, s70, v4
	s_delay_alu instid0(VALU_DEP_1)
	v_cmp_eq_u32_e32 vcc_lo, s69, v4
	s_and_b32 exec_lo, exec_lo, vcc_lo
	s_cbranch_execz .LBB8_120
; %bb.125:                              ;   in Loop: Header=BB8_121 Depth=2
	v_lshlrev_b16 v3, 8, v3
	s_delay_alu instid0(VALU_DEP_1)
	v_or_b32_e32 v3, 1, v3
	ds_store_b16 v21, v3 offset:3072
	s_branch .LBB8_120
.LBB8_126:                              ;   in Loop: Header=BB8_8 Depth=1
                                        ; implicit-def: $sgpr15
                                        ; implicit-def: $sgpr17
                                        ; implicit-def: $sgpr14
	s_branch .LBB8_140
.LBB8_127:                              ;   in Loop: Header=BB8_8 Depth=1
	s_mov_b32 s15, -1
	s_mov_b32 s24, 0
                                        ; implicit-def: $sgpr14
                                        ; implicit-def: $vgpr22
	s_mov_b32 s17, s15
	s_cbranch_execnz .LBB8_130
	s_branch .LBB8_140
.LBB8_128:                              ;   in Loop: Header=BB8_8 Depth=1
	s_set_inst_prefetch_distance 0x2
	s_or_b32 exec_lo, exec_lo, s15
	v_lshrrev_b16 v22, 8, v3
	s_and_b32 s24, s17, exec_lo
.LBB8_129:                              ;   in Loop: Header=BB8_8 Depth=1
	s_or_b32 exec_lo, exec_lo, s14
	s_mov_b32 s14, -1
	s_mov_b32 s15, 0
	s_delay_alu instid0(SALU_CYCLE_1)
	s_mov_b32 s17, s15
	s_branch .LBB8_140
.LBB8_130:                              ;   in Loop: Header=BB8_8 Depth=1
	s_add_i32 s15, s20, s48
	s_mov_b32 s24, 0
	s_abs_i32 s9, s15
                                        ; implicit-def: $vgpr22
	s_delay_alu instid0(SALU_CYCLE_1) | instskip(NEXT) | instid1(SALU_CYCLE_1)
	s_mul_hi_u32 s14, s9, s58
	s_mul_i32 s14, s14, s44
	s_delay_alu instid0(SALU_CYCLE_1) | instskip(SKIP_4) | instid1(SALU_CYCLE_1)
	s_sub_i32 s9, s9, s14
	s_ashr_i32 s14, s15, 31
	s_sub_i32 s17, s9, s44
	s_cmp_ge_u32 s9, s44
	s_cselect_b32 s9, s17, s9
	s_sub_i32 s17, s9, s44
	s_cmp_ge_u32 s9, s44
	s_cselect_b32 s9, s17, s9
	s_delay_alu instid0(SALU_CYCLE_1) | instskip(NEXT) | instid1(SALU_CYCLE_1)
	s_xor_b32 s9, s9, s14
	s_sub_i32 s9, s14, s9
	s_mov_b32 s14, exec_lo
	s_add_i32 s15, s15, s9
	s_delay_alu instid0(SALU_CYCLE_1)
	v_cmpx_gt_i32_e64 s15, v0
	s_cbranch_execz .LBB8_139
; %bb.131:                              ;   in Loop: Header=BB8_8 Depth=1
	v_mov_b32_e32 v1, v0
	s_mov_b32 s17, 0
                                        ; implicit-def: $sgpr24
	s_set_inst_prefetch_distance 0x1
	s_branch .LBB8_133
	.p2align	6
.LBB8_132:                              ;   in Loop: Header=BB8_133 Depth=2
	s_or_b32 exec_lo, exec_lo, s9
	s_waitcnt lgkmcnt(0)
	s_barrier
	buffer_gl0_inv
	ds_load_u16 v2, v21 offset:3072
	v_add_nc_u32_e32 v1, s44, v1
	s_waitcnt lgkmcnt(0)
	s_barrier
	buffer_gl0_inv
	v_cmp_le_i32_e32 vcc_lo, s15, v1
	v_and_b32_e32 v3, 0xff, v2
	s_delay_alu instid0(VALU_DEP_1) | instskip(NEXT) | instid1(VALU_DEP_1)
	v_cmp_ne_u16_e64 s9, 0, v3
	s_or_b32 s25, vcc_lo, s9
	s_delay_alu instid0(SALU_CYCLE_1) | instskip(NEXT) | instid1(SALU_CYCLE_1)
	s_and_b32 s25, exec_lo, s25
	s_or_b32 s17, s25, s17
	s_and_not1_b32 s24, s24, exec_lo
	s_and_b32 s9, s9, exec_lo
	s_delay_alu instid0(SALU_CYCLE_1)
	s_or_b32 s24, s24, s9
	s_and_not1_b32 exec_lo, exec_lo, s17
	s_cbranch_execz .LBB8_138
.LBB8_133:                              ;   Parent Loop BB8_8 Depth=1
                                        ; =>  This Inner Loop Header: Depth=2
	s_delay_alu instid0(VALU_DEP_1)
	v_cmp_gt_i32_e32 vcc_lo, s20, v1
	v_mov_b32_e32 v2, 0
	s_and_saveexec_b32 s9, vcc_lo
	s_cbranch_execz .LBB8_135
; %bb.134:                              ;   in Loop: Header=BB8_133 Depth=2
	ds_load_u8 v2, v1
.LBB8_135:                              ;   in Loop: Header=BB8_133 Depth=2
	s_or_b32 exec_lo, exec_lo, s9
	s_and_saveexec_b32 s9, vcc_lo
	s_cbranch_execz .LBB8_132
; %bb.136:                              ;   in Loop: Header=BB8_133 Depth=2
	s_waitcnt lgkmcnt(0)
	v_bfe_i32 v3, v2, 0, 8
	s_delay_alu instid0(VALU_DEP_1) | instskip(NEXT) | instid1(VALU_DEP_1)
	v_add_nc_u32_e32 v3, 0x80, v3
	v_and_b32_e32 v3, s70, v3
	s_delay_alu instid0(VALU_DEP_1)
	v_cmp_eq_u32_e32 vcc_lo, s69, v3
	s_and_b32 exec_lo, exec_lo, vcc_lo
	s_cbranch_execz .LBB8_132
; %bb.137:                              ;   in Loop: Header=BB8_133 Depth=2
	v_lshlrev_b16 v2, 8, v2
	s_delay_alu instid0(VALU_DEP_1)
	v_or_b32_e32 v2, 1, v2
	ds_store_b16 v21, v2 offset:3072
	s_branch .LBB8_132
.LBB8_138:                              ;   in Loop: Header=BB8_8 Depth=1
	s_set_inst_prefetch_distance 0x2
	s_or_b32 exec_lo, exec_lo, s17
	v_lshrrev_b16 v22, 8, v2
	s_and_b32 s24, s24, exec_lo
.LBB8_139:                              ;   in Loop: Header=BB8_8 Depth=1
	s_or_b32 exec_lo, exec_lo, s14
	s_mov_b32 s17, -1
	s_mov_b32 s15, 0
	s_mov_b32 s14, 0
.LBB8_140:                              ;   in Loop: Header=BB8_8 Depth=1
	s_mov_b32 s25, 0
                                        ; implicit-def: $sgpr9
	s_and_saveexec_b32 s20, s24
	s_cbranch_execz .LBB8_236
; %bb.141:                              ;   in Loop: Header=BB8_8 Depth=1
	s_xor_b32 s9, s23, -1
	s_mov_b32 s23, 0
	s_and_not1_b32 vcc_lo, exec_lo, s9
	s_mov_b32 s26, 1
	s_cbranch_vccnz .LBB8_152
; %bb.142:                              ;   in Loop: Header=BB8_8 Depth=1
	s_cmp_gt_i32 s22, s21
	s_mov_b32 s23, -1
                                        ; implicit-def: $sgpr9
                                        ; implicit-def: $sgpr24
                                        ; implicit-def: $sgpr25
	s_cbranch_scc1 .LBB8_148
; %bb.143:                              ;   in Loop: Header=BB8_8 Depth=1
	ds_load_b32 v1, v21 offset:4096
	s_waitcnt lgkmcnt(0)
	v_cmp_ne_u32_e32 vcc_lo, 0, v1
	s_cbranch_vccnz .LBB8_147
; %bb.144:                              ;   in Loop: Header=BB8_8 Depth=1
	s_and_saveexec_b32 s9, s2
	s_cbranch_execz .LBB8_146
; %bb.145:                              ;   in Loop: Header=BB8_8 Depth=1
	v_mov_b32_e32 v1, s21
	ds_store_b32 v21, v1 offset:4100
.LBB8_146:                              ;   in Loop: Header=BB8_8 Depth=1
	s_or_b32 exec_lo, exec_lo, s9
	s_waitcnt lgkmcnt(0)
	s_barrier
	buffer_gl0_inv
.LBB8_147:                              ;   in Loop: Header=BB8_8 Depth=1
	s_lshl_b32 s9, 1, s18
	s_and_b32 s23, s69, s19
	s_or_b32 s25, s70, s11
	s_or_b32 s24, s23, s9
	s_mov_b32 s23, 0
	s_mov_b32 s9, 8
.LBB8_148:                              ;   in Loop: Header=BB8_8 Depth=1
	s_and_not1_b32 vcc_lo, exec_lo, s23
	s_cbranch_vccnz .LBB8_150
; %bb.149:                              ;   in Loop: Header=BB8_8 Depth=1
	s_sub_i32 s22, s22, s21
	s_mov_b32 s23, -1
	s_mov_b32 s9, 0
	s_mov_b32 s24, s69
	;; [unrolled: 1-line block ×3, first 2 shown]
.LBB8_150:                              ;   in Loop: Header=BB8_8 Depth=1
	s_delay_alu instid0(SALU_CYCLE_1)
	s_mov_b32 s70, s25
	s_mov_b32 s69, s24
	;; [unrolled: 1-line block ×3, first 2 shown]
	s_and_not1_b32 vcc_lo, exec_lo, s23
	s_mov_b32 s28, -1
	s_cbranch_vccz .LBB8_153
.LBB8_151:                              ;   in Loop: Header=BB8_8 Depth=1
                                        ; implicit-def: $sgpr22
                                        ; implicit-def: $sgpr23
                                        ; implicit-def: $sgpr21
	s_branch .LBB8_235
.LBB8_152:                              ;   in Loop: Header=BB8_8 Depth=1
	s_mov_b32 s9, 1
	s_and_not1_b32 vcc_lo, exec_lo, s23
	s_mov_b32 s28, -1
	s_cbranch_vccnz .LBB8_151
.LBB8_153:                              ;   in Loop: Header=BB8_8 Depth=1
	s_cmp_eq_u32 s16, 1
	s_mov_b32 s27, -1
	s_cselect_b32 s9, -1, 0
	s_cmp_eq_u32 s26, 1
	s_cselect_b32 s21, -1, 0
	s_delay_alu instid0(SALU_CYCLE_1) | instskip(NEXT) | instid1(SALU_CYCLE_1)
	s_and_b32 s25, s9, s21
	s_and_b32 vcc_lo, exec_lo, s25
	s_cbranch_vccz .LBB8_165
; %bb.154:                              ;   in Loop: Header=BB8_8 Depth=1
	ds_load_b32 v1, v21 offset:4096
	s_waitcnt lgkmcnt(0)
	s_barrier
	buffer_gl0_inv
	v_readfirstlane_b32 s24, v1
	s_and_saveexec_b32 s9, s0
	s_cbranch_execz .LBB8_156
; %bb.155:                              ;   in Loop: Header=BB8_8 Depth=1
	ds_store_b8 v0, v21 offset:3072
.LBB8_156:                              ;   in Loop: Header=BB8_8 Depth=1
	s_or_b32 exec_lo, exec_lo, s9
	s_lshl_b32 s9, 2, s18
	s_and_b32 s21, s69, s19
	s_or_b32 s70, s70, s11
	s_or_b32 s69, s21, s9
	s_cmp_gt_i32 s24, 0
	s_waitcnt lgkmcnt(0)
	s_barrier
	buffer_gl0_inv
	s_cbranch_scc1 .LBB8_166
; %bb.157:                              ;   in Loop: Header=BB8_8 Depth=1
	s_mov_b32 s27, 0
                                        ; implicit-def: $vgpr22
	s_and_saveexec_b32 s21, s8
	s_cbranch_execz .LBB8_168
; %bb.158:                              ;   in Loop: Header=BB8_8 Depth=1
	v_dual_mov_b32 v1, v11 :: v_dual_mov_b32 v2, v0
	s_mov_b32 s22, 0
                                        ; implicit-def: $sgpr23
	s_set_inst_prefetch_distance 0x1
	s_branch .LBB8_160
	.p2align	6
.LBB8_159:                              ;   in Loop: Header=BB8_160 Depth=2
	s_or_b32 exec_lo, exec_lo, s9
	s_waitcnt vmcnt(0) lgkmcnt(0)
	s_barrier
	buffer_gl0_inv
	ds_load_u16 v3, v21 offset:3072
	v_add_nc_u32_e32 v2, s44, v2
	v_add_nc_u32_e32 v1, s51, v1
	s_waitcnt lgkmcnt(0)
	s_barrier
	buffer_gl0_inv
	v_cmp_le_i32_e32 vcc_lo, s60, v2
	v_and_b32_e32 v4, 0xff, v3
	s_delay_alu instid0(VALU_DEP_1) | instskip(NEXT) | instid1(VALU_DEP_1)
	v_cmp_ne_u16_e64 s9, 0, v4
	s_or_b32 s27, vcc_lo, s9
	s_delay_alu instid0(SALU_CYCLE_1) | instskip(NEXT) | instid1(SALU_CYCLE_1)
	s_and_b32 s27, exec_lo, s27
	s_or_b32 s22, s27, s22
	s_and_not1_b32 s23, s23, exec_lo
	s_and_b32 s9, s9, exec_lo
	s_delay_alu instid0(SALU_CYCLE_1)
	s_or_b32 s23, s23, s9
	s_and_not1_b32 exec_lo, exec_lo, s22
	s_cbranch_execz .LBB8_167
.LBB8_160:                              ;   Parent Loop BB8_8 Depth=1
                                        ; =>  This Inner Loop Header: Depth=2
	s_delay_alu instid0(VALU_DEP_1)
	v_cmp_gt_i32_e32 vcc_lo, s36, v2
	v_mov_b32_e32 v3, 0
	s_and_saveexec_b32 s27, vcc_lo
	s_cbranch_execz .LBB8_162
; %bb.161:                              ;   in Loop: Header=BB8_160 Depth=2
	v_ashrrev_i32_e32 v4, 31, v1
	v_add_co_u32 v3, s9, s40, v1
	s_delay_alu instid0(VALU_DEP_1)
	v_add_co_ci_u32_e64 v4, s9, s41, v4, s9
	global_load_u8 v3, v[3:4], off
.LBB8_162:                              ;   in Loop: Header=BB8_160 Depth=2
	s_or_b32 exec_lo, exec_lo, s27
	s_and_saveexec_b32 s9, vcc_lo
	s_cbranch_execz .LBB8_159
; %bb.163:                              ;   in Loop: Header=BB8_160 Depth=2
	s_waitcnt vmcnt(0)
	v_bfe_i32 v4, v3, 0, 8
	s_delay_alu instid0(VALU_DEP_1) | instskip(NEXT) | instid1(VALU_DEP_1)
	v_add_nc_u32_e32 v4, 0x80, v4
	v_and_b32_e32 v4, s70, v4
	s_delay_alu instid0(VALU_DEP_1)
	v_cmp_eq_u32_e32 vcc_lo, s69, v4
	s_and_b32 exec_lo, exec_lo, vcc_lo
	s_cbranch_execz .LBB8_159
; %bb.164:                              ;   in Loop: Header=BB8_160 Depth=2
	v_lshlrev_b16 v3, 8, v3
	s_delay_alu instid0(VALU_DEP_1)
	v_or_b32_e32 v3, 1, v3
	ds_store_b16 v21, v3 offset:3072
	s_branch .LBB8_159
.LBB8_165:                              ;   in Loop: Header=BB8_8 Depth=1
                                        ; implicit-def: $sgpr21
                                        ; implicit-def: $sgpr23
                                        ; implicit-def: $sgpr22
	s_branch .LBB8_179
.LBB8_166:                              ;   in Loop: Header=BB8_8 Depth=1
	s_mov_b32 s21, -1
	s_mov_b32 s27, 0
                                        ; implicit-def: $sgpr22
                                        ; implicit-def: $vgpr22
	s_mov_b32 s23, s21
	s_cbranch_execnz .LBB8_169
	s_branch .LBB8_179
.LBB8_167:                              ;   in Loop: Header=BB8_8 Depth=1
	s_set_inst_prefetch_distance 0x2
	s_or_b32 exec_lo, exec_lo, s22
	v_lshrrev_b16 v22, 8, v3
	s_and_b32 s27, s23, exec_lo
.LBB8_168:                              ;   in Loop: Header=BB8_8 Depth=1
	s_or_b32 exec_lo, exec_lo, s21
	s_mov_b32 s22, -1
	s_mov_b32 s21, 0
	s_delay_alu instid0(SALU_CYCLE_1)
	s_mov_b32 s23, s21
	s_branch .LBB8_179
.LBB8_169:                              ;   in Loop: Header=BB8_8 Depth=1
	s_add_i32 s22, s24, s48
	s_mov_b32 s27, 0
	s_abs_i32 s9, s22
                                        ; implicit-def: $vgpr22
	s_delay_alu instid0(SALU_CYCLE_1) | instskip(NEXT) | instid1(SALU_CYCLE_1)
	s_mul_hi_u32 s21, s9, s58
	s_mul_i32 s21, s21, s44
	s_delay_alu instid0(SALU_CYCLE_1) | instskip(SKIP_4) | instid1(SALU_CYCLE_1)
	s_sub_i32 s9, s9, s21
	s_ashr_i32 s21, s22, 31
	s_sub_i32 s23, s9, s44
	s_cmp_ge_u32 s9, s44
	s_cselect_b32 s9, s23, s9
	s_sub_i32 s23, s9, s44
	s_cmp_ge_u32 s9, s44
	s_cselect_b32 s9, s23, s9
	s_delay_alu instid0(SALU_CYCLE_1) | instskip(NEXT) | instid1(SALU_CYCLE_1)
	s_xor_b32 s9, s9, s21
	s_sub_i32 s9, s21, s9
	s_mov_b32 s21, exec_lo
	s_add_i32 s22, s22, s9
	s_delay_alu instid0(SALU_CYCLE_1)
	v_cmpx_gt_i32_e64 s22, v0
	s_cbranch_execz .LBB8_178
; %bb.170:                              ;   in Loop: Header=BB8_8 Depth=1
	v_mov_b32_e32 v1, v0
	s_mov_b32 s23, 0
                                        ; implicit-def: $sgpr27
	s_set_inst_prefetch_distance 0x1
	s_branch .LBB8_172
	.p2align	6
.LBB8_171:                              ;   in Loop: Header=BB8_172 Depth=2
	s_or_b32 exec_lo, exec_lo, s9
	s_waitcnt lgkmcnt(0)
	s_barrier
	buffer_gl0_inv
	ds_load_u16 v2, v21 offset:3072
	v_add_nc_u32_e32 v1, s44, v1
	s_waitcnt lgkmcnt(0)
	s_barrier
	buffer_gl0_inv
	v_cmp_le_i32_e32 vcc_lo, s22, v1
	v_and_b32_e32 v3, 0xff, v2
	s_delay_alu instid0(VALU_DEP_1) | instskip(NEXT) | instid1(VALU_DEP_1)
	v_cmp_ne_u16_e64 s9, 0, v3
	s_or_b32 s28, vcc_lo, s9
	s_delay_alu instid0(SALU_CYCLE_1) | instskip(NEXT) | instid1(SALU_CYCLE_1)
	s_and_b32 s28, exec_lo, s28
	s_or_b32 s23, s28, s23
	s_and_not1_b32 s27, s27, exec_lo
	s_and_b32 s9, s9, exec_lo
	s_delay_alu instid0(SALU_CYCLE_1)
	s_or_b32 s27, s27, s9
	s_and_not1_b32 exec_lo, exec_lo, s23
	s_cbranch_execz .LBB8_177
.LBB8_172:                              ;   Parent Loop BB8_8 Depth=1
                                        ; =>  This Inner Loop Header: Depth=2
	s_delay_alu instid0(VALU_DEP_1)
	v_cmp_gt_i32_e32 vcc_lo, s24, v1
	v_mov_b32_e32 v2, 0
	s_and_saveexec_b32 s9, vcc_lo
	s_cbranch_execz .LBB8_174
; %bb.173:                              ;   in Loop: Header=BB8_172 Depth=2
	ds_load_u8 v2, v1
.LBB8_174:                              ;   in Loop: Header=BB8_172 Depth=2
	s_or_b32 exec_lo, exec_lo, s9
	s_and_saveexec_b32 s9, vcc_lo
	s_cbranch_execz .LBB8_171
; %bb.175:                              ;   in Loop: Header=BB8_172 Depth=2
	s_waitcnt lgkmcnt(0)
	v_bfe_i32 v3, v2, 0, 8
	s_delay_alu instid0(VALU_DEP_1) | instskip(NEXT) | instid1(VALU_DEP_1)
	v_add_nc_u32_e32 v3, 0x80, v3
	v_and_b32_e32 v3, s70, v3
	s_delay_alu instid0(VALU_DEP_1)
	v_cmp_eq_u32_e32 vcc_lo, s69, v3
	s_and_b32 exec_lo, exec_lo, vcc_lo
	s_cbranch_execz .LBB8_171
; %bb.176:                              ;   in Loop: Header=BB8_172 Depth=2
	v_lshlrev_b16 v2, 8, v2
	s_delay_alu instid0(VALU_DEP_1)
	v_or_b32_e32 v2, 1, v2
	ds_store_b16 v21, v2 offset:3072
	s_branch .LBB8_171
.LBB8_177:                              ;   in Loop: Header=BB8_8 Depth=1
	s_set_inst_prefetch_distance 0x2
	s_or_b32 exec_lo, exec_lo, s23
	v_lshrrev_b16 v22, 8, v2
	s_and_b32 s27, s27, exec_lo
.LBB8_178:                              ;   in Loop: Header=BB8_8 Depth=1
	s_or_b32 exec_lo, exec_lo, s21
	s_mov_b32 s23, -1
	s_mov_b32 s21, 0
	s_mov_b32 s22, 0
.LBB8_179:                              ;   in Loop: Header=BB8_8 Depth=1
	s_mov_b32 s28, 0
                                        ; implicit-def: $sgpr9
	s_and_saveexec_b32 s24, s27
	s_cbranch_execz .LBB8_234
; %bb.180:                              ;   in Loop: Header=BB8_8 Depth=1
	s_xor_b32 s9, s25, -1
	s_mov_b32 s27, 0
	s_and_not1_b32 vcc_lo, exec_lo, s9
	s_mov_b32 s25, 1
	s_cbranch_vccnz .LBB8_191
; %bb.181:                              ;   in Loop: Header=BB8_8 Depth=1
	s_cmp_gt_i32 s26, s16
	s_mov_b32 s27, -1
                                        ; implicit-def: $sgpr9
                                        ; implicit-def: $sgpr25
                                        ; implicit-def: $sgpr28
	s_cbranch_scc1 .LBB8_187
; %bb.182:                              ;   in Loop: Header=BB8_8 Depth=1
	ds_load_b32 v1, v21 offset:4096
	s_waitcnt lgkmcnt(0)
	v_cmp_ne_u32_e32 vcc_lo, 0, v1
	s_cbranch_vccnz .LBB8_186
; %bb.183:                              ;   in Loop: Header=BB8_8 Depth=1
	s_and_saveexec_b32 s9, s2
	s_cbranch_execz .LBB8_185
; %bb.184:                              ;   in Loop: Header=BB8_8 Depth=1
	v_mov_b32_e32 v1, s16
	ds_store_b32 v21, v1 offset:4100
.LBB8_185:                              ;   in Loop: Header=BB8_8 Depth=1
	s_or_b32 exec_lo, exec_lo, s9
	s_waitcnt lgkmcnt(0)
	s_barrier
	buffer_gl0_inv
.LBB8_186:                              ;   in Loop: Header=BB8_8 Depth=1
	s_lshl_b32 s9, 2, s18
	s_and_b32 s18, s69, s19
	s_or_b32 s28, s70, s11
	s_or_b32 s25, s18, s9
	s_mov_b32 s27, 0
	s_mov_b32 s9, 8
.LBB8_187:                              ;   in Loop: Header=BB8_8 Depth=1
	s_and_not1_b32 vcc_lo, exec_lo, s27
	s_cbranch_vccnz .LBB8_189
; %bb.188:                              ;   in Loop: Header=BB8_8 Depth=1
	s_sub_i32 s26, s26, s16
	s_mov_b32 s27, -1
	s_mov_b32 s9, 0
	s_mov_b32 s25, s69
	;; [unrolled: 1-line block ×3, first 2 shown]
.LBB8_189:                              ;   in Loop: Header=BB8_8 Depth=1
	s_delay_alu instid0(SALU_CYCLE_1)
	s_mov_b32 s70, s28
	s_mov_b32 s69, s25
	;; [unrolled: 1-line block ×3, first 2 shown]
	s_and_not1_b32 vcc_lo, exec_lo, s27
	s_mov_b32 s37, -1
	s_cbranch_vccz .LBB8_192
.LBB8_190:                              ;   in Loop: Header=BB8_8 Depth=1
                                        ; implicit-def: $sgpr19
                                        ; implicit-def: $sgpr27
                                        ; implicit-def: $sgpr26
	s_branch .LBB8_233
.LBB8_191:                              ;   in Loop: Header=BB8_8 Depth=1
	s_mov_b32 s9, 1
	s_and_not1_b32 vcc_lo, exec_lo, s27
	s_mov_b32 s37, -1
	s_cbranch_vccnz .LBB8_190
.LBB8_192:                              ;   in Loop: Header=BB8_8 Depth=1
	s_cmp_eq_u32 s10, 1
	s_mov_b32 s28, -1
	s_cselect_b32 s9, -1, 0
	s_cmp_eq_u32 s25, 1
	s_cselect_b32 s16, -1, 0
	s_delay_alu instid0(SALU_CYCLE_1) | instskip(NEXT) | instid1(SALU_CYCLE_1)
	s_and_b32 s16, s9, s16
	s_and_b32 vcc_lo, exec_lo, s16
	s_cbranch_vccz .LBB8_204
; %bb.193:                              ;   in Loop: Header=BB8_8 Depth=1
	ds_load_b32 v1, v21 offset:4096
	s_waitcnt lgkmcnt(0)
	s_barrier
	buffer_gl0_inv
	v_readfirstlane_b32 s18, v1
	s_and_saveexec_b32 s9, s0
	s_cbranch_execz .LBB8_195
; %bb.194:                              ;   in Loop: Header=BB8_8 Depth=1
	ds_store_b8 v0, v21 offset:3072
.LBB8_195:                              ;   in Loop: Header=BB8_8 Depth=1
	s_or_b32 exec_lo, exec_lo, s9
	s_or_b32 s69, s69, s11
	s_or_b32 s70, s70, s11
	s_cmp_gt_i32 s18, 0
	s_waitcnt lgkmcnt(0)
	s_barrier
	buffer_gl0_inv
	s_cbranch_scc1 .LBB8_205
; %bb.196:                              ;   in Loop: Header=BB8_8 Depth=1
	s_mov_b32 s28, 0
                                        ; implicit-def: $vgpr22
	s_and_saveexec_b32 s19, s8
	s_cbranch_execz .LBB8_207
; %bb.197:                              ;   in Loop: Header=BB8_8 Depth=1
	v_dual_mov_b32 v1, v11 :: v_dual_mov_b32 v2, v0
	s_mov_b32 s26, 0
                                        ; implicit-def: $sgpr27
	s_set_inst_prefetch_distance 0x1
	s_branch .LBB8_199
	.p2align	6
.LBB8_198:                              ;   in Loop: Header=BB8_199 Depth=2
	s_or_b32 exec_lo, exec_lo, s9
	s_waitcnt vmcnt(0) lgkmcnt(0)
	s_barrier
	buffer_gl0_inv
	ds_load_u16 v3, v21 offset:3072
	v_add_nc_u32_e32 v2, s44, v2
	v_add_nc_u32_e32 v1, s51, v1
	s_waitcnt lgkmcnt(0)
	s_barrier
	buffer_gl0_inv
	v_cmp_le_i32_e32 vcc_lo, s60, v2
	v_and_b32_e32 v4, 0xff, v3
	s_delay_alu instid0(VALU_DEP_1) | instskip(NEXT) | instid1(VALU_DEP_1)
	v_cmp_ne_u16_e64 s9, 0, v4
	s_or_b32 s28, vcc_lo, s9
	s_delay_alu instid0(SALU_CYCLE_1) | instskip(NEXT) | instid1(SALU_CYCLE_1)
	s_and_b32 s28, exec_lo, s28
	s_or_b32 s26, s28, s26
	s_and_not1_b32 s27, s27, exec_lo
	s_and_b32 s9, s9, exec_lo
	s_delay_alu instid0(SALU_CYCLE_1)
	s_or_b32 s27, s27, s9
	s_and_not1_b32 exec_lo, exec_lo, s26
	s_cbranch_execz .LBB8_206
.LBB8_199:                              ;   Parent Loop BB8_8 Depth=1
                                        ; =>  This Inner Loop Header: Depth=2
	s_delay_alu instid0(VALU_DEP_1)
	v_cmp_gt_i32_e32 vcc_lo, s36, v2
	v_mov_b32_e32 v3, 0
	s_and_saveexec_b32 s28, vcc_lo
	s_cbranch_execz .LBB8_201
; %bb.200:                              ;   in Loop: Header=BB8_199 Depth=2
	v_ashrrev_i32_e32 v4, 31, v1
	v_add_co_u32 v3, s9, s40, v1
	s_delay_alu instid0(VALU_DEP_1)
	v_add_co_ci_u32_e64 v4, s9, s41, v4, s9
	global_load_u8 v3, v[3:4], off
.LBB8_201:                              ;   in Loop: Header=BB8_199 Depth=2
	s_or_b32 exec_lo, exec_lo, s28
	s_and_saveexec_b32 s9, vcc_lo
	s_cbranch_execz .LBB8_198
; %bb.202:                              ;   in Loop: Header=BB8_199 Depth=2
	s_waitcnt vmcnt(0)
	v_bfe_i32 v4, v3, 0, 8
	s_delay_alu instid0(VALU_DEP_1) | instskip(NEXT) | instid1(VALU_DEP_1)
	v_add_nc_u32_e32 v4, 0x80, v4
	v_and_b32_e32 v4, s70, v4
	s_delay_alu instid0(VALU_DEP_1)
	v_cmp_eq_u32_e32 vcc_lo, s69, v4
	s_and_b32 exec_lo, exec_lo, vcc_lo
	s_cbranch_execz .LBB8_198
; %bb.203:                              ;   in Loop: Header=BB8_199 Depth=2
	v_lshlrev_b16 v3, 8, v3
	s_delay_alu instid0(VALU_DEP_1)
	v_or_b32_e32 v3, 1, v3
	ds_store_b16 v21, v3 offset:3072
	s_branch .LBB8_198
.LBB8_204:                              ;   in Loop: Header=BB8_8 Depth=1
                                        ; implicit-def: $sgpr19
                                        ; implicit-def: $sgpr27
                                        ; implicit-def: $sgpr26
	s_branch .LBB8_218
.LBB8_205:                              ;   in Loop: Header=BB8_8 Depth=1
	s_mov_b32 s19, -1
	s_mov_b32 s28, 0
                                        ; implicit-def: $sgpr26
                                        ; implicit-def: $vgpr22
	s_mov_b32 s27, s19
	s_cbranch_execnz .LBB8_208
	s_branch .LBB8_218
.LBB8_206:                              ;   in Loop: Header=BB8_8 Depth=1
	s_set_inst_prefetch_distance 0x2
	s_or_b32 exec_lo, exec_lo, s26
	v_lshrrev_b16 v22, 8, v3
	s_and_b32 s28, s27, exec_lo
.LBB8_207:                              ;   in Loop: Header=BB8_8 Depth=1
	s_or_b32 exec_lo, exec_lo, s19
	s_mov_b32 s26, -1
	s_mov_b32 s19, 0
	s_delay_alu instid0(SALU_CYCLE_1)
	s_mov_b32 s27, s19
	s_branch .LBB8_218
.LBB8_208:                              ;   in Loop: Header=BB8_8 Depth=1
	s_add_i32 s26, s18, s48
	s_mov_b32 s28, 0
	s_abs_i32 s9, s26
                                        ; implicit-def: $vgpr22
	s_delay_alu instid0(SALU_CYCLE_1) | instskip(NEXT) | instid1(SALU_CYCLE_1)
	s_mul_hi_u32 s19, s9, s58
	s_mul_i32 s19, s19, s44
	s_delay_alu instid0(SALU_CYCLE_1) | instskip(SKIP_4) | instid1(SALU_CYCLE_1)
	s_sub_i32 s9, s9, s19
	s_ashr_i32 s19, s26, 31
	s_sub_i32 s27, s9, s44
	s_cmp_ge_u32 s9, s44
	s_cselect_b32 s9, s27, s9
	s_sub_i32 s27, s9, s44
	s_cmp_ge_u32 s9, s44
	s_cselect_b32 s9, s27, s9
	s_delay_alu instid0(SALU_CYCLE_1) | instskip(NEXT) | instid1(SALU_CYCLE_1)
	s_xor_b32 s9, s9, s19
	s_sub_i32 s9, s19, s9
	s_mov_b32 s19, exec_lo
	s_add_i32 s26, s26, s9
	s_delay_alu instid0(SALU_CYCLE_1)
	v_cmpx_gt_i32_e64 s26, v0
	s_cbranch_execz .LBB8_217
; %bb.209:                              ;   in Loop: Header=BB8_8 Depth=1
	v_mov_b32_e32 v1, v0
	s_mov_b32 s27, 0
                                        ; implicit-def: $sgpr28
	s_set_inst_prefetch_distance 0x1
	s_branch .LBB8_211
	.p2align	6
.LBB8_210:                              ;   in Loop: Header=BB8_211 Depth=2
	s_or_b32 exec_lo, exec_lo, s9
	s_waitcnt lgkmcnt(0)
	s_barrier
	buffer_gl0_inv
	ds_load_u16 v2, v21 offset:3072
	v_add_nc_u32_e32 v1, s44, v1
	s_waitcnt lgkmcnt(0)
	s_barrier
	buffer_gl0_inv
	v_cmp_le_i32_e32 vcc_lo, s26, v1
	v_and_b32_e32 v3, 0xff, v2
	s_delay_alu instid0(VALU_DEP_1) | instskip(NEXT) | instid1(VALU_DEP_1)
	v_cmp_ne_u16_e64 s9, 0, v3
	s_or_b32 s37, vcc_lo, s9
	s_delay_alu instid0(SALU_CYCLE_1) | instskip(NEXT) | instid1(SALU_CYCLE_1)
	s_and_b32 s37, exec_lo, s37
	s_or_b32 s27, s37, s27
	s_and_not1_b32 s28, s28, exec_lo
	s_and_b32 s9, s9, exec_lo
	s_delay_alu instid0(SALU_CYCLE_1)
	s_or_b32 s28, s28, s9
	s_and_not1_b32 exec_lo, exec_lo, s27
	s_cbranch_execz .LBB8_216
.LBB8_211:                              ;   Parent Loop BB8_8 Depth=1
                                        ; =>  This Inner Loop Header: Depth=2
	s_delay_alu instid0(VALU_DEP_1)
	v_cmp_gt_i32_e32 vcc_lo, s18, v1
	v_mov_b32_e32 v2, 0
	s_and_saveexec_b32 s9, vcc_lo
	s_cbranch_execz .LBB8_213
; %bb.212:                              ;   in Loop: Header=BB8_211 Depth=2
	ds_load_u8 v2, v1
.LBB8_213:                              ;   in Loop: Header=BB8_211 Depth=2
	s_or_b32 exec_lo, exec_lo, s9
	s_and_saveexec_b32 s9, vcc_lo
	s_cbranch_execz .LBB8_210
; %bb.214:                              ;   in Loop: Header=BB8_211 Depth=2
	s_waitcnt lgkmcnt(0)
	v_bfe_i32 v3, v2, 0, 8
	s_delay_alu instid0(VALU_DEP_1) | instskip(NEXT) | instid1(VALU_DEP_1)
	v_add_nc_u32_e32 v3, 0x80, v3
	v_and_b32_e32 v3, s70, v3
	s_delay_alu instid0(VALU_DEP_1)
	v_cmp_eq_u32_e32 vcc_lo, s69, v3
	s_and_b32 exec_lo, exec_lo, vcc_lo
	s_cbranch_execz .LBB8_210
; %bb.215:                              ;   in Loop: Header=BB8_211 Depth=2
	v_lshlrev_b16 v2, 8, v2
	s_delay_alu instid0(VALU_DEP_1)
	v_or_b32_e32 v2, 1, v2
	ds_store_b16 v21, v2 offset:3072
	s_branch .LBB8_210
.LBB8_216:                              ;   in Loop: Header=BB8_8 Depth=1
	s_set_inst_prefetch_distance 0x2
	s_or_b32 exec_lo, exec_lo, s27
	v_lshrrev_b16 v22, 8, v2
	s_and_b32 s28, s28, exec_lo
.LBB8_217:                              ;   in Loop: Header=BB8_8 Depth=1
	s_or_b32 exec_lo, exec_lo, s19
	s_mov_b32 s27, -1
	s_mov_b32 s19, 0
	s_mov_b32 s26, 0
.LBB8_218:                              ;   in Loop: Header=BB8_8 Depth=1
	s_mov_b32 s37, 0
                                        ; implicit-def: $sgpr9
	s_and_saveexec_b32 s18, s28
	s_cbranch_execz .LBB8_232
; %bb.219:                              ;   in Loop: Header=BB8_8 Depth=1
	s_xor_b32 s9, s16, -1
	s_delay_alu instid0(SALU_CYCLE_1)
	s_and_not1_b32 vcc_lo, exec_lo, s9
	s_mov_b32 s9, 1
	s_cbranch_vccnz .LBB8_226
; %bb.220:                              ;   in Loop: Header=BB8_8 Depth=1
	s_cmp_gt_i32 s25, s10
	s_cbranch_scc1 .LBB8_227
; %bb.221:                              ;   in Loop: Header=BB8_8 Depth=1
	ds_load_b32 v1, v21 offset:4096
	s_waitcnt lgkmcnt(0)
	v_cmp_ne_u32_e32 vcc_lo, 0, v1
	s_cbranch_vccnz .LBB8_225
; %bb.222:                              ;   in Loop: Header=BB8_8 Depth=1
	s_and_saveexec_b32 s9, s2
	s_cbranch_execz .LBB8_224
; %bb.223:                              ;   in Loop: Header=BB8_8 Depth=1
	v_mov_b32_e32 v1, s10
	ds_store_b32 v21, v1 offset:4100
.LBB8_224:                              ;   in Loop: Header=BB8_8 Depth=1
	s_or_b32 exec_lo, exec_lo, s9
	s_waitcnt lgkmcnt(0)
	s_barrier
	buffer_gl0_inv
.LBB8_225:                              ;   in Loop: Header=BB8_8 Depth=1
	s_or_b32 s16, s69, s11
	s_or_b32 s11, s70, s11
	s_mov_b32 s28, 0
	s_mov_b32 s9, 8
	s_branch .LBB8_228
.LBB8_226:                              ;   in Loop: Header=BB8_8 Depth=1
	s_mov_b32 s25, 1
	s_branch .LBB8_231
.LBB8_227:                              ;   in Loop: Header=BB8_8 Depth=1
	s_mov_b32 s28, -1
                                        ; implicit-def: $sgpr9
                                        ; implicit-def: $sgpr16
                                        ; implicit-def: $sgpr11
.LBB8_228:                              ;   in Loop: Header=BB8_8 Depth=1
	s_delay_alu instid0(SALU_CYCLE_1)
	s_and_not1_b32 vcc_lo, exec_lo, s28
	s_cbranch_vccnz .LBB8_230
; %bb.229:                              ;   in Loop: Header=BB8_8 Depth=1
	s_sub_i32 s25, s25, s10
	s_mov_b32 s9, 8
	s_mov_b32 s16, s69
	;; [unrolled: 1-line block ×3, first 2 shown]
.LBB8_230:                              ;   in Loop: Header=BB8_8 Depth=1
	s_mov_b32 s69, s16
	s_mov_b32 s70, s11
.LBB8_231:                              ;   in Loop: Header=BB8_8 Depth=1
	s_mov_b32 s37, exec_lo
.LBB8_232:                              ;   in Loop: Header=BB8_8 Depth=1
	s_or_b32 exec_lo, exec_lo, s18
.LBB8_233:                              ;   in Loop: Header=BB8_8 Depth=1
	s_delay_alu instid0(SALU_CYCLE_1)
	s_and_not1_b32 s10, s21, exec_lo
	s_and_b32 s11, s19, exec_lo
	s_and_not1_b32 s16, s22, exec_lo
	s_or_b32 s21, s10, s11
	s_and_not1_b32 s10, s23, exec_lo
	s_and_b32 s11, s27, exec_lo
	s_and_b32 s18, s26, exec_lo
	s_or_b32 s23, s10, s11
	s_or_b32 s22, s16, s18
	s_and_b32 s28, s37, exec_lo
	s_mov_b32 s26, s25
.LBB8_234:                              ;   in Loop: Header=BB8_8 Depth=1
	s_or_b32 exec_lo, exec_lo, s24
.LBB8_235:                              ;   in Loop: Header=BB8_8 Depth=1
	s_delay_alu instid0(SALU_CYCLE_1)
	s_and_not1_b32 s10, s15, exec_lo
	s_and_b32 s11, s21, exec_lo
	s_and_not1_b32 s14, s14, exec_lo
	s_or_b32 s15, s10, s11
	s_and_not1_b32 s10, s17, exec_lo
	s_and_b32 s11, s23, exec_lo
	s_and_b32 s16, s22, exec_lo
	s_or_b32 s17, s10, s11
	s_or_b32 s14, s14, s16
	s_and_b32 s25, s28, exec_lo
	s_mov_b32 s22, s26
.LBB8_236:                              ;   in Loop: Header=BB8_8 Depth=1
	s_or_b32 exec_lo, exec_lo, s20
	s_and_saveexec_b32 s10, s25
	s_delay_alu instid0(SALU_CYCLE_1)
	s_xor_b32 s10, exec_lo, s10
	s_cbranch_execz .LBB8_6
.LBB8_237:                              ;   in Loop: Header=BB8_8 Depth=1
	s_and_b32 s9, s9, -9
	s_delay_alu instid0(SALU_CYCLE_1)
	s_cmp_eq_u32 s9, 0
	s_cbranch_scc1 .LBB8_4
; %bb.238:                              ;   in Loop: Header=BB8_8 Depth=1
	s_mov_b32 s9, -1
	s_mov_b32 s11, -1
                                        ; implicit-def: $sgpr70
                                        ; implicit-def: $sgpr22
                                        ; implicit-def: $sgpr57
                                        ; implicit-def: $sgpr67
	s_branch .LBB8_5
.LBB8_239:
	s_or_b32 exec_lo, exec_lo, s45
	s_xor_b32 s4, s64, -1
	s_xor_b32 s0, s62, -1
	;; [unrolled: 1-line block ×3, first 2 shown]
	s_mov_b32 s1, 0
	s_and_saveexec_b32 s5, s0
	s_delay_alu instid0(SALU_CYCLE_1)
	s_xor_b32 s0, exec_lo, s5
	s_cbranch_execz .LBB8_260
; %bb.240:
	s_and_saveexec_b32 s1, s4
	s_delay_alu instid0(SALU_CYCLE_1)
	s_xor_b32 s1, exec_lo, s1
	s_cbranch_execz .LBB8_258
; %bb.241:
	s_and_saveexec_b32 s4, s3
	s_delay_alu instid0(SALU_CYCLE_1)
	s_xor_b32 s3, exec_lo, s4
; %bb.242:
	v_xor_b32_e32 v22, 0xffffff80, v1
; %bb.243:
	s_or_b32 exec_lo, exec_lo, s3
	s_and_saveexec_b32 s3, s2
	s_cbranch_execz .LBB8_245
; %bb.244:
	v_dual_mov_b32 v1, 0 :: v_dual_mov_b32 v2, s36
	ds_store_b32 v1, v2 offset:4108
.LBB8_245:
	s_or_b32 exec_lo, exec_lo, s3
	v_mov_b32_e32 v1, 0
	s_waitcnt lgkmcnt(0)
	s_barrier
	buffer_gl0_inv
	s_mov_b32 s3, exec_lo
	ds_load_b32 v1, v1 offset:4108
	s_waitcnt lgkmcnt(0)
	v_min_i32_e32 v1, s36, v1
	s_delay_alu instid0(VALU_DEP_1)
	v_cmpx_lt_i32_e64 v0, v1
	s_cbranch_execz .LBB8_255
; %bb.246:
	v_and_b32_e32 v3, 0xff, v22
	s_mov_b32 s4, 0
                                        ; implicit-def: $sgpr5
                                        ; implicit-def: $sgpr7
                                        ; implicit-def: $sgpr6
	s_set_inst_prefetch_distance 0x1
	s_branch .LBB8_248
	.p2align	6
.LBB8_247:                              ;   in Loop: Header=BB8_248 Depth=1
	s_or_b32 exec_lo, exec_lo, s8
	s_delay_alu instid0(SALU_CYCLE_1) | instskip(NEXT) | instid1(SALU_CYCLE_1)
	s_and_b32 s8, exec_lo, s7
	s_or_b32 s4, s8, s4
	s_and_not1_b32 s5, s5, exec_lo
	s_and_b32 s8, s6, exec_lo
	s_delay_alu instid0(SALU_CYCLE_1)
	s_or_b32 s5, s5, s8
	s_and_not1_b32 exec_lo, exec_lo, s4
	s_cbranch_execz .LBB8_250
.LBB8_248:                              ; =>This Inner Loop Header: Depth=1
	v_ashrrev_i32_e32 v2, 31, v11
	v_add_co_u32 v4, vcc_lo, s40, v11
	s_or_b32 s6, s6, exec_lo
	s_or_b32 s7, s7, exec_lo
	s_delay_alu instid0(VALU_DEP_2)
	v_add_co_ci_u32_e32 v5, vcc_lo, s41, v2, vcc_lo
	v_mov_b32_e32 v2, v0
	s_mov_b32 s8, exec_lo
                                        ; implicit-def: $vgpr0
	global_load_u8 v4, v[4:5], off
	s_waitcnt vmcnt(0)
	v_cmpx_ne_u16_e64 v4, v3
	s_cbranch_execz .LBB8_247
; %bb.249:                              ;   in Loop: Header=BB8_248 Depth=1
	v_add_nc_u32_e32 v0, s44, v2
	s_and_not1_b32 s7, s7, exec_lo
	v_add_nc_u32_e32 v11, s51, v11
	s_and_not1_b32 s6, s6, exec_lo
	s_delay_alu instid0(VALU_DEP_2) | instskip(SKIP_1) | instid1(SALU_CYCLE_1)
	v_cmp_ge_i32_e32 vcc_lo, v0, v1
	s_and_b32 s9, vcc_lo, exec_lo
	s_or_b32 s7, s7, s9
	s_branch .LBB8_247
.LBB8_250:
	s_set_inst_prefetch_distance 0x2
	s_or_b32 exec_lo, exec_lo, s4
	s_and_saveexec_b32 s4, s5
	s_delay_alu instid0(SALU_CYCLE_1)
	s_xor_b32 s4, exec_lo, s4
	s_cbranch_execz .LBB8_255
; %bb.251:
	s_mov_b32 s5, exec_lo
	s_brev_b32 s4, -2
.LBB8_252:                              ; =>This Inner Loop Header: Depth=1
	s_ctz_i32_b32 s6, s5
	s_delay_alu instid0(SALU_CYCLE_1) | instskip(SKIP_1) | instid1(SALU_CYCLE_1)
	v_readlane_b32 s7, v2, s6
	s_lshl_b32 s6, 1, s6
	s_and_not1_b32 s5, s5, s6
	s_delay_alu instid0(VALU_DEP_1)
	s_min_i32 s4, s4, s7
	s_cmp_lg_u32 s5, 0
	s_cbranch_scc1 .LBB8_252
; %bb.253:
	v_mbcnt_lo_u32_b32 v0, exec_lo, 0
	s_mov_b32 s5, exec_lo
	s_delay_alu instid0(VALU_DEP_1)
	v_cmpx_eq_u32_e32 0, v0
	s_xor_b32 s5, exec_lo, s5
	s_cbranch_execz .LBB8_255
; %bb.254:
	v_dual_mov_b32 v0, 0 :: v_dual_mov_b32 v1, s4
	ds_min_i32 v0, v1 offset:4108
.LBB8_255:
	s_or_b32 exec_lo, exec_lo, s3
	s_waitcnt lgkmcnt(0)
	s_barrier
	buffer_gl0_inv
	s_and_saveexec_b32 s3, s2
	s_cbranch_execz .LBB8_257
; %bb.256:
	v_mov_b32_e32 v2, 0
	s_mul_i32 s38, s38, s29
	s_mul_i32 s4, s33, s29
	s_ashr_i32 s2, s38, 31
	s_add_u32 s6, s34, s38
	ds_load_b32 v0, v2 offset:4108
	s_addc_u32 s7, s35, s2
	s_ashr_i32 s5, s4, 31
	s_delay_alu instid0(SALU_CYCLE_1) | instskip(NEXT) | instid1(SALU_CYCLE_1)
	s_lshl_b64 s[4:5], s[4:5], 3
	s_add_u32 s4, s30, s4
	s_addc_u32 s5, s31, s5
	s_waitcnt lgkmcnt(0)
	v_ashrrev_i32_e32 v1, 31, v0
	s_clause 0x1
	global_store_b64 v2, v[0:1], s[4:5]
	global_store_b8 v2, v22, s[6:7]
.LBB8_257:
	s_or_b32 exec_lo, exec_lo, s3
.LBB8_258:
	s_or_saveexec_b32 s1, s1
	s_mov_b32 s2, 0
	s_xor_b32 exec_lo, exec_lo, s1
	s_cbranch_execnz .LBB8_266
.LBB8_259:
	s_or_b32 exec_lo, exec_lo, s1
	s_delay_alu instid0(SALU_CYCLE_1)
	s_and_b32 s1, s2, exec_lo
.LBB8_260:
	s_and_not1_saveexec_b32 s0, s0
	s_cbranch_execnz .LBB8_264
; %bb.261:
	s_or_b32 exec_lo, exec_lo, s0
	s_and_saveexec_b32 s0, s1
.LBB8_262:
	; divergent unreachable
.LBB8_263:
	s_nop 0
	s_sendmsg sendmsg(MSG_DEALLOC_VGPRS)
	s_endpgm
.LBB8_264:
	s_cbranch_execnz .LBB8_268
; %bb.265:
	s_or_b32 s1, s1, exec_lo
	s_or_b32 exec_lo, exec_lo, s0
	s_and_saveexec_b32 s0, s1
	s_cbranch_execnz .LBB8_262
	s_branch .LBB8_263
.LBB8_266:
	s_cbranch_execnz .LBB8_270
; %bb.267:
	s_mov_b32 s2, exec_lo
	s_branch .LBB8_259
.LBB8_268:
	s_trap 2
	s_sendmsg_rtn_b32 s0, sendmsg(MSG_RTN_GET_DOORBELL)
	s_mov_b32 ttmp2, m0
	s_waitcnt lgkmcnt(0)
	s_and_b32 s0, s0, 0x3ff
	s_delay_alu instid0(SALU_CYCLE_1) | instskip(NEXT) | instid1(SALU_CYCLE_1)
	s_bitset1_b32 s0, 10
	s_mov_b32 m0, s0
	s_sendmsg sendmsg(MSG_INTERRUPT)
	s_mov_b32 m0, ttmp2
.LBB8_269:                              ; =>This Inner Loop Header: Depth=1
	s_sethalt 5
	s_branch .LBB8_269
.LBB8_270:
	s_trap 2
	s_sendmsg_rtn_b32 s0, sendmsg(MSG_RTN_GET_DOORBELL)
	s_mov_b32 ttmp2, m0
	s_waitcnt lgkmcnt(0)
	s_and_b32 s0, s0, 0x3ff
	s_delay_alu instid0(SALU_CYCLE_1) | instskip(NEXT) | instid1(SALU_CYCLE_1)
	s_bitset1_b32 s0, 10
	s_mov_b32 m0, s0
	s_sendmsg sendmsg(MSG_INTERRUPT)
	s_mov_b32 m0, ttmp2
.LBB8_271:                              ; =>This Inner Loop Header: Depth=1
	s_sethalt 5
	s_branch .LBB8_271
	.section	.rodata,"a",@progbits
	.p2align	6, 0x0
	.amdhsa_kernel _ZN2at6native12_GLOBAL__N_114gatherKthValueIaiLi1EEEvNS_4cuda6detail10TensorInfoIKT_T0_EES8_S8_S8_S8_NS5_IS6_S8_EENS5_IlS8_EE
		.amdhsa_group_segment_fixed_size 4112
		.amdhsa_private_segment_fixed_size 0
		.amdhsa_kernarg_size 920
		.amdhsa_user_sgpr_count 13
		.amdhsa_user_sgpr_dispatch_ptr 0
		.amdhsa_user_sgpr_queue_ptr 0
		.amdhsa_user_sgpr_kernarg_segment_ptr 1
		.amdhsa_user_sgpr_dispatch_id 0
		.amdhsa_user_sgpr_private_segment_size 0
		.amdhsa_wavefront_size32 1
		.amdhsa_uses_dynamic_stack 0
		.amdhsa_enable_private_segment 0
		.amdhsa_system_sgpr_workgroup_id_x 1
		.amdhsa_system_sgpr_workgroup_id_y 1
		.amdhsa_system_sgpr_workgroup_id_z 1
		.amdhsa_system_sgpr_workgroup_info 0
		.amdhsa_system_vgpr_workitem_id 0
		.amdhsa_next_free_vgpr 36
		.amdhsa_next_free_sgpr 80
		.amdhsa_reserve_vcc 1
		.amdhsa_float_round_mode_32 0
		.amdhsa_float_round_mode_16_64 0
		.amdhsa_float_denorm_mode_32 3
		.amdhsa_float_denorm_mode_16_64 3
		.amdhsa_dx10_clamp 1
		.amdhsa_ieee_mode 1
		.amdhsa_fp16_overflow 0
		.amdhsa_workgroup_processor_mode 1
		.amdhsa_memory_ordered 1
		.amdhsa_forward_progress 0
		.amdhsa_shared_vgpr_count 0
		.amdhsa_exception_fp_ieee_invalid_op 0
		.amdhsa_exception_fp_denorm_src 0
		.amdhsa_exception_fp_ieee_div_zero 0
		.amdhsa_exception_fp_ieee_overflow 0
		.amdhsa_exception_fp_ieee_underflow 0
		.amdhsa_exception_fp_ieee_inexact 0
		.amdhsa_exception_int_div_zero 0
	.end_amdhsa_kernel
	.section	.text._ZN2at6native12_GLOBAL__N_114gatherKthValueIaiLi1EEEvNS_4cuda6detail10TensorInfoIKT_T0_EES8_S8_S8_S8_NS5_IS6_S8_EENS5_IlS8_EE,"axG",@progbits,_ZN2at6native12_GLOBAL__N_114gatherKthValueIaiLi1EEEvNS_4cuda6detail10TensorInfoIKT_T0_EES8_S8_S8_S8_NS5_IS6_S8_EENS5_IlS8_EE,comdat
.Lfunc_end8:
	.size	_ZN2at6native12_GLOBAL__N_114gatherKthValueIaiLi1EEEvNS_4cuda6detail10TensorInfoIKT_T0_EES8_S8_S8_S8_NS5_IS6_S8_EENS5_IlS8_EE, .Lfunc_end8-_ZN2at6native12_GLOBAL__N_114gatherKthValueIaiLi1EEEvNS_4cuda6detail10TensorInfoIKT_T0_EES8_S8_S8_S8_NS5_IS6_S8_EENS5_IlS8_EE
                                        ; -- End function
	.section	.AMDGPU.csdata,"",@progbits
; Kernel info:
; codeLenInByte = 9708
; NumSgprs: 82
; NumVgprs: 36
; ScratchSize: 0
; MemoryBound: 0
; FloatMode: 240
; IeeeMode: 1
; LDSByteSize: 4112 bytes/workgroup (compile time only)
; SGPRBlocks: 10
; VGPRBlocks: 4
; NumSGPRsForWavesPerEU: 82
; NumVGPRsForWavesPerEU: 36
; Occupancy: 16
; WaveLimiterHint : 1
; COMPUTE_PGM_RSRC2:SCRATCH_EN: 0
; COMPUTE_PGM_RSRC2:USER_SGPR: 13
; COMPUTE_PGM_RSRC2:TRAP_HANDLER: 0
; COMPUTE_PGM_RSRC2:TGID_X_EN: 1
; COMPUTE_PGM_RSRC2:TGID_Y_EN: 1
; COMPUTE_PGM_RSRC2:TGID_Z_EN: 1
; COMPUTE_PGM_RSRC2:TIDIG_COMP_CNT: 0
	.section	.text._ZN2at6native12_GLOBAL__N_114gatherKthValueIaiLi2EEEvNS_4cuda6detail10TensorInfoIKT_T0_EES8_S8_S8_S8_NS5_IS6_S8_EENS5_IlS8_EE,"axG",@progbits,_ZN2at6native12_GLOBAL__N_114gatherKthValueIaiLi2EEEvNS_4cuda6detail10TensorInfoIKT_T0_EES8_S8_S8_S8_NS5_IS6_S8_EENS5_IlS8_EE,comdat
	.globl	_ZN2at6native12_GLOBAL__N_114gatherKthValueIaiLi2EEEvNS_4cuda6detail10TensorInfoIKT_T0_EES8_S8_S8_S8_NS5_IS6_S8_EENS5_IlS8_EE ; -- Begin function _ZN2at6native12_GLOBAL__N_114gatherKthValueIaiLi2EEEvNS_4cuda6detail10TensorInfoIKT_T0_EES8_S8_S8_S8_NS5_IS6_S8_EENS5_IlS8_EE
	.p2align	8
	.type	_ZN2at6native12_GLOBAL__N_114gatherKthValueIaiLi2EEEvNS_4cuda6detail10TensorInfoIKT_T0_EES8_S8_S8_S8_NS5_IS6_S8_EENS5_IlS8_EE,@function
_ZN2at6native12_GLOBAL__N_114gatherKthValueIaiLi2EEEvNS_4cuda6detail10TensorInfoIKT_T0_EES8_S8_S8_S8_NS5_IS6_S8_EENS5_IlS8_EE: ; @_ZN2at6native12_GLOBAL__N_114gatherKthValueIaiLi2EEEvNS_4cuda6detail10TensorInfoIKT_T0_EES8_S8_S8_S8_NS5_IS6_S8_EENS5_IlS8_EE
; %bb.0:
	s_clause 0x1
	s_load_b64 s[4:5], s[0:1], 0x298
	s_load_b128 s[36:39], s[0:1], 0xd8
	s_add_u32 s2, s0, 0x298
	s_addc_u32 s3, s1, 0
	s_waitcnt lgkmcnt(0)
	s_mul_i32 s5, s5, s15
	s_delay_alu instid0(SALU_CYCLE_1) | instskip(NEXT) | instid1(SALU_CYCLE_1)
	s_add_i32 s5, s5, s14
	s_mul_i32 s29, s5, s4
	s_delay_alu instid0(SALU_CYCLE_1) | instskip(NEXT) | instid1(SALU_CYCLE_1)
	s_add_i32 s29, s29, s13
	s_cmp_ge_i32 s29, s38
	s_cbranch_scc1 .LBB9_263
; %bb.1:
	s_clause 0x8
	s_load_b32 s5, s[0:1], 0xc
	s_load_b32 s38, s[0:1], 0xf4
	;; [unrolled: 1-line block ×3, first 2 shown]
	s_load_b64 s[42:43], s[0:1], 0x154
	s_load_b64 s[34:35], s[0:1], 0xe8
	;; [unrolled: 1-line block ×6, first 2 shown]
	v_cmp_eq_u32_e64 s0, 0, v0
	s_abs_i32 s49, s29
	s_ashr_i32 s50, s29, 31
	s_mov_b32 s57, 0
	s_waitcnt lgkmcnt(0)
	s_abs_i32 s10, s5
	s_abs_i32 s51, s38
	;; [unrolled: 1-line block ×3, first 2 shown]
	v_cvt_f32_u32_e32 v1, s10
	v_cvt_f32_u32_e32 v2, s51
	;; [unrolled: 1-line block ×3, first 2 shown]
	s_sub_i32 s11, 0, s10
	s_sub_i32 s16, 0, s51
	v_rcp_iflag_f32_e32 v1, v1
	v_rcp_iflag_f32_e32 v2, v2
	;; [unrolled: 1-line block ×3, first 2 shown]
	s_sub_i32 s17, 0, s48
	s_ashr_i32 s1, s5, 31
	s_waitcnt_depctr 0xfff
	v_dual_mul_f32 v1, 0x4f7ffffe, v1 :: v_dual_mul_f32 v2, 0x4f7ffffe, v2
	v_mul_f32_e32 v3, 0x4f7ffffe, v3
	s_delay_alu instid0(VALU_DEP_2) | instskip(NEXT) | instid1(VALU_DEP_3)
	v_cvt_u32_f32_e32 v1, v1
	v_cvt_u32_f32_e32 v2, v2
	s_delay_alu instid0(VALU_DEP_3) | instskip(NEXT) | instid1(VALU_DEP_3)
	v_cvt_u32_f32_e32 v3, v3
	v_readfirstlane_b32 s12, v1
	s_delay_alu instid0(VALU_DEP_3) | instskip(NEXT) | instid1(VALU_DEP_3)
	v_readfirstlane_b32 s14, v2
	v_readfirstlane_b32 s15, v3
	s_delay_alu instid0(VALU_DEP_3) | instskip(NEXT) | instid1(VALU_DEP_2)
	s_mul_i32 s11, s11, s12
	s_mul_i32 s16, s16, s14
	s_delay_alu instid0(VALU_DEP_1)
	s_mul_i32 s17, s17, s15
	s_mul_hi_u32 s11, s12, s11
	s_mul_hi_u32 s16, s14, s16
	;; [unrolled: 1-line block ×3, first 2 shown]
	s_add_i32 s12, s12, s11
	s_add_i32 s14, s14, s16
	;; [unrolled: 1-line block ×3, first 2 shown]
	s_mul_hi_u32 s11, s49, s12
	s_mul_hi_u32 s54, s49, s14
	s_mul_hi_u32 s52, s49, s15
	s_and_saveexec_b32 s12, s0
	s_cbranch_execz .LBB9_3
; %bb.2:
	v_dual_mov_b32 v1, 0 :: v_dual_mov_b32 v2, s36
	s_delay_alu instid0(VALU_DEP_1)
	v_mov_b32_e32 v3, v1
	ds_store_b96 v1, v[1:3] offset:4096
.LBB9_3:
	s_or_b32 exec_lo, exec_lo, s12
	s_mul_i32 s12, s11, s10
	s_ashr_i32 s55, s38, 31
	s_sub_i32 s12, s49, s12
	s_ashr_i32 s53, s33, 31
	s_xor_b32 s1, s50, s1
	s_add_i32 s14, s11, 1
	s_sub_i32 s15, s12, s10
	s_cmp_ge_u32 s12, s10
	s_waitcnt lgkmcnt(0)
	s_cselect_b32 s11, s14, s11
	s_cselect_b32 s12, s15, s12
	s_barrier
	buffer_gl0_inv
	s_load_b32 s15, s[2:3], 0xc
	s_add_i32 s14, s11, 1
	s_cmp_ge_u32 s12, s10
	v_mbcnt_lo_u32_b32 v12, -1, 0
	s_cselect_b32 s10, s14, s11
	v_cmp_gt_u32_e32 vcc_lo, 32, v0
	s_xor_b32 s10, s10, s1
	v_mul_lo_u32 v11, v0, s39
	s_sub_i32 s1, s10, s1
	v_dual_mov_b32 v22, 0 :: v_dual_lshlrev_b32 v13, 2, v0
	s_mul_i32 s5, s1, s5
	s_mul_i32 s1, s1, s8
	s_sub_i32 s5, s29, s5
	v_lshrrev_b32_e32 v3, 3, v0
	s_mul_i32 s5, s5, s9
	s_mov_b32 s10, s39
	s_add_i32 s1, s1, s5
	v_mad_u64_u32 v[9:10], null, s39, v13, s[10:11]
	s_ashr_i32 s5, s1, 31
	s_add_u32 s44, s6, s1
	s_addc_u32 s45, s7, s5
	s_waitcnt lgkmcnt(0)
	s_and_b32 s56, s15, 0xffff
	v_cmp_gt_i32_e64 s1, 4, v12
	s_lshl_b32 s58, s56, 2
	s_add_i32 s60, s56, -1
	v_cvt_f32_u32_e32 v1, s58
	s_bfe_u32 s5, s15, 0xb0005
	s_and_b32 s61, vcc_lo, s1
	s_add_i32 s71, s60, s36
	s_cmpk_gt_i32 s36, 0xc00
	v_rcp_iflag_f32_e32 v1, v1
	s_cselect_b32 s62, -1, 0
	s_cmp_gt_u32 s56, 31
	v_dual_mov_b32 v21, 0 :: v_dual_and_b32 v14, 0x7c, v3
	s_cselect_b32 s63, -1, 0
	s_cmp_lt_u32 s13, s4
	v_add_co_u32 v5, s4, s44, v11
	s_cselect_b32 s1, 12, 18
	s_waitcnt_depctr 0xfff
	v_mul_f32_e32 v1, 0x4f7ffffe, v1
	s_add_u32 s46, s2, s1
	s_addc_u32 s47, s3, 0
	s_add_i32 s1, s5, -1
	s_bfe_u32 s64, s56, 0x30005
	v_cvt_u32_f32_e32 v1, v1
	s_cmp_gt_u32 s1, 6
	v_add_co_ci_u32_e64 v6, null, s45, 0, s4
	s_cselect_b32 s65, -1, 0
	s_delay_alu instid0(VALU_DEP_2)
	v_readfirstlane_b32 s2, v1
	v_cvt_f32_u32_e32 v1, s56
	s_and_b32 s66, s5, 0x7f8
	s_cmp_lg_u32 s64, 0
	v_or_b32_e32 v3, 3, v13
	s_cselect_b32 s67, -1, 0
	v_rcp_iflag_f32_e32 v1, v1
	s_sub_i32 s1, 0, s58
	v_lshlrev_b32_e32 v18, 2, v11
	s_mul_i32 s1, s1, s2
	v_mul_lo_u32 v17, s39, v3
	s_mul_hi_u32 s3, s2, s1
	v_cmp_gt_u32_e64 s1, 2, v0
	s_add_i32 s68, s2, s3
	v_cmp_eq_u32_e64 s2, 0, v12
	s_mul_hi_u32 s3, s36, s68
	s_waitcnt_depctr 0xfff
	v_mul_f32_e32 v1, 0x4f7ffffe, v1
	s_mul_i32 s3, s3, s58
	v_lshl_or_b32 v20, v12, 2, 0xc00
	s_sub_i32 s4, s36, s3
	v_cmp_gt_u32_e64 s3, s36, v0
	s_sub_i32 s5, s4, s58
	v_cvt_u32_f32_e32 v1, v1
	s_cmp_ge_u32 s4, s58
	s_mul_i32 s59, s39, s56
	s_cselect_b32 s5, s5, s4
	v_cmp_gt_i32_e64 s4, s36, v0
	s_sub_i32 s6, s5, s58
	v_readfirstlane_b32 s7, v1
	s_cmp_ge_u32 s5, s58
	v_lshlrev_b64 v[1:2], v12, -1
	s_cselect_b32 s9, s6, s5
	s_sub_i32 s5, 0, s56
	s_sub_i32 s70, s36, s9
	s_mul_i32 s5, s5, s7
	v_add_nc_u32_e32 v16, s70, v0
	s_mul_hi_u32 s5, s7, s5
	s_abs_i32 s6, s71
	s_add_i32 s69, s7, s5
	v_not_b32_e32 v15, v1
	s_mul_hi_u32 s5, s6, s69
	v_mul_lo_u32 v1, v16, s39
	s_mul_i32 s5, s5, s56
	s_ashr_i32 s7, s71, 31
	s_sub_i32 s5, s6, s5
	s_mov_b32 s72, 6
	s_sub_i32 s6, s5, s56
	s_cmp_ge_u32 s5, s56
	s_mov_b32 s79, 0
	s_cselect_b32 s6, s6, s5
	v_ashrrev_i32_e32 v2, 31, v1
	v_add_co_u32 v7, vcc_lo, s44, v1
	v_add3_u32 v1, s56, s36, v0
	s_sub_i32 s8, s6, s56
	s_cmp_ge_u32 s6, s56
	v_add_co_ci_u32_e32 v8, vcc_lo, s45, v2, vcc_lo
	s_cselect_b32 s8, s8, s6
	v_or_b32_e32 v2, 2, v13
	v_subrev_nc_u32_e32 v1, s9, v1
	s_xor_b32 s8, s8, s7
	v_cmp_gt_i32_e64 s5, s70, v13
	s_sub_i32 s7, s7, s8
	v_mul_lo_u32 v10, s39, v2
	v_mul_lo_u32 v19, s39, v1
	s_add_i32 s71, s71, s7
	v_cmp_gt_u32_e64 s6, s36, v16
	v_cmp_gt_i32_e64 s7, s36, v16
	v_cmp_gt_i32_e64 s8, s71, v0
	s_lshl_b32 s73, s59, 2
	s_mov_b32 s81, 0
	s_mov_b32 s82, 0
                                        ; implicit-def: $sgpr74
                                        ; implicit-def: $sgpr76
                                        ; implicit-def: $sgpr75
                                        ; implicit-def: $sgpr78
                                        ; implicit-def: $sgpr80
                                        ; implicit-def: $sgpr77
	s_branch .LBB9_8
.LBB9_4:                                ;   in Loop: Header=BB9_8 Depth=1
	s_xor_b32 s79, s79, 1
	s_add_i32 s13, s72, -2
	s_cmp_eq_u32 s72, 0
	s_mov_b32 s9, 0
	s_cselect_b32 s11, -1, 0
	s_mov_b32 s72, s13
.LBB9_5:                                ;   in Loop: Header=BB9_8 Depth=1
	s_and_not1_b32 s13, s15, exec_lo
	s_and_b32 s9, s9, exec_lo
	s_and_not1_b32 s17, s17, exec_lo
	s_or_b32 s15, s13, s9
	s_and_not1_b32 s14, s14, exec_lo
	s_or_not1_b32 s13, s11, exec_lo
	s_mov_b32 s37, s22
.LBB9_6:                                ;   in Loop: Header=BB9_8 Depth=1
	s_or_b32 exec_lo, exec_lo, s10
	s_delay_alu instid0(SALU_CYCLE_1)
	s_and_not1_b32 s9, s77, exec_lo
	s_and_b32 s10, s15, exec_lo
	s_and_not1_b32 s11, s78, exec_lo
	s_or_b32 s77, s9, s10
	s_and_not1_b32 s9, s80, exec_lo
	s_and_b32 s10, s17, exec_lo
	s_and_b32 s14, s14, exec_lo
	s_or_b32 s80, s9, s10
	s_or_b32 s78, s11, s14
	s_or_not1_b32 s14, s13, exec_lo
.LBB9_7:                                ;   in Loop: Header=BB9_8 Depth=1
	s_or_b32 exec_lo, exec_lo, s12
	s_delay_alu instid0(SALU_CYCLE_1)
	s_and_b32 s9, exec_lo, s14
	v_mov_b32_e32 v1, s81
	s_or_b32 s57, s9, s57
	s_and_not1_b32 s9, s75, exec_lo
	s_and_b32 s10, s77, exec_lo
	s_and_not1_b32 s11, s74, exec_lo
	s_or_b32 s75, s9, s10
	s_and_not1_b32 s9, s76, exec_lo
	s_and_b32 s10, s80, exec_lo
	s_and_b32 s12, s78, exec_lo
	s_or_b32 s76, s9, s10
	s_or_b32 s74, s11, s12
	s_and_not1_b32 exec_lo, exec_lo, s57
	s_cbranch_execz .LBB9_239
.LBB9_8:                                ; =>This Loop Header: Depth=1
                                        ;     Child Loop BB9_13 Depth 2
                                        ;     Child Loop BB9_32 Depth 2
	;; [unrolled: 1-line block ×16, first 2 shown]
	ds_load_b64 v[1:2], v21 offset:4096
	s_waitcnt lgkmcnt(0)
	v_readfirstlane_b32 s83, v1
	s_delay_alu instid0(VALU_DEP_1)
	s_cmp_gt_i32 s83, 0
	s_cbranch_scc1 .LBB9_39
; %bb.9:                                ;   in Loop: Header=BB9_8 Depth=1
	s_and_b32 vcc_lo, exec_lo, s62
	s_cbranch_vccz .LBB9_21
; %bb.10:                               ;   in Loop: Header=BB9_8 Depth=1
	v_cmp_gt_i32_e32 vcc_lo, 0xc01, v2
	s_mov_b32 s10, 0
	s_mov_b32 s9, 0
	s_cbranch_vccz .LBB9_26
; %bb.11:                               ;   in Loop: Header=BB9_8 Depth=1
	global_load_u16 v1, v21, s[46:47]
	global_load_u8 v23, v[5:6], off
	v_mov_b32_e32 v4, v0
	s_mov_b32 s11, 0
	s_waitcnt vmcnt(1)
	v_add_nc_u32_e32 v2, v0, v1
	v_mul_lo_u32 v3, s39, v1
	s_delay_alu instid0(VALU_DEP_2)
	v_mul_lo_u32 v2, s39, v2
	s_branch .LBB9_13
.LBB9_12:                               ;   in Loop: Header=BB9_13 Depth=2
	s_or_b32 exec_lo, exec_lo, s9
	v_cmp_le_i32_e32 vcc_lo, s36, v4
	v_dual_mov_b32 v23, v24 :: v_dual_add_nc_u32 v2, v2, v3
	s_or_b32 s11, vcc_lo, s11
	s_delay_alu instid0(SALU_CYCLE_1)
	s_and_not1_b32 exec_lo, exec_lo, s11
	s_cbranch_execz .LBB9_22
.LBB9_13:                               ;   Parent Loop BB9_8 Depth=1
                                        ; =>  This Inner Loop Header: Depth=2
	s_waitcnt lgkmcnt(0)
	v_dual_mov_b32 v25, 0 :: v_dual_add_nc_u32 v4, v4, v1
	v_mov_b32_e32 v24, 0
	s_mov_b32 s9, exec_lo
	s_delay_alu instid0(VALU_DEP_2)
	v_cmpx_gt_u32_e64 s36, v4
	s_cbranch_execz .LBB9_15
; %bb.14:                               ;   in Loop: Header=BB9_13 Depth=2
	global_load_u8 v24, v2, s[44:45]
.LBB9_15:                               ;   in Loop: Header=BB9_13 Depth=2
	s_or_b32 exec_lo, exec_lo, s9
	s_waitcnt vmcnt(0)
	v_bfe_i32 v26, v23, 0, 8
	s_delay_alu instid0(VALU_DEP_1) | instskip(NEXT) | instid1(VALU_DEP_1)
	v_add_nc_u32_e32 v26, 0x80, v26
	v_and_b32_e32 v26, s82, v26
	s_delay_alu instid0(VALU_DEP_1) | instskip(SKIP_2) | instid1(SALU_CYCLE_1)
	v_cmp_eq_u32_e32 vcc_lo, s81, v26
	s_cmp_lg_u32 vcc_lo, 0
	s_cselect_b32 s9, -1, 0
	s_and_b32 s9, s2, s9
	s_delay_alu instid0(SALU_CYCLE_1)
	s_and_saveexec_b32 s12, s9
	s_cbranch_execz .LBB9_19
; %bb.16:                               ;   in Loop: Header=BB9_13 Depth=2
	s_mov_b32 s15, exec_lo
	s_bcnt1_i32_b32 s13, vcc_lo
	v_mbcnt_lo_u32_b32 v25, s15, 0
	s_mov_b32 s14, exec_lo
                                        ; implicit-def: $vgpr26
	s_delay_alu instid0(VALU_DEP_1)
	v_cmpx_eq_u32_e32 0, v25
	s_cbranch_execz .LBB9_18
; %bb.17:                               ;   in Loop: Header=BB9_13 Depth=2
	s_bcnt1_i32_b32 s9, s15
	s_delay_alu instid0(SALU_CYCLE_1) | instskip(NEXT) | instid1(SALU_CYCLE_1)
	s_mul_i32 s9, s13, s9
	v_mov_b32_e32 v26, s9
	ds_add_rtn_u32 v26, v21, v26 offset:4104
.LBB9_18:                               ;   in Loop: Header=BB9_13 Depth=2
	s_or_b32 exec_lo, exec_lo, s14
	s_waitcnt lgkmcnt(0)
	v_readfirstlane_b32 s9, v26
	s_delay_alu instid0(VALU_DEP_1)
	v_mad_u32_u24 v25, s13, v25, s9
.LBB9_19:                               ;   in Loop: Header=BB9_13 Depth=2
	s_or_b32 exec_lo, exec_lo, s12
	ds_bpermute_b32 v25, v21, v25
	s_and_saveexec_b32 s9, vcc_lo
	s_cbranch_execz .LBB9_12
; %bb.20:                               ;   in Loop: Header=BB9_13 Depth=2
	v_and_b32_e32 v26, vcc_lo, v15
	s_waitcnt lgkmcnt(0)
	s_delay_alu instid0(VALU_DEP_1)
	v_bcnt_u32_b32 v25, v26, v25
	ds_store_b8 v25, v23
	s_branch .LBB9_12
.LBB9_21:                               ;   in Loop: Header=BB9_8 Depth=1
	s_mov_b32 s10, -1
	s_mov_b32 s9, 0
	s_branch .LBB9_25
.LBB9_22:                               ;   in Loop: Header=BB9_8 Depth=1
	s_or_b32 exec_lo, exec_lo, s11
	s_waitcnt lgkmcnt(0)
	s_barrier
	buffer_gl0_inv
	s_and_saveexec_b32 s9, s0
	s_cbranch_execz .LBB9_24
; %bb.23:                               ;   in Loop: Header=BB9_8 Depth=1
	ds_load_b32 v1, v21 offset:4104
	s_waitcnt lgkmcnt(0)
	ds_store_b32 v21, v1 offset:4096
.LBB9_24:                               ;   in Loop: Header=BB9_8 Depth=1
	s_or_b32 exec_lo, exec_lo, s9
	s_waitcnt lgkmcnt(0)
	s_mov_b32 s9, -1
	s_barrier
.LBB9_25:                               ;   in Loop: Header=BB9_8 Depth=1
                                        ; implicit-def: $sgpr83
.LBB9_26:                               ;   in Loop: Header=BB9_8 Depth=1
	s_and_b32 vcc_lo, exec_lo, s10
	s_cbranch_vccz .LBB9_37
; %bb.27:                               ;   in Loop: Header=BB9_8 Depth=1
	v_mov_b32_e32 v1, 0
	s_and_saveexec_b32 s9, s3
	s_cbranch_execz .LBB9_29
; %bb.28:                               ;   in Loop: Header=BB9_8 Depth=1
	global_load_u8 v1, v[5:6], off
.LBB9_29:                               ;   in Loop: Header=BB9_8 Depth=1
	s_or_b32 exec_lo, exec_lo, s9
	s_and_saveexec_b32 s9, s4
	s_cbranch_execz .LBB9_34
; %bb.30:                               ;   in Loop: Header=BB9_8 Depth=1
	global_load_u16 v2, v21, s[46:47]
	v_mov_b32_e32 v23, v0
	s_mov_b32 s10, 0
	s_waitcnt vmcnt(0)
	v_add_nc_u32_e32 v3, v0, v2
	v_mul_lo_u32 v4, s39, v2
	s_delay_alu instid0(VALU_DEP_2)
	v_mul_lo_u32 v3, s39, v3
	s_branch .LBB9_32
	.p2align	6
.LBB9_31:                               ;   in Loop: Header=BB9_32 Depth=2
	s_or_b32 exec_lo, exec_lo, s11
	v_cmp_le_i32_e32 vcc_lo, s36, v24
	ds_store_b8 v23, v1
	v_add_nc_u32_e32 v3, v3, v4
	s_waitcnt vmcnt(0)
	v_mov_b32_e32 v1, v25
	v_mov_b32_e32 v23, v24
	s_or_b32 s10, vcc_lo, s10
	s_delay_alu instid0(SALU_CYCLE_1)
	s_and_not1_b32 exec_lo, exec_lo, s10
	s_cbranch_execz .LBB9_34
.LBB9_32:                               ;   Parent Loop BB9_8 Depth=1
                                        ; =>  This Inner Loop Header: Depth=2
	s_delay_alu instid0(VALU_DEP_1) | instskip(SKIP_1) | instid1(VALU_DEP_1)
	v_dual_mov_b32 v25, 0 :: v_dual_add_nc_u32 v24, v23, v2
	s_mov_b32 s11, exec_lo
	v_cmpx_gt_u32_e64 s36, v24
	s_cbranch_execz .LBB9_31
; %bb.33:                               ;   in Loop: Header=BB9_32 Depth=2
	global_load_u8 v25, v3, s[44:45]
	s_branch .LBB9_31
.LBB9_34:                               ;   in Loop: Header=BB9_8 Depth=1
	s_or_b32 exec_lo, exec_lo, s9
	s_waitcnt vmcnt(0) lgkmcnt(0)
	s_barrier
	buffer_gl0_inv
	s_and_saveexec_b32 s9, s0
	s_cbranch_execz .LBB9_36
; %bb.35:                               ;   in Loop: Header=BB9_8 Depth=1
	v_mov_b32_e32 v1, s36
	ds_store_b32 v21, v1 offset:4096
.LBB9_36:                               ;   in Loop: Header=BB9_8 Depth=1
	s_or_b32 exec_lo, exec_lo, s9
	s_mov_b32 s9, -1
	s_waitcnt lgkmcnt(0)
	s_barrier
                                        ; implicit-def: $sgpr83
.LBB9_37:                               ;   in Loop: Header=BB9_8 Depth=1
	s_and_b32 vcc_lo, exec_lo, s9
	s_cbranch_vccz .LBB9_39
; %bb.38:                               ;   in Loop: Header=BB9_8 Depth=1
	buffer_gl0_inv
	ds_load_b32 v1, v21 offset:4096
	s_waitcnt lgkmcnt(0)
	v_readfirstlane_b32 s83, v1
.LBB9_39:                               ;   in Loop: Header=BB9_8 Depth=1
	s_delay_alu instid0(VALU_DEP_1)
	s_cmp_lt_i32 s83, 1
	s_cbranch_scc0 .LBB9_43
; %bb.40:                               ;   in Loop: Header=BB9_8 Depth=1
	v_dual_mov_b32 v1, 0 :: v_dual_mov_b32 v2, 0
	v_dual_mov_b32 v3, 0 :: v_dual_mov_b32 v4, 0
	s_mov_b32 s85, 0
	s_and_saveexec_b32 s84, s5
	s_cbranch_execnz .LBB9_44
; %bb.41:                               ;   in Loop: Header=BB9_8 Depth=1
	s_or_b32 exec_lo, exec_lo, s84
	v_mov_b32_e32 v25, 0
	s_and_saveexec_b32 s9, s6
	s_cbranch_execnz .LBB9_47
.LBB9_42:                               ;   in Loop: Header=BB9_8 Depth=1
	s_or_b32 exec_lo, exec_lo, s9
	s_and_saveexec_b32 s13, s7
	s_cbranch_execnz .LBB9_48
	s_branch .LBB9_53
.LBB9_43:                               ;   in Loop: Header=BB9_8 Depth=1
                                        ; implicit-def: $vgpr4
	s_cbranch_execnz .LBB9_54
	s_branch .LBB9_63
.LBB9_44:                               ;   in Loop: Header=BB9_8 Depth=1
	v_mov_b32_e32 v23, v13
	s_and_b32 s86, s72, 0xfe
	s_mov_b32 s87, 0
	s_mov_b32 s88, 0
	s_mov_b32 s89, 0
	s_mov_b32 s90, 0
	s_mov_b32 s91, 0
.LBB9_45:                               ;   Parent Loop BB9_8 Depth=1
                                        ; =>  This Inner Loop Header: Depth=2
	v_add_nc_u32_e32 v2, s87, v18
	v_add_nc_u32_e32 v1, s87, v9
	v_add_nc_u32_e32 v3, s87, v10
	v_add_nc_u32_e32 v4, s87, v17
	v_add_nc_u32_e32 v23, s58, v23
	v_ashrrev_i32_e32 v25, 31, v2
	v_ashrrev_i32_e32 v28, 31, v1
	;; [unrolled: 1-line block ×4, first 2 shown]
	v_add_co_u32 v26, s11, s44, v2
	v_add_co_u32 v1, vcc_lo, s44, v1
	v_add_co_u32 v3, s9, s44, v3
	v_add_co_ci_u32_e64 v27, s11, s45, v25, s11
	v_add_co_u32 v24, s10, s44, v4
	v_add_co_ci_u32_e32 v2, vcc_lo, s45, v28, vcc_lo
	v_add_co_ci_u32_e64 v4, vcc_lo, s45, v29, s9
	v_add_co_ci_u32_e64 v25, vcc_lo, s45, v30, s10
	s_clause 0x3
	global_load_i8 v26, v[26:27], off
	global_load_i8 v1, v[1:2], off
	;; [unrolled: 1-line block ×4, first 2 shown]
	v_cmp_le_i32_e32 vcc_lo, s70, v23
	s_add_i32 s87, s87, s73
	s_waitcnt vmcnt(3)
	v_add_nc_u32_e32 v4, 0x80, v26
	s_waitcnt vmcnt(2)
	v_add_nc_u32_e32 v1, 0x80, v1
	;; [unrolled: 2-line block ×4, first 2 shown]
	v_and_b32_e32 v24, s82, v4
	v_bfe_u32 v4, v4, s86, 2
	v_and_b32_e32 v25, s82, v1
	v_bfe_u32 v1, v1, s86, 2
	;; [unrolled: 2-line block ×3, first 2 shown]
	v_cmp_eq_u32_e64 s9, s81, v24
	v_cmp_eq_u32_e64 s13, 0, v4
	v_and_b32_e32 v27, s82, v3
	v_bfe_u32 v3, v3, s86, 2
	v_cmp_eq_u32_e64 s10, s81, v25
	v_cmp_eq_u32_e64 s14, 0, v1
	;; [unrolled: 1-line block ×4, first 2 shown]
	s_and_b32 s13, s9, s13
	v_cmp_eq_u32_e64 s12, s81, v27
	v_cmp_eq_u32_e64 s16, 0, v3
	;; [unrolled: 1-line block ×5, first 2 shown]
	v_cndmask_b32_e64 v1, 0, 1, s13
	s_and_b32 s13, s10, s14
	v_cmp_eq_u32_e64 s17, 1, v4
	v_cmp_eq_u32_e64 s19, 1, v2
	;; [unrolled: 1-line block ×4, first 2 shown]
	v_cndmask_b32_e64 v2, 0, 1, s13
	s_and_b32 s13, s11, s15
	v_cmp_eq_u32_e64 s20, 1, v3
	v_cmp_eq_u32_e64 s24, 2, v3
	;; [unrolled: 1-line block ×3, first 2 shown]
	v_cndmask_b32_e64 v3, 0, 1, s13
	s_and_b32 s13, s12, s16
	v_cmp_eq_u32_e64 s21, 2, v4
	v_cmp_eq_u32_e64 s25, 3, v4
	v_cndmask_b32_e64 v4, 0, 1, s13
	s_and_b32 s13, s9, s17
	s_delay_alu instid0(SALU_CYCLE_1) | instskip(SKIP_1) | instid1(SALU_CYCLE_1)
	v_cndmask_b32_e64 v24, 0, 1, s13
	s_and_b32 s13, s10, s18
	v_cndmask_b32_e64 v25, 0, 1, s13
	s_and_b32 s13, s11, s19
	s_delay_alu instid0(SALU_CYCLE_1) | instskip(SKIP_1) | instid1(VALU_DEP_2)
	v_cndmask_b32_e64 v26, 0, 1, s13
	s_and_b32 s13, s12, s20
	v_cmp_ne_u32_e64 s14, 0, v25
	v_cndmask_b32_e64 v27, 0, 1, s13
	s_and_b32 s13, s9, s21
	s_and_b32 s9, s9, s25
	v_cndmask_b32_e64 v28, 0, 1, s13
	s_and_b32 s13, s10, s22
	v_cndmask_b32_e64 v32, 0, 1, s9
	;; [unrolled: 2-line block ×7, first 2 shown]
	v_cndmask_b32_e64 v35, 0, 1, s9
	v_cmp_ne_u32_e64 s9, 0, v1
	v_cmp_ne_u32_e64 s13, 0, v24
	;; [unrolled: 1-line block ×11, first 2 shown]
	s_bcnt1_i32_b32 s9, s9
	s_bcnt1_i32_b32 s13, s13
	;; [unrolled: 1-line block ×4, first 2 shown]
	v_cmp_ne_u32_e64 s12, 0, v4
	v_cmp_ne_u32_e64 s16, 0, v27
	;; [unrolled: 1-line block ×4, first 2 shown]
	s_bcnt1_i32_b32 s10, s10
	s_bcnt1_i32_b32 s14, s14
	s_bcnt1_i32_b32 s18, s18
	s_bcnt1_i32_b32 s22, s22
	s_add_i32 s9, s9, s91
	s_add_i32 s13, s13, s90
	s_add_i32 s17, s17, s89
	s_add_i32 s21, s21, s88
	s_bcnt1_i32_b32 s11, s11
	s_bcnt1_i32_b32 s15, s15
	s_bcnt1_i32_b32 s19, s19
	s_bcnt1_i32_b32 s23, s23
	s_add_i32 s9, s9, s10
	s_add_i32 s10, s13, s14
	s_add_i32 s13, s17, s18
	s_add_i32 s14, s21, s22
	;; [unrolled: 8-line block ×3, first 2 shown]
	s_add_i32 s91, s9, s12
	s_add_i32 s90, s10, s16
	;; [unrolled: 1-line block ×4, first 2 shown]
	v_mov_b32_e32 v3, s89
	v_dual_mov_b32 v1, s91 :: v_dual_mov_b32 v2, s90
	v_mov_b32_e32 v4, s88
	s_or_b32 s85, vcc_lo, s85
	s_delay_alu instid0(SALU_CYCLE_1)
	s_and_not1_b32 exec_lo, exec_lo, s85
	s_cbranch_execnz .LBB9_45
; %bb.46:                               ;   in Loop: Header=BB9_8 Depth=1
	s_or_b32 exec_lo, exec_lo, s85
	s_delay_alu instid0(SALU_CYCLE_1)
	s_or_b32 exec_lo, exec_lo, s84
	v_mov_b32_e32 v25, 0
	s_and_saveexec_b32 s9, s6
	s_cbranch_execz .LBB9_42
.LBB9_47:                               ;   in Loop: Header=BB9_8 Depth=1
	global_load_u8 v25, v[7:8], off
	s_or_b32 exec_lo, exec_lo, s9
	s_and_saveexec_b32 s13, s7
	s_cbranch_execz .LBB9_53
.LBB9_48:                               ;   in Loop: Header=BB9_8 Depth=1
	v_dual_mov_b32 v23, v19 :: v_dual_mov_b32 v24, v16
	s_and_b32 s15, s72, 0xfe
	s_mov_b32 s14, 0
	s_branch .LBB9_50
.LBB9_49:                               ;   in Loop: Header=BB9_50 Depth=2
	s_or_b32 exec_lo, exec_lo, s9
	s_waitcnt vmcnt(0)
	v_bfe_i32 v25, v25, 0, 8
	v_add_nc_u32_e32 v23, s59, v23
	s_delay_alu instid0(VALU_DEP_2) | instskip(NEXT) | instid1(VALU_DEP_1)
	v_add_nc_u32_e32 v25, 0x80, v25
	v_and_b32_e32 v27, s82, v25
	v_bfe_u32 v25, v25, s15, 2
	s_delay_alu instid0(VALU_DEP_2) | instskip(NEXT) | instid1(VALU_DEP_2)
	v_cmp_eq_u32_e32 vcc_lo, s81, v27
	v_cmp_eq_u32_e64 s9, 0, v25
	v_cmp_eq_u32_e64 s10, 1, v25
	;; [unrolled: 1-line block ×4, first 2 shown]
	s_delay_alu instid0(VALU_DEP_4) | instskip(NEXT) | instid1(SALU_CYCLE_1)
	s_and_b32 s9, vcc_lo, s9
	v_cndmask_b32_e64 v25, 0, 1, s9
	s_and_b32 s9, vcc_lo, s10
	s_delay_alu instid0(SALU_CYCLE_1) | instskip(SKIP_1) | instid1(SALU_CYCLE_1)
	v_cndmask_b32_e64 v27, 0, 1, s9
	s_and_b32 s9, vcc_lo, s11
	v_cndmask_b32_e64 v28, 0, 1, s9
	s_and_b32 s9, vcc_lo, s12
	v_cmp_ne_u32_e32 vcc_lo, 0, v25
	v_cndmask_b32_e64 v29, 0, 1, s9
	v_cmp_ne_u32_e64 s9, 0, v27
	v_cmp_ne_u32_e64 s10, 0, v28
	v_cmp_le_i32_e64 s12, s36, v24
	s_bcnt1_i32_b32 s16, vcc_lo
	v_cmp_ne_u32_e64 s11, 0, v29
	s_bcnt1_i32_b32 s9, s9
	s_bcnt1_i32_b32 s10, s10
	v_add_nc_u32_e32 v1, s16, v1
	v_dual_mov_b32 v25, v26 :: v_dual_add_nc_u32 v2, s9, v2
	s_bcnt1_i32_b32 s11, s11
	v_add_nc_u32_e32 v3, s10, v3
	v_add_nc_u32_e32 v4, s11, v4
	s_or_b32 s14, s12, s14
	s_delay_alu instid0(SALU_CYCLE_1)
	s_and_not1_b32 exec_lo, exec_lo, s14
	s_cbranch_execz .LBB9_52
.LBB9_50:                               ;   Parent Loop BB9_8 Depth=1
                                        ; =>  This Inner Loop Header: Depth=2
	s_delay_alu instid0(VALU_DEP_1) | instskip(SKIP_2) | instid1(VALU_DEP_2)
	v_add_nc_u32_e32 v24, s56, v24
	v_mov_b32_e32 v26, 0
	s_mov_b32 s9, exec_lo
	v_cmpx_gt_u32_e64 s36, v24
	s_cbranch_execz .LBB9_49
; %bb.51:                               ;   in Loop: Header=BB9_50 Depth=2
	v_ashrrev_i32_e32 v27, 31, v23
	v_add_co_u32 v26, vcc_lo, s44, v23
	s_delay_alu instid0(VALU_DEP_2)
	v_add_co_ci_u32_e32 v27, vcc_lo, s45, v27, vcc_lo
	global_load_u8 v26, v[26:27], off
	s_branch .LBB9_49
.LBB9_52:                               ;   in Loop: Header=BB9_8 Depth=1
	s_or_b32 exec_lo, exec_lo, s14
.LBB9_53:                               ;   in Loop: Header=BB9_8 Depth=1
	s_delay_alu instid0(SALU_CYCLE_1)
	s_or_b32 exec_lo, exec_lo, s13
	s_branch .LBB9_63
.LBB9_54:                               ;   in Loop: Header=BB9_8 Depth=1
	s_mul_hi_u32 s9, s83, s68
	v_dual_mov_b32 v1, 0 :: v_dual_mov_b32 v2, 0
	s_mul_i32 s9, s9, s58
	v_dual_mov_b32 v3, 0 :: v_dual_mov_b32 v4, 0
	s_sub_i32 s9, s83, s9
	s_mov_b32 s86, 0
	s_sub_i32 s10, s9, s58
	s_cmp_ge_u32 s9, s58
	s_mov_b32 s85, exec_lo
	s_cselect_b32 s9, s10, s9
	s_delay_alu instid0(SALU_CYCLE_1) | instskip(SKIP_2) | instid1(SALU_CYCLE_1)
	s_sub_i32 s10, s9, s58
	s_cmp_ge_u32 s9, s58
	s_cselect_b32 s9, s10, s9
	s_sub_i32 s84, s83, s9
	s_delay_alu instid0(SALU_CYCLE_1)
	v_cmpx_gt_u32_e64 s84, v13
	s_cbranch_execz .LBB9_58
; %bb.55:                               ;   in Loop: Header=BB9_8 Depth=1
	v_mov_b32_e32 v23, v13
	s_and_b32 s87, s72, 0xfe
	s_mov_b32 s88, 0
	s_mov_b32 s89, 0
	;; [unrolled: 1-line block ×4, first 2 shown]
.LBB9_56:                               ;   Parent Loop BB9_8 Depth=1
                                        ; =>  This Inner Loop Header: Depth=2
	ds_load_b32 v1, v23
	s_waitcnt lgkmcnt(0)
	v_bfe_i32 v2, v1, 0, 8
	v_bfe_i32 v3, v1, 8, 8
	;; [unrolled: 1-line block ×3, first 2 shown]
	v_ashrrev_i32_e32 v1, 24, v1
	s_delay_alu instid0(VALU_DEP_4) | instskip(NEXT) | instid1(VALU_DEP_4)
	v_add_nc_u32_e32 v2, 0x80, v2
	v_add_nc_u32_e32 v3, 0x80, v3
	s_delay_alu instid0(VALU_DEP_4) | instskip(NEXT) | instid1(VALU_DEP_4)
	v_add_nc_u32_e32 v4, 0x80, v4
	v_add_nc_u32_e32 v1, 0x80, v1
	s_delay_alu instid0(VALU_DEP_4)
	v_and_b32_e32 v24, s82, v2
	v_bfe_u32 v2, v2, s87, 2
	s_waitcnt vmcnt(0)
	v_and_b32_e32 v25, s82, v3
	v_bfe_u32 v3, v3, s87, 2
	v_and_b32_e32 v26, s82, v4
	v_bfe_u32 v4, v4, s87, 2
	v_cmp_eq_u32_e64 s9, s81, v24
	v_cmp_eq_u32_e64 s13, 0, v2
	v_and_b32_e32 v27, s82, v1
	v_bfe_u32 v1, v1, s87, 2
	v_cmp_eq_u32_e64 s10, s81, v25
	v_cmp_eq_u32_e64 s14, 0, v3
	;; [unrolled: 1-line block ×4, first 2 shown]
	s_and_b32 s13, s9, s13
	v_cmp_eq_u32_e64 s12, s81, v27
	v_cmp_eq_u32_e64 s16, 0, v1
	;; [unrolled: 1-line block ×5, first 2 shown]
	v_cndmask_b32_e64 v1, 0, 1, s13
	s_and_b32 s13, s10, s14
	v_cmp_eq_u32_e64 s17, 1, v2
	v_cmp_eq_u32_e64 s21, 2, v2
	v_cmp_eq_u32_e64 s25, 3, v2
	v_cndmask_b32_e64 v2, 0, 1, s13
	s_and_b32 s13, s11, s15
	v_cmp_eq_u32_e64 s18, 1, v3
	v_cmp_eq_u32_e64 s22, 2, v3
	v_cmp_eq_u32_e64 s26, 3, v3
	;; [unrolled: 5-line block ×3, first 2 shown]
	v_cndmask_b32_e64 v4, 0, 1, s13
	s_and_b32 s13, s9, s17
	s_delay_alu instid0(SALU_CYCLE_1) | instskip(SKIP_1) | instid1(SALU_CYCLE_1)
	v_cndmask_b32_e64 v24, 0, 1, s13
	s_and_b32 s13, s10, s18
	v_cndmask_b32_e64 v25, 0, 1, s13
	s_and_b32 s13, s11, s19
	s_delay_alu instid0(SALU_CYCLE_1) | instskip(SKIP_1) | instid1(VALU_DEP_2)
	v_cndmask_b32_e64 v26, 0, 1, s13
	s_and_b32 s13, s12, s20
	v_cmp_ne_u32_e64 s14, 0, v25
	v_cndmask_b32_e64 v27, 0, 1, s13
	s_and_b32 s13, s9, s21
	s_and_b32 s9, s9, s25
	v_cndmask_b32_e64 v28, 0, 1, s13
	s_and_b32 s13, s10, s22
	v_cndmask_b32_e64 v32, 0, 1, s9
	;; [unrolled: 2-line block ×7, first 2 shown]
	v_cndmask_b32_e64 v35, 0, 1, s9
	v_cmp_ne_u32_e64 s9, 0, v1
	v_cmp_ne_u32_e64 s13, 0, v24
	;; [unrolled: 1-line block ×6, first 2 shown]
	s_bcnt1_i32_b32 s9, s9
	s_bcnt1_i32_b32 s13, s13
	v_cmp_ne_u32_e64 s16, 0, v27
	v_cmp_ne_u32_e64 s18, 0, v29
	;; [unrolled: 1-line block ×3, first 2 shown]
	s_bcnt1_i32_b32 s10, s10
	s_bcnt1_i32_b32 s14, s14
	s_add_i32 s9, s9, s91
	s_add_i32 s13, s13, s90
	v_cmp_ne_u32_e64 s11, 0, v3
	v_cmp_ne_u32_e64 s19, 0, v30
	;; [unrolled: 1-line block ×3, first 2 shown]
	s_bcnt1_i32_b32 s15, s15
	s_add_i32 s9, s9, s10
	s_add_i32 s10, s13, s14
	s_bcnt1_i32_b32 s17, s17
	s_bcnt1_i32_b32 s21, s21
	v_cmp_ne_u32_e64 s12, 0, v4
	v_cmp_ne_u32_e64 s20, 0, v31
	;; [unrolled: 1-line block ×3, first 2 shown]
	s_bcnt1_i32_b32 s16, s16
	s_add_i32 s10, s10, s15
	s_bcnt1_i32_b32 s18, s18
	s_bcnt1_i32_b32 s22, s22
	s_add_i32 s17, s17, s89
	s_add_i32 s21, s21, s88
	;; [unrolled: 1-line block ×3, first 2 shown]
	s_delay_alu instid0(SALU_CYCLE_1)
	v_dual_mov_b32 v2, s90 :: v_dual_add_nc_u32 v23, s58, v23
	s_bcnt1_i32_b32 s11, s11
	s_bcnt1_i32_b32 s19, s19
	;; [unrolled: 1-line block ×3, first 2 shown]
	s_add_i32 s13, s17, s18
	s_add_i32 s14, s21, s22
	s_bcnt1_i32_b32 s12, s12
	s_bcnt1_i32_b32 s20, s20
	;; [unrolled: 1-line block ×3, first 2 shown]
	s_add_i32 s9, s9, s11
	s_add_i32 s11, s13, s19
	;; [unrolled: 1-line block ×3, first 2 shown]
	v_cmp_le_i32_e32 vcc_lo, s84, v23
	s_add_i32 s91, s9, s12
	s_add_i32 s89, s11, s20
	;; [unrolled: 1-line block ×3, first 2 shown]
	v_mov_b32_e32 v1, s91
	v_dual_mov_b32 v3, s89 :: v_dual_mov_b32 v4, s88
	s_or_b32 s86, vcc_lo, s86
	s_delay_alu instid0(SALU_CYCLE_1)
	s_and_not1_b32 exec_lo, exec_lo, s86
	s_cbranch_execnz .LBB9_56
; %bb.57:                               ;   in Loop: Header=BB9_8 Depth=1
	s_or_b32 exec_lo, exec_lo, s86
.LBB9_58:                               ;   in Loop: Header=BB9_8 Depth=1
	s_delay_alu instid0(SALU_CYCLE_1) | instskip(SKIP_2) | instid1(VALU_DEP_1)
	s_or_b32 exec_lo, exec_lo, s85
	v_add_nc_u32_e32 v23, s84, v0
	s_mov_b32 s14, exec_lo
	v_cmpx_gt_i32_e64 s83, v23
	s_cbranch_execz .LBB9_62
; %bb.59:                               ;   in Loop: Header=BB9_8 Depth=1
	s_and_b32 s16, s72, 0xfe
	s_mov_b32 s15, 0
.LBB9_60:                               ;   Parent Loop BB9_8 Depth=1
                                        ; =>  This Inner Loop Header: Depth=2
	ds_load_i8 v24, v23
	v_add_nc_u32_e32 v23, s56, v23
	s_delay_alu instid0(VALU_DEP_1) | instskip(SKIP_3) | instid1(VALU_DEP_1)
	v_cmp_le_i32_e32 vcc_lo, s83, v23
	s_waitcnt lgkmcnt(0)
	v_add_nc_u32_e32 v24, 0x80, v24
	s_waitcnt vmcnt(0)
	v_and_b32_e32 v25, s82, v24
	v_bfe_u32 v24, v24, s16, 2
	s_delay_alu instid0(VALU_DEP_2) | instskip(NEXT) | instid1(VALU_DEP_2)
	v_cmp_eq_u32_e64 s9, s81, v25
	v_cmp_eq_u32_e64 s10, 0, v24
	;; [unrolled: 1-line block ×5, first 2 shown]
	s_delay_alu instid0(VALU_DEP_4) | instskip(NEXT) | instid1(SALU_CYCLE_1)
	s_and_b32 s10, s9, s10
	v_cndmask_b32_e64 v24, 0, 1, s10
	s_and_b32 s10, s9, s11
	s_delay_alu instid0(SALU_CYCLE_1)
	v_cndmask_b32_e64 v25, 0, 1, s10
	s_and_b32 s10, s9, s12
	s_and_b32 s9, s9, s13
	v_cndmask_b32_e64 v26, 0, 1, s10
	v_cndmask_b32_e64 v27, 0, 1, s9
	v_cmp_ne_u32_e64 s9, 0, v24
	v_cmp_ne_u32_e64 s10, 0, v25
	s_delay_alu instid0(VALU_DEP_4) | instskip(NEXT) | instid1(VALU_DEP_4)
	v_cmp_ne_u32_e64 s11, 0, v26
	v_cmp_ne_u32_e64 s12, 0, v27
	s_delay_alu instid0(VALU_DEP_4) | instskip(NEXT) | instid1(VALU_DEP_3)
	s_bcnt1_i32_b32 s9, s9
	s_bcnt1_i32_b32 s10, s10
	v_add_nc_u32_e32 v1, s9, v1
	s_bcnt1_i32_b32 s11, s11
	s_bcnt1_i32_b32 s12, s12
	v_add_nc_u32_e32 v2, s10, v2
	v_add_nc_u32_e32 v3, s11, v3
	;; [unrolled: 1-line block ×3, first 2 shown]
	s_or_b32 s15, vcc_lo, s15
	s_delay_alu instid0(SALU_CYCLE_1)
	s_and_not1_b32 exec_lo, exec_lo, s15
	s_cbranch_execnz .LBB9_60
; %bb.61:                               ;   in Loop: Header=BB9_8 Depth=1
	s_or_b32 exec_lo, exec_lo, s15
.LBB9_62:                               ;   in Loop: Header=BB9_8 Depth=1
	s_delay_alu instid0(SALU_CYCLE_1)
	s_or_b32 exec_lo, exec_lo, s14
.LBB9_63:                               ;   in Loop: Header=BB9_8 Depth=1
	s_lshl_b32 s9, s79, 7
	s_and_saveexec_b32 s10, s2
	s_cbranch_execz .LBB9_65
; %bb.64:                               ;   in Loop: Header=BB9_8 Depth=1
	v_or_b32_e32 v23, s9, v14
	s_delay_alu instid0(VALU_DEP_1)
	v_lshlrev_b32_e32 v23, 2, v23
	ds_store_b128 v23, v[1:4] offset:3072
.LBB9_65:                               ;   in Loop: Header=BB9_8 Depth=1
	s_or_b32 exec_lo, exec_lo, s10
	s_waitcnt vmcnt(0) lgkmcnt(0)
	s_barrier
	buffer_gl0_inv
	s_and_saveexec_b32 s10, s61
	s_cbranch_execz .LBB9_75
; %bb.66:                               ;   in Loop: Header=BB9_8 Depth=1
	v_mov_b32_e32 v1, 0
	s_and_not1_b32 vcc_lo, exec_lo, s63
	s_cbranch_vccnz .LBB9_74
; %bb.67:                               ;   in Loop: Header=BB9_8 Depth=1
	v_mov_b32_e32 v1, 0
	s_and_not1_b32 vcc_lo, exec_lo, s65
	s_mov_b32 s11, 0
	s_cbranch_vccnz .LBB9_71
; %bb.68:                               ;   in Loop: Header=BB9_8 Depth=1
	v_lshl_add_u32 v2, s79, 9, v20
	v_mov_b32_e32 v1, 0
	.p2align	6
.LBB9_69:                               ;   Parent Loop BB9_8 Depth=1
                                        ; =>  This Inner Loop Header: Depth=2
	ds_load_2addr_b32 v[3:4], v2 offset1:4
	ds_load_2addr_b32 v[23:24], v2 offset0:8 offset1:12
	ds_load_2addr_b32 v[25:26], v2 offset0:16 offset1:20
	;; [unrolled: 1-line block ×3, first 2 shown]
	v_add_nc_u32_e32 v2, 0x80, v2
	s_add_i32 s11, s11, 8
	s_delay_alu instid0(SALU_CYCLE_1) | instskip(SKIP_3) | instid1(VALU_DEP_1)
	s_cmp_eq_u32 s66, s11
	s_waitcnt lgkmcnt(3)
	v_add3_u32 v1, v3, v1, v4
	s_waitcnt lgkmcnt(2)
	v_add3_u32 v1, v23, v1, v24
	s_waitcnt lgkmcnt(1)
	s_delay_alu instid0(VALU_DEP_1) | instskip(SKIP_1) | instid1(VALU_DEP_1)
	v_add3_u32 v1, v25, v1, v26
	s_waitcnt lgkmcnt(0)
	v_add3_u32 v1, v27, v1, v28
	s_cbranch_scc0 .LBB9_69
; %bb.70:                               ;   in Loop: Header=BB9_8 Depth=1
	s_mov_b32 s11, s66
.LBB9_71:                               ;   in Loop: Header=BB9_8 Depth=1
	s_and_not1_b32 vcc_lo, exec_lo, s67
	s_cbranch_vccnz .LBB9_74
; %bb.72:                               ;   in Loop: Header=BB9_8 Depth=1
	s_lshl_b32 s12, s79, 9
	s_lshl_b32 s11, s11, 4
	s_delay_alu instid0(SALU_CYCLE_1)
	v_add3_u32 v2, s12, s11, v20
	s_mov_b32 s11, s64
.LBB9_73:                               ;   Parent Loop BB9_8 Depth=1
                                        ; =>  This Inner Loop Header: Depth=2
	ds_load_b32 v3, v2
	v_add_nc_u32_e32 v2, 16, v2
	s_add_i32 s11, s11, -1
	s_delay_alu instid0(SALU_CYCLE_1)
	s_cmp_lg_u32 s11, 0
	s_waitcnt lgkmcnt(0)
	v_add_nc_u32_e32 v1, v3, v1
	s_cbranch_scc1 .LBB9_73
.LBB9_74:                               ;   in Loop: Header=BB9_8 Depth=1
	v_add_lshl_u32 v2, s9, v12, 2
	ds_store_b32 v2, v1 offset:3072
.LBB9_75:                               ;   in Loop: Header=BB9_8 Depth=1
	s_or_b32 exec_lo, exec_lo, s10
	s_lshl_b32 s9, s9, 2
	s_waitcnt lgkmcnt(0)
	v_mov_b32_e32 v1, s9
	s_barrier
	buffer_gl0_inv
	s_and_b32 s18, s72, 0xfe
	s_mov_b32 s14, -1
	ds_load_b128 v[1:4], v1 offset:3072
	s_lshl_b32 s11, 3, s18
	s_delay_alu instid0(SALU_CYCLE_1) | instskip(SKIP_4) | instid1(VALU_DEP_3)
	s_not_b32 s19, s11
	s_waitcnt lgkmcnt(0)
	v_readfirstlane_b32 s13, v1
	v_readfirstlane_b32 s21, v2
	v_readfirstlane_b32 s16, v3
	s_cmp_eq_u32 s13, 1
	s_cselect_b32 s9, -1, 0
	s_cmp_eq_u32 s37, 1
	s_cselect_b32 s10, -1, 0
	s_delay_alu instid0(SALU_CYCLE_1)
	s_and_b32 s15, s9, s10
	v_readfirstlane_b32 s10, v4
	s_and_b32 vcc_lo, exec_lo, s15
	s_cbranch_vccz .LBB9_87
; %bb.76:                               ;   in Loop: Header=BB9_8 Depth=1
	ds_load_b32 v1, v21 offset:4096
	s_waitcnt lgkmcnt(0)
	s_barrier
	buffer_gl0_inv
	v_readfirstlane_b32 s12, v1
	s_and_saveexec_b32 s9, s1
	s_cbranch_execz .LBB9_78
; %bb.77:                               ;   in Loop: Header=BB9_8 Depth=1
	ds_store_b8 v0, v21 offset:3072
.LBB9_78:                               ;   in Loop: Header=BB9_8 Depth=1
	s_or_b32 exec_lo, exec_lo, s9
	s_and_b32 s81, s81, s19
	s_or_b32 s82, s82, s11
	s_cmp_lt_i32 s12, 1
	s_waitcnt lgkmcnt(0)
	s_barrier
	buffer_gl0_inv
	s_cbranch_scc0 .LBB9_88
; %bb.79:                               ;   in Loop: Header=BB9_8 Depth=1
	s_mov_b32 s9, 0
                                        ; implicit-def: $vgpr22
	s_and_saveexec_b32 s17, s8
	s_cbranch_execz .LBB9_90
; %bb.80:                               ;   in Loop: Header=BB9_8 Depth=1
	v_dual_mov_b32 v1, v11 :: v_dual_mov_b32 v2, v0
	s_mov_b32 s20, 0
                                        ; implicit-def: $sgpr22
	s_set_inst_prefetch_distance 0x1
	s_branch .LBB9_82
	.p2align	6
.LBB9_81:                               ;   in Loop: Header=BB9_82 Depth=2
	s_or_b32 exec_lo, exec_lo, s9
	s_waitcnt vmcnt(0) lgkmcnt(0)
	s_barrier
	buffer_gl0_inv
	ds_load_u16 v3, v21 offset:3072
	v_add_nc_u32_e32 v2, s56, v2
	v_add_nc_u32_e32 v1, s59, v1
	s_waitcnt lgkmcnt(0)
	s_barrier
	buffer_gl0_inv
	v_cmp_le_i32_e32 vcc_lo, s71, v2
	v_and_b32_e32 v4, 0xff, v3
	s_delay_alu instid0(VALU_DEP_1) | instskip(NEXT) | instid1(VALU_DEP_1)
	v_cmp_ne_u16_e64 s9, 0, v4
	s_or_b32 s23, vcc_lo, s9
	s_delay_alu instid0(SALU_CYCLE_1) | instskip(NEXT) | instid1(SALU_CYCLE_1)
	s_and_b32 s23, exec_lo, s23
	s_or_b32 s20, s23, s20
	s_and_not1_b32 s22, s22, exec_lo
	s_and_b32 s9, s9, exec_lo
	s_delay_alu instid0(SALU_CYCLE_1)
	s_or_b32 s22, s22, s9
	s_and_not1_b32 exec_lo, exec_lo, s20
	s_cbranch_execz .LBB9_89
.LBB9_82:                               ;   Parent Loop BB9_8 Depth=1
                                        ; =>  This Inner Loop Header: Depth=2
	s_delay_alu instid0(VALU_DEP_1)
	v_cmp_gt_i32_e32 vcc_lo, s36, v2
	v_mov_b32_e32 v3, 0
	s_and_saveexec_b32 s23, vcc_lo
	s_cbranch_execz .LBB9_84
; %bb.83:                               ;   in Loop: Header=BB9_82 Depth=2
	v_ashrrev_i32_e32 v4, 31, v1
	v_add_co_u32 v3, s9, s44, v1
	s_delay_alu instid0(VALU_DEP_1)
	v_add_co_ci_u32_e64 v4, s9, s45, v4, s9
	global_load_u8 v3, v[3:4], off
.LBB9_84:                               ;   in Loop: Header=BB9_82 Depth=2
	s_or_b32 exec_lo, exec_lo, s23
	s_and_saveexec_b32 s9, vcc_lo
	s_cbranch_execz .LBB9_81
; %bb.85:                               ;   in Loop: Header=BB9_82 Depth=2
	s_waitcnt vmcnt(0)
	v_bfe_i32 v4, v3, 0, 8
	s_delay_alu instid0(VALU_DEP_1) | instskip(NEXT) | instid1(VALU_DEP_1)
	v_add_nc_u32_e32 v4, 0x80, v4
	v_and_b32_e32 v4, s82, v4
	s_delay_alu instid0(VALU_DEP_1)
	v_cmp_eq_u32_e32 vcc_lo, s81, v4
	s_and_b32 exec_lo, exec_lo, vcc_lo
	s_cbranch_execz .LBB9_81
; %bb.86:                               ;   in Loop: Header=BB9_82 Depth=2
	v_lshlrev_b16 v3, 8, v3
	s_delay_alu instid0(VALU_DEP_1)
	v_or_b32_e32 v3, 1, v3
	ds_store_b16 v21, v3 offset:3072
	s_branch .LBB9_81
.LBB9_87:                               ;   in Loop: Header=BB9_8 Depth=1
	s_mov_b32 s9, -1
                                        ; implicit-def: $sgpr17
                                        ; implicit-def: $sgpr22
                                        ; implicit-def: $sgpr20
	s_branch .LBB9_101
.LBB9_88:                               ;   in Loop: Header=BB9_8 Depth=1
	s_mov_b32 s17, -1
	s_mov_b32 s9, 0
                                        ; implicit-def: $sgpr20
                                        ; implicit-def: $vgpr22
	s_mov_b32 s22, s17
	s_cbranch_execnz .LBB9_91
	s_branch .LBB9_101
.LBB9_89:                               ;   in Loop: Header=BB9_8 Depth=1
	s_set_inst_prefetch_distance 0x2
	s_or_b32 exec_lo, exec_lo, s20
	v_lshrrev_b16 v22, 8, v3
	s_and_b32 s9, s22, exec_lo
.LBB9_90:                               ;   in Loop: Header=BB9_8 Depth=1
	s_or_b32 exec_lo, exec_lo, s17
	s_mov_b32 s20, -1
	s_mov_b32 s17, 0
	s_delay_alu instid0(SALU_CYCLE_1)
	s_mov_b32 s22, s17
	s_branch .LBB9_101
.LBB9_91:                               ;   in Loop: Header=BB9_8 Depth=1
	s_add_i32 s20, s12, s60
                                        ; implicit-def: $vgpr22
	s_delay_alu instid0(SALU_CYCLE_1) | instskip(NEXT) | instid1(SALU_CYCLE_1)
	s_abs_i32 s9, s20
	s_mul_hi_u32 s17, s9, s69
	s_delay_alu instid0(SALU_CYCLE_1) | instskip(NEXT) | instid1(SALU_CYCLE_1)
	s_mul_i32 s17, s17, s56
	s_sub_i32 s9, s9, s17
	s_ashr_i32 s17, s20, 31
	s_sub_i32 s22, s9, s56
	s_cmp_ge_u32 s9, s56
	s_cselect_b32 s9, s22, s9
	s_delay_alu instid0(SALU_CYCLE_1) | instskip(SKIP_2) | instid1(SALU_CYCLE_1)
	s_sub_i32 s22, s9, s56
	s_cmp_ge_u32 s9, s56
	s_cselect_b32 s9, s22, s9
	s_xor_b32 s9, s9, s17
	s_delay_alu instid0(SALU_CYCLE_1)
	s_sub_i32 s9, s17, s9
	s_mov_b32 s17, exec_lo
	s_add_i32 s20, s20, s9
	s_mov_b32 s9, 0
	v_cmpx_gt_i32_e64 s20, v0
	s_cbranch_execz .LBB9_100
; %bb.92:                               ;   in Loop: Header=BB9_8 Depth=1
	v_mov_b32_e32 v1, v0
	s_mov_b32 s22, 0
                                        ; implicit-def: $sgpr23
	s_set_inst_prefetch_distance 0x1
	s_branch .LBB9_94
	.p2align	6
.LBB9_93:                               ;   in Loop: Header=BB9_94 Depth=2
	s_or_b32 exec_lo, exec_lo, s9
	s_waitcnt lgkmcnt(0)
	s_barrier
	buffer_gl0_inv
	ds_load_u16 v2, v21 offset:3072
	v_add_nc_u32_e32 v1, s56, v1
	s_waitcnt lgkmcnt(0)
	s_barrier
	buffer_gl0_inv
	v_cmp_le_i32_e32 vcc_lo, s20, v1
	v_and_b32_e32 v3, 0xff, v2
	s_delay_alu instid0(VALU_DEP_1) | instskip(NEXT) | instid1(VALU_DEP_1)
	v_cmp_ne_u16_e64 s9, 0, v3
	s_or_b32 s24, vcc_lo, s9
	s_delay_alu instid0(SALU_CYCLE_1) | instskip(NEXT) | instid1(SALU_CYCLE_1)
	s_and_b32 s24, exec_lo, s24
	s_or_b32 s22, s24, s22
	s_and_not1_b32 s23, s23, exec_lo
	s_and_b32 s9, s9, exec_lo
	s_delay_alu instid0(SALU_CYCLE_1)
	s_or_b32 s23, s23, s9
	s_and_not1_b32 exec_lo, exec_lo, s22
	s_cbranch_execz .LBB9_99
.LBB9_94:                               ;   Parent Loop BB9_8 Depth=1
                                        ; =>  This Inner Loop Header: Depth=2
	s_delay_alu instid0(VALU_DEP_1)
	v_cmp_gt_i32_e32 vcc_lo, s12, v1
	v_mov_b32_e32 v2, 0
	s_and_saveexec_b32 s9, vcc_lo
	s_cbranch_execz .LBB9_96
; %bb.95:                               ;   in Loop: Header=BB9_94 Depth=2
	ds_load_u8 v2, v1
.LBB9_96:                               ;   in Loop: Header=BB9_94 Depth=2
	s_or_b32 exec_lo, exec_lo, s9
	s_and_saveexec_b32 s9, vcc_lo
	s_cbranch_execz .LBB9_93
; %bb.97:                               ;   in Loop: Header=BB9_94 Depth=2
	s_waitcnt lgkmcnt(0)
	v_bfe_i32 v3, v2, 0, 8
	s_delay_alu instid0(VALU_DEP_1) | instskip(NEXT) | instid1(VALU_DEP_1)
	v_add_nc_u32_e32 v3, 0x80, v3
	v_and_b32_e32 v3, s82, v3
	s_delay_alu instid0(VALU_DEP_1)
	v_cmp_eq_u32_e32 vcc_lo, s81, v3
	s_and_b32 exec_lo, exec_lo, vcc_lo
	s_cbranch_execz .LBB9_93
; %bb.98:                               ;   in Loop: Header=BB9_94 Depth=2
	v_lshlrev_b16 v2, 8, v2
	s_delay_alu instid0(VALU_DEP_1)
	v_or_b32_e32 v2, 1, v2
	ds_store_b16 v21, v2 offset:3072
	s_branch .LBB9_93
.LBB9_99:                               ;   in Loop: Header=BB9_8 Depth=1
	s_set_inst_prefetch_distance 0x2
	s_or_b32 exec_lo, exec_lo, s22
	v_lshrrev_b16 v22, 8, v2
	s_and_b32 s9, s23, exec_lo
.LBB9_100:                              ;   in Loop: Header=BB9_8 Depth=1
	s_or_b32 exec_lo, exec_lo, s17
	s_mov_b32 s22, -1
	s_mov_b32 s17, 0
	s_mov_b32 s20, 0
.LBB9_101:                              ;   in Loop: Header=BB9_8 Depth=1
	s_and_not1_b32 s12, s77, exec_lo
	s_and_b32 s17, s17, exec_lo
	s_and_b32 s20, s20, exec_lo
	s_or_b32 s77, s12, s17
	s_and_not1_b32 s12, s80, exec_lo
	s_and_b32 s17, s22, exec_lo
	s_and_not1_b32 s22, s78, exec_lo
	s_or_b32 s80, s12, s17
	s_or_b32 s78, s22, s20
	s_and_saveexec_b32 s12, s9
	s_cbranch_execz .LBB9_7
; %bb.102:                              ;   in Loop: Header=BB9_8 Depth=1
	s_xor_b32 s9, s15, -1
	s_mov_b32 s14, 0
	s_and_not1_b32 vcc_lo, exec_lo, s9
	s_mov_b32 s22, 1
	s_cbranch_vccnz .LBB9_113
; %bb.103:                              ;   in Loop: Header=BB9_8 Depth=1
	s_cmp_gt_i32 s37, s13
	s_mov_b32 s14, -1
                                        ; implicit-def: $sgpr9
                                        ; implicit-def: $sgpr15
                                        ; implicit-def: $sgpr17
	s_cbranch_scc1 .LBB9_109
; %bb.104:                              ;   in Loop: Header=BB9_8 Depth=1
	ds_load_b32 v1, v21 offset:4096
	s_waitcnt lgkmcnt(0)
	v_cmp_ne_u32_e32 vcc_lo, 0, v1
	s_cbranch_vccnz .LBB9_108
; %bb.105:                              ;   in Loop: Header=BB9_8 Depth=1
	s_and_saveexec_b32 s9, s0
	s_cbranch_execz .LBB9_107
; %bb.106:                              ;   in Loop: Header=BB9_8 Depth=1
	v_mov_b32_e32 v1, s13
	ds_store_b32 v21, v1 offset:4100
.LBB9_107:                              ;   in Loop: Header=BB9_8 Depth=1
	s_or_b32 exec_lo, exec_lo, s9
	s_waitcnt lgkmcnt(0)
	s_barrier
	buffer_gl0_inv
.LBB9_108:                              ;   in Loop: Header=BB9_8 Depth=1
	s_and_b32 s15, s81, s19
	s_or_b32 s17, s82, s11
	s_mov_b32 s14, 0
	s_mov_b32 s9, 8
.LBB9_109:                              ;   in Loop: Header=BB9_8 Depth=1
	s_and_not1_b32 vcc_lo, exec_lo, s14
	s_cbranch_vccnz .LBB9_111
; %bb.110:                              ;   in Loop: Header=BB9_8 Depth=1
	s_sub_i32 s37, s37, s13
	s_mov_b32 s14, -1
	s_mov_b32 s9, 0
	s_mov_b32 s15, s81
	;; [unrolled: 1-line block ×3, first 2 shown]
.LBB9_111:                              ;   in Loop: Header=BB9_8 Depth=1
	s_delay_alu instid0(SALU_CYCLE_1)
	s_mov_b32 s82, s17
	s_mov_b32 s81, s15
	;; [unrolled: 1-line block ×3, first 2 shown]
	s_and_b32 vcc_lo, exec_lo, s14
	s_mov_b32 s13, -1
	s_cbranch_vccnz .LBB9_114
.LBB9_112:                              ;   in Loop: Header=BB9_8 Depth=1
	s_mov_b32 s25, -1
                                        ; implicit-def: $sgpr14
                                        ; implicit-def: $sgpr17
                                        ; implicit-def: $sgpr15
	s_delay_alu instid0(SALU_CYCLE_1) | instskip(NEXT) | instid1(SALU_CYCLE_1)
	s_and_saveexec_b32 s10, s25
	s_xor_b32 s10, exec_lo, s10
	s_cbranch_execz .LBB9_6
	s_branch .LBB9_237
.LBB9_113:                              ;   in Loop: Header=BB9_8 Depth=1
	s_mov_b32 s9, 1
	s_and_b32 vcc_lo, exec_lo, s14
	s_mov_b32 s13, -1
	s_cbranch_vccz .LBB9_112
.LBB9_114:                              ;   in Loop: Header=BB9_8 Depth=1
	s_cmp_eq_u32 s21, 1
	s_mov_b32 s24, -1
	s_cselect_b32 s9, -1, 0
	s_cmp_eq_u32 s22, 1
	s_cselect_b32 s14, -1, 0
	s_delay_alu instid0(SALU_CYCLE_1) | instskip(NEXT) | instid1(SALU_CYCLE_1)
	s_and_b32 s23, s9, s14
	s_and_b32 vcc_lo, exec_lo, s23
	s_cbranch_vccz .LBB9_126
; %bb.115:                              ;   in Loop: Header=BB9_8 Depth=1
	ds_load_b32 v1, v21 offset:4096
	s_waitcnt lgkmcnt(0)
	s_barrier
	buffer_gl0_inv
	v_readfirstlane_b32 s20, v1
	s_and_saveexec_b32 s9, s1
	s_cbranch_execz .LBB9_117
; %bb.116:                              ;   in Loop: Header=BB9_8 Depth=1
	ds_store_b8 v0, v21 offset:3072
.LBB9_117:                              ;   in Loop: Header=BB9_8 Depth=1
	s_or_b32 exec_lo, exec_lo, s9
	s_lshl_b32 s9, 1, s18
	s_and_b32 s14, s81, s19
	s_or_b32 s82, s82, s11
	s_or_b32 s81, s14, s9
	s_cmp_gt_i32 s20, 0
	s_waitcnt lgkmcnt(0)
	s_barrier
	buffer_gl0_inv
	s_cbranch_scc1 .LBB9_127
; %bb.118:                              ;   in Loop: Header=BB9_8 Depth=1
	s_mov_b32 s24, 0
                                        ; implicit-def: $vgpr22
	s_and_saveexec_b32 s14, s8
	s_cbranch_execz .LBB9_129
; %bb.119:                              ;   in Loop: Header=BB9_8 Depth=1
	v_dual_mov_b32 v1, v11 :: v_dual_mov_b32 v2, v0
	s_mov_b32 s15, 0
                                        ; implicit-def: $sgpr17
	s_set_inst_prefetch_distance 0x1
	s_branch .LBB9_121
	.p2align	6
.LBB9_120:                              ;   in Loop: Header=BB9_121 Depth=2
	s_or_b32 exec_lo, exec_lo, s9
	s_waitcnt vmcnt(0) lgkmcnt(0)
	s_barrier
	buffer_gl0_inv
	ds_load_u16 v3, v21 offset:3072
	v_add_nc_u32_e32 v2, s56, v2
	v_add_nc_u32_e32 v1, s59, v1
	s_waitcnt lgkmcnt(0)
	s_barrier
	buffer_gl0_inv
	v_cmp_le_i32_e32 vcc_lo, s71, v2
	v_and_b32_e32 v4, 0xff, v3
	s_delay_alu instid0(VALU_DEP_1) | instskip(NEXT) | instid1(VALU_DEP_1)
	v_cmp_ne_u16_e64 s9, 0, v4
	s_or_b32 s24, vcc_lo, s9
	s_delay_alu instid0(SALU_CYCLE_1) | instskip(NEXT) | instid1(SALU_CYCLE_1)
	s_and_b32 s24, exec_lo, s24
	s_or_b32 s15, s24, s15
	s_and_not1_b32 s17, s17, exec_lo
	s_and_b32 s9, s9, exec_lo
	s_delay_alu instid0(SALU_CYCLE_1)
	s_or_b32 s17, s17, s9
	s_and_not1_b32 exec_lo, exec_lo, s15
	s_cbranch_execz .LBB9_128
.LBB9_121:                              ;   Parent Loop BB9_8 Depth=1
                                        ; =>  This Inner Loop Header: Depth=2
	s_delay_alu instid0(VALU_DEP_1)
	v_cmp_gt_i32_e32 vcc_lo, s36, v2
	v_mov_b32_e32 v3, 0
	s_and_saveexec_b32 s24, vcc_lo
	s_cbranch_execz .LBB9_123
; %bb.122:                              ;   in Loop: Header=BB9_121 Depth=2
	v_ashrrev_i32_e32 v4, 31, v1
	v_add_co_u32 v3, s9, s44, v1
	s_delay_alu instid0(VALU_DEP_1)
	v_add_co_ci_u32_e64 v4, s9, s45, v4, s9
	global_load_u8 v3, v[3:4], off
.LBB9_123:                              ;   in Loop: Header=BB9_121 Depth=2
	s_or_b32 exec_lo, exec_lo, s24
	s_and_saveexec_b32 s9, vcc_lo
	s_cbranch_execz .LBB9_120
; %bb.124:                              ;   in Loop: Header=BB9_121 Depth=2
	s_waitcnt vmcnt(0)
	v_bfe_i32 v4, v3, 0, 8
	s_delay_alu instid0(VALU_DEP_1) | instskip(NEXT) | instid1(VALU_DEP_1)
	v_add_nc_u32_e32 v4, 0x80, v4
	v_and_b32_e32 v4, s82, v4
	s_delay_alu instid0(VALU_DEP_1)
	v_cmp_eq_u32_e32 vcc_lo, s81, v4
	s_and_b32 exec_lo, exec_lo, vcc_lo
	s_cbranch_execz .LBB9_120
; %bb.125:                              ;   in Loop: Header=BB9_121 Depth=2
	v_lshlrev_b16 v3, 8, v3
	s_delay_alu instid0(VALU_DEP_1)
	v_or_b32_e32 v3, 1, v3
	ds_store_b16 v21, v3 offset:3072
	s_branch .LBB9_120
.LBB9_126:                              ;   in Loop: Header=BB9_8 Depth=1
                                        ; implicit-def: $sgpr15
                                        ; implicit-def: $sgpr17
                                        ; implicit-def: $sgpr14
	s_branch .LBB9_140
.LBB9_127:                              ;   in Loop: Header=BB9_8 Depth=1
	s_mov_b32 s15, -1
	s_mov_b32 s24, 0
                                        ; implicit-def: $sgpr14
                                        ; implicit-def: $vgpr22
	s_mov_b32 s17, s15
	s_cbranch_execnz .LBB9_130
	s_branch .LBB9_140
.LBB9_128:                              ;   in Loop: Header=BB9_8 Depth=1
	s_set_inst_prefetch_distance 0x2
	s_or_b32 exec_lo, exec_lo, s15
	v_lshrrev_b16 v22, 8, v3
	s_and_b32 s24, s17, exec_lo
.LBB9_129:                              ;   in Loop: Header=BB9_8 Depth=1
	s_or_b32 exec_lo, exec_lo, s14
	s_mov_b32 s14, -1
	s_mov_b32 s15, 0
	s_delay_alu instid0(SALU_CYCLE_1)
	s_mov_b32 s17, s15
	s_branch .LBB9_140
.LBB9_130:                              ;   in Loop: Header=BB9_8 Depth=1
	s_add_i32 s15, s20, s60
	s_mov_b32 s24, 0
	s_abs_i32 s9, s15
                                        ; implicit-def: $vgpr22
	s_delay_alu instid0(SALU_CYCLE_1) | instskip(NEXT) | instid1(SALU_CYCLE_1)
	s_mul_hi_u32 s14, s9, s69
	s_mul_i32 s14, s14, s56
	s_delay_alu instid0(SALU_CYCLE_1) | instskip(SKIP_4) | instid1(SALU_CYCLE_1)
	s_sub_i32 s9, s9, s14
	s_ashr_i32 s14, s15, 31
	s_sub_i32 s17, s9, s56
	s_cmp_ge_u32 s9, s56
	s_cselect_b32 s9, s17, s9
	s_sub_i32 s17, s9, s56
	s_cmp_ge_u32 s9, s56
	s_cselect_b32 s9, s17, s9
	s_delay_alu instid0(SALU_CYCLE_1) | instskip(NEXT) | instid1(SALU_CYCLE_1)
	s_xor_b32 s9, s9, s14
	s_sub_i32 s9, s14, s9
	s_mov_b32 s14, exec_lo
	s_add_i32 s15, s15, s9
	s_delay_alu instid0(SALU_CYCLE_1)
	v_cmpx_gt_i32_e64 s15, v0
	s_cbranch_execz .LBB9_139
; %bb.131:                              ;   in Loop: Header=BB9_8 Depth=1
	v_mov_b32_e32 v1, v0
	s_mov_b32 s17, 0
                                        ; implicit-def: $sgpr24
	s_set_inst_prefetch_distance 0x1
	s_branch .LBB9_133
	.p2align	6
.LBB9_132:                              ;   in Loop: Header=BB9_133 Depth=2
	s_or_b32 exec_lo, exec_lo, s9
	s_waitcnt lgkmcnt(0)
	s_barrier
	buffer_gl0_inv
	ds_load_u16 v2, v21 offset:3072
	v_add_nc_u32_e32 v1, s56, v1
	s_waitcnt lgkmcnt(0)
	s_barrier
	buffer_gl0_inv
	v_cmp_le_i32_e32 vcc_lo, s15, v1
	v_and_b32_e32 v3, 0xff, v2
	s_delay_alu instid0(VALU_DEP_1) | instskip(NEXT) | instid1(VALU_DEP_1)
	v_cmp_ne_u16_e64 s9, 0, v3
	s_or_b32 s25, vcc_lo, s9
	s_delay_alu instid0(SALU_CYCLE_1) | instskip(NEXT) | instid1(SALU_CYCLE_1)
	s_and_b32 s25, exec_lo, s25
	s_or_b32 s17, s25, s17
	s_and_not1_b32 s24, s24, exec_lo
	s_and_b32 s9, s9, exec_lo
	s_delay_alu instid0(SALU_CYCLE_1)
	s_or_b32 s24, s24, s9
	s_and_not1_b32 exec_lo, exec_lo, s17
	s_cbranch_execz .LBB9_138
.LBB9_133:                              ;   Parent Loop BB9_8 Depth=1
                                        ; =>  This Inner Loop Header: Depth=2
	s_delay_alu instid0(VALU_DEP_1)
	v_cmp_gt_i32_e32 vcc_lo, s20, v1
	v_mov_b32_e32 v2, 0
	s_and_saveexec_b32 s9, vcc_lo
	s_cbranch_execz .LBB9_135
; %bb.134:                              ;   in Loop: Header=BB9_133 Depth=2
	ds_load_u8 v2, v1
.LBB9_135:                              ;   in Loop: Header=BB9_133 Depth=2
	s_or_b32 exec_lo, exec_lo, s9
	s_and_saveexec_b32 s9, vcc_lo
	s_cbranch_execz .LBB9_132
; %bb.136:                              ;   in Loop: Header=BB9_133 Depth=2
	s_waitcnt lgkmcnt(0)
	v_bfe_i32 v3, v2, 0, 8
	s_delay_alu instid0(VALU_DEP_1) | instskip(NEXT) | instid1(VALU_DEP_1)
	v_add_nc_u32_e32 v3, 0x80, v3
	v_and_b32_e32 v3, s82, v3
	s_delay_alu instid0(VALU_DEP_1)
	v_cmp_eq_u32_e32 vcc_lo, s81, v3
	s_and_b32 exec_lo, exec_lo, vcc_lo
	s_cbranch_execz .LBB9_132
; %bb.137:                              ;   in Loop: Header=BB9_133 Depth=2
	v_lshlrev_b16 v2, 8, v2
	s_delay_alu instid0(VALU_DEP_1)
	v_or_b32_e32 v2, 1, v2
	ds_store_b16 v21, v2 offset:3072
	s_branch .LBB9_132
.LBB9_138:                              ;   in Loop: Header=BB9_8 Depth=1
	s_set_inst_prefetch_distance 0x2
	s_or_b32 exec_lo, exec_lo, s17
	v_lshrrev_b16 v22, 8, v2
	s_and_b32 s24, s24, exec_lo
.LBB9_139:                              ;   in Loop: Header=BB9_8 Depth=1
	s_or_b32 exec_lo, exec_lo, s14
	s_mov_b32 s17, -1
	s_mov_b32 s15, 0
	s_mov_b32 s14, 0
.LBB9_140:                              ;   in Loop: Header=BB9_8 Depth=1
	s_mov_b32 s25, 0
                                        ; implicit-def: $sgpr9
	s_and_saveexec_b32 s20, s24
	s_cbranch_execz .LBB9_236
; %bb.141:                              ;   in Loop: Header=BB9_8 Depth=1
	s_xor_b32 s9, s23, -1
	s_mov_b32 s23, 0
	s_and_not1_b32 vcc_lo, exec_lo, s9
	s_mov_b32 s26, 1
	s_cbranch_vccnz .LBB9_152
; %bb.142:                              ;   in Loop: Header=BB9_8 Depth=1
	s_cmp_gt_i32 s22, s21
	s_mov_b32 s23, -1
                                        ; implicit-def: $sgpr9
                                        ; implicit-def: $sgpr24
                                        ; implicit-def: $sgpr25
	s_cbranch_scc1 .LBB9_148
; %bb.143:                              ;   in Loop: Header=BB9_8 Depth=1
	ds_load_b32 v1, v21 offset:4096
	s_waitcnt lgkmcnt(0)
	v_cmp_ne_u32_e32 vcc_lo, 0, v1
	s_cbranch_vccnz .LBB9_147
; %bb.144:                              ;   in Loop: Header=BB9_8 Depth=1
	s_and_saveexec_b32 s9, s0
	s_cbranch_execz .LBB9_146
; %bb.145:                              ;   in Loop: Header=BB9_8 Depth=1
	v_mov_b32_e32 v1, s21
	ds_store_b32 v21, v1 offset:4100
.LBB9_146:                              ;   in Loop: Header=BB9_8 Depth=1
	s_or_b32 exec_lo, exec_lo, s9
	s_waitcnt lgkmcnt(0)
	s_barrier
	buffer_gl0_inv
.LBB9_147:                              ;   in Loop: Header=BB9_8 Depth=1
	s_lshl_b32 s9, 1, s18
	s_and_b32 s23, s81, s19
	s_or_b32 s25, s82, s11
	s_or_b32 s24, s23, s9
	s_mov_b32 s23, 0
	s_mov_b32 s9, 8
.LBB9_148:                              ;   in Loop: Header=BB9_8 Depth=1
	s_and_not1_b32 vcc_lo, exec_lo, s23
	s_cbranch_vccnz .LBB9_150
; %bb.149:                              ;   in Loop: Header=BB9_8 Depth=1
	s_sub_i32 s22, s22, s21
	s_mov_b32 s23, -1
	s_mov_b32 s9, 0
	s_mov_b32 s24, s81
	;; [unrolled: 1-line block ×3, first 2 shown]
.LBB9_150:                              ;   in Loop: Header=BB9_8 Depth=1
	s_delay_alu instid0(SALU_CYCLE_1)
	s_mov_b32 s82, s25
	s_mov_b32 s81, s24
	;; [unrolled: 1-line block ×3, first 2 shown]
	s_and_not1_b32 vcc_lo, exec_lo, s23
	s_mov_b32 s28, -1
	s_cbranch_vccz .LBB9_153
.LBB9_151:                              ;   in Loop: Header=BB9_8 Depth=1
                                        ; implicit-def: $sgpr22
                                        ; implicit-def: $sgpr23
                                        ; implicit-def: $sgpr21
	s_branch .LBB9_235
.LBB9_152:                              ;   in Loop: Header=BB9_8 Depth=1
	s_mov_b32 s9, 1
	s_and_not1_b32 vcc_lo, exec_lo, s23
	s_mov_b32 s28, -1
	s_cbranch_vccnz .LBB9_151
.LBB9_153:                              ;   in Loop: Header=BB9_8 Depth=1
	s_cmp_eq_u32 s16, 1
	s_mov_b32 s27, -1
	s_cselect_b32 s9, -1, 0
	s_cmp_eq_u32 s26, 1
	s_cselect_b32 s21, -1, 0
	s_delay_alu instid0(SALU_CYCLE_1) | instskip(NEXT) | instid1(SALU_CYCLE_1)
	s_and_b32 s25, s9, s21
	s_and_b32 vcc_lo, exec_lo, s25
	s_cbranch_vccz .LBB9_165
; %bb.154:                              ;   in Loop: Header=BB9_8 Depth=1
	ds_load_b32 v1, v21 offset:4096
	s_waitcnt lgkmcnt(0)
	s_barrier
	buffer_gl0_inv
	v_readfirstlane_b32 s24, v1
	s_and_saveexec_b32 s9, s1
	s_cbranch_execz .LBB9_156
; %bb.155:                              ;   in Loop: Header=BB9_8 Depth=1
	ds_store_b8 v0, v21 offset:3072
.LBB9_156:                              ;   in Loop: Header=BB9_8 Depth=1
	s_or_b32 exec_lo, exec_lo, s9
	s_lshl_b32 s9, 2, s18
	s_and_b32 s21, s81, s19
	s_or_b32 s82, s82, s11
	s_or_b32 s81, s21, s9
	s_cmp_gt_i32 s24, 0
	s_waitcnt lgkmcnt(0)
	s_barrier
	buffer_gl0_inv
	s_cbranch_scc1 .LBB9_166
; %bb.157:                              ;   in Loop: Header=BB9_8 Depth=1
	s_mov_b32 s27, 0
                                        ; implicit-def: $vgpr22
	s_and_saveexec_b32 s21, s8
	s_cbranch_execz .LBB9_168
; %bb.158:                              ;   in Loop: Header=BB9_8 Depth=1
	v_dual_mov_b32 v1, v11 :: v_dual_mov_b32 v2, v0
	s_mov_b32 s22, 0
                                        ; implicit-def: $sgpr23
	s_set_inst_prefetch_distance 0x1
	s_branch .LBB9_160
	.p2align	6
.LBB9_159:                              ;   in Loop: Header=BB9_160 Depth=2
	s_or_b32 exec_lo, exec_lo, s9
	s_waitcnt vmcnt(0) lgkmcnt(0)
	s_barrier
	buffer_gl0_inv
	ds_load_u16 v3, v21 offset:3072
	v_add_nc_u32_e32 v2, s56, v2
	v_add_nc_u32_e32 v1, s59, v1
	s_waitcnt lgkmcnt(0)
	s_barrier
	buffer_gl0_inv
	v_cmp_le_i32_e32 vcc_lo, s71, v2
	v_and_b32_e32 v4, 0xff, v3
	s_delay_alu instid0(VALU_DEP_1) | instskip(NEXT) | instid1(VALU_DEP_1)
	v_cmp_ne_u16_e64 s9, 0, v4
	s_or_b32 s27, vcc_lo, s9
	s_delay_alu instid0(SALU_CYCLE_1) | instskip(NEXT) | instid1(SALU_CYCLE_1)
	s_and_b32 s27, exec_lo, s27
	s_or_b32 s22, s27, s22
	s_and_not1_b32 s23, s23, exec_lo
	s_and_b32 s9, s9, exec_lo
	s_delay_alu instid0(SALU_CYCLE_1)
	s_or_b32 s23, s23, s9
	s_and_not1_b32 exec_lo, exec_lo, s22
	s_cbranch_execz .LBB9_167
.LBB9_160:                              ;   Parent Loop BB9_8 Depth=1
                                        ; =>  This Inner Loop Header: Depth=2
	s_delay_alu instid0(VALU_DEP_1)
	v_cmp_gt_i32_e32 vcc_lo, s36, v2
	v_mov_b32_e32 v3, 0
	s_and_saveexec_b32 s27, vcc_lo
	s_cbranch_execz .LBB9_162
; %bb.161:                              ;   in Loop: Header=BB9_160 Depth=2
	v_ashrrev_i32_e32 v4, 31, v1
	v_add_co_u32 v3, s9, s44, v1
	s_delay_alu instid0(VALU_DEP_1)
	v_add_co_ci_u32_e64 v4, s9, s45, v4, s9
	global_load_u8 v3, v[3:4], off
.LBB9_162:                              ;   in Loop: Header=BB9_160 Depth=2
	s_or_b32 exec_lo, exec_lo, s27
	s_and_saveexec_b32 s9, vcc_lo
	s_cbranch_execz .LBB9_159
; %bb.163:                              ;   in Loop: Header=BB9_160 Depth=2
	s_waitcnt vmcnt(0)
	v_bfe_i32 v4, v3, 0, 8
	s_delay_alu instid0(VALU_DEP_1) | instskip(NEXT) | instid1(VALU_DEP_1)
	v_add_nc_u32_e32 v4, 0x80, v4
	v_and_b32_e32 v4, s82, v4
	s_delay_alu instid0(VALU_DEP_1)
	v_cmp_eq_u32_e32 vcc_lo, s81, v4
	s_and_b32 exec_lo, exec_lo, vcc_lo
	s_cbranch_execz .LBB9_159
; %bb.164:                              ;   in Loop: Header=BB9_160 Depth=2
	v_lshlrev_b16 v3, 8, v3
	s_delay_alu instid0(VALU_DEP_1)
	v_or_b32_e32 v3, 1, v3
	ds_store_b16 v21, v3 offset:3072
	s_branch .LBB9_159
.LBB9_165:                              ;   in Loop: Header=BB9_8 Depth=1
                                        ; implicit-def: $sgpr21
                                        ; implicit-def: $sgpr23
                                        ; implicit-def: $sgpr22
	s_branch .LBB9_179
.LBB9_166:                              ;   in Loop: Header=BB9_8 Depth=1
	s_mov_b32 s21, -1
	s_mov_b32 s27, 0
                                        ; implicit-def: $sgpr22
                                        ; implicit-def: $vgpr22
	s_mov_b32 s23, s21
	s_cbranch_execnz .LBB9_169
	s_branch .LBB9_179
.LBB9_167:                              ;   in Loop: Header=BB9_8 Depth=1
	s_set_inst_prefetch_distance 0x2
	s_or_b32 exec_lo, exec_lo, s22
	v_lshrrev_b16 v22, 8, v3
	s_and_b32 s27, s23, exec_lo
.LBB9_168:                              ;   in Loop: Header=BB9_8 Depth=1
	s_or_b32 exec_lo, exec_lo, s21
	s_mov_b32 s22, -1
	s_mov_b32 s21, 0
	s_delay_alu instid0(SALU_CYCLE_1)
	s_mov_b32 s23, s21
	s_branch .LBB9_179
.LBB9_169:                              ;   in Loop: Header=BB9_8 Depth=1
	s_add_i32 s22, s24, s60
	s_mov_b32 s27, 0
	s_abs_i32 s9, s22
                                        ; implicit-def: $vgpr22
	s_delay_alu instid0(SALU_CYCLE_1) | instskip(NEXT) | instid1(SALU_CYCLE_1)
	s_mul_hi_u32 s21, s9, s69
	s_mul_i32 s21, s21, s56
	s_delay_alu instid0(SALU_CYCLE_1) | instskip(SKIP_4) | instid1(SALU_CYCLE_1)
	s_sub_i32 s9, s9, s21
	s_ashr_i32 s21, s22, 31
	s_sub_i32 s23, s9, s56
	s_cmp_ge_u32 s9, s56
	s_cselect_b32 s9, s23, s9
	s_sub_i32 s23, s9, s56
	s_cmp_ge_u32 s9, s56
	s_cselect_b32 s9, s23, s9
	s_delay_alu instid0(SALU_CYCLE_1) | instskip(NEXT) | instid1(SALU_CYCLE_1)
	s_xor_b32 s9, s9, s21
	s_sub_i32 s9, s21, s9
	s_mov_b32 s21, exec_lo
	s_add_i32 s22, s22, s9
	s_delay_alu instid0(SALU_CYCLE_1)
	v_cmpx_gt_i32_e64 s22, v0
	s_cbranch_execz .LBB9_178
; %bb.170:                              ;   in Loop: Header=BB9_8 Depth=1
	v_mov_b32_e32 v1, v0
	s_mov_b32 s23, 0
                                        ; implicit-def: $sgpr27
	s_set_inst_prefetch_distance 0x1
	s_branch .LBB9_172
	.p2align	6
.LBB9_171:                              ;   in Loop: Header=BB9_172 Depth=2
	s_or_b32 exec_lo, exec_lo, s9
	s_waitcnt lgkmcnt(0)
	s_barrier
	buffer_gl0_inv
	ds_load_u16 v2, v21 offset:3072
	v_add_nc_u32_e32 v1, s56, v1
	s_waitcnt lgkmcnt(0)
	s_barrier
	buffer_gl0_inv
	v_cmp_le_i32_e32 vcc_lo, s22, v1
	v_and_b32_e32 v3, 0xff, v2
	s_delay_alu instid0(VALU_DEP_1) | instskip(NEXT) | instid1(VALU_DEP_1)
	v_cmp_ne_u16_e64 s9, 0, v3
	s_or_b32 s28, vcc_lo, s9
	s_delay_alu instid0(SALU_CYCLE_1) | instskip(NEXT) | instid1(SALU_CYCLE_1)
	s_and_b32 s28, exec_lo, s28
	s_or_b32 s23, s28, s23
	s_and_not1_b32 s27, s27, exec_lo
	s_and_b32 s9, s9, exec_lo
	s_delay_alu instid0(SALU_CYCLE_1)
	s_or_b32 s27, s27, s9
	s_and_not1_b32 exec_lo, exec_lo, s23
	s_cbranch_execz .LBB9_177
.LBB9_172:                              ;   Parent Loop BB9_8 Depth=1
                                        ; =>  This Inner Loop Header: Depth=2
	s_delay_alu instid0(VALU_DEP_1)
	v_cmp_gt_i32_e32 vcc_lo, s24, v1
	v_mov_b32_e32 v2, 0
	s_and_saveexec_b32 s9, vcc_lo
	s_cbranch_execz .LBB9_174
; %bb.173:                              ;   in Loop: Header=BB9_172 Depth=2
	ds_load_u8 v2, v1
.LBB9_174:                              ;   in Loop: Header=BB9_172 Depth=2
	s_or_b32 exec_lo, exec_lo, s9
	s_and_saveexec_b32 s9, vcc_lo
	s_cbranch_execz .LBB9_171
; %bb.175:                              ;   in Loop: Header=BB9_172 Depth=2
	s_waitcnt lgkmcnt(0)
	v_bfe_i32 v3, v2, 0, 8
	s_delay_alu instid0(VALU_DEP_1) | instskip(NEXT) | instid1(VALU_DEP_1)
	v_add_nc_u32_e32 v3, 0x80, v3
	v_and_b32_e32 v3, s82, v3
	s_delay_alu instid0(VALU_DEP_1)
	v_cmp_eq_u32_e32 vcc_lo, s81, v3
	s_and_b32 exec_lo, exec_lo, vcc_lo
	s_cbranch_execz .LBB9_171
; %bb.176:                              ;   in Loop: Header=BB9_172 Depth=2
	v_lshlrev_b16 v2, 8, v2
	s_delay_alu instid0(VALU_DEP_1)
	v_or_b32_e32 v2, 1, v2
	ds_store_b16 v21, v2 offset:3072
	s_branch .LBB9_171
.LBB9_177:                              ;   in Loop: Header=BB9_8 Depth=1
	s_set_inst_prefetch_distance 0x2
	s_or_b32 exec_lo, exec_lo, s23
	v_lshrrev_b16 v22, 8, v2
	s_and_b32 s27, s27, exec_lo
.LBB9_178:                              ;   in Loop: Header=BB9_8 Depth=1
	s_or_b32 exec_lo, exec_lo, s21
	s_mov_b32 s23, -1
	s_mov_b32 s21, 0
	s_mov_b32 s22, 0
.LBB9_179:                              ;   in Loop: Header=BB9_8 Depth=1
	s_mov_b32 s28, 0
                                        ; implicit-def: $sgpr9
	s_and_saveexec_b32 s24, s27
	s_cbranch_execz .LBB9_234
; %bb.180:                              ;   in Loop: Header=BB9_8 Depth=1
	s_xor_b32 s9, s25, -1
	s_mov_b32 s27, 0
	s_and_not1_b32 vcc_lo, exec_lo, s9
	s_mov_b32 s25, 1
	s_cbranch_vccnz .LBB9_191
; %bb.181:                              ;   in Loop: Header=BB9_8 Depth=1
	s_cmp_gt_i32 s26, s16
	s_mov_b32 s27, -1
                                        ; implicit-def: $sgpr9
                                        ; implicit-def: $sgpr25
                                        ; implicit-def: $sgpr28
	s_cbranch_scc1 .LBB9_187
; %bb.182:                              ;   in Loop: Header=BB9_8 Depth=1
	ds_load_b32 v1, v21 offset:4096
	s_waitcnt lgkmcnt(0)
	v_cmp_ne_u32_e32 vcc_lo, 0, v1
	s_cbranch_vccnz .LBB9_186
; %bb.183:                              ;   in Loop: Header=BB9_8 Depth=1
	s_and_saveexec_b32 s9, s0
	s_cbranch_execz .LBB9_185
; %bb.184:                              ;   in Loop: Header=BB9_8 Depth=1
	v_mov_b32_e32 v1, s16
	ds_store_b32 v21, v1 offset:4100
.LBB9_185:                              ;   in Loop: Header=BB9_8 Depth=1
	s_or_b32 exec_lo, exec_lo, s9
	s_waitcnt lgkmcnt(0)
	s_barrier
	buffer_gl0_inv
.LBB9_186:                              ;   in Loop: Header=BB9_8 Depth=1
	s_lshl_b32 s9, 2, s18
	s_and_b32 s18, s81, s19
	s_or_b32 s28, s82, s11
	s_or_b32 s25, s18, s9
	s_mov_b32 s27, 0
	s_mov_b32 s9, 8
.LBB9_187:                              ;   in Loop: Header=BB9_8 Depth=1
	s_and_not1_b32 vcc_lo, exec_lo, s27
	s_cbranch_vccnz .LBB9_189
; %bb.188:                              ;   in Loop: Header=BB9_8 Depth=1
	s_sub_i32 s26, s26, s16
	s_mov_b32 s27, -1
	s_mov_b32 s9, 0
	s_mov_b32 s25, s81
	;; [unrolled: 1-line block ×3, first 2 shown]
.LBB9_189:                              ;   in Loop: Header=BB9_8 Depth=1
	s_delay_alu instid0(SALU_CYCLE_1)
	s_mov_b32 s82, s28
	s_mov_b32 s81, s25
	;; [unrolled: 1-line block ×3, first 2 shown]
	s_and_not1_b32 vcc_lo, exec_lo, s27
	s_mov_b32 s37, -1
	s_cbranch_vccz .LBB9_192
.LBB9_190:                              ;   in Loop: Header=BB9_8 Depth=1
                                        ; implicit-def: $sgpr19
                                        ; implicit-def: $sgpr27
                                        ; implicit-def: $sgpr26
	s_branch .LBB9_233
.LBB9_191:                              ;   in Loop: Header=BB9_8 Depth=1
	s_mov_b32 s9, 1
	s_and_not1_b32 vcc_lo, exec_lo, s27
	s_mov_b32 s37, -1
	s_cbranch_vccnz .LBB9_190
.LBB9_192:                              ;   in Loop: Header=BB9_8 Depth=1
	s_cmp_eq_u32 s10, 1
	s_mov_b32 s28, -1
	s_cselect_b32 s9, -1, 0
	s_cmp_eq_u32 s25, 1
	s_cselect_b32 s16, -1, 0
	s_delay_alu instid0(SALU_CYCLE_1) | instskip(NEXT) | instid1(SALU_CYCLE_1)
	s_and_b32 s16, s9, s16
	s_and_b32 vcc_lo, exec_lo, s16
	s_cbranch_vccz .LBB9_204
; %bb.193:                              ;   in Loop: Header=BB9_8 Depth=1
	ds_load_b32 v1, v21 offset:4096
	s_waitcnt lgkmcnt(0)
	s_barrier
	buffer_gl0_inv
	v_readfirstlane_b32 s18, v1
	s_and_saveexec_b32 s9, s1
	s_cbranch_execz .LBB9_195
; %bb.194:                              ;   in Loop: Header=BB9_8 Depth=1
	ds_store_b8 v0, v21 offset:3072
.LBB9_195:                              ;   in Loop: Header=BB9_8 Depth=1
	s_or_b32 exec_lo, exec_lo, s9
	s_or_b32 s81, s81, s11
	s_or_b32 s82, s82, s11
	s_cmp_gt_i32 s18, 0
	s_waitcnt lgkmcnt(0)
	s_barrier
	buffer_gl0_inv
	s_cbranch_scc1 .LBB9_205
; %bb.196:                              ;   in Loop: Header=BB9_8 Depth=1
	s_mov_b32 s28, 0
                                        ; implicit-def: $vgpr22
	s_and_saveexec_b32 s19, s8
	s_cbranch_execz .LBB9_207
; %bb.197:                              ;   in Loop: Header=BB9_8 Depth=1
	v_dual_mov_b32 v1, v11 :: v_dual_mov_b32 v2, v0
	s_mov_b32 s26, 0
                                        ; implicit-def: $sgpr27
	s_set_inst_prefetch_distance 0x1
	s_branch .LBB9_199
	.p2align	6
.LBB9_198:                              ;   in Loop: Header=BB9_199 Depth=2
	s_or_b32 exec_lo, exec_lo, s9
	s_waitcnt vmcnt(0) lgkmcnt(0)
	s_barrier
	buffer_gl0_inv
	ds_load_u16 v3, v21 offset:3072
	v_add_nc_u32_e32 v2, s56, v2
	v_add_nc_u32_e32 v1, s59, v1
	s_waitcnt lgkmcnt(0)
	s_barrier
	buffer_gl0_inv
	v_cmp_le_i32_e32 vcc_lo, s71, v2
	v_and_b32_e32 v4, 0xff, v3
	s_delay_alu instid0(VALU_DEP_1) | instskip(NEXT) | instid1(VALU_DEP_1)
	v_cmp_ne_u16_e64 s9, 0, v4
	s_or_b32 s28, vcc_lo, s9
	s_delay_alu instid0(SALU_CYCLE_1) | instskip(NEXT) | instid1(SALU_CYCLE_1)
	s_and_b32 s28, exec_lo, s28
	s_or_b32 s26, s28, s26
	s_and_not1_b32 s27, s27, exec_lo
	s_and_b32 s9, s9, exec_lo
	s_delay_alu instid0(SALU_CYCLE_1)
	s_or_b32 s27, s27, s9
	s_and_not1_b32 exec_lo, exec_lo, s26
	s_cbranch_execz .LBB9_206
.LBB9_199:                              ;   Parent Loop BB9_8 Depth=1
                                        ; =>  This Inner Loop Header: Depth=2
	s_delay_alu instid0(VALU_DEP_1)
	v_cmp_gt_i32_e32 vcc_lo, s36, v2
	v_mov_b32_e32 v3, 0
	s_and_saveexec_b32 s28, vcc_lo
	s_cbranch_execz .LBB9_201
; %bb.200:                              ;   in Loop: Header=BB9_199 Depth=2
	v_ashrrev_i32_e32 v4, 31, v1
	v_add_co_u32 v3, s9, s44, v1
	s_delay_alu instid0(VALU_DEP_1)
	v_add_co_ci_u32_e64 v4, s9, s45, v4, s9
	global_load_u8 v3, v[3:4], off
.LBB9_201:                              ;   in Loop: Header=BB9_199 Depth=2
	s_or_b32 exec_lo, exec_lo, s28
	s_and_saveexec_b32 s9, vcc_lo
	s_cbranch_execz .LBB9_198
; %bb.202:                              ;   in Loop: Header=BB9_199 Depth=2
	s_waitcnt vmcnt(0)
	v_bfe_i32 v4, v3, 0, 8
	s_delay_alu instid0(VALU_DEP_1) | instskip(NEXT) | instid1(VALU_DEP_1)
	v_add_nc_u32_e32 v4, 0x80, v4
	v_and_b32_e32 v4, s82, v4
	s_delay_alu instid0(VALU_DEP_1)
	v_cmp_eq_u32_e32 vcc_lo, s81, v4
	s_and_b32 exec_lo, exec_lo, vcc_lo
	s_cbranch_execz .LBB9_198
; %bb.203:                              ;   in Loop: Header=BB9_199 Depth=2
	v_lshlrev_b16 v3, 8, v3
	s_delay_alu instid0(VALU_DEP_1)
	v_or_b32_e32 v3, 1, v3
	ds_store_b16 v21, v3 offset:3072
	s_branch .LBB9_198
.LBB9_204:                              ;   in Loop: Header=BB9_8 Depth=1
                                        ; implicit-def: $sgpr19
                                        ; implicit-def: $sgpr27
                                        ; implicit-def: $sgpr26
	s_branch .LBB9_218
.LBB9_205:                              ;   in Loop: Header=BB9_8 Depth=1
	s_mov_b32 s19, -1
	s_mov_b32 s28, 0
                                        ; implicit-def: $sgpr26
                                        ; implicit-def: $vgpr22
	s_mov_b32 s27, s19
	s_cbranch_execnz .LBB9_208
	s_branch .LBB9_218
.LBB9_206:                              ;   in Loop: Header=BB9_8 Depth=1
	s_set_inst_prefetch_distance 0x2
	s_or_b32 exec_lo, exec_lo, s26
	v_lshrrev_b16 v22, 8, v3
	s_and_b32 s28, s27, exec_lo
.LBB9_207:                              ;   in Loop: Header=BB9_8 Depth=1
	s_or_b32 exec_lo, exec_lo, s19
	s_mov_b32 s26, -1
	s_mov_b32 s19, 0
	s_delay_alu instid0(SALU_CYCLE_1)
	s_mov_b32 s27, s19
	s_branch .LBB9_218
.LBB9_208:                              ;   in Loop: Header=BB9_8 Depth=1
	s_add_i32 s26, s18, s60
	s_mov_b32 s28, 0
	s_abs_i32 s9, s26
                                        ; implicit-def: $vgpr22
	s_delay_alu instid0(SALU_CYCLE_1) | instskip(NEXT) | instid1(SALU_CYCLE_1)
	s_mul_hi_u32 s19, s9, s69
	s_mul_i32 s19, s19, s56
	s_delay_alu instid0(SALU_CYCLE_1) | instskip(SKIP_4) | instid1(SALU_CYCLE_1)
	s_sub_i32 s9, s9, s19
	s_ashr_i32 s19, s26, 31
	s_sub_i32 s27, s9, s56
	s_cmp_ge_u32 s9, s56
	s_cselect_b32 s9, s27, s9
	s_sub_i32 s27, s9, s56
	s_cmp_ge_u32 s9, s56
	s_cselect_b32 s9, s27, s9
	s_delay_alu instid0(SALU_CYCLE_1) | instskip(NEXT) | instid1(SALU_CYCLE_1)
	s_xor_b32 s9, s9, s19
	s_sub_i32 s9, s19, s9
	s_mov_b32 s19, exec_lo
	s_add_i32 s26, s26, s9
	s_delay_alu instid0(SALU_CYCLE_1)
	v_cmpx_gt_i32_e64 s26, v0
	s_cbranch_execz .LBB9_217
; %bb.209:                              ;   in Loop: Header=BB9_8 Depth=1
	v_mov_b32_e32 v1, v0
	s_mov_b32 s27, 0
                                        ; implicit-def: $sgpr28
	s_set_inst_prefetch_distance 0x1
	s_branch .LBB9_211
	.p2align	6
.LBB9_210:                              ;   in Loop: Header=BB9_211 Depth=2
	s_or_b32 exec_lo, exec_lo, s9
	s_waitcnt lgkmcnt(0)
	s_barrier
	buffer_gl0_inv
	ds_load_u16 v2, v21 offset:3072
	v_add_nc_u32_e32 v1, s56, v1
	s_waitcnt lgkmcnt(0)
	s_barrier
	buffer_gl0_inv
	v_cmp_le_i32_e32 vcc_lo, s26, v1
	v_and_b32_e32 v3, 0xff, v2
	s_delay_alu instid0(VALU_DEP_1) | instskip(NEXT) | instid1(VALU_DEP_1)
	v_cmp_ne_u16_e64 s9, 0, v3
	s_or_b32 s37, vcc_lo, s9
	s_delay_alu instid0(SALU_CYCLE_1) | instskip(NEXT) | instid1(SALU_CYCLE_1)
	s_and_b32 s37, exec_lo, s37
	s_or_b32 s27, s37, s27
	s_and_not1_b32 s28, s28, exec_lo
	s_and_b32 s9, s9, exec_lo
	s_delay_alu instid0(SALU_CYCLE_1)
	s_or_b32 s28, s28, s9
	s_and_not1_b32 exec_lo, exec_lo, s27
	s_cbranch_execz .LBB9_216
.LBB9_211:                              ;   Parent Loop BB9_8 Depth=1
                                        ; =>  This Inner Loop Header: Depth=2
	s_delay_alu instid0(VALU_DEP_1)
	v_cmp_gt_i32_e32 vcc_lo, s18, v1
	v_mov_b32_e32 v2, 0
	s_and_saveexec_b32 s9, vcc_lo
	s_cbranch_execz .LBB9_213
; %bb.212:                              ;   in Loop: Header=BB9_211 Depth=2
	ds_load_u8 v2, v1
.LBB9_213:                              ;   in Loop: Header=BB9_211 Depth=2
	s_or_b32 exec_lo, exec_lo, s9
	s_and_saveexec_b32 s9, vcc_lo
	s_cbranch_execz .LBB9_210
; %bb.214:                              ;   in Loop: Header=BB9_211 Depth=2
	s_waitcnt lgkmcnt(0)
	v_bfe_i32 v3, v2, 0, 8
	s_delay_alu instid0(VALU_DEP_1) | instskip(NEXT) | instid1(VALU_DEP_1)
	v_add_nc_u32_e32 v3, 0x80, v3
	v_and_b32_e32 v3, s82, v3
	s_delay_alu instid0(VALU_DEP_1)
	v_cmp_eq_u32_e32 vcc_lo, s81, v3
	s_and_b32 exec_lo, exec_lo, vcc_lo
	s_cbranch_execz .LBB9_210
; %bb.215:                              ;   in Loop: Header=BB9_211 Depth=2
	v_lshlrev_b16 v2, 8, v2
	s_delay_alu instid0(VALU_DEP_1)
	v_or_b32_e32 v2, 1, v2
	ds_store_b16 v21, v2 offset:3072
	s_branch .LBB9_210
.LBB9_216:                              ;   in Loop: Header=BB9_8 Depth=1
	s_set_inst_prefetch_distance 0x2
	s_or_b32 exec_lo, exec_lo, s27
	v_lshrrev_b16 v22, 8, v2
	s_and_b32 s28, s28, exec_lo
.LBB9_217:                              ;   in Loop: Header=BB9_8 Depth=1
	s_or_b32 exec_lo, exec_lo, s19
	s_mov_b32 s27, -1
	s_mov_b32 s19, 0
	s_mov_b32 s26, 0
.LBB9_218:                              ;   in Loop: Header=BB9_8 Depth=1
	s_mov_b32 s37, 0
                                        ; implicit-def: $sgpr9
	s_and_saveexec_b32 s18, s28
	s_cbranch_execz .LBB9_232
; %bb.219:                              ;   in Loop: Header=BB9_8 Depth=1
	s_xor_b32 s9, s16, -1
	s_delay_alu instid0(SALU_CYCLE_1)
	s_and_not1_b32 vcc_lo, exec_lo, s9
	s_mov_b32 s9, 1
	s_cbranch_vccnz .LBB9_226
; %bb.220:                              ;   in Loop: Header=BB9_8 Depth=1
	s_cmp_gt_i32 s25, s10
	s_cbranch_scc1 .LBB9_227
; %bb.221:                              ;   in Loop: Header=BB9_8 Depth=1
	ds_load_b32 v1, v21 offset:4096
	s_waitcnt lgkmcnt(0)
	v_cmp_ne_u32_e32 vcc_lo, 0, v1
	s_cbranch_vccnz .LBB9_225
; %bb.222:                              ;   in Loop: Header=BB9_8 Depth=1
	s_and_saveexec_b32 s9, s0
	s_cbranch_execz .LBB9_224
; %bb.223:                              ;   in Loop: Header=BB9_8 Depth=1
	v_mov_b32_e32 v1, s10
	ds_store_b32 v21, v1 offset:4100
.LBB9_224:                              ;   in Loop: Header=BB9_8 Depth=1
	s_or_b32 exec_lo, exec_lo, s9
	s_waitcnt lgkmcnt(0)
	s_barrier
	buffer_gl0_inv
.LBB9_225:                              ;   in Loop: Header=BB9_8 Depth=1
	s_or_b32 s16, s81, s11
	s_or_b32 s11, s82, s11
	s_mov_b32 s28, 0
	s_mov_b32 s9, 8
	s_branch .LBB9_228
.LBB9_226:                              ;   in Loop: Header=BB9_8 Depth=1
	s_mov_b32 s25, 1
	s_branch .LBB9_231
.LBB9_227:                              ;   in Loop: Header=BB9_8 Depth=1
	s_mov_b32 s28, -1
                                        ; implicit-def: $sgpr9
                                        ; implicit-def: $sgpr16
                                        ; implicit-def: $sgpr11
.LBB9_228:                              ;   in Loop: Header=BB9_8 Depth=1
	s_delay_alu instid0(SALU_CYCLE_1)
	s_and_not1_b32 vcc_lo, exec_lo, s28
	s_cbranch_vccnz .LBB9_230
; %bb.229:                              ;   in Loop: Header=BB9_8 Depth=1
	s_sub_i32 s25, s25, s10
	s_mov_b32 s9, 8
	s_mov_b32 s16, s81
	;; [unrolled: 1-line block ×3, first 2 shown]
.LBB9_230:                              ;   in Loop: Header=BB9_8 Depth=1
	s_mov_b32 s81, s16
	s_mov_b32 s82, s11
.LBB9_231:                              ;   in Loop: Header=BB9_8 Depth=1
	s_mov_b32 s37, exec_lo
.LBB9_232:                              ;   in Loop: Header=BB9_8 Depth=1
	s_or_b32 exec_lo, exec_lo, s18
.LBB9_233:                              ;   in Loop: Header=BB9_8 Depth=1
	s_delay_alu instid0(SALU_CYCLE_1)
	s_and_not1_b32 s10, s21, exec_lo
	s_and_b32 s11, s19, exec_lo
	s_and_not1_b32 s16, s22, exec_lo
	s_or_b32 s21, s10, s11
	s_and_not1_b32 s10, s23, exec_lo
	s_and_b32 s11, s27, exec_lo
	s_and_b32 s18, s26, exec_lo
	s_or_b32 s23, s10, s11
	s_or_b32 s22, s16, s18
	s_and_b32 s28, s37, exec_lo
	s_mov_b32 s26, s25
.LBB9_234:                              ;   in Loop: Header=BB9_8 Depth=1
	s_or_b32 exec_lo, exec_lo, s24
.LBB9_235:                              ;   in Loop: Header=BB9_8 Depth=1
	s_delay_alu instid0(SALU_CYCLE_1)
	s_and_not1_b32 s10, s15, exec_lo
	s_and_b32 s11, s21, exec_lo
	s_and_not1_b32 s14, s14, exec_lo
	s_or_b32 s15, s10, s11
	s_and_not1_b32 s10, s17, exec_lo
	s_and_b32 s11, s23, exec_lo
	s_and_b32 s16, s22, exec_lo
	s_or_b32 s17, s10, s11
	s_or_b32 s14, s14, s16
	s_and_b32 s25, s28, exec_lo
	s_mov_b32 s22, s26
.LBB9_236:                              ;   in Loop: Header=BB9_8 Depth=1
	s_or_b32 exec_lo, exec_lo, s20
	s_and_saveexec_b32 s10, s25
	s_delay_alu instid0(SALU_CYCLE_1)
	s_xor_b32 s10, exec_lo, s10
	s_cbranch_execz .LBB9_6
.LBB9_237:                              ;   in Loop: Header=BB9_8 Depth=1
	s_and_b32 s9, s9, -9
	s_delay_alu instid0(SALU_CYCLE_1)
	s_cmp_eq_u32 s9, 0
	s_cbranch_scc1 .LBB9_4
; %bb.238:                              ;   in Loop: Header=BB9_8 Depth=1
	s_mov_b32 s9, -1
	s_mov_b32 s11, -1
                                        ; implicit-def: $sgpr82
                                        ; implicit-def: $sgpr22
                                        ; implicit-def: $sgpr72
                                        ; implicit-def: $sgpr79
	s_branch .LBB9_5
.LBB9_239:
	s_or_b32 exec_lo, exec_lo, s57
	s_xor_b32 s4, s76, -1
	s_xor_b32 s1, s74, -1
	;; [unrolled: 1-line block ×3, first 2 shown]
	s_mov_b32 s2, 0
	s_and_saveexec_b32 s5, s1
	s_delay_alu instid0(SALU_CYCLE_1)
	s_xor_b32 s1, exec_lo, s5
	s_cbranch_execz .LBB9_260
; %bb.240:
	s_and_saveexec_b32 s2, s4
	s_delay_alu instid0(SALU_CYCLE_1)
	s_xor_b32 s2, exec_lo, s2
	s_cbranch_execz .LBB9_258
; %bb.241:
	s_and_saveexec_b32 s4, s3
	s_delay_alu instid0(SALU_CYCLE_1)
	s_xor_b32 s3, exec_lo, s4
; %bb.242:
	v_xor_b32_e32 v22, 0xffffff80, v1
; %bb.243:
	s_or_b32 exec_lo, exec_lo, s3
	s_and_saveexec_b32 s3, s0
	s_cbranch_execz .LBB9_245
; %bb.244:
	v_dual_mov_b32 v1, 0 :: v_dual_mov_b32 v2, s36
	ds_store_b32 v1, v2 offset:4108
.LBB9_245:
	s_or_b32 exec_lo, exec_lo, s3
	v_mov_b32_e32 v1, 0
	s_waitcnt lgkmcnt(0)
	s_barrier
	buffer_gl0_inv
	s_mov_b32 s3, exec_lo
	ds_load_b32 v1, v1 offset:4108
	s_waitcnt lgkmcnt(0)
	v_min_i32_e32 v1, s36, v1
	s_delay_alu instid0(VALU_DEP_1)
	v_cmpx_lt_i32_e64 v0, v1
	s_cbranch_execz .LBB9_255
; %bb.246:
	v_and_b32_e32 v3, 0xff, v22
	s_mov_b32 s4, 0
                                        ; implicit-def: $sgpr5
                                        ; implicit-def: $sgpr7
                                        ; implicit-def: $sgpr6
	s_set_inst_prefetch_distance 0x1
	s_branch .LBB9_248
	.p2align	6
.LBB9_247:                              ;   in Loop: Header=BB9_248 Depth=1
	s_or_b32 exec_lo, exec_lo, s8
	s_delay_alu instid0(SALU_CYCLE_1) | instskip(NEXT) | instid1(SALU_CYCLE_1)
	s_and_b32 s8, exec_lo, s7
	s_or_b32 s4, s8, s4
	s_and_not1_b32 s5, s5, exec_lo
	s_and_b32 s8, s6, exec_lo
	s_delay_alu instid0(SALU_CYCLE_1)
	s_or_b32 s5, s5, s8
	s_and_not1_b32 exec_lo, exec_lo, s4
	s_cbranch_execz .LBB9_250
.LBB9_248:                              ; =>This Inner Loop Header: Depth=1
	v_ashrrev_i32_e32 v2, 31, v11
	v_add_co_u32 v4, vcc_lo, s44, v11
	s_or_b32 s6, s6, exec_lo
	s_or_b32 s7, s7, exec_lo
	s_delay_alu instid0(VALU_DEP_2)
	v_add_co_ci_u32_e32 v5, vcc_lo, s45, v2, vcc_lo
	v_mov_b32_e32 v2, v0
	s_mov_b32 s8, exec_lo
                                        ; implicit-def: $vgpr0
	global_load_u8 v4, v[4:5], off
	s_waitcnt vmcnt(0)
	v_cmpx_ne_u16_e64 v4, v3
	s_cbranch_execz .LBB9_247
; %bb.249:                              ;   in Loop: Header=BB9_248 Depth=1
	v_add_nc_u32_e32 v0, s56, v2
	s_and_not1_b32 s7, s7, exec_lo
	v_add_nc_u32_e32 v11, s59, v11
	s_and_not1_b32 s6, s6, exec_lo
	s_delay_alu instid0(VALU_DEP_2) | instskip(SKIP_1) | instid1(SALU_CYCLE_1)
	v_cmp_ge_i32_e32 vcc_lo, v0, v1
	s_and_b32 s9, vcc_lo, exec_lo
	s_or_b32 s7, s7, s9
	s_branch .LBB9_247
.LBB9_250:
	s_set_inst_prefetch_distance 0x2
	s_or_b32 exec_lo, exec_lo, s4
	s_and_saveexec_b32 s4, s5
	s_delay_alu instid0(SALU_CYCLE_1)
	s_xor_b32 s4, exec_lo, s4
	s_cbranch_execz .LBB9_255
; %bb.251:
	s_mov_b32 s5, exec_lo
	s_brev_b32 s4, -2
.LBB9_252:                              ; =>This Inner Loop Header: Depth=1
	s_ctz_i32_b32 s6, s5
	s_delay_alu instid0(SALU_CYCLE_1) | instskip(SKIP_1) | instid1(SALU_CYCLE_1)
	v_readlane_b32 s7, v2, s6
	s_lshl_b32 s6, 1, s6
	s_and_not1_b32 s5, s5, s6
	s_delay_alu instid0(VALU_DEP_1)
	s_min_i32 s4, s4, s7
	s_cmp_lg_u32 s5, 0
	s_cbranch_scc1 .LBB9_252
; %bb.253:
	v_mbcnt_lo_u32_b32 v0, exec_lo, 0
	s_mov_b32 s5, exec_lo
	s_delay_alu instid0(VALU_DEP_1)
	v_cmpx_eq_u32_e32 0, v0
	s_xor_b32 s5, exec_lo, s5
	s_cbranch_execz .LBB9_255
; %bb.254:
	v_dual_mov_b32 v0, 0 :: v_dual_mov_b32 v1, s4
	ds_min_i32 v0, v1 offset:4108
.LBB9_255:
	s_or_b32 exec_lo, exec_lo, s3
	s_waitcnt lgkmcnt(0)
	s_barrier
	buffer_gl0_inv
	s_and_saveexec_b32 s3, s0
	s_cbranch_execz .LBB9_257
; %bb.256:
	s_mul_i32 s0, s54, s51
	s_xor_b32 s4, s50, s55
	s_sub_i32 s0, s49, s0
	s_add_i32 s5, s54, 1
	s_sub_i32 s6, s0, s51
	s_cmp_ge_u32 s0, s51
	v_mov_b32_e32 v2, 0
	s_cselect_b32 s5, s5, s54
	s_cselect_b32 s0, s6, s0
	s_add_i32 s6, s5, 1
	s_cmp_ge_u32 s0, s51
	s_mul_i32 s0, s52, s48
	s_cselect_b32 s5, s6, s5
	s_sub_i32 s0, s49, s0
	s_xor_b32 s5, s5, s4
	s_xor_b32 s6, s50, s53
	s_sub_i32 s4, s5, s4
	s_add_i32 s7, s52, 1
	s_mul_i32 s5, s4, s38
	s_mul_i32 s4, s4, s42
	s_sub_i32 s5, s29, s5
	s_sub_i32 s8, s0, s48
	s_mul_i32 s5, s5, s43
	ds_load_b32 v0, v2 offset:4108
	s_add_i32 s5, s4, s5
	s_cmp_ge_u32 s0, s48
	s_cselect_b32 s4, s7, s52
	s_cselect_b32 s0, s8, s0
	s_add_i32 s7, s4, 1
	s_cmp_ge_u32 s0, s48
	s_cselect_b32 s0, s7, s4
	s_ashr_i32 s7, s5, 31
	s_xor_b32 s0, s0, s6
	s_delay_alu instid0(SALU_CYCLE_1) | instskip(NEXT) | instid1(SALU_CYCLE_1)
	s_sub_i32 s0, s0, s6
	s_mul_i32 s4, s0, s33
	s_mul_i32 s0, s0, s40
	s_sub_i32 s4, s29, s4
	s_delay_alu instid0(SALU_CYCLE_1)
	s_mul_i32 s4, s4, s41
	s_waitcnt lgkmcnt(0)
	v_ashrrev_i32_e32 v1, 31, v0
	s_add_i32 s4, s0, s4
	s_add_u32 s6, s34, s5
	s_addc_u32 s7, s35, s7
	s_ashr_i32 s5, s4, 31
	s_delay_alu instid0(SALU_CYCLE_1) | instskip(NEXT) | instid1(SALU_CYCLE_1)
	s_lshl_b64 s[4:5], s[4:5], 3
	s_add_u32 s4, s30, s4
	s_addc_u32 s5, s31, s5
	s_clause 0x1
	global_store_b64 v2, v[0:1], s[4:5]
	global_store_b8 v2, v22, s[6:7]
.LBB9_257:
	s_or_b32 exec_lo, exec_lo, s3
.LBB9_258:
	s_or_saveexec_b32 s0, s2
	s_mov_b32 s2, 0
	s_xor_b32 exec_lo, exec_lo, s0
	s_cbranch_execnz .LBB9_266
.LBB9_259:
	s_or_b32 exec_lo, exec_lo, s0
	s_delay_alu instid0(SALU_CYCLE_1)
	s_and_b32 s2, s2, exec_lo
.LBB9_260:
	s_and_not1_saveexec_b32 s0, s1
	s_cbranch_execnz .LBB9_264
; %bb.261:
	s_or_b32 exec_lo, exec_lo, s0
	s_and_saveexec_b32 s0, s2
.LBB9_262:
	; divergent unreachable
.LBB9_263:
	s_nop 0
	s_sendmsg sendmsg(MSG_DEALLOC_VGPRS)
	s_endpgm
.LBB9_264:
	s_cbranch_execnz .LBB9_268
; %bb.265:
	s_or_b32 s2, s2, exec_lo
	s_or_b32 exec_lo, exec_lo, s0
	s_and_saveexec_b32 s0, s2
	s_cbranch_execnz .LBB9_262
	s_branch .LBB9_263
.LBB9_266:
	s_cbranch_execnz .LBB9_270
; %bb.267:
	s_mov_b32 s2, exec_lo
	s_branch .LBB9_259
.LBB9_268:
	s_trap 2
	s_sendmsg_rtn_b32 s0, sendmsg(MSG_RTN_GET_DOORBELL)
	s_mov_b32 ttmp2, m0
	s_waitcnt lgkmcnt(0)
	s_and_b32 s0, s0, 0x3ff
	s_delay_alu instid0(SALU_CYCLE_1) | instskip(NEXT) | instid1(SALU_CYCLE_1)
	s_bitset1_b32 s0, 10
	s_mov_b32 m0, s0
	s_sendmsg sendmsg(MSG_INTERRUPT)
	s_mov_b32 m0, ttmp2
.LBB9_269:                              ; =>This Inner Loop Header: Depth=1
	s_sethalt 5
	s_branch .LBB9_269
.LBB9_270:
	s_trap 2
	s_sendmsg_rtn_b32 s0, sendmsg(MSG_RTN_GET_DOORBELL)
	s_mov_b32 ttmp2, m0
	s_waitcnt lgkmcnt(0)
	s_and_b32 s0, s0, 0x3ff
	s_delay_alu instid0(SALU_CYCLE_1) | instskip(NEXT) | instid1(SALU_CYCLE_1)
	s_bitset1_b32 s0, 10
	s_mov_b32 m0, s0
	s_sendmsg sendmsg(MSG_INTERRUPT)
	s_mov_b32 m0, ttmp2
.LBB9_271:                              ; =>This Inner Loop Header: Depth=1
	s_sethalt 5
	s_branch .LBB9_271
	.section	.rodata,"a",@progbits
	.p2align	6, 0x0
	.amdhsa_kernel _ZN2at6native12_GLOBAL__N_114gatherKthValueIaiLi2EEEvNS_4cuda6detail10TensorInfoIKT_T0_EES8_S8_S8_S8_NS5_IS6_S8_EENS5_IlS8_EE
		.amdhsa_group_segment_fixed_size 4112
		.amdhsa_private_segment_fixed_size 0
		.amdhsa_kernarg_size 920
		.amdhsa_user_sgpr_count 13
		.amdhsa_user_sgpr_dispatch_ptr 0
		.amdhsa_user_sgpr_queue_ptr 0
		.amdhsa_user_sgpr_kernarg_segment_ptr 1
		.amdhsa_user_sgpr_dispatch_id 0
		.amdhsa_user_sgpr_private_segment_size 0
		.amdhsa_wavefront_size32 1
		.amdhsa_uses_dynamic_stack 0
		.amdhsa_enable_private_segment 0
		.amdhsa_system_sgpr_workgroup_id_x 1
		.amdhsa_system_sgpr_workgroup_id_y 1
		.amdhsa_system_sgpr_workgroup_id_z 1
		.amdhsa_system_sgpr_workgroup_info 0
		.amdhsa_system_vgpr_workitem_id 0
		.amdhsa_next_free_vgpr 36
		.amdhsa_next_free_sgpr 92
		.amdhsa_reserve_vcc 1
		.amdhsa_float_round_mode_32 0
		.amdhsa_float_round_mode_16_64 0
		.amdhsa_float_denorm_mode_32 3
		.amdhsa_float_denorm_mode_16_64 3
		.amdhsa_dx10_clamp 1
		.amdhsa_ieee_mode 1
		.amdhsa_fp16_overflow 0
		.amdhsa_workgroup_processor_mode 1
		.amdhsa_memory_ordered 1
		.amdhsa_forward_progress 0
		.amdhsa_shared_vgpr_count 0
		.amdhsa_exception_fp_ieee_invalid_op 0
		.amdhsa_exception_fp_denorm_src 0
		.amdhsa_exception_fp_ieee_div_zero 0
		.amdhsa_exception_fp_ieee_overflow 0
		.amdhsa_exception_fp_ieee_underflow 0
		.amdhsa_exception_fp_ieee_inexact 0
		.amdhsa_exception_int_div_zero 0
	.end_amdhsa_kernel
	.section	.text._ZN2at6native12_GLOBAL__N_114gatherKthValueIaiLi2EEEvNS_4cuda6detail10TensorInfoIKT_T0_EES8_S8_S8_S8_NS5_IS6_S8_EENS5_IlS8_EE,"axG",@progbits,_ZN2at6native12_GLOBAL__N_114gatherKthValueIaiLi2EEEvNS_4cuda6detail10TensorInfoIKT_T0_EES8_S8_S8_S8_NS5_IS6_S8_EENS5_IlS8_EE,comdat
.Lfunc_end9:
	.size	_ZN2at6native12_GLOBAL__N_114gatherKthValueIaiLi2EEEvNS_4cuda6detail10TensorInfoIKT_T0_EES8_S8_S8_S8_NS5_IS6_S8_EENS5_IlS8_EE, .Lfunc_end9-_ZN2at6native12_GLOBAL__N_114gatherKthValueIaiLi2EEEvNS_4cuda6detail10TensorInfoIKT_T0_EES8_S8_S8_S8_NS5_IS6_S8_EENS5_IlS8_EE
                                        ; -- End function
	.section	.AMDGPU.csdata,"",@progbits
; Kernel info:
; codeLenInByte = 10124
; NumSgprs: 94
; NumVgprs: 36
; ScratchSize: 0
; MemoryBound: 0
; FloatMode: 240
; IeeeMode: 1
; LDSByteSize: 4112 bytes/workgroup (compile time only)
; SGPRBlocks: 11
; VGPRBlocks: 4
; NumSGPRsForWavesPerEU: 94
; NumVGPRsForWavesPerEU: 36
; Occupancy: 16
; WaveLimiterHint : 1
; COMPUTE_PGM_RSRC2:SCRATCH_EN: 0
; COMPUTE_PGM_RSRC2:USER_SGPR: 13
; COMPUTE_PGM_RSRC2:TRAP_HANDLER: 0
; COMPUTE_PGM_RSRC2:TGID_X_EN: 1
; COMPUTE_PGM_RSRC2:TGID_Y_EN: 1
; COMPUTE_PGM_RSRC2:TGID_Z_EN: 1
; COMPUTE_PGM_RSRC2:TIDIG_COMP_CNT: 0
	.section	.text._ZN2at6native12_GLOBAL__N_114gatherKthValueIaiLi3EEEvNS_4cuda6detail10TensorInfoIKT_T0_EES8_S8_S8_S8_NS5_IS6_S8_EENS5_IlS8_EE,"axG",@progbits,_ZN2at6native12_GLOBAL__N_114gatherKthValueIaiLi3EEEvNS_4cuda6detail10TensorInfoIKT_T0_EES8_S8_S8_S8_NS5_IS6_S8_EENS5_IlS8_EE,comdat
	.globl	_ZN2at6native12_GLOBAL__N_114gatherKthValueIaiLi3EEEvNS_4cuda6detail10TensorInfoIKT_T0_EES8_S8_S8_S8_NS5_IS6_S8_EENS5_IlS8_EE ; -- Begin function _ZN2at6native12_GLOBAL__N_114gatherKthValueIaiLi3EEEvNS_4cuda6detail10TensorInfoIKT_T0_EES8_S8_S8_S8_NS5_IS6_S8_EENS5_IlS8_EE
	.p2align	8
	.type	_ZN2at6native12_GLOBAL__N_114gatherKthValueIaiLi3EEEvNS_4cuda6detail10TensorInfoIKT_T0_EES8_S8_S8_S8_NS5_IS6_S8_EENS5_IlS8_EE,@function
_ZN2at6native12_GLOBAL__N_114gatherKthValueIaiLi3EEEvNS_4cuda6detail10TensorInfoIKT_T0_EES8_S8_S8_S8_NS5_IS6_S8_EENS5_IlS8_EE: ; @_ZN2at6native12_GLOBAL__N_114gatherKthValueIaiLi3EEEvNS_4cuda6detail10TensorInfoIKT_T0_EES8_S8_S8_S8_NS5_IS6_S8_EENS5_IlS8_EE
; %bb.0:
	s_clause 0x1
	s_load_b64 s[8:9], s[0:1], 0x298
	s_load_b128 s[44:47], s[0:1], 0xd8
	s_add_u32 s2, s0, 0x298
	s_addc_u32 s3, s1, 0
	s_waitcnt lgkmcnt(0)
	s_mul_i32 s4, s9, s15
	s_delay_alu instid0(SALU_CYCLE_1) | instskip(NEXT) | instid1(SALU_CYCLE_1)
	s_add_i32 s4, s4, s14
	s_mul_i32 s29, s4, s8
	s_delay_alu instid0(SALU_CYCLE_1) | instskip(NEXT) | instid1(SALU_CYCLE_1)
	s_add_i32 s29, s29, s13
	s_cmp_ge_i32 s29, s46
	s_cbranch_scc1 .LBB10_263
; %bb.1:
	s_clause 0x3
	s_load_b64 s[10:11], s[0:1], 0xc
	s_load_b64 s[30:31], s[0:1], 0xf4
	;; [unrolled: 1-line block ×4, first 2 shown]
	s_abs_i32 s14, s29
	s_mov_b32 s65, 0
	s_waitcnt lgkmcnt(0)
	s_ashr_i32 s4, s11, 31
	s_delay_alu instid0(SALU_CYCLE_1) | instskip(NEXT) | instid1(SALU_CYCLE_1)
	s_add_i32 s5, s11, s4
	s_xor_b32 s5, s5, s4
	s_delay_alu instid0(SALU_CYCLE_1) | instskip(SKIP_1) | instid1(VALU_DEP_1)
	v_cvt_f32_u32_e32 v1, s5
	s_sub_i32 s7, 0, s5
	v_rcp_iflag_f32_e32 v1, v1
	s_waitcnt_depctr 0xfff
	v_mul_f32_e32 v1, 0x4f7ffffe, v1
	s_delay_alu instid0(VALU_DEP_1) | instskip(NEXT) | instid1(VALU_DEP_1)
	v_cvt_u32_f32_e32 v1, v1
	v_readfirstlane_b32 s6, v1
	s_delay_alu instid0(VALU_DEP_1) | instskip(NEXT) | instid1(SALU_CYCLE_1)
	s_mul_i32 s7, s7, s6
	s_mul_hi_u32 s7, s6, s7
	s_delay_alu instid0(SALU_CYCLE_1)
	s_add_i32 s6, s6, s7
	s_ashr_i32 s7, s29, 31
	s_mul_hi_u32 s6, s14, s6
	s_xor_b32 s4, s7, s4
	s_mul_i32 s9, s6, s5
	s_add_i32 s12, s6, 1
	s_sub_i32 s9, s14, s9
	s_delay_alu instid0(SALU_CYCLE_1)
	s_sub_i32 s15, s9, s5
	s_cmp_ge_u32 s9, s5
	s_cselect_b32 s6, s12, s6
	s_cselect_b32 s9, s15, s9
	s_add_i32 s12, s6, 1
	s_cmp_ge_u32 s9, s5
	s_cselect_b32 s5, s12, s6
	s_ashr_i32 s6, s31, 31
	s_abs_i32 s12, s10
	s_add_i32 s9, s31, s6
	v_cvt_f32_u32_e32 v2, s12
	s_xor_b32 s15, s9, s6
	s_xor_b32 s5, s5, s4
	v_cvt_f32_u32_e32 v1, s15
	s_sub_i32 s9, s5, s4
	v_rcp_iflag_f32_e32 v2, v2
	s_xor_b32 s5, s7, s6
	s_sub_i32 s6, 0, s15
	v_rcp_iflag_f32_e32 v1, v1
	s_sub_i32 s19, 0, s12
	s_ashr_i32 s16, s10, 31
	s_ashr_i32 s17, s9, 31
	s_abs_i32 s18, s9
	s_waitcnt_depctr 0xfff
	v_dual_mul_f32 v2, 0x4f7ffffe, v2 :: v_dual_mul_f32 v1, 0x4f7ffffe, v1
	s_delay_alu instid0(VALU_DEP_1) | instskip(NEXT) | instid1(VALU_DEP_2)
	v_cvt_u32_f32_e32 v2, v2
	v_cvt_u32_f32_e32 v1, v1
	s_delay_alu instid0(VALU_DEP_2) | instskip(NEXT) | instid1(VALU_DEP_2)
	v_readfirstlane_b32 s20, v2
	v_readfirstlane_b32 s4, v1
	s_delay_alu instid0(VALU_DEP_2) | instskip(NEXT) | instid1(VALU_DEP_1)
	s_mul_i32 s19, s19, s20
	s_mul_i32 s6, s6, s4
	s_delay_alu instid0(SALU_CYCLE_1) | instskip(NEXT) | instid1(SALU_CYCLE_1)
	s_mul_hi_u32 s6, s4, s6
	s_add_i32 s4, s4, s6
	s_mul_hi_u32 s6, s20, s19
	s_mul_hi_u32 s4, s14, s4
	s_add_i32 s20, s20, s6
	s_mul_i32 s19, s4, s15
	s_delay_alu instid0(SALU_CYCLE_1)
	s_sub_i32 s6, s14, s19
	s_add_i32 s19, s4, 1
	s_sub_i32 s21, s6, s15
	s_cmp_ge_u32 s6, s15
	s_cselect_b32 s4, s19, s4
	s_cselect_b32 s6, s21, s6
	s_add_i32 s19, s4, 1
	s_cmp_ge_u32 s6, s15
	s_cselect_b32 s4, s19, s4
	s_ashr_i32 s6, s35, 31
	s_abs_i32 s56, s30
	s_add_i32 s15, s35, s6
	v_cvt_f32_u32_e32 v2, s56
	s_xor_b32 s15, s15, s6
	s_xor_b32 s22, s7, s6
	v_cvt_f32_u32_e32 v1, s15
	s_sub_i32 s6, 0, s15
	v_rcp_iflag_f32_e32 v2, v2
	s_xor_b32 s4, s4, s5
	s_sub_i32 s21, 0, s56
	v_rcp_iflag_f32_e32 v1, v1
	s_sub_i32 s46, s4, s5
	s_delay_alu instid0(SALU_CYCLE_1) | instskip(SKIP_2) | instid1(VALU_DEP_1)
	s_abs_i32 s57, s46
	s_waitcnt_depctr 0xfff
	v_dual_mul_f32 v2, 0x4f7ffffe, v2 :: v_dual_mul_f32 v1, 0x4f7ffffe, v1
	v_cvt_u32_f32_e32 v2, v2
	s_delay_alu instid0(VALU_DEP_2) | instskip(NEXT) | instid1(VALU_DEP_2)
	v_cvt_u32_f32_e32 v1, v1
	v_readfirstlane_b32 s7, v2
	s_delay_alu instid0(VALU_DEP_2) | instskip(NEXT) | instid1(VALU_DEP_2)
	v_readfirstlane_b32 s19, v1
	s_mul_i32 s21, s21, s7
	s_delay_alu instid0(SALU_CYCLE_1) | instskip(NEXT) | instid1(VALU_DEP_1)
	s_mul_hi_u32 s5, s7, s21
	s_mul_i32 s6, s6, s19
	s_delay_alu instid0(SALU_CYCLE_1) | instskip(NEXT) | instid1(SALU_CYCLE_1)
	s_mul_hi_u32 s4, s19, s6
	s_add_i32 s19, s19, s4
	s_delay_alu instid0(SALU_CYCLE_1)
	s_mul_hi_u32 s4, s14, s19
	s_add_i32 s19, s7, s5
	s_mul_i32 s6, s4, s15
	s_mul_hi_u32 s61, s57, s19
	s_sub_i32 s5, s14, s6
	s_add_i32 s6, s4, 1
	s_sub_i32 s7, s5, s15
	s_cmp_ge_u32 s5, s15
	s_cselect_b32 s4, s6, s4
	s_cselect_b32 s5, s7, s5
	s_add_i32 s6, s4, 1
	s_cmp_ge_u32 s5, s15
	s_clause 0x1
	s_load_b128 s[40:43], s[0:1], 0x154
	s_load_b64 s[14:15], s[0:1], 0x0
	s_cselect_b32 s21, s6, s4
	s_abs_i32 s33, s34
	s_clause 0x2
	s_load_b128 s[36:39], s[0:1], 0x22c
	s_load_b64 s[50:51], s[0:1], 0xe8
	s_load_b128 s[4:7], s[0:1], 0x6c
	v_cvt_f32_u32_e32 v1, s33
	s_mul_hi_u32 s1, s18, s20
	s_sub_i32 s20, 0, s33
	s_xor_b32 s0, s21, s22
	s_delay_alu instid0(VALU_DEP_1)
	v_rcp_iflag_f32_e32 v1, v1
	s_waitcnt lgkmcnt(0)
	s_sub_i32 s39, s0, s22
	v_cmp_eq_u32_e64 s0, 0, v0
	s_abs_i32 s58, s39
	s_waitcnt_depctr 0xfff
	v_mul_f32_e32 v1, 0x4f7ffffe, v1
	s_delay_alu instid0(VALU_DEP_1) | instskip(NEXT) | instid1(VALU_DEP_1)
	v_cvt_u32_f32_e32 v1, v1
	v_readfirstlane_b32 s7, v1
	s_delay_alu instid0(VALU_DEP_1) | instskip(NEXT) | instid1(SALU_CYCLE_1)
	s_mul_i32 s20, s20, s7
	s_mul_hi_u32 s20, s7, s20
	s_delay_alu instid0(SALU_CYCLE_1) | instskip(NEXT) | instid1(SALU_CYCLE_1)
	s_add_i32 s7, s7, s20
	s_mul_hi_u32 s43, s58, s7
	s_and_saveexec_b32 s7, s0
	s_cbranch_execz .LBB10_3
; %bb.2:
	v_dual_mov_b32 v1, 0 :: v_dual_mov_b32 v2, s44
	s_delay_alu instid0(VALU_DEP_1)
	v_mov_b32_e32 v3, v1
	ds_store_b96 v1, v[1:3] offset:4096
.LBB10_3:
	s_or_b32 exec_lo, exec_lo, s7
	s_mul_i32 s7, s9, s11
	s_mul_i32 s11, s1, s12
	s_ashr_i32 s62, s46, 31
	s_sub_i32 s11, s18, s11
	s_ashr_i32 s63, s30, 31
	s_ashr_i32 s59, s39, 31
	;; [unrolled: 1-line block ×3, first 2 shown]
	s_sub_i32 s7, s29, s7
	s_xor_b32 s16, s17, s16
	s_add_i32 s17, s1, 1
	s_sub_i32 s18, s11, s12
	s_cmp_ge_u32 s11, s12
	s_waitcnt lgkmcnt(0)
	s_cselect_b32 s1, s17, s1
	s_cselect_b32 s11, s18, s11
	s_add_i32 s17, s1, 1
	s_cmp_ge_u32 s11, s12
	s_barrier
	buffer_gl0_inv
	s_load_b32 s11, s[2:3], 0xc
	s_cselect_b32 s1, s17, s1
	s_mul_i32 s7, s7, s6
	s_xor_b32 s1, s1, s16
	v_mbcnt_lo_u32_b32 v12, -1, 0
	s_sub_i32 s1, s1, s16
	v_cmp_gt_u32_e32 vcc_lo, 32, v0
	s_mul_i32 s10, s1, s10
	s_mul_i32 s1, s1, s4
	s_sub_i32 s9, s9, s10
	v_mul_lo_u32 v11, v0, s47
	s_mul_i32 s5, s9, s5
	v_dual_mov_b32 v22, 0 :: v_dual_lshlrev_b32 v13, 2, v0
	s_add_i32 s5, s5, s7
	v_lshrrev_b32_e32 v3, 3, v0
	s_add_i32 s5, s5, s1
	s_mov_b32 s10, s47
	s_ashr_i32 s1, s5, 31
	s_add_u32 s52, s14, s5
	s_addc_u32 s53, s15, s1
	s_waitcnt lgkmcnt(0)
	s_and_b32 s64, s11, 0xffff
	v_cmp_gt_i32_e64 s1, 4, v12
	s_lshl_b32 s66, s64, 2
	s_add_i32 s68, s64, -1
	v_cvt_f32_u32_e32 v1, s66
	s_bfe_u32 s4, s11, 0xb0005
	s_and_b32 s69, vcc_lo, s1
	s_add_i32 s79, s68, s44
	s_cmpk_gt_i32 s44, 0xc00
	v_rcp_iflag_f32_e32 v1, v1
	s_cselect_b32 s70, -1, 0
	s_cmp_gt_u32 s64, 31
	v_dual_mov_b32 v21, 0 :: v_dual_and_b32 v14, 0x7c, v3
	s_cselect_b32 s71, -1, 0
	s_cmp_lt_u32 s13, s8
	v_or_b32_e32 v3, 3, v13
	s_cselect_b32 s1, 12, 18
	v_mad_u64_u32 v[9:10], null, s47, v13, s[10:11]
	s_waitcnt_depctr 0xfff
	v_mul_f32_e32 v1, 0x4f7ffffe, v1
	s_add_u32 s54, s2, s1
	s_addc_u32 s55, s3, 0
	s_add_i32 s1, s4, -1
	s_bfe_u32 s72, s64, 0x30005
	v_cvt_u32_f32_e32 v1, v1
	s_cmp_gt_u32 s1, 6
	v_mul_lo_u32 v17, s47, v3
	s_cselect_b32 s73, -1, 0
	s_and_b32 s74, s4, 0x7f8
	v_readfirstlane_b32 s2, v1
	v_cvt_f32_u32_e32 v1, s64
	s_cmp_lg_u32 s72, 0
	v_add_co_u32 v5, s4, s52, v11
	s_cselect_b32 s75, -1, 0
	s_delay_alu instid0(VALU_DEP_2)
	v_rcp_iflag_f32_e32 v1, v1
	s_sub_i32 s1, 0, s66
	v_add_co_ci_u32_e64 v6, null, s53, 0, s4
	s_mul_i32 s1, s1, s2
	v_lshlrev_b32_e32 v18, 2, v11
	s_mul_hi_u32 s3, s2, s1
	v_cmp_eq_u32_e64 s1, 0, v12
	s_add_i32 s76, s2, s3
	v_cmp_gt_u32_e64 s2, 2, v0
	s_mul_hi_u32 s3, s44, s76
	s_waitcnt_depctr 0xfff
	v_mul_f32_e32 v1, 0x4f7ffffe, v1
	s_mul_i32 s3, s3, s66
	v_lshl_or_b32 v20, v12, 2, 0xc00
	s_sub_i32 s4, s44, s3
	v_cmp_gt_u32_e64 s3, s44, v0
	s_sub_i32 s5, s4, s66
	v_cvt_u32_f32_e32 v1, v1
	s_cmp_ge_u32 s4, s66
	s_mul_i32 s67, s47, s64
	s_cselect_b32 s5, s5, s4
	v_cmp_gt_i32_e64 s4, s44, v0
	s_sub_i32 s6, s5, s66
	v_readfirstlane_b32 s7, v1
	s_cmp_ge_u32 s5, s66
	v_lshlrev_b64 v[1:2], v12, -1
	s_cselect_b32 s9, s6, s5
	s_sub_i32 s5, 0, s64
	s_sub_i32 s78, s44, s9
	s_mul_i32 s5, s5, s7
	v_add_nc_u32_e32 v16, s78, v0
	s_mul_hi_u32 s5, s7, s5
	s_abs_i32 s6, s79
	s_add_i32 s77, s7, s5
	v_not_b32_e32 v15, v1
	s_mul_hi_u32 s5, s6, s77
	v_mul_lo_u32 v1, v16, s47
	s_mul_i32 s5, s5, s64
	s_ashr_i32 s7, s79, 31
	s_sub_i32 s5, s6, s5
	s_mov_b32 s80, 6
	s_sub_i32 s6, s5, s64
	s_cmp_ge_u32 s5, s64
	s_mov_b32 s87, 0
	s_cselect_b32 s6, s6, s5
	v_ashrrev_i32_e32 v2, 31, v1
	v_add_co_u32 v7, vcc_lo, s52, v1
	v_add3_u32 v1, s64, s44, v0
	s_sub_i32 s8, s6, s64
	s_cmp_ge_u32 s6, s64
	v_add_co_ci_u32_e32 v8, vcc_lo, s53, v2, vcc_lo
	s_cselect_b32 s8, s8, s6
	v_or_b32_e32 v2, 2, v13
	v_subrev_nc_u32_e32 v1, s9, v1
	s_xor_b32 s8, s8, s7
	v_cmp_gt_i32_e64 s5, s78, v13
	s_sub_i32 s7, s7, s8
	v_mul_lo_u32 v10, s47, v2
	v_mul_lo_u32 v19, s47, v1
	s_add_i32 s79, s79, s7
	v_cmp_gt_u32_e64 s6, s44, v16
	v_cmp_gt_i32_e64 s7, s44, v16
	v_cmp_gt_i32_e64 s8, s79, v0
	s_lshl_b32 s81, s67, 2
	s_mov_b32 s89, 0
	s_mov_b32 s90, 0
                                        ; implicit-def: $sgpr82
                                        ; implicit-def: $sgpr84
                                        ; implicit-def: $sgpr83
                                        ; implicit-def: $sgpr86
                                        ; implicit-def: $sgpr88
                                        ; implicit-def: $sgpr85
	s_branch .LBB10_8
.LBB10_4:                               ;   in Loop: Header=BB10_8 Depth=1
	s_xor_b32 s87, s87, 1
	s_add_i32 s13, s80, -2
	s_cmp_eq_u32 s80, 0
	s_mov_b32 s9, 0
	s_cselect_b32 s11, -1, 0
	s_mov_b32 s80, s13
.LBB10_5:                               ;   in Loop: Header=BB10_8 Depth=1
	s_and_not1_b32 s13, s15, exec_lo
	s_and_b32 s9, s9, exec_lo
	s_and_not1_b32 s17, s17, exec_lo
	s_or_b32 s15, s13, s9
	s_and_not1_b32 s14, s14, exec_lo
	s_or_not1_b32 s13, s11, exec_lo
	s_mov_b32 s45, s22
.LBB10_6:                               ;   in Loop: Header=BB10_8 Depth=1
	s_or_b32 exec_lo, exec_lo, s10
	s_delay_alu instid0(SALU_CYCLE_1)
	s_and_not1_b32 s9, s85, exec_lo
	s_and_b32 s10, s15, exec_lo
	s_and_not1_b32 s11, s86, exec_lo
	s_or_b32 s85, s9, s10
	s_and_not1_b32 s9, s88, exec_lo
	s_and_b32 s10, s17, exec_lo
	s_and_b32 s14, s14, exec_lo
	s_or_b32 s88, s9, s10
	s_or_b32 s86, s11, s14
	s_or_not1_b32 s14, s13, exec_lo
.LBB10_7:                               ;   in Loop: Header=BB10_8 Depth=1
	s_or_b32 exec_lo, exec_lo, s12
	s_delay_alu instid0(SALU_CYCLE_1)
	s_and_b32 s9, exec_lo, s14
	v_mov_b32_e32 v1, s89
	s_or_b32 s65, s9, s65
	s_and_not1_b32 s9, s83, exec_lo
	s_and_b32 s10, s85, exec_lo
	s_and_not1_b32 s11, s82, exec_lo
	s_or_b32 s83, s9, s10
	s_and_not1_b32 s9, s84, exec_lo
	s_and_b32 s10, s88, exec_lo
	s_and_b32 s12, s86, exec_lo
	s_or_b32 s84, s9, s10
	s_or_b32 s82, s11, s12
	s_and_not1_b32 exec_lo, exec_lo, s65
	s_cbranch_execz .LBB10_239
.LBB10_8:                               ; =>This Loop Header: Depth=1
                                        ;     Child Loop BB10_13 Depth 2
                                        ;     Child Loop BB10_32 Depth 2
	;; [unrolled: 1-line block ×16, first 2 shown]
	ds_load_b64 v[1:2], v21 offset:4096
	s_waitcnt lgkmcnt(0)
	v_readfirstlane_b32 s91, v1
	s_delay_alu instid0(VALU_DEP_1)
	s_cmp_gt_i32 s91, 0
	s_cbranch_scc1 .LBB10_39
; %bb.9:                                ;   in Loop: Header=BB10_8 Depth=1
	s_and_b32 vcc_lo, exec_lo, s70
	s_cbranch_vccz .LBB10_21
; %bb.10:                               ;   in Loop: Header=BB10_8 Depth=1
	v_cmp_gt_i32_e32 vcc_lo, 0xc01, v2
	s_mov_b32 s10, 0
	s_mov_b32 s9, 0
	s_cbranch_vccz .LBB10_26
; %bb.11:                               ;   in Loop: Header=BB10_8 Depth=1
	global_load_u16 v1, v21, s[54:55]
	global_load_u8 v23, v[5:6], off
	v_mov_b32_e32 v4, v0
	s_mov_b32 s11, 0
	s_waitcnt vmcnt(1)
	v_add_nc_u32_e32 v2, v0, v1
	v_mul_lo_u32 v3, s47, v1
	s_delay_alu instid0(VALU_DEP_2)
	v_mul_lo_u32 v2, s47, v2
	s_branch .LBB10_13
.LBB10_12:                              ;   in Loop: Header=BB10_13 Depth=2
	s_or_b32 exec_lo, exec_lo, s9
	v_cmp_le_i32_e32 vcc_lo, s44, v4
	v_dual_mov_b32 v23, v24 :: v_dual_add_nc_u32 v2, v2, v3
	s_or_b32 s11, vcc_lo, s11
	s_delay_alu instid0(SALU_CYCLE_1)
	s_and_not1_b32 exec_lo, exec_lo, s11
	s_cbranch_execz .LBB10_22
.LBB10_13:                              ;   Parent Loop BB10_8 Depth=1
                                        ; =>  This Inner Loop Header: Depth=2
	s_waitcnt lgkmcnt(0)
	v_dual_mov_b32 v25, 0 :: v_dual_add_nc_u32 v4, v4, v1
	v_mov_b32_e32 v24, 0
	s_mov_b32 s9, exec_lo
	s_delay_alu instid0(VALU_DEP_2)
	v_cmpx_gt_u32_e64 s44, v4
	s_cbranch_execz .LBB10_15
; %bb.14:                               ;   in Loop: Header=BB10_13 Depth=2
	global_load_u8 v24, v2, s[52:53]
.LBB10_15:                              ;   in Loop: Header=BB10_13 Depth=2
	s_or_b32 exec_lo, exec_lo, s9
	s_waitcnt vmcnt(0)
	v_bfe_i32 v26, v23, 0, 8
	s_delay_alu instid0(VALU_DEP_1) | instskip(NEXT) | instid1(VALU_DEP_1)
	v_add_nc_u32_e32 v26, 0x80, v26
	v_and_b32_e32 v26, s90, v26
	s_delay_alu instid0(VALU_DEP_1) | instskip(SKIP_2) | instid1(SALU_CYCLE_1)
	v_cmp_eq_u32_e32 vcc_lo, s89, v26
	s_cmp_lg_u32 vcc_lo, 0
	s_cselect_b32 s9, -1, 0
	s_and_b32 s9, s1, s9
	s_delay_alu instid0(SALU_CYCLE_1)
	s_and_saveexec_b32 s12, s9
	s_cbranch_execz .LBB10_19
; %bb.16:                               ;   in Loop: Header=BB10_13 Depth=2
	s_mov_b32 s15, exec_lo
	s_bcnt1_i32_b32 s13, vcc_lo
	v_mbcnt_lo_u32_b32 v25, s15, 0
	s_mov_b32 s14, exec_lo
                                        ; implicit-def: $vgpr26
	s_delay_alu instid0(VALU_DEP_1)
	v_cmpx_eq_u32_e32 0, v25
	s_cbranch_execz .LBB10_18
; %bb.17:                               ;   in Loop: Header=BB10_13 Depth=2
	s_bcnt1_i32_b32 s9, s15
	s_delay_alu instid0(SALU_CYCLE_1) | instskip(NEXT) | instid1(SALU_CYCLE_1)
	s_mul_i32 s9, s13, s9
	v_mov_b32_e32 v26, s9
	ds_add_rtn_u32 v26, v21, v26 offset:4104
.LBB10_18:                              ;   in Loop: Header=BB10_13 Depth=2
	s_or_b32 exec_lo, exec_lo, s14
	s_waitcnt lgkmcnt(0)
	v_readfirstlane_b32 s9, v26
	s_delay_alu instid0(VALU_DEP_1)
	v_mad_u32_u24 v25, s13, v25, s9
.LBB10_19:                              ;   in Loop: Header=BB10_13 Depth=2
	s_or_b32 exec_lo, exec_lo, s12
	ds_bpermute_b32 v25, v21, v25
	s_and_saveexec_b32 s9, vcc_lo
	s_cbranch_execz .LBB10_12
; %bb.20:                               ;   in Loop: Header=BB10_13 Depth=2
	v_and_b32_e32 v26, vcc_lo, v15
	s_waitcnt lgkmcnt(0)
	s_delay_alu instid0(VALU_DEP_1)
	v_bcnt_u32_b32 v25, v26, v25
	ds_store_b8 v25, v23
	s_branch .LBB10_12
.LBB10_21:                              ;   in Loop: Header=BB10_8 Depth=1
	s_mov_b32 s10, -1
	s_mov_b32 s9, 0
	s_branch .LBB10_25
.LBB10_22:                              ;   in Loop: Header=BB10_8 Depth=1
	s_or_b32 exec_lo, exec_lo, s11
	s_waitcnt lgkmcnt(0)
	s_barrier
	buffer_gl0_inv
	s_and_saveexec_b32 s9, s0
	s_cbranch_execz .LBB10_24
; %bb.23:                               ;   in Loop: Header=BB10_8 Depth=1
	ds_load_b32 v1, v21 offset:4104
	s_waitcnt lgkmcnt(0)
	ds_store_b32 v21, v1 offset:4096
.LBB10_24:                              ;   in Loop: Header=BB10_8 Depth=1
	s_or_b32 exec_lo, exec_lo, s9
	s_waitcnt lgkmcnt(0)
	s_mov_b32 s9, -1
	s_barrier
.LBB10_25:                              ;   in Loop: Header=BB10_8 Depth=1
                                        ; implicit-def: $sgpr91
.LBB10_26:                              ;   in Loop: Header=BB10_8 Depth=1
	s_and_b32 vcc_lo, exec_lo, s10
	s_cbranch_vccz .LBB10_37
; %bb.27:                               ;   in Loop: Header=BB10_8 Depth=1
	v_mov_b32_e32 v1, 0
	s_and_saveexec_b32 s9, s3
	s_cbranch_execz .LBB10_29
; %bb.28:                               ;   in Loop: Header=BB10_8 Depth=1
	global_load_u8 v1, v[5:6], off
.LBB10_29:                              ;   in Loop: Header=BB10_8 Depth=1
	s_or_b32 exec_lo, exec_lo, s9
	s_and_saveexec_b32 s9, s4
	s_cbranch_execz .LBB10_34
; %bb.30:                               ;   in Loop: Header=BB10_8 Depth=1
	global_load_u16 v2, v21, s[54:55]
	v_mov_b32_e32 v23, v0
	s_mov_b32 s10, 0
	s_waitcnt vmcnt(0)
	v_add_nc_u32_e32 v3, v0, v2
	v_mul_lo_u32 v4, s47, v2
	s_delay_alu instid0(VALU_DEP_2)
	v_mul_lo_u32 v3, s47, v3
	s_branch .LBB10_32
	.p2align	6
.LBB10_31:                              ;   in Loop: Header=BB10_32 Depth=2
	s_or_b32 exec_lo, exec_lo, s11
	v_cmp_le_i32_e32 vcc_lo, s44, v24
	ds_store_b8 v23, v1
	v_add_nc_u32_e32 v3, v3, v4
	s_waitcnt vmcnt(0)
	v_mov_b32_e32 v1, v25
	v_mov_b32_e32 v23, v24
	s_or_b32 s10, vcc_lo, s10
	s_delay_alu instid0(SALU_CYCLE_1)
	s_and_not1_b32 exec_lo, exec_lo, s10
	s_cbranch_execz .LBB10_34
.LBB10_32:                              ;   Parent Loop BB10_8 Depth=1
                                        ; =>  This Inner Loop Header: Depth=2
	s_delay_alu instid0(VALU_DEP_1) | instskip(SKIP_1) | instid1(VALU_DEP_1)
	v_dual_mov_b32 v25, 0 :: v_dual_add_nc_u32 v24, v23, v2
	s_mov_b32 s11, exec_lo
	v_cmpx_gt_u32_e64 s44, v24
	s_cbranch_execz .LBB10_31
; %bb.33:                               ;   in Loop: Header=BB10_32 Depth=2
	global_load_u8 v25, v3, s[52:53]
	s_branch .LBB10_31
.LBB10_34:                              ;   in Loop: Header=BB10_8 Depth=1
	s_or_b32 exec_lo, exec_lo, s9
	s_waitcnt vmcnt(0) lgkmcnt(0)
	s_barrier
	buffer_gl0_inv
	s_and_saveexec_b32 s9, s0
	s_cbranch_execz .LBB10_36
; %bb.35:                               ;   in Loop: Header=BB10_8 Depth=1
	v_mov_b32_e32 v1, s44
	ds_store_b32 v21, v1 offset:4096
.LBB10_36:                              ;   in Loop: Header=BB10_8 Depth=1
	s_or_b32 exec_lo, exec_lo, s9
	s_mov_b32 s9, -1
	s_waitcnt lgkmcnt(0)
	s_barrier
                                        ; implicit-def: $sgpr91
.LBB10_37:                              ;   in Loop: Header=BB10_8 Depth=1
	s_and_b32 vcc_lo, exec_lo, s9
	s_cbranch_vccz .LBB10_39
; %bb.38:                               ;   in Loop: Header=BB10_8 Depth=1
	buffer_gl0_inv
	ds_load_b32 v1, v21 offset:4096
	s_waitcnt lgkmcnt(0)
	v_readfirstlane_b32 s91, v1
.LBB10_39:                              ;   in Loop: Header=BB10_8 Depth=1
	s_delay_alu instid0(VALU_DEP_1)
	s_cmp_lt_i32 s91, 1
	s_cbranch_scc0 .LBB10_43
; %bb.40:                               ;   in Loop: Header=BB10_8 Depth=1
	v_dual_mov_b32 v1, 0 :: v_dual_mov_b32 v2, 0
	v_dual_mov_b32 v3, 0 :: v_dual_mov_b32 v4, 0
	s_mov_b32 s93, 0
	s_and_saveexec_b32 s92, s5
	s_cbranch_execnz .LBB10_44
; %bb.41:                               ;   in Loop: Header=BB10_8 Depth=1
	s_or_b32 exec_lo, exec_lo, s92
	v_mov_b32_e32 v25, 0
	s_and_saveexec_b32 s9, s6
	s_cbranch_execnz .LBB10_47
.LBB10_42:                              ;   in Loop: Header=BB10_8 Depth=1
	s_or_b32 exec_lo, exec_lo, s9
	s_and_saveexec_b32 s13, s7
	s_cbranch_execnz .LBB10_48
	s_branch .LBB10_53
.LBB10_43:                              ;   in Loop: Header=BB10_8 Depth=1
                                        ; implicit-def: $vgpr4
	s_cbranch_execnz .LBB10_54
	s_branch .LBB10_63
.LBB10_44:                              ;   in Loop: Header=BB10_8 Depth=1
	v_mov_b32_e32 v23, v13
	s_and_b32 s94, s80, 0xfe
	s_mov_b32 s95, 0
	s_mov_b32 s96, 0
	;; [unrolled: 1-line block ×5, first 2 shown]
.LBB10_45:                              ;   Parent Loop BB10_8 Depth=1
                                        ; =>  This Inner Loop Header: Depth=2
	v_add_nc_u32_e32 v2, s95, v18
	v_add_nc_u32_e32 v1, s95, v9
	;; [unrolled: 1-line block ×5, first 2 shown]
	v_ashrrev_i32_e32 v25, 31, v2
	v_ashrrev_i32_e32 v28, 31, v1
	v_ashrrev_i32_e32 v29, 31, v3
	v_ashrrev_i32_e32 v30, 31, v4
	v_add_co_u32 v26, s11, s52, v2
	v_add_co_u32 v1, vcc_lo, s52, v1
	v_add_co_u32 v3, s9, s52, v3
	v_add_co_ci_u32_e64 v27, s11, s53, v25, s11
	v_add_co_u32 v24, s10, s52, v4
	v_add_co_ci_u32_e32 v2, vcc_lo, s53, v28, vcc_lo
	v_add_co_ci_u32_e64 v4, vcc_lo, s53, v29, s9
	v_add_co_ci_u32_e64 v25, vcc_lo, s53, v30, s10
	s_clause 0x3
	global_load_i8 v26, v[26:27], off
	global_load_i8 v1, v[1:2], off
	;; [unrolled: 1-line block ×4, first 2 shown]
	v_cmp_le_i32_e32 vcc_lo, s78, v23
	s_add_i32 s95, s95, s81
	s_waitcnt vmcnt(3)
	v_add_nc_u32_e32 v4, 0x80, v26
	s_waitcnt vmcnt(2)
	v_add_nc_u32_e32 v1, 0x80, v1
	;; [unrolled: 2-line block ×4, first 2 shown]
	v_and_b32_e32 v24, s90, v4
	v_bfe_u32 v4, v4, s94, 2
	v_and_b32_e32 v25, s90, v1
	v_bfe_u32 v1, v1, s94, 2
	;; [unrolled: 2-line block ×3, first 2 shown]
	v_cmp_eq_u32_e64 s9, s89, v24
	v_cmp_eq_u32_e64 s13, 0, v4
	v_and_b32_e32 v27, s90, v3
	v_bfe_u32 v3, v3, s94, 2
	v_cmp_eq_u32_e64 s10, s89, v25
	v_cmp_eq_u32_e64 s14, 0, v1
	;; [unrolled: 1-line block ×4, first 2 shown]
	s_and_b32 s13, s9, s13
	v_cmp_eq_u32_e64 s12, s89, v27
	v_cmp_eq_u32_e64 s16, 0, v3
	;; [unrolled: 1-line block ×5, first 2 shown]
	v_cndmask_b32_e64 v1, 0, 1, s13
	s_and_b32 s13, s10, s14
	v_cmp_eq_u32_e64 s17, 1, v4
	v_cmp_eq_u32_e64 s19, 1, v2
	;; [unrolled: 1-line block ×4, first 2 shown]
	v_cndmask_b32_e64 v2, 0, 1, s13
	s_and_b32 s13, s11, s15
	v_cmp_eq_u32_e64 s20, 1, v3
	v_cmp_eq_u32_e64 s24, 2, v3
	;; [unrolled: 1-line block ×3, first 2 shown]
	v_cndmask_b32_e64 v3, 0, 1, s13
	s_and_b32 s13, s12, s16
	v_cmp_eq_u32_e64 s21, 2, v4
	v_cmp_eq_u32_e64 s25, 3, v4
	v_cndmask_b32_e64 v4, 0, 1, s13
	s_and_b32 s13, s9, s17
	s_delay_alu instid0(SALU_CYCLE_1) | instskip(SKIP_1) | instid1(SALU_CYCLE_1)
	v_cndmask_b32_e64 v24, 0, 1, s13
	s_and_b32 s13, s10, s18
	v_cndmask_b32_e64 v25, 0, 1, s13
	s_and_b32 s13, s11, s19
	s_delay_alu instid0(SALU_CYCLE_1) | instskip(SKIP_1) | instid1(VALU_DEP_2)
	v_cndmask_b32_e64 v26, 0, 1, s13
	s_and_b32 s13, s12, s20
	v_cmp_ne_u32_e64 s14, 0, v25
	v_cndmask_b32_e64 v27, 0, 1, s13
	s_and_b32 s13, s9, s21
	s_and_b32 s9, s9, s25
	v_cndmask_b32_e64 v28, 0, 1, s13
	s_and_b32 s13, s10, s22
	v_cndmask_b32_e64 v32, 0, 1, s9
	;; [unrolled: 2-line block ×7, first 2 shown]
	v_cndmask_b32_e64 v35, 0, 1, s9
	v_cmp_ne_u32_e64 s9, 0, v1
	v_cmp_ne_u32_e64 s13, 0, v24
	;; [unrolled: 1-line block ×11, first 2 shown]
	s_bcnt1_i32_b32 s9, s9
	s_bcnt1_i32_b32 s13, s13
	;; [unrolled: 1-line block ×4, first 2 shown]
	v_cmp_ne_u32_e64 s12, 0, v4
	v_cmp_ne_u32_e64 s16, 0, v27
	;; [unrolled: 1-line block ×4, first 2 shown]
	s_bcnt1_i32_b32 s10, s10
	s_bcnt1_i32_b32 s14, s14
	s_bcnt1_i32_b32 s18, s18
	s_bcnt1_i32_b32 s22, s22
	s_add_i32 s9, s9, s99
	s_add_i32 s13, s13, s98
	s_add_i32 s17, s17, s97
	s_add_i32 s21, s21, s96
	s_bcnt1_i32_b32 s11, s11
	s_bcnt1_i32_b32 s15, s15
	s_bcnt1_i32_b32 s19, s19
	s_bcnt1_i32_b32 s23, s23
	s_add_i32 s9, s9, s10
	s_add_i32 s10, s13, s14
	s_add_i32 s13, s17, s18
	s_add_i32 s14, s21, s22
	;; [unrolled: 8-line block ×3, first 2 shown]
	s_add_i32 s99, s9, s12
	s_add_i32 s98, s10, s16
	;; [unrolled: 1-line block ×4, first 2 shown]
	v_mov_b32_e32 v3, s97
	v_dual_mov_b32 v1, s99 :: v_dual_mov_b32 v2, s98
	v_mov_b32_e32 v4, s96
	s_or_b32 s93, vcc_lo, s93
	s_delay_alu instid0(SALU_CYCLE_1)
	s_and_not1_b32 exec_lo, exec_lo, s93
	s_cbranch_execnz .LBB10_45
; %bb.46:                               ;   in Loop: Header=BB10_8 Depth=1
	s_or_b32 exec_lo, exec_lo, s93
	s_delay_alu instid0(SALU_CYCLE_1)
	s_or_b32 exec_lo, exec_lo, s92
	v_mov_b32_e32 v25, 0
	s_and_saveexec_b32 s9, s6
	s_cbranch_execz .LBB10_42
.LBB10_47:                              ;   in Loop: Header=BB10_8 Depth=1
	global_load_u8 v25, v[7:8], off
	s_or_b32 exec_lo, exec_lo, s9
	s_and_saveexec_b32 s13, s7
	s_cbranch_execz .LBB10_53
.LBB10_48:                              ;   in Loop: Header=BB10_8 Depth=1
	v_dual_mov_b32 v23, v19 :: v_dual_mov_b32 v24, v16
	s_and_b32 s15, s80, 0xfe
	s_mov_b32 s14, 0
	s_branch .LBB10_50
.LBB10_49:                              ;   in Loop: Header=BB10_50 Depth=2
	s_or_b32 exec_lo, exec_lo, s9
	s_waitcnt vmcnt(0)
	v_bfe_i32 v25, v25, 0, 8
	v_add_nc_u32_e32 v23, s67, v23
	s_delay_alu instid0(VALU_DEP_2) | instskip(NEXT) | instid1(VALU_DEP_1)
	v_add_nc_u32_e32 v25, 0x80, v25
	v_and_b32_e32 v27, s90, v25
	v_bfe_u32 v25, v25, s15, 2
	s_delay_alu instid0(VALU_DEP_2) | instskip(NEXT) | instid1(VALU_DEP_2)
	v_cmp_eq_u32_e32 vcc_lo, s89, v27
	v_cmp_eq_u32_e64 s9, 0, v25
	v_cmp_eq_u32_e64 s10, 1, v25
	;; [unrolled: 1-line block ×4, first 2 shown]
	s_delay_alu instid0(VALU_DEP_4) | instskip(NEXT) | instid1(SALU_CYCLE_1)
	s_and_b32 s9, vcc_lo, s9
	v_cndmask_b32_e64 v25, 0, 1, s9
	s_and_b32 s9, vcc_lo, s10
	s_delay_alu instid0(SALU_CYCLE_1) | instskip(SKIP_1) | instid1(SALU_CYCLE_1)
	v_cndmask_b32_e64 v27, 0, 1, s9
	s_and_b32 s9, vcc_lo, s11
	v_cndmask_b32_e64 v28, 0, 1, s9
	s_and_b32 s9, vcc_lo, s12
	v_cmp_ne_u32_e32 vcc_lo, 0, v25
	v_cndmask_b32_e64 v29, 0, 1, s9
	v_cmp_ne_u32_e64 s9, 0, v27
	v_cmp_ne_u32_e64 s10, 0, v28
	v_cmp_le_i32_e64 s12, s44, v24
	s_bcnt1_i32_b32 s16, vcc_lo
	v_cmp_ne_u32_e64 s11, 0, v29
	s_bcnt1_i32_b32 s9, s9
	s_bcnt1_i32_b32 s10, s10
	v_add_nc_u32_e32 v1, s16, v1
	v_dual_mov_b32 v25, v26 :: v_dual_add_nc_u32 v2, s9, v2
	s_bcnt1_i32_b32 s11, s11
	v_add_nc_u32_e32 v3, s10, v3
	v_add_nc_u32_e32 v4, s11, v4
	s_or_b32 s14, s12, s14
	s_delay_alu instid0(SALU_CYCLE_1)
	s_and_not1_b32 exec_lo, exec_lo, s14
	s_cbranch_execz .LBB10_52
.LBB10_50:                              ;   Parent Loop BB10_8 Depth=1
                                        ; =>  This Inner Loop Header: Depth=2
	s_delay_alu instid0(VALU_DEP_1) | instskip(SKIP_2) | instid1(VALU_DEP_2)
	v_add_nc_u32_e32 v24, s64, v24
	v_mov_b32_e32 v26, 0
	s_mov_b32 s9, exec_lo
	v_cmpx_gt_u32_e64 s44, v24
	s_cbranch_execz .LBB10_49
; %bb.51:                               ;   in Loop: Header=BB10_50 Depth=2
	v_ashrrev_i32_e32 v27, 31, v23
	v_add_co_u32 v26, vcc_lo, s52, v23
	s_delay_alu instid0(VALU_DEP_2)
	v_add_co_ci_u32_e32 v27, vcc_lo, s53, v27, vcc_lo
	global_load_u8 v26, v[26:27], off
	s_branch .LBB10_49
.LBB10_52:                              ;   in Loop: Header=BB10_8 Depth=1
	s_or_b32 exec_lo, exec_lo, s14
.LBB10_53:                              ;   in Loop: Header=BB10_8 Depth=1
	s_delay_alu instid0(SALU_CYCLE_1)
	s_or_b32 exec_lo, exec_lo, s13
	s_branch .LBB10_63
.LBB10_54:                              ;   in Loop: Header=BB10_8 Depth=1
	s_mul_hi_u32 s9, s91, s76
	v_dual_mov_b32 v1, 0 :: v_dual_mov_b32 v2, 0
	s_mul_i32 s9, s9, s66
	v_dual_mov_b32 v3, 0 :: v_dual_mov_b32 v4, 0
	s_sub_i32 s9, s91, s9
	s_mov_b32 s94, 0
	s_sub_i32 s10, s9, s66
	s_cmp_ge_u32 s9, s66
	s_mov_b32 s93, exec_lo
	s_cselect_b32 s9, s10, s9
	s_delay_alu instid0(SALU_CYCLE_1) | instskip(SKIP_2) | instid1(SALU_CYCLE_1)
	s_sub_i32 s10, s9, s66
	s_cmp_ge_u32 s9, s66
	s_cselect_b32 s9, s10, s9
	s_sub_i32 s92, s91, s9
	s_delay_alu instid0(SALU_CYCLE_1)
	v_cmpx_gt_u32_e64 s92, v13
	s_cbranch_execz .LBB10_58
; %bb.55:                               ;   in Loop: Header=BB10_8 Depth=1
	v_mov_b32_e32 v23, v13
	s_and_b32 s95, s80, 0xfe
	s_mov_b32 s96, 0
	s_mov_b32 s97, 0
	;; [unrolled: 1-line block ×4, first 2 shown]
.LBB10_56:                              ;   Parent Loop BB10_8 Depth=1
                                        ; =>  This Inner Loop Header: Depth=2
	ds_load_b32 v1, v23
	s_waitcnt lgkmcnt(0)
	v_bfe_i32 v2, v1, 0, 8
	v_bfe_i32 v3, v1, 8, 8
	;; [unrolled: 1-line block ×3, first 2 shown]
	v_ashrrev_i32_e32 v1, 24, v1
	s_delay_alu instid0(VALU_DEP_4) | instskip(NEXT) | instid1(VALU_DEP_4)
	v_add_nc_u32_e32 v2, 0x80, v2
	v_add_nc_u32_e32 v3, 0x80, v3
	s_delay_alu instid0(VALU_DEP_4) | instskip(NEXT) | instid1(VALU_DEP_4)
	v_add_nc_u32_e32 v4, 0x80, v4
	v_add_nc_u32_e32 v1, 0x80, v1
	s_delay_alu instid0(VALU_DEP_4)
	v_and_b32_e32 v24, s90, v2
	v_bfe_u32 v2, v2, s95, 2
	s_waitcnt vmcnt(0)
	v_and_b32_e32 v25, s90, v3
	v_bfe_u32 v3, v3, s95, 2
	v_and_b32_e32 v26, s90, v4
	v_bfe_u32 v4, v4, s95, 2
	v_cmp_eq_u32_e64 s9, s89, v24
	v_cmp_eq_u32_e64 s13, 0, v2
	v_and_b32_e32 v27, s90, v1
	v_bfe_u32 v1, v1, s95, 2
	v_cmp_eq_u32_e64 s10, s89, v25
	v_cmp_eq_u32_e64 s14, 0, v3
	;; [unrolled: 1-line block ×4, first 2 shown]
	s_and_b32 s13, s9, s13
	v_cmp_eq_u32_e64 s12, s89, v27
	v_cmp_eq_u32_e64 s16, 0, v1
	;; [unrolled: 1-line block ×5, first 2 shown]
	v_cndmask_b32_e64 v1, 0, 1, s13
	s_and_b32 s13, s10, s14
	v_cmp_eq_u32_e64 s17, 1, v2
	v_cmp_eq_u32_e64 s21, 2, v2
	v_cmp_eq_u32_e64 s25, 3, v2
	v_cndmask_b32_e64 v2, 0, 1, s13
	s_and_b32 s13, s11, s15
	v_cmp_eq_u32_e64 s18, 1, v3
	v_cmp_eq_u32_e64 s22, 2, v3
	v_cmp_eq_u32_e64 s26, 3, v3
	v_cndmask_b32_e64 v3, 0, 1, s13
	s_and_b32 s13, s12, s16
	v_cmp_eq_u32_e64 s19, 1, v4
	v_cmp_eq_u32_e64 s23, 2, v4
	v_cmp_eq_u32_e64 s27, 3, v4
	v_cndmask_b32_e64 v4, 0, 1, s13
	s_and_b32 s13, s9, s17
	s_delay_alu instid0(SALU_CYCLE_1) | instskip(SKIP_1) | instid1(SALU_CYCLE_1)
	v_cndmask_b32_e64 v24, 0, 1, s13
	s_and_b32 s13, s10, s18
	v_cndmask_b32_e64 v25, 0, 1, s13
	s_and_b32 s13, s11, s19
	s_delay_alu instid0(SALU_CYCLE_1) | instskip(SKIP_1) | instid1(VALU_DEP_2)
	v_cndmask_b32_e64 v26, 0, 1, s13
	s_and_b32 s13, s12, s20
	v_cmp_ne_u32_e64 s14, 0, v25
	v_cndmask_b32_e64 v27, 0, 1, s13
	s_and_b32 s13, s9, s21
	s_and_b32 s9, s9, s25
	v_cndmask_b32_e64 v28, 0, 1, s13
	s_and_b32 s13, s10, s22
	v_cndmask_b32_e64 v32, 0, 1, s9
	;; [unrolled: 2-line block ×7, first 2 shown]
	v_cndmask_b32_e64 v35, 0, 1, s9
	v_cmp_ne_u32_e64 s9, 0, v1
	v_cmp_ne_u32_e64 s13, 0, v24
	;; [unrolled: 1-line block ×6, first 2 shown]
	s_bcnt1_i32_b32 s9, s9
	s_bcnt1_i32_b32 s13, s13
	v_cmp_ne_u32_e64 s16, 0, v27
	v_cmp_ne_u32_e64 s18, 0, v29
	;; [unrolled: 1-line block ×3, first 2 shown]
	s_bcnt1_i32_b32 s10, s10
	s_bcnt1_i32_b32 s14, s14
	s_add_i32 s9, s9, s99
	s_add_i32 s13, s13, s98
	v_cmp_ne_u32_e64 s11, 0, v3
	v_cmp_ne_u32_e64 s19, 0, v30
	;; [unrolled: 1-line block ×3, first 2 shown]
	s_bcnt1_i32_b32 s15, s15
	s_add_i32 s9, s9, s10
	s_add_i32 s10, s13, s14
	s_bcnt1_i32_b32 s17, s17
	s_bcnt1_i32_b32 s21, s21
	v_cmp_ne_u32_e64 s12, 0, v4
	v_cmp_ne_u32_e64 s20, 0, v31
	;; [unrolled: 1-line block ×3, first 2 shown]
	s_bcnt1_i32_b32 s16, s16
	s_add_i32 s10, s10, s15
	s_bcnt1_i32_b32 s18, s18
	s_bcnt1_i32_b32 s22, s22
	s_add_i32 s17, s17, s97
	s_add_i32 s21, s21, s96
	;; [unrolled: 1-line block ×3, first 2 shown]
	s_delay_alu instid0(SALU_CYCLE_1)
	v_dual_mov_b32 v2, s98 :: v_dual_add_nc_u32 v23, s66, v23
	s_bcnt1_i32_b32 s11, s11
	s_bcnt1_i32_b32 s19, s19
	;; [unrolled: 1-line block ×3, first 2 shown]
	s_add_i32 s13, s17, s18
	s_add_i32 s14, s21, s22
	s_bcnt1_i32_b32 s12, s12
	s_bcnt1_i32_b32 s20, s20
	;; [unrolled: 1-line block ×3, first 2 shown]
	s_add_i32 s9, s9, s11
	s_add_i32 s11, s13, s19
	;; [unrolled: 1-line block ×3, first 2 shown]
	v_cmp_le_i32_e32 vcc_lo, s92, v23
	s_add_i32 s99, s9, s12
	s_add_i32 s97, s11, s20
	;; [unrolled: 1-line block ×3, first 2 shown]
	v_mov_b32_e32 v1, s99
	v_dual_mov_b32 v3, s97 :: v_dual_mov_b32 v4, s96
	s_or_b32 s94, vcc_lo, s94
	s_delay_alu instid0(SALU_CYCLE_1)
	s_and_not1_b32 exec_lo, exec_lo, s94
	s_cbranch_execnz .LBB10_56
; %bb.57:                               ;   in Loop: Header=BB10_8 Depth=1
	s_or_b32 exec_lo, exec_lo, s94
.LBB10_58:                              ;   in Loop: Header=BB10_8 Depth=1
	s_delay_alu instid0(SALU_CYCLE_1) | instskip(SKIP_2) | instid1(VALU_DEP_1)
	s_or_b32 exec_lo, exec_lo, s93
	v_add_nc_u32_e32 v23, s92, v0
	s_mov_b32 s14, exec_lo
	v_cmpx_gt_i32_e64 s91, v23
	s_cbranch_execz .LBB10_62
; %bb.59:                               ;   in Loop: Header=BB10_8 Depth=1
	s_and_b32 s16, s80, 0xfe
	s_mov_b32 s15, 0
.LBB10_60:                              ;   Parent Loop BB10_8 Depth=1
                                        ; =>  This Inner Loop Header: Depth=2
	ds_load_i8 v24, v23
	v_add_nc_u32_e32 v23, s64, v23
	s_delay_alu instid0(VALU_DEP_1) | instskip(SKIP_3) | instid1(VALU_DEP_1)
	v_cmp_le_i32_e32 vcc_lo, s91, v23
	s_waitcnt lgkmcnt(0)
	v_add_nc_u32_e32 v24, 0x80, v24
	s_waitcnt vmcnt(0)
	v_and_b32_e32 v25, s90, v24
	v_bfe_u32 v24, v24, s16, 2
	s_delay_alu instid0(VALU_DEP_2) | instskip(NEXT) | instid1(VALU_DEP_2)
	v_cmp_eq_u32_e64 s9, s89, v25
	v_cmp_eq_u32_e64 s10, 0, v24
	;; [unrolled: 1-line block ×5, first 2 shown]
	s_delay_alu instid0(VALU_DEP_4) | instskip(NEXT) | instid1(SALU_CYCLE_1)
	s_and_b32 s10, s9, s10
	v_cndmask_b32_e64 v24, 0, 1, s10
	s_and_b32 s10, s9, s11
	s_delay_alu instid0(SALU_CYCLE_1)
	v_cndmask_b32_e64 v25, 0, 1, s10
	s_and_b32 s10, s9, s12
	s_and_b32 s9, s9, s13
	v_cndmask_b32_e64 v26, 0, 1, s10
	v_cndmask_b32_e64 v27, 0, 1, s9
	v_cmp_ne_u32_e64 s9, 0, v24
	v_cmp_ne_u32_e64 s10, 0, v25
	s_delay_alu instid0(VALU_DEP_4) | instskip(NEXT) | instid1(VALU_DEP_4)
	v_cmp_ne_u32_e64 s11, 0, v26
	v_cmp_ne_u32_e64 s12, 0, v27
	s_delay_alu instid0(VALU_DEP_4) | instskip(NEXT) | instid1(VALU_DEP_3)
	s_bcnt1_i32_b32 s9, s9
	s_bcnt1_i32_b32 s10, s10
	v_add_nc_u32_e32 v1, s9, v1
	s_bcnt1_i32_b32 s11, s11
	s_bcnt1_i32_b32 s12, s12
	v_add_nc_u32_e32 v2, s10, v2
	v_add_nc_u32_e32 v3, s11, v3
	;; [unrolled: 1-line block ×3, first 2 shown]
	s_or_b32 s15, vcc_lo, s15
	s_delay_alu instid0(SALU_CYCLE_1)
	s_and_not1_b32 exec_lo, exec_lo, s15
	s_cbranch_execnz .LBB10_60
; %bb.61:                               ;   in Loop: Header=BB10_8 Depth=1
	s_or_b32 exec_lo, exec_lo, s15
.LBB10_62:                              ;   in Loop: Header=BB10_8 Depth=1
	s_delay_alu instid0(SALU_CYCLE_1)
	s_or_b32 exec_lo, exec_lo, s14
.LBB10_63:                              ;   in Loop: Header=BB10_8 Depth=1
	s_lshl_b32 s9, s87, 7
	s_and_saveexec_b32 s10, s1
	s_cbranch_execz .LBB10_65
; %bb.64:                               ;   in Loop: Header=BB10_8 Depth=1
	v_or_b32_e32 v23, s9, v14
	s_delay_alu instid0(VALU_DEP_1)
	v_lshlrev_b32_e32 v23, 2, v23
	ds_store_b128 v23, v[1:4] offset:3072
.LBB10_65:                              ;   in Loop: Header=BB10_8 Depth=1
	s_or_b32 exec_lo, exec_lo, s10
	s_waitcnt vmcnt(0) lgkmcnt(0)
	s_barrier
	buffer_gl0_inv
	s_and_saveexec_b32 s10, s69
	s_cbranch_execz .LBB10_75
; %bb.66:                               ;   in Loop: Header=BB10_8 Depth=1
	v_mov_b32_e32 v1, 0
	s_and_not1_b32 vcc_lo, exec_lo, s71
	s_cbranch_vccnz .LBB10_74
; %bb.67:                               ;   in Loop: Header=BB10_8 Depth=1
	v_mov_b32_e32 v1, 0
	s_and_not1_b32 vcc_lo, exec_lo, s73
	s_mov_b32 s11, 0
	s_cbranch_vccnz .LBB10_71
; %bb.68:                               ;   in Loop: Header=BB10_8 Depth=1
	v_lshl_add_u32 v2, s87, 9, v20
	v_mov_b32_e32 v1, 0
	.p2align	6
.LBB10_69:                              ;   Parent Loop BB10_8 Depth=1
                                        ; =>  This Inner Loop Header: Depth=2
	ds_load_2addr_b32 v[3:4], v2 offset1:4
	ds_load_2addr_b32 v[23:24], v2 offset0:8 offset1:12
	ds_load_2addr_b32 v[25:26], v2 offset0:16 offset1:20
	;; [unrolled: 1-line block ×3, first 2 shown]
	v_add_nc_u32_e32 v2, 0x80, v2
	s_add_i32 s11, s11, 8
	s_delay_alu instid0(SALU_CYCLE_1) | instskip(SKIP_3) | instid1(VALU_DEP_1)
	s_cmp_eq_u32 s74, s11
	s_waitcnt lgkmcnt(3)
	v_add3_u32 v1, v3, v1, v4
	s_waitcnt lgkmcnt(2)
	v_add3_u32 v1, v23, v1, v24
	s_waitcnt lgkmcnt(1)
	s_delay_alu instid0(VALU_DEP_1) | instskip(SKIP_1) | instid1(VALU_DEP_1)
	v_add3_u32 v1, v25, v1, v26
	s_waitcnt lgkmcnt(0)
	v_add3_u32 v1, v27, v1, v28
	s_cbranch_scc0 .LBB10_69
; %bb.70:                               ;   in Loop: Header=BB10_8 Depth=1
	s_mov_b32 s11, s74
.LBB10_71:                              ;   in Loop: Header=BB10_8 Depth=1
	s_and_not1_b32 vcc_lo, exec_lo, s75
	s_cbranch_vccnz .LBB10_74
; %bb.72:                               ;   in Loop: Header=BB10_8 Depth=1
	s_lshl_b32 s12, s87, 9
	s_lshl_b32 s11, s11, 4
	s_delay_alu instid0(SALU_CYCLE_1)
	v_add3_u32 v2, s12, s11, v20
	s_mov_b32 s11, s72
.LBB10_73:                              ;   Parent Loop BB10_8 Depth=1
                                        ; =>  This Inner Loop Header: Depth=2
	ds_load_b32 v3, v2
	v_add_nc_u32_e32 v2, 16, v2
	s_add_i32 s11, s11, -1
	s_delay_alu instid0(SALU_CYCLE_1)
	s_cmp_lg_u32 s11, 0
	s_waitcnt lgkmcnt(0)
	v_add_nc_u32_e32 v1, v3, v1
	s_cbranch_scc1 .LBB10_73
.LBB10_74:                              ;   in Loop: Header=BB10_8 Depth=1
	v_add_lshl_u32 v2, s9, v12, 2
	ds_store_b32 v2, v1 offset:3072
.LBB10_75:                              ;   in Loop: Header=BB10_8 Depth=1
	s_or_b32 exec_lo, exec_lo, s10
	s_lshl_b32 s9, s9, 2
	s_waitcnt lgkmcnt(0)
	v_mov_b32_e32 v1, s9
	s_barrier
	buffer_gl0_inv
	s_and_b32 s18, s80, 0xfe
	s_mov_b32 s14, -1
	ds_load_b128 v[1:4], v1 offset:3072
	s_lshl_b32 s11, 3, s18
	s_delay_alu instid0(SALU_CYCLE_1) | instskip(SKIP_4) | instid1(VALU_DEP_3)
	s_not_b32 s19, s11
	s_waitcnt lgkmcnt(0)
	v_readfirstlane_b32 s13, v1
	v_readfirstlane_b32 s21, v2
	;; [unrolled: 1-line block ×3, first 2 shown]
	s_cmp_eq_u32 s13, 1
	s_cselect_b32 s9, -1, 0
	s_cmp_eq_u32 s45, 1
	s_cselect_b32 s10, -1, 0
	s_delay_alu instid0(SALU_CYCLE_1)
	s_and_b32 s15, s9, s10
	v_readfirstlane_b32 s10, v4
	s_and_b32 vcc_lo, exec_lo, s15
	s_cbranch_vccz .LBB10_87
; %bb.76:                               ;   in Loop: Header=BB10_8 Depth=1
	ds_load_b32 v1, v21 offset:4096
	s_waitcnt lgkmcnt(0)
	s_barrier
	buffer_gl0_inv
	v_readfirstlane_b32 s12, v1
	s_and_saveexec_b32 s9, s2
	s_cbranch_execz .LBB10_78
; %bb.77:                               ;   in Loop: Header=BB10_8 Depth=1
	ds_store_b8 v0, v21 offset:3072
.LBB10_78:                              ;   in Loop: Header=BB10_8 Depth=1
	s_or_b32 exec_lo, exec_lo, s9
	s_and_b32 s89, s89, s19
	s_or_b32 s90, s90, s11
	s_cmp_lt_i32 s12, 1
	s_waitcnt lgkmcnt(0)
	s_barrier
	buffer_gl0_inv
	s_cbranch_scc0 .LBB10_88
; %bb.79:                               ;   in Loop: Header=BB10_8 Depth=1
	s_mov_b32 s9, 0
                                        ; implicit-def: $vgpr22
	s_and_saveexec_b32 s17, s8
	s_cbranch_execz .LBB10_90
; %bb.80:                               ;   in Loop: Header=BB10_8 Depth=1
	v_dual_mov_b32 v1, v11 :: v_dual_mov_b32 v2, v0
	s_mov_b32 s20, 0
                                        ; implicit-def: $sgpr22
	s_set_inst_prefetch_distance 0x1
	s_branch .LBB10_82
	.p2align	6
.LBB10_81:                              ;   in Loop: Header=BB10_82 Depth=2
	s_or_b32 exec_lo, exec_lo, s9
	s_waitcnt vmcnt(0) lgkmcnt(0)
	s_barrier
	buffer_gl0_inv
	ds_load_u16 v3, v21 offset:3072
	v_add_nc_u32_e32 v2, s64, v2
	v_add_nc_u32_e32 v1, s67, v1
	s_waitcnt lgkmcnt(0)
	s_barrier
	buffer_gl0_inv
	v_cmp_le_i32_e32 vcc_lo, s79, v2
	v_and_b32_e32 v4, 0xff, v3
	s_delay_alu instid0(VALU_DEP_1) | instskip(NEXT) | instid1(VALU_DEP_1)
	v_cmp_ne_u16_e64 s9, 0, v4
	s_or_b32 s23, vcc_lo, s9
	s_delay_alu instid0(SALU_CYCLE_1) | instskip(NEXT) | instid1(SALU_CYCLE_1)
	s_and_b32 s23, exec_lo, s23
	s_or_b32 s20, s23, s20
	s_and_not1_b32 s22, s22, exec_lo
	s_and_b32 s9, s9, exec_lo
	s_delay_alu instid0(SALU_CYCLE_1)
	s_or_b32 s22, s22, s9
	s_and_not1_b32 exec_lo, exec_lo, s20
	s_cbranch_execz .LBB10_89
.LBB10_82:                              ;   Parent Loop BB10_8 Depth=1
                                        ; =>  This Inner Loop Header: Depth=2
	s_delay_alu instid0(VALU_DEP_1)
	v_cmp_gt_i32_e32 vcc_lo, s44, v2
	v_mov_b32_e32 v3, 0
	s_and_saveexec_b32 s23, vcc_lo
	s_cbranch_execz .LBB10_84
; %bb.83:                               ;   in Loop: Header=BB10_82 Depth=2
	v_ashrrev_i32_e32 v4, 31, v1
	v_add_co_u32 v3, s9, s52, v1
	s_delay_alu instid0(VALU_DEP_1)
	v_add_co_ci_u32_e64 v4, s9, s53, v4, s9
	global_load_u8 v3, v[3:4], off
.LBB10_84:                              ;   in Loop: Header=BB10_82 Depth=2
	s_or_b32 exec_lo, exec_lo, s23
	s_and_saveexec_b32 s9, vcc_lo
	s_cbranch_execz .LBB10_81
; %bb.85:                               ;   in Loop: Header=BB10_82 Depth=2
	s_waitcnt vmcnt(0)
	v_bfe_i32 v4, v3, 0, 8
	s_delay_alu instid0(VALU_DEP_1) | instskip(NEXT) | instid1(VALU_DEP_1)
	v_add_nc_u32_e32 v4, 0x80, v4
	v_and_b32_e32 v4, s90, v4
	s_delay_alu instid0(VALU_DEP_1)
	v_cmp_eq_u32_e32 vcc_lo, s89, v4
	s_and_b32 exec_lo, exec_lo, vcc_lo
	s_cbranch_execz .LBB10_81
; %bb.86:                               ;   in Loop: Header=BB10_82 Depth=2
	v_lshlrev_b16 v3, 8, v3
	s_delay_alu instid0(VALU_DEP_1)
	v_or_b32_e32 v3, 1, v3
	ds_store_b16 v21, v3 offset:3072
	s_branch .LBB10_81
.LBB10_87:                              ;   in Loop: Header=BB10_8 Depth=1
	s_mov_b32 s9, -1
                                        ; implicit-def: $sgpr17
                                        ; implicit-def: $sgpr22
                                        ; implicit-def: $sgpr20
	s_branch .LBB10_101
.LBB10_88:                              ;   in Loop: Header=BB10_8 Depth=1
	s_mov_b32 s17, -1
	s_mov_b32 s9, 0
                                        ; implicit-def: $sgpr20
                                        ; implicit-def: $vgpr22
	s_mov_b32 s22, s17
	s_cbranch_execnz .LBB10_91
	s_branch .LBB10_101
.LBB10_89:                              ;   in Loop: Header=BB10_8 Depth=1
	s_set_inst_prefetch_distance 0x2
	s_or_b32 exec_lo, exec_lo, s20
	v_lshrrev_b16 v22, 8, v3
	s_and_b32 s9, s22, exec_lo
.LBB10_90:                              ;   in Loop: Header=BB10_8 Depth=1
	s_or_b32 exec_lo, exec_lo, s17
	s_mov_b32 s20, -1
	s_mov_b32 s17, 0
	s_delay_alu instid0(SALU_CYCLE_1)
	s_mov_b32 s22, s17
	s_branch .LBB10_101
.LBB10_91:                              ;   in Loop: Header=BB10_8 Depth=1
	s_add_i32 s20, s12, s68
                                        ; implicit-def: $vgpr22
	s_delay_alu instid0(SALU_CYCLE_1) | instskip(NEXT) | instid1(SALU_CYCLE_1)
	s_abs_i32 s9, s20
	s_mul_hi_u32 s17, s9, s77
	s_delay_alu instid0(SALU_CYCLE_1) | instskip(NEXT) | instid1(SALU_CYCLE_1)
	s_mul_i32 s17, s17, s64
	s_sub_i32 s9, s9, s17
	s_ashr_i32 s17, s20, 31
	s_sub_i32 s22, s9, s64
	s_cmp_ge_u32 s9, s64
	s_cselect_b32 s9, s22, s9
	s_delay_alu instid0(SALU_CYCLE_1) | instskip(SKIP_2) | instid1(SALU_CYCLE_1)
	s_sub_i32 s22, s9, s64
	s_cmp_ge_u32 s9, s64
	s_cselect_b32 s9, s22, s9
	s_xor_b32 s9, s9, s17
	s_delay_alu instid0(SALU_CYCLE_1)
	s_sub_i32 s9, s17, s9
	s_mov_b32 s17, exec_lo
	s_add_i32 s20, s20, s9
	s_mov_b32 s9, 0
	v_cmpx_gt_i32_e64 s20, v0
	s_cbranch_execz .LBB10_100
; %bb.92:                               ;   in Loop: Header=BB10_8 Depth=1
	v_mov_b32_e32 v1, v0
	s_mov_b32 s22, 0
                                        ; implicit-def: $sgpr23
	s_set_inst_prefetch_distance 0x1
	s_branch .LBB10_94
	.p2align	6
.LBB10_93:                              ;   in Loop: Header=BB10_94 Depth=2
	s_or_b32 exec_lo, exec_lo, s9
	s_waitcnt lgkmcnt(0)
	s_barrier
	buffer_gl0_inv
	ds_load_u16 v2, v21 offset:3072
	v_add_nc_u32_e32 v1, s64, v1
	s_waitcnt lgkmcnt(0)
	s_barrier
	buffer_gl0_inv
	v_cmp_le_i32_e32 vcc_lo, s20, v1
	v_and_b32_e32 v3, 0xff, v2
	s_delay_alu instid0(VALU_DEP_1) | instskip(NEXT) | instid1(VALU_DEP_1)
	v_cmp_ne_u16_e64 s9, 0, v3
	s_or_b32 s24, vcc_lo, s9
	s_delay_alu instid0(SALU_CYCLE_1) | instskip(NEXT) | instid1(SALU_CYCLE_1)
	s_and_b32 s24, exec_lo, s24
	s_or_b32 s22, s24, s22
	s_and_not1_b32 s23, s23, exec_lo
	s_and_b32 s9, s9, exec_lo
	s_delay_alu instid0(SALU_CYCLE_1)
	s_or_b32 s23, s23, s9
	s_and_not1_b32 exec_lo, exec_lo, s22
	s_cbranch_execz .LBB10_99
.LBB10_94:                              ;   Parent Loop BB10_8 Depth=1
                                        ; =>  This Inner Loop Header: Depth=2
	s_delay_alu instid0(VALU_DEP_1)
	v_cmp_gt_i32_e32 vcc_lo, s12, v1
	v_mov_b32_e32 v2, 0
	s_and_saveexec_b32 s9, vcc_lo
	s_cbranch_execz .LBB10_96
; %bb.95:                               ;   in Loop: Header=BB10_94 Depth=2
	ds_load_u8 v2, v1
.LBB10_96:                              ;   in Loop: Header=BB10_94 Depth=2
	s_or_b32 exec_lo, exec_lo, s9
	s_and_saveexec_b32 s9, vcc_lo
	s_cbranch_execz .LBB10_93
; %bb.97:                               ;   in Loop: Header=BB10_94 Depth=2
	s_waitcnt lgkmcnt(0)
	v_bfe_i32 v3, v2, 0, 8
	s_delay_alu instid0(VALU_DEP_1) | instskip(NEXT) | instid1(VALU_DEP_1)
	v_add_nc_u32_e32 v3, 0x80, v3
	v_and_b32_e32 v3, s90, v3
	s_delay_alu instid0(VALU_DEP_1)
	v_cmp_eq_u32_e32 vcc_lo, s89, v3
	s_and_b32 exec_lo, exec_lo, vcc_lo
	s_cbranch_execz .LBB10_93
; %bb.98:                               ;   in Loop: Header=BB10_94 Depth=2
	v_lshlrev_b16 v2, 8, v2
	s_delay_alu instid0(VALU_DEP_1)
	v_or_b32_e32 v2, 1, v2
	ds_store_b16 v21, v2 offset:3072
	s_branch .LBB10_93
.LBB10_99:                              ;   in Loop: Header=BB10_8 Depth=1
	s_set_inst_prefetch_distance 0x2
	s_or_b32 exec_lo, exec_lo, s22
	v_lshrrev_b16 v22, 8, v2
	s_and_b32 s9, s23, exec_lo
.LBB10_100:                             ;   in Loop: Header=BB10_8 Depth=1
	s_or_b32 exec_lo, exec_lo, s17
	s_mov_b32 s22, -1
	s_mov_b32 s17, 0
	s_mov_b32 s20, 0
.LBB10_101:                             ;   in Loop: Header=BB10_8 Depth=1
	s_and_not1_b32 s12, s85, exec_lo
	s_and_b32 s17, s17, exec_lo
	s_and_b32 s20, s20, exec_lo
	s_or_b32 s85, s12, s17
	s_and_not1_b32 s12, s88, exec_lo
	s_and_b32 s17, s22, exec_lo
	s_and_not1_b32 s22, s86, exec_lo
	s_or_b32 s88, s12, s17
	s_or_b32 s86, s22, s20
	s_and_saveexec_b32 s12, s9
	s_cbranch_execz .LBB10_7
; %bb.102:                              ;   in Loop: Header=BB10_8 Depth=1
	s_xor_b32 s9, s15, -1
	s_mov_b32 s14, 0
	s_and_not1_b32 vcc_lo, exec_lo, s9
	s_mov_b32 s22, 1
	s_cbranch_vccnz .LBB10_113
; %bb.103:                              ;   in Loop: Header=BB10_8 Depth=1
	s_cmp_gt_i32 s45, s13
	s_mov_b32 s14, -1
                                        ; implicit-def: $sgpr9
                                        ; implicit-def: $sgpr15
                                        ; implicit-def: $sgpr17
	s_cbranch_scc1 .LBB10_109
; %bb.104:                              ;   in Loop: Header=BB10_8 Depth=1
	ds_load_b32 v1, v21 offset:4096
	s_waitcnt lgkmcnt(0)
	v_cmp_ne_u32_e32 vcc_lo, 0, v1
	s_cbranch_vccnz .LBB10_108
; %bb.105:                              ;   in Loop: Header=BB10_8 Depth=1
	s_and_saveexec_b32 s9, s0
	s_cbranch_execz .LBB10_107
; %bb.106:                              ;   in Loop: Header=BB10_8 Depth=1
	v_mov_b32_e32 v1, s13
	ds_store_b32 v21, v1 offset:4100
.LBB10_107:                             ;   in Loop: Header=BB10_8 Depth=1
	s_or_b32 exec_lo, exec_lo, s9
	s_waitcnt lgkmcnt(0)
	s_barrier
	buffer_gl0_inv
.LBB10_108:                             ;   in Loop: Header=BB10_8 Depth=1
	s_and_b32 s15, s89, s19
	s_or_b32 s17, s90, s11
	s_mov_b32 s14, 0
	s_mov_b32 s9, 8
.LBB10_109:                             ;   in Loop: Header=BB10_8 Depth=1
	s_and_not1_b32 vcc_lo, exec_lo, s14
	s_cbranch_vccnz .LBB10_111
; %bb.110:                              ;   in Loop: Header=BB10_8 Depth=1
	s_sub_i32 s45, s45, s13
	s_mov_b32 s14, -1
	s_mov_b32 s9, 0
	s_mov_b32 s15, s89
	;; [unrolled: 1-line block ×3, first 2 shown]
.LBB10_111:                             ;   in Loop: Header=BB10_8 Depth=1
	s_delay_alu instid0(SALU_CYCLE_1)
	s_mov_b32 s90, s17
	s_mov_b32 s89, s15
	;; [unrolled: 1-line block ×3, first 2 shown]
	s_and_b32 vcc_lo, exec_lo, s14
	s_mov_b32 s13, -1
	s_cbranch_vccnz .LBB10_114
.LBB10_112:                             ;   in Loop: Header=BB10_8 Depth=1
	s_mov_b32 s25, -1
                                        ; implicit-def: $sgpr14
                                        ; implicit-def: $sgpr17
                                        ; implicit-def: $sgpr15
	s_delay_alu instid0(SALU_CYCLE_1) | instskip(NEXT) | instid1(SALU_CYCLE_1)
	s_and_saveexec_b32 s10, s25
	s_xor_b32 s10, exec_lo, s10
	s_cbranch_execz .LBB10_6
	s_branch .LBB10_237
.LBB10_113:                             ;   in Loop: Header=BB10_8 Depth=1
	s_mov_b32 s9, 1
	s_and_b32 vcc_lo, exec_lo, s14
	s_mov_b32 s13, -1
	s_cbranch_vccz .LBB10_112
.LBB10_114:                             ;   in Loop: Header=BB10_8 Depth=1
	s_cmp_eq_u32 s21, 1
	s_mov_b32 s24, -1
	s_cselect_b32 s9, -1, 0
	s_cmp_eq_u32 s22, 1
	s_cselect_b32 s14, -1, 0
	s_delay_alu instid0(SALU_CYCLE_1) | instskip(NEXT) | instid1(SALU_CYCLE_1)
	s_and_b32 s23, s9, s14
	s_and_b32 vcc_lo, exec_lo, s23
	s_cbranch_vccz .LBB10_126
; %bb.115:                              ;   in Loop: Header=BB10_8 Depth=1
	ds_load_b32 v1, v21 offset:4096
	s_waitcnt lgkmcnt(0)
	s_barrier
	buffer_gl0_inv
	v_readfirstlane_b32 s20, v1
	s_and_saveexec_b32 s9, s2
	s_cbranch_execz .LBB10_117
; %bb.116:                              ;   in Loop: Header=BB10_8 Depth=1
	ds_store_b8 v0, v21 offset:3072
.LBB10_117:                             ;   in Loop: Header=BB10_8 Depth=1
	s_or_b32 exec_lo, exec_lo, s9
	s_lshl_b32 s9, 1, s18
	s_and_b32 s14, s89, s19
	s_or_b32 s90, s90, s11
	s_or_b32 s89, s14, s9
	s_cmp_gt_i32 s20, 0
	s_waitcnt lgkmcnt(0)
	s_barrier
	buffer_gl0_inv
	s_cbranch_scc1 .LBB10_127
; %bb.118:                              ;   in Loop: Header=BB10_8 Depth=1
	s_mov_b32 s24, 0
                                        ; implicit-def: $vgpr22
	s_and_saveexec_b32 s14, s8
	s_cbranch_execz .LBB10_129
; %bb.119:                              ;   in Loop: Header=BB10_8 Depth=1
	v_dual_mov_b32 v1, v11 :: v_dual_mov_b32 v2, v0
	s_mov_b32 s15, 0
                                        ; implicit-def: $sgpr17
	s_set_inst_prefetch_distance 0x1
	s_branch .LBB10_121
	.p2align	6
.LBB10_120:                             ;   in Loop: Header=BB10_121 Depth=2
	s_or_b32 exec_lo, exec_lo, s9
	s_waitcnt vmcnt(0) lgkmcnt(0)
	s_barrier
	buffer_gl0_inv
	ds_load_u16 v3, v21 offset:3072
	v_add_nc_u32_e32 v2, s64, v2
	v_add_nc_u32_e32 v1, s67, v1
	s_waitcnt lgkmcnt(0)
	s_barrier
	buffer_gl0_inv
	v_cmp_le_i32_e32 vcc_lo, s79, v2
	v_and_b32_e32 v4, 0xff, v3
	s_delay_alu instid0(VALU_DEP_1) | instskip(NEXT) | instid1(VALU_DEP_1)
	v_cmp_ne_u16_e64 s9, 0, v4
	s_or_b32 s24, vcc_lo, s9
	s_delay_alu instid0(SALU_CYCLE_1) | instskip(NEXT) | instid1(SALU_CYCLE_1)
	s_and_b32 s24, exec_lo, s24
	s_or_b32 s15, s24, s15
	s_and_not1_b32 s17, s17, exec_lo
	s_and_b32 s9, s9, exec_lo
	s_delay_alu instid0(SALU_CYCLE_1)
	s_or_b32 s17, s17, s9
	s_and_not1_b32 exec_lo, exec_lo, s15
	s_cbranch_execz .LBB10_128
.LBB10_121:                             ;   Parent Loop BB10_8 Depth=1
                                        ; =>  This Inner Loop Header: Depth=2
	s_delay_alu instid0(VALU_DEP_1)
	v_cmp_gt_i32_e32 vcc_lo, s44, v2
	v_mov_b32_e32 v3, 0
	s_and_saveexec_b32 s24, vcc_lo
	s_cbranch_execz .LBB10_123
; %bb.122:                              ;   in Loop: Header=BB10_121 Depth=2
	v_ashrrev_i32_e32 v4, 31, v1
	v_add_co_u32 v3, s9, s52, v1
	s_delay_alu instid0(VALU_DEP_1)
	v_add_co_ci_u32_e64 v4, s9, s53, v4, s9
	global_load_u8 v3, v[3:4], off
.LBB10_123:                             ;   in Loop: Header=BB10_121 Depth=2
	s_or_b32 exec_lo, exec_lo, s24
	s_and_saveexec_b32 s9, vcc_lo
	s_cbranch_execz .LBB10_120
; %bb.124:                              ;   in Loop: Header=BB10_121 Depth=2
	s_waitcnt vmcnt(0)
	v_bfe_i32 v4, v3, 0, 8
	s_delay_alu instid0(VALU_DEP_1) | instskip(NEXT) | instid1(VALU_DEP_1)
	v_add_nc_u32_e32 v4, 0x80, v4
	v_and_b32_e32 v4, s90, v4
	s_delay_alu instid0(VALU_DEP_1)
	v_cmp_eq_u32_e32 vcc_lo, s89, v4
	s_and_b32 exec_lo, exec_lo, vcc_lo
	s_cbranch_execz .LBB10_120
; %bb.125:                              ;   in Loop: Header=BB10_121 Depth=2
	v_lshlrev_b16 v3, 8, v3
	s_delay_alu instid0(VALU_DEP_1)
	v_or_b32_e32 v3, 1, v3
	ds_store_b16 v21, v3 offset:3072
	s_branch .LBB10_120
.LBB10_126:                             ;   in Loop: Header=BB10_8 Depth=1
                                        ; implicit-def: $sgpr15
                                        ; implicit-def: $sgpr17
                                        ; implicit-def: $sgpr14
	s_branch .LBB10_140
.LBB10_127:                             ;   in Loop: Header=BB10_8 Depth=1
	s_mov_b32 s15, -1
	s_mov_b32 s24, 0
                                        ; implicit-def: $sgpr14
                                        ; implicit-def: $vgpr22
	s_mov_b32 s17, s15
	s_cbranch_execnz .LBB10_130
	s_branch .LBB10_140
.LBB10_128:                             ;   in Loop: Header=BB10_8 Depth=1
	s_set_inst_prefetch_distance 0x2
	s_or_b32 exec_lo, exec_lo, s15
	v_lshrrev_b16 v22, 8, v3
	s_and_b32 s24, s17, exec_lo
.LBB10_129:                             ;   in Loop: Header=BB10_8 Depth=1
	s_or_b32 exec_lo, exec_lo, s14
	s_mov_b32 s14, -1
	s_mov_b32 s15, 0
	s_delay_alu instid0(SALU_CYCLE_1)
	s_mov_b32 s17, s15
	s_branch .LBB10_140
.LBB10_130:                             ;   in Loop: Header=BB10_8 Depth=1
	s_add_i32 s15, s20, s68
	s_mov_b32 s24, 0
	s_abs_i32 s9, s15
                                        ; implicit-def: $vgpr22
	s_delay_alu instid0(SALU_CYCLE_1) | instskip(NEXT) | instid1(SALU_CYCLE_1)
	s_mul_hi_u32 s14, s9, s77
	s_mul_i32 s14, s14, s64
	s_delay_alu instid0(SALU_CYCLE_1) | instskip(SKIP_4) | instid1(SALU_CYCLE_1)
	s_sub_i32 s9, s9, s14
	s_ashr_i32 s14, s15, 31
	s_sub_i32 s17, s9, s64
	s_cmp_ge_u32 s9, s64
	s_cselect_b32 s9, s17, s9
	s_sub_i32 s17, s9, s64
	s_cmp_ge_u32 s9, s64
	s_cselect_b32 s9, s17, s9
	s_delay_alu instid0(SALU_CYCLE_1) | instskip(NEXT) | instid1(SALU_CYCLE_1)
	s_xor_b32 s9, s9, s14
	s_sub_i32 s9, s14, s9
	s_mov_b32 s14, exec_lo
	s_add_i32 s15, s15, s9
	s_delay_alu instid0(SALU_CYCLE_1)
	v_cmpx_gt_i32_e64 s15, v0
	s_cbranch_execz .LBB10_139
; %bb.131:                              ;   in Loop: Header=BB10_8 Depth=1
	v_mov_b32_e32 v1, v0
	s_mov_b32 s17, 0
                                        ; implicit-def: $sgpr24
	s_set_inst_prefetch_distance 0x1
	s_branch .LBB10_133
	.p2align	6
.LBB10_132:                             ;   in Loop: Header=BB10_133 Depth=2
	s_or_b32 exec_lo, exec_lo, s9
	s_waitcnt lgkmcnt(0)
	s_barrier
	buffer_gl0_inv
	ds_load_u16 v2, v21 offset:3072
	v_add_nc_u32_e32 v1, s64, v1
	s_waitcnt lgkmcnt(0)
	s_barrier
	buffer_gl0_inv
	v_cmp_le_i32_e32 vcc_lo, s15, v1
	v_and_b32_e32 v3, 0xff, v2
	s_delay_alu instid0(VALU_DEP_1) | instskip(NEXT) | instid1(VALU_DEP_1)
	v_cmp_ne_u16_e64 s9, 0, v3
	s_or_b32 s25, vcc_lo, s9
	s_delay_alu instid0(SALU_CYCLE_1) | instskip(NEXT) | instid1(SALU_CYCLE_1)
	s_and_b32 s25, exec_lo, s25
	s_or_b32 s17, s25, s17
	s_and_not1_b32 s24, s24, exec_lo
	s_and_b32 s9, s9, exec_lo
	s_delay_alu instid0(SALU_CYCLE_1)
	s_or_b32 s24, s24, s9
	s_and_not1_b32 exec_lo, exec_lo, s17
	s_cbranch_execz .LBB10_138
.LBB10_133:                             ;   Parent Loop BB10_8 Depth=1
                                        ; =>  This Inner Loop Header: Depth=2
	s_delay_alu instid0(VALU_DEP_1)
	v_cmp_gt_i32_e32 vcc_lo, s20, v1
	v_mov_b32_e32 v2, 0
	s_and_saveexec_b32 s9, vcc_lo
	s_cbranch_execz .LBB10_135
; %bb.134:                              ;   in Loop: Header=BB10_133 Depth=2
	ds_load_u8 v2, v1
.LBB10_135:                             ;   in Loop: Header=BB10_133 Depth=2
	s_or_b32 exec_lo, exec_lo, s9
	s_and_saveexec_b32 s9, vcc_lo
	s_cbranch_execz .LBB10_132
; %bb.136:                              ;   in Loop: Header=BB10_133 Depth=2
	s_waitcnt lgkmcnt(0)
	v_bfe_i32 v3, v2, 0, 8
	s_delay_alu instid0(VALU_DEP_1) | instskip(NEXT) | instid1(VALU_DEP_1)
	v_add_nc_u32_e32 v3, 0x80, v3
	v_and_b32_e32 v3, s90, v3
	s_delay_alu instid0(VALU_DEP_1)
	v_cmp_eq_u32_e32 vcc_lo, s89, v3
	s_and_b32 exec_lo, exec_lo, vcc_lo
	s_cbranch_execz .LBB10_132
; %bb.137:                              ;   in Loop: Header=BB10_133 Depth=2
	v_lshlrev_b16 v2, 8, v2
	s_delay_alu instid0(VALU_DEP_1)
	v_or_b32_e32 v2, 1, v2
	ds_store_b16 v21, v2 offset:3072
	s_branch .LBB10_132
.LBB10_138:                             ;   in Loop: Header=BB10_8 Depth=1
	s_set_inst_prefetch_distance 0x2
	s_or_b32 exec_lo, exec_lo, s17
	v_lshrrev_b16 v22, 8, v2
	s_and_b32 s24, s24, exec_lo
.LBB10_139:                             ;   in Loop: Header=BB10_8 Depth=1
	s_or_b32 exec_lo, exec_lo, s14
	s_mov_b32 s17, -1
	s_mov_b32 s15, 0
	s_mov_b32 s14, 0
.LBB10_140:                             ;   in Loop: Header=BB10_8 Depth=1
	s_mov_b32 s25, 0
                                        ; implicit-def: $sgpr9
	s_and_saveexec_b32 s20, s24
	s_cbranch_execz .LBB10_236
; %bb.141:                              ;   in Loop: Header=BB10_8 Depth=1
	s_xor_b32 s9, s23, -1
	s_mov_b32 s23, 0
	s_and_not1_b32 vcc_lo, exec_lo, s9
	s_mov_b32 s26, 1
	s_cbranch_vccnz .LBB10_152
; %bb.142:                              ;   in Loop: Header=BB10_8 Depth=1
	s_cmp_gt_i32 s22, s21
	s_mov_b32 s23, -1
                                        ; implicit-def: $sgpr9
                                        ; implicit-def: $sgpr24
                                        ; implicit-def: $sgpr25
	s_cbranch_scc1 .LBB10_148
; %bb.143:                              ;   in Loop: Header=BB10_8 Depth=1
	ds_load_b32 v1, v21 offset:4096
	s_waitcnt lgkmcnt(0)
	v_cmp_ne_u32_e32 vcc_lo, 0, v1
	s_cbranch_vccnz .LBB10_147
; %bb.144:                              ;   in Loop: Header=BB10_8 Depth=1
	s_and_saveexec_b32 s9, s0
	s_cbranch_execz .LBB10_146
; %bb.145:                              ;   in Loop: Header=BB10_8 Depth=1
	v_mov_b32_e32 v1, s21
	ds_store_b32 v21, v1 offset:4100
.LBB10_146:                             ;   in Loop: Header=BB10_8 Depth=1
	s_or_b32 exec_lo, exec_lo, s9
	s_waitcnt lgkmcnt(0)
	s_barrier
	buffer_gl0_inv
.LBB10_147:                             ;   in Loop: Header=BB10_8 Depth=1
	s_lshl_b32 s9, 1, s18
	s_and_b32 s23, s89, s19
	s_or_b32 s25, s90, s11
	s_or_b32 s24, s23, s9
	s_mov_b32 s23, 0
	s_mov_b32 s9, 8
.LBB10_148:                             ;   in Loop: Header=BB10_8 Depth=1
	s_and_not1_b32 vcc_lo, exec_lo, s23
	s_cbranch_vccnz .LBB10_150
; %bb.149:                              ;   in Loop: Header=BB10_8 Depth=1
	s_sub_i32 s22, s22, s21
	s_mov_b32 s23, -1
	s_mov_b32 s9, 0
	s_mov_b32 s24, s89
	;; [unrolled: 1-line block ×3, first 2 shown]
.LBB10_150:                             ;   in Loop: Header=BB10_8 Depth=1
	s_delay_alu instid0(SALU_CYCLE_1)
	s_mov_b32 s90, s25
	s_mov_b32 s89, s24
	;; [unrolled: 1-line block ×3, first 2 shown]
	s_and_not1_b32 vcc_lo, exec_lo, s23
	s_mov_b32 s28, -1
	s_cbranch_vccz .LBB10_153
.LBB10_151:                             ;   in Loop: Header=BB10_8 Depth=1
                                        ; implicit-def: $sgpr22
                                        ; implicit-def: $sgpr23
                                        ; implicit-def: $sgpr21
	s_branch .LBB10_235
.LBB10_152:                             ;   in Loop: Header=BB10_8 Depth=1
	s_mov_b32 s9, 1
	s_and_not1_b32 vcc_lo, exec_lo, s23
	s_mov_b32 s28, -1
	s_cbranch_vccnz .LBB10_151
.LBB10_153:                             ;   in Loop: Header=BB10_8 Depth=1
	s_cmp_eq_u32 s16, 1
	s_mov_b32 s27, -1
	s_cselect_b32 s9, -1, 0
	s_cmp_eq_u32 s26, 1
	s_cselect_b32 s21, -1, 0
	s_delay_alu instid0(SALU_CYCLE_1) | instskip(NEXT) | instid1(SALU_CYCLE_1)
	s_and_b32 s25, s9, s21
	s_and_b32 vcc_lo, exec_lo, s25
	s_cbranch_vccz .LBB10_165
; %bb.154:                              ;   in Loop: Header=BB10_8 Depth=1
	ds_load_b32 v1, v21 offset:4096
	s_waitcnt lgkmcnt(0)
	s_barrier
	buffer_gl0_inv
	v_readfirstlane_b32 s24, v1
	s_and_saveexec_b32 s9, s2
	s_cbranch_execz .LBB10_156
; %bb.155:                              ;   in Loop: Header=BB10_8 Depth=1
	ds_store_b8 v0, v21 offset:3072
.LBB10_156:                             ;   in Loop: Header=BB10_8 Depth=1
	s_or_b32 exec_lo, exec_lo, s9
	s_lshl_b32 s9, 2, s18
	s_and_b32 s21, s89, s19
	s_or_b32 s90, s90, s11
	s_or_b32 s89, s21, s9
	s_cmp_gt_i32 s24, 0
	s_waitcnt lgkmcnt(0)
	s_barrier
	buffer_gl0_inv
	s_cbranch_scc1 .LBB10_166
; %bb.157:                              ;   in Loop: Header=BB10_8 Depth=1
	s_mov_b32 s27, 0
                                        ; implicit-def: $vgpr22
	s_and_saveexec_b32 s21, s8
	s_cbranch_execz .LBB10_168
; %bb.158:                              ;   in Loop: Header=BB10_8 Depth=1
	v_dual_mov_b32 v1, v11 :: v_dual_mov_b32 v2, v0
	s_mov_b32 s22, 0
                                        ; implicit-def: $sgpr23
	s_set_inst_prefetch_distance 0x1
	s_branch .LBB10_160
	.p2align	6
.LBB10_159:                             ;   in Loop: Header=BB10_160 Depth=2
	s_or_b32 exec_lo, exec_lo, s9
	s_waitcnt vmcnt(0) lgkmcnt(0)
	s_barrier
	buffer_gl0_inv
	ds_load_u16 v3, v21 offset:3072
	v_add_nc_u32_e32 v2, s64, v2
	v_add_nc_u32_e32 v1, s67, v1
	s_waitcnt lgkmcnt(0)
	s_barrier
	buffer_gl0_inv
	v_cmp_le_i32_e32 vcc_lo, s79, v2
	v_and_b32_e32 v4, 0xff, v3
	s_delay_alu instid0(VALU_DEP_1) | instskip(NEXT) | instid1(VALU_DEP_1)
	v_cmp_ne_u16_e64 s9, 0, v4
	s_or_b32 s27, vcc_lo, s9
	s_delay_alu instid0(SALU_CYCLE_1) | instskip(NEXT) | instid1(SALU_CYCLE_1)
	s_and_b32 s27, exec_lo, s27
	s_or_b32 s22, s27, s22
	s_and_not1_b32 s23, s23, exec_lo
	s_and_b32 s9, s9, exec_lo
	s_delay_alu instid0(SALU_CYCLE_1)
	s_or_b32 s23, s23, s9
	s_and_not1_b32 exec_lo, exec_lo, s22
	s_cbranch_execz .LBB10_167
.LBB10_160:                             ;   Parent Loop BB10_8 Depth=1
                                        ; =>  This Inner Loop Header: Depth=2
	s_delay_alu instid0(VALU_DEP_1)
	v_cmp_gt_i32_e32 vcc_lo, s44, v2
	v_mov_b32_e32 v3, 0
	s_and_saveexec_b32 s27, vcc_lo
	s_cbranch_execz .LBB10_162
; %bb.161:                              ;   in Loop: Header=BB10_160 Depth=2
	v_ashrrev_i32_e32 v4, 31, v1
	v_add_co_u32 v3, s9, s52, v1
	s_delay_alu instid0(VALU_DEP_1)
	v_add_co_ci_u32_e64 v4, s9, s53, v4, s9
	global_load_u8 v3, v[3:4], off
.LBB10_162:                             ;   in Loop: Header=BB10_160 Depth=2
	s_or_b32 exec_lo, exec_lo, s27
	s_and_saveexec_b32 s9, vcc_lo
	s_cbranch_execz .LBB10_159
; %bb.163:                              ;   in Loop: Header=BB10_160 Depth=2
	s_waitcnt vmcnt(0)
	v_bfe_i32 v4, v3, 0, 8
	s_delay_alu instid0(VALU_DEP_1) | instskip(NEXT) | instid1(VALU_DEP_1)
	v_add_nc_u32_e32 v4, 0x80, v4
	v_and_b32_e32 v4, s90, v4
	s_delay_alu instid0(VALU_DEP_1)
	v_cmp_eq_u32_e32 vcc_lo, s89, v4
	s_and_b32 exec_lo, exec_lo, vcc_lo
	s_cbranch_execz .LBB10_159
; %bb.164:                              ;   in Loop: Header=BB10_160 Depth=2
	v_lshlrev_b16 v3, 8, v3
	s_delay_alu instid0(VALU_DEP_1)
	v_or_b32_e32 v3, 1, v3
	ds_store_b16 v21, v3 offset:3072
	s_branch .LBB10_159
.LBB10_165:                             ;   in Loop: Header=BB10_8 Depth=1
                                        ; implicit-def: $sgpr21
                                        ; implicit-def: $sgpr23
                                        ; implicit-def: $sgpr22
	s_branch .LBB10_179
.LBB10_166:                             ;   in Loop: Header=BB10_8 Depth=1
	s_mov_b32 s21, -1
	s_mov_b32 s27, 0
                                        ; implicit-def: $sgpr22
                                        ; implicit-def: $vgpr22
	s_mov_b32 s23, s21
	s_cbranch_execnz .LBB10_169
	s_branch .LBB10_179
.LBB10_167:                             ;   in Loop: Header=BB10_8 Depth=1
	s_set_inst_prefetch_distance 0x2
	s_or_b32 exec_lo, exec_lo, s22
	v_lshrrev_b16 v22, 8, v3
	s_and_b32 s27, s23, exec_lo
.LBB10_168:                             ;   in Loop: Header=BB10_8 Depth=1
	s_or_b32 exec_lo, exec_lo, s21
	s_mov_b32 s22, -1
	s_mov_b32 s21, 0
	s_delay_alu instid0(SALU_CYCLE_1)
	s_mov_b32 s23, s21
	s_branch .LBB10_179
.LBB10_169:                             ;   in Loop: Header=BB10_8 Depth=1
	s_add_i32 s22, s24, s68
	s_mov_b32 s27, 0
	s_abs_i32 s9, s22
                                        ; implicit-def: $vgpr22
	s_delay_alu instid0(SALU_CYCLE_1) | instskip(NEXT) | instid1(SALU_CYCLE_1)
	s_mul_hi_u32 s21, s9, s77
	s_mul_i32 s21, s21, s64
	s_delay_alu instid0(SALU_CYCLE_1) | instskip(SKIP_4) | instid1(SALU_CYCLE_1)
	s_sub_i32 s9, s9, s21
	s_ashr_i32 s21, s22, 31
	s_sub_i32 s23, s9, s64
	s_cmp_ge_u32 s9, s64
	s_cselect_b32 s9, s23, s9
	s_sub_i32 s23, s9, s64
	s_cmp_ge_u32 s9, s64
	s_cselect_b32 s9, s23, s9
	s_delay_alu instid0(SALU_CYCLE_1) | instskip(NEXT) | instid1(SALU_CYCLE_1)
	s_xor_b32 s9, s9, s21
	s_sub_i32 s9, s21, s9
	s_mov_b32 s21, exec_lo
	s_add_i32 s22, s22, s9
	s_delay_alu instid0(SALU_CYCLE_1)
	v_cmpx_gt_i32_e64 s22, v0
	s_cbranch_execz .LBB10_178
; %bb.170:                              ;   in Loop: Header=BB10_8 Depth=1
	v_mov_b32_e32 v1, v0
	s_mov_b32 s23, 0
                                        ; implicit-def: $sgpr27
	s_set_inst_prefetch_distance 0x1
	s_branch .LBB10_172
	.p2align	6
.LBB10_171:                             ;   in Loop: Header=BB10_172 Depth=2
	s_or_b32 exec_lo, exec_lo, s9
	s_waitcnt lgkmcnt(0)
	s_barrier
	buffer_gl0_inv
	ds_load_u16 v2, v21 offset:3072
	v_add_nc_u32_e32 v1, s64, v1
	s_waitcnt lgkmcnt(0)
	s_barrier
	buffer_gl0_inv
	v_cmp_le_i32_e32 vcc_lo, s22, v1
	v_and_b32_e32 v3, 0xff, v2
	s_delay_alu instid0(VALU_DEP_1) | instskip(NEXT) | instid1(VALU_DEP_1)
	v_cmp_ne_u16_e64 s9, 0, v3
	s_or_b32 s28, vcc_lo, s9
	s_delay_alu instid0(SALU_CYCLE_1) | instskip(NEXT) | instid1(SALU_CYCLE_1)
	s_and_b32 s28, exec_lo, s28
	s_or_b32 s23, s28, s23
	s_and_not1_b32 s27, s27, exec_lo
	s_and_b32 s9, s9, exec_lo
	s_delay_alu instid0(SALU_CYCLE_1)
	s_or_b32 s27, s27, s9
	s_and_not1_b32 exec_lo, exec_lo, s23
	s_cbranch_execz .LBB10_177
.LBB10_172:                             ;   Parent Loop BB10_8 Depth=1
                                        ; =>  This Inner Loop Header: Depth=2
	s_delay_alu instid0(VALU_DEP_1)
	v_cmp_gt_i32_e32 vcc_lo, s24, v1
	v_mov_b32_e32 v2, 0
	s_and_saveexec_b32 s9, vcc_lo
	s_cbranch_execz .LBB10_174
; %bb.173:                              ;   in Loop: Header=BB10_172 Depth=2
	ds_load_u8 v2, v1
.LBB10_174:                             ;   in Loop: Header=BB10_172 Depth=2
	s_or_b32 exec_lo, exec_lo, s9
	s_and_saveexec_b32 s9, vcc_lo
	s_cbranch_execz .LBB10_171
; %bb.175:                              ;   in Loop: Header=BB10_172 Depth=2
	s_waitcnt lgkmcnt(0)
	v_bfe_i32 v3, v2, 0, 8
	s_delay_alu instid0(VALU_DEP_1) | instskip(NEXT) | instid1(VALU_DEP_1)
	v_add_nc_u32_e32 v3, 0x80, v3
	v_and_b32_e32 v3, s90, v3
	s_delay_alu instid0(VALU_DEP_1)
	v_cmp_eq_u32_e32 vcc_lo, s89, v3
	s_and_b32 exec_lo, exec_lo, vcc_lo
	s_cbranch_execz .LBB10_171
; %bb.176:                              ;   in Loop: Header=BB10_172 Depth=2
	v_lshlrev_b16 v2, 8, v2
	s_delay_alu instid0(VALU_DEP_1)
	v_or_b32_e32 v2, 1, v2
	ds_store_b16 v21, v2 offset:3072
	s_branch .LBB10_171
.LBB10_177:                             ;   in Loop: Header=BB10_8 Depth=1
	s_set_inst_prefetch_distance 0x2
	s_or_b32 exec_lo, exec_lo, s23
	v_lshrrev_b16 v22, 8, v2
	s_and_b32 s27, s27, exec_lo
.LBB10_178:                             ;   in Loop: Header=BB10_8 Depth=1
	s_or_b32 exec_lo, exec_lo, s21
	s_mov_b32 s23, -1
	s_mov_b32 s21, 0
	s_mov_b32 s22, 0
.LBB10_179:                             ;   in Loop: Header=BB10_8 Depth=1
	s_mov_b32 s28, 0
                                        ; implicit-def: $sgpr9
	s_and_saveexec_b32 s24, s27
	s_cbranch_execz .LBB10_234
; %bb.180:                              ;   in Loop: Header=BB10_8 Depth=1
	s_xor_b32 s9, s25, -1
	s_mov_b32 s27, 0
	s_and_not1_b32 vcc_lo, exec_lo, s9
	s_mov_b32 s25, 1
	s_cbranch_vccnz .LBB10_191
; %bb.181:                              ;   in Loop: Header=BB10_8 Depth=1
	s_cmp_gt_i32 s26, s16
	s_mov_b32 s27, -1
                                        ; implicit-def: $sgpr9
                                        ; implicit-def: $sgpr25
                                        ; implicit-def: $sgpr28
	s_cbranch_scc1 .LBB10_187
; %bb.182:                              ;   in Loop: Header=BB10_8 Depth=1
	ds_load_b32 v1, v21 offset:4096
	s_waitcnt lgkmcnt(0)
	v_cmp_ne_u32_e32 vcc_lo, 0, v1
	s_cbranch_vccnz .LBB10_186
; %bb.183:                              ;   in Loop: Header=BB10_8 Depth=1
	s_and_saveexec_b32 s9, s0
	s_cbranch_execz .LBB10_185
; %bb.184:                              ;   in Loop: Header=BB10_8 Depth=1
	v_mov_b32_e32 v1, s16
	ds_store_b32 v21, v1 offset:4100
.LBB10_185:                             ;   in Loop: Header=BB10_8 Depth=1
	s_or_b32 exec_lo, exec_lo, s9
	s_waitcnt lgkmcnt(0)
	s_barrier
	buffer_gl0_inv
.LBB10_186:                             ;   in Loop: Header=BB10_8 Depth=1
	s_lshl_b32 s9, 2, s18
	s_and_b32 s18, s89, s19
	s_or_b32 s28, s90, s11
	s_or_b32 s25, s18, s9
	s_mov_b32 s27, 0
	s_mov_b32 s9, 8
.LBB10_187:                             ;   in Loop: Header=BB10_8 Depth=1
	s_and_not1_b32 vcc_lo, exec_lo, s27
	s_cbranch_vccnz .LBB10_189
; %bb.188:                              ;   in Loop: Header=BB10_8 Depth=1
	s_sub_i32 s26, s26, s16
	s_mov_b32 s27, -1
	s_mov_b32 s9, 0
	s_mov_b32 s25, s89
	;; [unrolled: 1-line block ×3, first 2 shown]
.LBB10_189:                             ;   in Loop: Header=BB10_8 Depth=1
	s_delay_alu instid0(SALU_CYCLE_1)
	s_mov_b32 s90, s28
	s_mov_b32 s89, s25
	;; [unrolled: 1-line block ×3, first 2 shown]
	s_and_not1_b32 vcc_lo, exec_lo, s27
	s_mov_b32 s45, -1
	s_cbranch_vccz .LBB10_192
.LBB10_190:                             ;   in Loop: Header=BB10_8 Depth=1
                                        ; implicit-def: $sgpr19
                                        ; implicit-def: $sgpr27
                                        ; implicit-def: $sgpr26
	s_branch .LBB10_233
.LBB10_191:                             ;   in Loop: Header=BB10_8 Depth=1
	s_mov_b32 s9, 1
	s_and_not1_b32 vcc_lo, exec_lo, s27
	s_mov_b32 s45, -1
	s_cbranch_vccnz .LBB10_190
.LBB10_192:                             ;   in Loop: Header=BB10_8 Depth=1
	s_cmp_eq_u32 s10, 1
	s_mov_b32 s28, -1
	s_cselect_b32 s9, -1, 0
	s_cmp_eq_u32 s25, 1
	s_cselect_b32 s16, -1, 0
	s_delay_alu instid0(SALU_CYCLE_1) | instskip(NEXT) | instid1(SALU_CYCLE_1)
	s_and_b32 s16, s9, s16
	s_and_b32 vcc_lo, exec_lo, s16
	s_cbranch_vccz .LBB10_204
; %bb.193:                              ;   in Loop: Header=BB10_8 Depth=1
	ds_load_b32 v1, v21 offset:4096
	s_waitcnt lgkmcnt(0)
	s_barrier
	buffer_gl0_inv
	v_readfirstlane_b32 s18, v1
	s_and_saveexec_b32 s9, s2
	s_cbranch_execz .LBB10_195
; %bb.194:                              ;   in Loop: Header=BB10_8 Depth=1
	ds_store_b8 v0, v21 offset:3072
.LBB10_195:                             ;   in Loop: Header=BB10_8 Depth=1
	s_or_b32 exec_lo, exec_lo, s9
	s_or_b32 s89, s89, s11
	s_or_b32 s90, s90, s11
	s_cmp_gt_i32 s18, 0
	s_waitcnt lgkmcnt(0)
	s_barrier
	buffer_gl0_inv
	s_cbranch_scc1 .LBB10_205
; %bb.196:                              ;   in Loop: Header=BB10_8 Depth=1
	s_mov_b32 s28, 0
                                        ; implicit-def: $vgpr22
	s_and_saveexec_b32 s19, s8
	s_cbranch_execz .LBB10_207
; %bb.197:                              ;   in Loop: Header=BB10_8 Depth=1
	v_dual_mov_b32 v1, v11 :: v_dual_mov_b32 v2, v0
	s_mov_b32 s26, 0
                                        ; implicit-def: $sgpr27
	s_set_inst_prefetch_distance 0x1
	s_branch .LBB10_199
	.p2align	6
.LBB10_198:                             ;   in Loop: Header=BB10_199 Depth=2
	s_or_b32 exec_lo, exec_lo, s9
	s_waitcnt vmcnt(0) lgkmcnt(0)
	s_barrier
	buffer_gl0_inv
	ds_load_u16 v3, v21 offset:3072
	v_add_nc_u32_e32 v2, s64, v2
	v_add_nc_u32_e32 v1, s67, v1
	s_waitcnt lgkmcnt(0)
	s_barrier
	buffer_gl0_inv
	v_cmp_le_i32_e32 vcc_lo, s79, v2
	v_and_b32_e32 v4, 0xff, v3
	s_delay_alu instid0(VALU_DEP_1) | instskip(NEXT) | instid1(VALU_DEP_1)
	v_cmp_ne_u16_e64 s9, 0, v4
	s_or_b32 s28, vcc_lo, s9
	s_delay_alu instid0(SALU_CYCLE_1) | instskip(NEXT) | instid1(SALU_CYCLE_1)
	s_and_b32 s28, exec_lo, s28
	s_or_b32 s26, s28, s26
	s_and_not1_b32 s27, s27, exec_lo
	s_and_b32 s9, s9, exec_lo
	s_delay_alu instid0(SALU_CYCLE_1)
	s_or_b32 s27, s27, s9
	s_and_not1_b32 exec_lo, exec_lo, s26
	s_cbranch_execz .LBB10_206
.LBB10_199:                             ;   Parent Loop BB10_8 Depth=1
                                        ; =>  This Inner Loop Header: Depth=2
	s_delay_alu instid0(VALU_DEP_1)
	v_cmp_gt_i32_e32 vcc_lo, s44, v2
	v_mov_b32_e32 v3, 0
	s_and_saveexec_b32 s28, vcc_lo
	s_cbranch_execz .LBB10_201
; %bb.200:                              ;   in Loop: Header=BB10_199 Depth=2
	v_ashrrev_i32_e32 v4, 31, v1
	v_add_co_u32 v3, s9, s52, v1
	s_delay_alu instid0(VALU_DEP_1)
	v_add_co_ci_u32_e64 v4, s9, s53, v4, s9
	global_load_u8 v3, v[3:4], off
.LBB10_201:                             ;   in Loop: Header=BB10_199 Depth=2
	s_or_b32 exec_lo, exec_lo, s28
	s_and_saveexec_b32 s9, vcc_lo
	s_cbranch_execz .LBB10_198
; %bb.202:                              ;   in Loop: Header=BB10_199 Depth=2
	s_waitcnt vmcnt(0)
	v_bfe_i32 v4, v3, 0, 8
	s_delay_alu instid0(VALU_DEP_1) | instskip(NEXT) | instid1(VALU_DEP_1)
	v_add_nc_u32_e32 v4, 0x80, v4
	v_and_b32_e32 v4, s90, v4
	s_delay_alu instid0(VALU_DEP_1)
	v_cmp_eq_u32_e32 vcc_lo, s89, v4
	s_and_b32 exec_lo, exec_lo, vcc_lo
	s_cbranch_execz .LBB10_198
; %bb.203:                              ;   in Loop: Header=BB10_199 Depth=2
	v_lshlrev_b16 v3, 8, v3
	s_delay_alu instid0(VALU_DEP_1)
	v_or_b32_e32 v3, 1, v3
	ds_store_b16 v21, v3 offset:3072
	s_branch .LBB10_198
.LBB10_204:                             ;   in Loop: Header=BB10_8 Depth=1
                                        ; implicit-def: $sgpr19
                                        ; implicit-def: $sgpr27
                                        ; implicit-def: $sgpr26
	s_branch .LBB10_218
.LBB10_205:                             ;   in Loop: Header=BB10_8 Depth=1
	s_mov_b32 s19, -1
	s_mov_b32 s28, 0
                                        ; implicit-def: $sgpr26
                                        ; implicit-def: $vgpr22
	s_mov_b32 s27, s19
	s_cbranch_execnz .LBB10_208
	s_branch .LBB10_218
.LBB10_206:                             ;   in Loop: Header=BB10_8 Depth=1
	s_set_inst_prefetch_distance 0x2
	s_or_b32 exec_lo, exec_lo, s26
	v_lshrrev_b16 v22, 8, v3
	s_and_b32 s28, s27, exec_lo
.LBB10_207:                             ;   in Loop: Header=BB10_8 Depth=1
	s_or_b32 exec_lo, exec_lo, s19
	s_mov_b32 s26, -1
	s_mov_b32 s19, 0
	s_delay_alu instid0(SALU_CYCLE_1)
	s_mov_b32 s27, s19
	s_branch .LBB10_218
.LBB10_208:                             ;   in Loop: Header=BB10_8 Depth=1
	s_add_i32 s26, s18, s68
	s_mov_b32 s28, 0
	s_abs_i32 s9, s26
                                        ; implicit-def: $vgpr22
	s_delay_alu instid0(SALU_CYCLE_1) | instskip(NEXT) | instid1(SALU_CYCLE_1)
	s_mul_hi_u32 s19, s9, s77
	s_mul_i32 s19, s19, s64
	s_delay_alu instid0(SALU_CYCLE_1) | instskip(SKIP_4) | instid1(SALU_CYCLE_1)
	s_sub_i32 s9, s9, s19
	s_ashr_i32 s19, s26, 31
	s_sub_i32 s27, s9, s64
	s_cmp_ge_u32 s9, s64
	s_cselect_b32 s9, s27, s9
	s_sub_i32 s27, s9, s64
	s_cmp_ge_u32 s9, s64
	s_cselect_b32 s9, s27, s9
	s_delay_alu instid0(SALU_CYCLE_1) | instskip(NEXT) | instid1(SALU_CYCLE_1)
	s_xor_b32 s9, s9, s19
	s_sub_i32 s9, s19, s9
	s_mov_b32 s19, exec_lo
	s_add_i32 s26, s26, s9
	s_delay_alu instid0(SALU_CYCLE_1)
	v_cmpx_gt_i32_e64 s26, v0
	s_cbranch_execz .LBB10_217
; %bb.209:                              ;   in Loop: Header=BB10_8 Depth=1
	v_mov_b32_e32 v1, v0
	s_mov_b32 s27, 0
                                        ; implicit-def: $sgpr28
	s_set_inst_prefetch_distance 0x1
	s_branch .LBB10_211
	.p2align	6
.LBB10_210:                             ;   in Loop: Header=BB10_211 Depth=2
	s_or_b32 exec_lo, exec_lo, s9
	s_waitcnt lgkmcnt(0)
	s_barrier
	buffer_gl0_inv
	ds_load_u16 v2, v21 offset:3072
	v_add_nc_u32_e32 v1, s64, v1
	s_waitcnt lgkmcnt(0)
	s_barrier
	buffer_gl0_inv
	v_cmp_le_i32_e32 vcc_lo, s26, v1
	v_and_b32_e32 v3, 0xff, v2
	s_delay_alu instid0(VALU_DEP_1) | instskip(NEXT) | instid1(VALU_DEP_1)
	v_cmp_ne_u16_e64 s9, 0, v3
	s_or_b32 s45, vcc_lo, s9
	s_delay_alu instid0(SALU_CYCLE_1) | instskip(NEXT) | instid1(SALU_CYCLE_1)
	s_and_b32 s45, exec_lo, s45
	s_or_b32 s27, s45, s27
	s_and_not1_b32 s28, s28, exec_lo
	s_and_b32 s9, s9, exec_lo
	s_delay_alu instid0(SALU_CYCLE_1)
	s_or_b32 s28, s28, s9
	s_and_not1_b32 exec_lo, exec_lo, s27
	s_cbranch_execz .LBB10_216
.LBB10_211:                             ;   Parent Loop BB10_8 Depth=1
                                        ; =>  This Inner Loop Header: Depth=2
	s_delay_alu instid0(VALU_DEP_1)
	v_cmp_gt_i32_e32 vcc_lo, s18, v1
	v_mov_b32_e32 v2, 0
	s_and_saveexec_b32 s9, vcc_lo
	s_cbranch_execz .LBB10_213
; %bb.212:                              ;   in Loop: Header=BB10_211 Depth=2
	ds_load_u8 v2, v1
.LBB10_213:                             ;   in Loop: Header=BB10_211 Depth=2
	s_or_b32 exec_lo, exec_lo, s9
	s_and_saveexec_b32 s9, vcc_lo
	s_cbranch_execz .LBB10_210
; %bb.214:                              ;   in Loop: Header=BB10_211 Depth=2
	s_waitcnt lgkmcnt(0)
	v_bfe_i32 v3, v2, 0, 8
	s_delay_alu instid0(VALU_DEP_1) | instskip(NEXT) | instid1(VALU_DEP_1)
	v_add_nc_u32_e32 v3, 0x80, v3
	v_and_b32_e32 v3, s90, v3
	s_delay_alu instid0(VALU_DEP_1)
	v_cmp_eq_u32_e32 vcc_lo, s89, v3
	s_and_b32 exec_lo, exec_lo, vcc_lo
	s_cbranch_execz .LBB10_210
; %bb.215:                              ;   in Loop: Header=BB10_211 Depth=2
	v_lshlrev_b16 v2, 8, v2
	s_delay_alu instid0(VALU_DEP_1)
	v_or_b32_e32 v2, 1, v2
	ds_store_b16 v21, v2 offset:3072
	s_branch .LBB10_210
.LBB10_216:                             ;   in Loop: Header=BB10_8 Depth=1
	s_set_inst_prefetch_distance 0x2
	s_or_b32 exec_lo, exec_lo, s27
	v_lshrrev_b16 v22, 8, v2
	s_and_b32 s28, s28, exec_lo
.LBB10_217:                             ;   in Loop: Header=BB10_8 Depth=1
	s_or_b32 exec_lo, exec_lo, s19
	s_mov_b32 s27, -1
	s_mov_b32 s19, 0
	s_mov_b32 s26, 0
.LBB10_218:                             ;   in Loop: Header=BB10_8 Depth=1
	s_mov_b32 s45, 0
                                        ; implicit-def: $sgpr9
	s_and_saveexec_b32 s18, s28
	s_cbranch_execz .LBB10_232
; %bb.219:                              ;   in Loop: Header=BB10_8 Depth=1
	s_xor_b32 s9, s16, -1
	s_delay_alu instid0(SALU_CYCLE_1)
	s_and_not1_b32 vcc_lo, exec_lo, s9
	s_mov_b32 s9, 1
	s_cbranch_vccnz .LBB10_226
; %bb.220:                              ;   in Loop: Header=BB10_8 Depth=1
	s_cmp_gt_i32 s25, s10
	s_cbranch_scc1 .LBB10_227
; %bb.221:                              ;   in Loop: Header=BB10_8 Depth=1
	ds_load_b32 v1, v21 offset:4096
	s_waitcnt lgkmcnt(0)
	v_cmp_ne_u32_e32 vcc_lo, 0, v1
	s_cbranch_vccnz .LBB10_225
; %bb.222:                              ;   in Loop: Header=BB10_8 Depth=1
	s_and_saveexec_b32 s9, s0
	s_cbranch_execz .LBB10_224
; %bb.223:                              ;   in Loop: Header=BB10_8 Depth=1
	v_mov_b32_e32 v1, s10
	ds_store_b32 v21, v1 offset:4100
.LBB10_224:                             ;   in Loop: Header=BB10_8 Depth=1
	s_or_b32 exec_lo, exec_lo, s9
	s_waitcnt lgkmcnt(0)
	s_barrier
	buffer_gl0_inv
.LBB10_225:                             ;   in Loop: Header=BB10_8 Depth=1
	s_or_b32 s16, s89, s11
	s_or_b32 s11, s90, s11
	s_mov_b32 s28, 0
	s_mov_b32 s9, 8
	s_branch .LBB10_228
.LBB10_226:                             ;   in Loop: Header=BB10_8 Depth=1
	s_mov_b32 s25, 1
	s_branch .LBB10_231
.LBB10_227:                             ;   in Loop: Header=BB10_8 Depth=1
	s_mov_b32 s28, -1
                                        ; implicit-def: $sgpr9
                                        ; implicit-def: $sgpr16
                                        ; implicit-def: $sgpr11
.LBB10_228:                             ;   in Loop: Header=BB10_8 Depth=1
	s_delay_alu instid0(SALU_CYCLE_1)
	s_and_not1_b32 vcc_lo, exec_lo, s28
	s_cbranch_vccnz .LBB10_230
; %bb.229:                              ;   in Loop: Header=BB10_8 Depth=1
	s_sub_i32 s25, s25, s10
	s_mov_b32 s9, 8
	s_mov_b32 s16, s89
	;; [unrolled: 1-line block ×3, first 2 shown]
.LBB10_230:                             ;   in Loop: Header=BB10_8 Depth=1
	s_mov_b32 s89, s16
	s_mov_b32 s90, s11
.LBB10_231:                             ;   in Loop: Header=BB10_8 Depth=1
	s_mov_b32 s45, exec_lo
.LBB10_232:                             ;   in Loop: Header=BB10_8 Depth=1
	s_or_b32 exec_lo, exec_lo, s18
.LBB10_233:                             ;   in Loop: Header=BB10_8 Depth=1
	s_delay_alu instid0(SALU_CYCLE_1)
	s_and_not1_b32 s10, s21, exec_lo
	s_and_b32 s11, s19, exec_lo
	s_and_not1_b32 s16, s22, exec_lo
	s_or_b32 s21, s10, s11
	s_and_not1_b32 s10, s23, exec_lo
	s_and_b32 s11, s27, exec_lo
	s_and_b32 s18, s26, exec_lo
	s_or_b32 s23, s10, s11
	s_or_b32 s22, s16, s18
	s_and_b32 s28, s45, exec_lo
	s_mov_b32 s26, s25
.LBB10_234:                             ;   in Loop: Header=BB10_8 Depth=1
	s_or_b32 exec_lo, exec_lo, s24
.LBB10_235:                             ;   in Loop: Header=BB10_8 Depth=1
	s_delay_alu instid0(SALU_CYCLE_1)
	s_and_not1_b32 s10, s15, exec_lo
	s_and_b32 s11, s21, exec_lo
	s_and_not1_b32 s14, s14, exec_lo
	s_or_b32 s15, s10, s11
	s_and_not1_b32 s10, s17, exec_lo
	s_and_b32 s11, s23, exec_lo
	s_and_b32 s16, s22, exec_lo
	s_or_b32 s17, s10, s11
	s_or_b32 s14, s14, s16
	s_and_b32 s25, s28, exec_lo
	s_mov_b32 s22, s26
.LBB10_236:                             ;   in Loop: Header=BB10_8 Depth=1
	s_or_b32 exec_lo, exec_lo, s20
	s_and_saveexec_b32 s10, s25
	s_delay_alu instid0(SALU_CYCLE_1)
	s_xor_b32 s10, exec_lo, s10
	s_cbranch_execz .LBB10_6
.LBB10_237:                             ;   in Loop: Header=BB10_8 Depth=1
	s_and_b32 s9, s9, -9
	s_delay_alu instid0(SALU_CYCLE_1)
	s_cmp_eq_u32 s9, 0
	s_cbranch_scc1 .LBB10_4
; %bb.238:                              ;   in Loop: Header=BB10_8 Depth=1
	s_mov_b32 s9, -1
	s_mov_b32 s11, -1
                                        ; implicit-def: $sgpr90
                                        ; implicit-def: $sgpr22
                                        ; implicit-def: $sgpr80
                                        ; implicit-def: $sgpr87
	s_branch .LBB10_5
.LBB10_239:
	s_or_b32 exec_lo, exec_lo, s65
	s_xor_b32 s4, s84, -1
	s_xor_b32 s1, s82, -1
	;; [unrolled: 1-line block ×3, first 2 shown]
	s_mov_b32 s2, 0
	s_and_saveexec_b32 s5, s1
	s_delay_alu instid0(SALU_CYCLE_1)
	s_xor_b32 s1, exec_lo, s5
	s_cbranch_execz .LBB10_260
; %bb.240:
	s_and_saveexec_b32 s2, s4
	s_delay_alu instid0(SALU_CYCLE_1)
	s_xor_b32 s2, exec_lo, s2
	s_cbranch_execz .LBB10_258
; %bb.241:
	s_and_saveexec_b32 s4, s3
	s_delay_alu instid0(SALU_CYCLE_1)
	s_xor_b32 s3, exec_lo, s4
; %bb.242:
	v_xor_b32_e32 v22, 0xffffff80, v1
; %bb.243:
	s_or_b32 exec_lo, exec_lo, s3
	s_and_saveexec_b32 s3, s0
	s_cbranch_execz .LBB10_245
; %bb.244:
	v_dual_mov_b32 v1, 0 :: v_dual_mov_b32 v2, s44
	ds_store_b32 v1, v2 offset:4108
.LBB10_245:
	s_or_b32 exec_lo, exec_lo, s3
	v_mov_b32_e32 v1, 0
	s_waitcnt lgkmcnt(0)
	s_barrier
	buffer_gl0_inv
	s_mov_b32 s3, exec_lo
	ds_load_b32 v1, v1 offset:4108
	s_waitcnt lgkmcnt(0)
	v_min_i32_e32 v1, s44, v1
	s_delay_alu instid0(VALU_DEP_1)
	v_cmpx_lt_i32_e64 v0, v1
	s_cbranch_execz .LBB10_255
; %bb.246:
	v_and_b32_e32 v3, 0xff, v22
	s_mov_b32 s4, 0
                                        ; implicit-def: $sgpr5
                                        ; implicit-def: $sgpr7
                                        ; implicit-def: $sgpr6
	s_set_inst_prefetch_distance 0x1
	s_branch .LBB10_248
	.p2align	6
.LBB10_247:                             ;   in Loop: Header=BB10_248 Depth=1
	s_or_b32 exec_lo, exec_lo, s8
	s_delay_alu instid0(SALU_CYCLE_1) | instskip(NEXT) | instid1(SALU_CYCLE_1)
	s_and_b32 s8, exec_lo, s7
	s_or_b32 s4, s8, s4
	s_and_not1_b32 s5, s5, exec_lo
	s_and_b32 s8, s6, exec_lo
	s_delay_alu instid0(SALU_CYCLE_1)
	s_or_b32 s5, s5, s8
	s_and_not1_b32 exec_lo, exec_lo, s4
	s_cbranch_execz .LBB10_250
.LBB10_248:                             ; =>This Inner Loop Header: Depth=1
	v_ashrrev_i32_e32 v2, 31, v11
	v_add_co_u32 v4, vcc_lo, s52, v11
	s_or_b32 s6, s6, exec_lo
	s_or_b32 s7, s7, exec_lo
	s_delay_alu instid0(VALU_DEP_2)
	v_add_co_ci_u32_e32 v5, vcc_lo, s53, v2, vcc_lo
	v_mov_b32_e32 v2, v0
	s_mov_b32 s8, exec_lo
                                        ; implicit-def: $vgpr0
	global_load_u8 v4, v[4:5], off
	s_waitcnt vmcnt(0)
	v_cmpx_ne_u16_e64 v4, v3
	s_cbranch_execz .LBB10_247
; %bb.249:                              ;   in Loop: Header=BB10_248 Depth=1
	v_add_nc_u32_e32 v0, s64, v2
	s_and_not1_b32 s7, s7, exec_lo
	v_add_nc_u32_e32 v11, s67, v11
	s_and_not1_b32 s6, s6, exec_lo
	s_delay_alu instid0(VALU_DEP_2) | instskip(SKIP_1) | instid1(SALU_CYCLE_1)
	v_cmp_ge_i32_e32 vcc_lo, v0, v1
	s_and_b32 s9, vcc_lo, exec_lo
	s_or_b32 s7, s7, s9
	s_branch .LBB10_247
.LBB10_250:
	s_set_inst_prefetch_distance 0x2
	s_or_b32 exec_lo, exec_lo, s4
	s_and_saveexec_b32 s4, s5
	s_delay_alu instid0(SALU_CYCLE_1)
	s_xor_b32 s4, exec_lo, s4
	s_cbranch_execz .LBB10_255
; %bb.251:
	s_mov_b32 s5, exec_lo
	s_brev_b32 s4, -2
.LBB10_252:                             ; =>This Inner Loop Header: Depth=1
	s_ctz_i32_b32 s6, s5
	s_delay_alu instid0(SALU_CYCLE_1) | instskip(SKIP_1) | instid1(SALU_CYCLE_1)
	v_readlane_b32 s7, v2, s6
	s_lshl_b32 s6, 1, s6
	s_and_not1_b32 s5, s5, s6
	s_delay_alu instid0(VALU_DEP_1)
	s_min_i32 s4, s4, s7
	s_cmp_lg_u32 s5, 0
	s_cbranch_scc1 .LBB10_252
; %bb.253:
	v_mbcnt_lo_u32_b32 v0, exec_lo, 0
	s_mov_b32 s5, exec_lo
	s_delay_alu instid0(VALU_DEP_1)
	v_cmpx_eq_u32_e32 0, v0
	s_xor_b32 s5, exec_lo, s5
	s_cbranch_execz .LBB10_255
; %bb.254:
	v_dual_mov_b32 v0, 0 :: v_dual_mov_b32 v1, s4
	ds_min_i32 v0, v1 offset:4108
.LBB10_255:
	s_or_b32 exec_lo, exec_lo, s3
	s_waitcnt lgkmcnt(0)
	s_barrier
	buffer_gl0_inv
	s_and_saveexec_b32 s3, s0
	s_cbranch_execz .LBB10_257
; %bb.256:
	s_mul_i32 s4, s61, s56
	s_mul_i32 s0, s46, s31
	s_sub_i32 s4, s57, s4
	s_sub_i32 s0, s29, s0
	s_xor_b32 s5, s62, s63
	s_add_i32 s6, s61, 1
	s_sub_i32 s7, s4, s56
	s_cmp_ge_u32 s4, s56
	s_mul_i32 s0, s0, s42
	s_cselect_b32 s6, s6, s61
	s_cselect_b32 s4, s7, s4
	s_add_i32 s7, s6, 1
	s_cmp_ge_u32 s4, s56
	v_mov_b32_e32 v2, 0
	s_cselect_b32 s4, s7, s6
	s_mul_i32 s7, s43, s33
	s_xor_b32 s4, s4, s5
	s_mul_i32 s6, s39, s35
	s_sub_i32 s4, s4, s5
	s_sub_i32 s6, s29, s6
	s_mul_i32 s5, s4, s30
	s_mul_i32 s4, s4, s40
	s_sub_i32 s5, s46, s5
	s_xor_b32 s8, s59, s60
	s_mul_i32 s5, s5, s41
	ds_load_b32 v0, v2 offset:4108
	s_add_i32 s0, s5, s0
	s_sub_i32 s5, s58, s7
	s_add_i32 s0, s0, s4
	s_add_i32 s4, s43, 1
	s_sub_i32 s7, s5, s33
	s_cmp_ge_u32 s5, s33
	s_mul_i32 s6, s6, s38
	s_cselect_b32 s4, s4, s43
	s_cselect_b32 s5, s7, s5
	s_add_i32 s7, s4, 1
	s_cmp_ge_u32 s5, s33
	s_cselect_b32 s4, s7, s4
	s_ashr_i32 s7, s0, 31
	s_xor_b32 s4, s4, s8
	s_delay_alu instid0(SALU_CYCLE_1) | instskip(NEXT) | instid1(SALU_CYCLE_1)
	s_sub_i32 s4, s4, s8
	s_mul_i32 s5, s4, s34
	s_mul_i32 s4, s4, s36
	s_sub_i32 s5, s39, s5
	s_waitcnt lgkmcnt(0)
	v_ashrrev_i32_e32 v1, 31, v0
	s_mul_i32 s5, s5, s37
	s_delay_alu instid0(SALU_CYCLE_1) | instskip(NEXT) | instid1(SALU_CYCLE_1)
	s_add_i32 s5, s5, s6
	s_add_i32 s4, s5, s4
	s_add_u32 s6, s50, s0
	s_addc_u32 s7, s51, s7
	s_ashr_i32 s5, s4, 31
	s_delay_alu instid0(SALU_CYCLE_1) | instskip(NEXT) | instid1(SALU_CYCLE_1)
	s_lshl_b64 s[4:5], s[4:5], 3
	s_add_u32 s4, s48, s4
	s_addc_u32 s5, s49, s5
	s_clause 0x1
	global_store_b64 v2, v[0:1], s[4:5]
	global_store_b8 v2, v22, s[6:7]
.LBB10_257:
	s_or_b32 exec_lo, exec_lo, s3
.LBB10_258:
	s_or_saveexec_b32 s0, s2
	s_mov_b32 s2, 0
	s_xor_b32 exec_lo, exec_lo, s0
	s_cbranch_execnz .LBB10_266
.LBB10_259:
	s_or_b32 exec_lo, exec_lo, s0
	s_delay_alu instid0(SALU_CYCLE_1)
	s_and_b32 s2, s2, exec_lo
.LBB10_260:
	s_and_not1_saveexec_b32 s0, s1
	s_cbranch_execnz .LBB10_264
; %bb.261:
	s_or_b32 exec_lo, exec_lo, s0
	s_and_saveexec_b32 s0, s2
.LBB10_262:
	; divergent unreachable
.LBB10_263:
	s_nop 0
	s_sendmsg sendmsg(MSG_DEALLOC_VGPRS)
	s_endpgm
.LBB10_264:
	s_cbranch_execnz .LBB10_268
; %bb.265:
	s_or_b32 s2, s2, exec_lo
	s_or_b32 exec_lo, exec_lo, s0
	s_and_saveexec_b32 s0, s2
	s_cbranch_execnz .LBB10_262
	s_branch .LBB10_263
.LBB10_266:
	s_cbranch_execnz .LBB10_270
; %bb.267:
	s_mov_b32 s2, exec_lo
	s_branch .LBB10_259
.LBB10_268:
	s_trap 2
	s_sendmsg_rtn_b32 s0, sendmsg(MSG_RTN_GET_DOORBELL)
	s_mov_b32 ttmp2, m0
	s_waitcnt lgkmcnt(0)
	s_and_b32 s0, s0, 0x3ff
	s_delay_alu instid0(SALU_CYCLE_1) | instskip(NEXT) | instid1(SALU_CYCLE_1)
	s_bitset1_b32 s0, 10
	s_mov_b32 m0, s0
	s_sendmsg sendmsg(MSG_INTERRUPT)
	s_mov_b32 m0, ttmp2
.LBB10_269:                             ; =>This Inner Loop Header: Depth=1
	s_sethalt 5
	s_branch .LBB10_269
.LBB10_270:
	s_trap 2
	s_sendmsg_rtn_b32 s0, sendmsg(MSG_RTN_GET_DOORBELL)
	s_mov_b32 ttmp2, m0
	s_waitcnt lgkmcnt(0)
	s_and_b32 s0, s0, 0x3ff
	s_delay_alu instid0(SALU_CYCLE_1) | instskip(NEXT) | instid1(SALU_CYCLE_1)
	s_bitset1_b32 s0, 10
	s_mov_b32 m0, s0
	s_sendmsg sendmsg(MSG_INTERRUPT)
	s_mov_b32 m0, ttmp2
.LBB10_271:                             ; =>This Inner Loop Header: Depth=1
	s_sethalt 5
	s_branch .LBB10_271
	.section	.rodata,"a",@progbits
	.p2align	6, 0x0
	.amdhsa_kernel _ZN2at6native12_GLOBAL__N_114gatherKthValueIaiLi3EEEvNS_4cuda6detail10TensorInfoIKT_T0_EES8_S8_S8_S8_NS5_IS6_S8_EENS5_IlS8_EE
		.amdhsa_group_segment_fixed_size 4112
		.amdhsa_private_segment_fixed_size 0
		.amdhsa_kernarg_size 920
		.amdhsa_user_sgpr_count 13
		.amdhsa_user_sgpr_dispatch_ptr 0
		.amdhsa_user_sgpr_queue_ptr 0
		.amdhsa_user_sgpr_kernarg_segment_ptr 1
		.amdhsa_user_sgpr_dispatch_id 0
		.amdhsa_user_sgpr_private_segment_size 0
		.amdhsa_wavefront_size32 1
		.amdhsa_uses_dynamic_stack 0
		.amdhsa_enable_private_segment 0
		.amdhsa_system_sgpr_workgroup_id_x 1
		.amdhsa_system_sgpr_workgroup_id_y 1
		.amdhsa_system_sgpr_workgroup_id_z 1
		.amdhsa_system_sgpr_workgroup_info 0
		.amdhsa_system_vgpr_workitem_id 0
		.amdhsa_next_free_vgpr 36
		.amdhsa_next_free_sgpr 100
		.amdhsa_reserve_vcc 1
		.amdhsa_float_round_mode_32 0
		.amdhsa_float_round_mode_16_64 0
		.amdhsa_float_denorm_mode_32 3
		.amdhsa_float_denorm_mode_16_64 3
		.amdhsa_dx10_clamp 1
		.amdhsa_ieee_mode 1
		.amdhsa_fp16_overflow 0
		.amdhsa_workgroup_processor_mode 1
		.amdhsa_memory_ordered 1
		.amdhsa_forward_progress 0
		.amdhsa_shared_vgpr_count 0
		.amdhsa_exception_fp_ieee_invalid_op 0
		.amdhsa_exception_fp_denorm_src 0
		.amdhsa_exception_fp_ieee_div_zero 0
		.amdhsa_exception_fp_ieee_overflow 0
		.amdhsa_exception_fp_ieee_underflow 0
		.amdhsa_exception_fp_ieee_inexact 0
		.amdhsa_exception_int_div_zero 0
	.end_amdhsa_kernel
	.section	.text._ZN2at6native12_GLOBAL__N_114gatherKthValueIaiLi3EEEvNS_4cuda6detail10TensorInfoIKT_T0_EES8_S8_S8_S8_NS5_IS6_S8_EENS5_IlS8_EE,"axG",@progbits,_ZN2at6native12_GLOBAL__N_114gatherKthValueIaiLi3EEEvNS_4cuda6detail10TensorInfoIKT_T0_EES8_S8_S8_S8_NS5_IS6_S8_EENS5_IlS8_EE,comdat
.Lfunc_end10:
	.size	_ZN2at6native12_GLOBAL__N_114gatherKthValueIaiLi3EEEvNS_4cuda6detail10TensorInfoIKT_T0_EES8_S8_S8_S8_NS5_IS6_S8_EENS5_IlS8_EE, .Lfunc_end10-_ZN2at6native12_GLOBAL__N_114gatherKthValueIaiLi3EEEvNS_4cuda6detail10TensorInfoIKT_T0_EES8_S8_S8_S8_NS5_IS6_S8_EENS5_IlS8_EE
                                        ; -- End function
	.section	.AMDGPU.csdata,"",@progbits
; Kernel info:
; codeLenInByte = 10604
; NumSgprs: 102
; NumVgprs: 36
; ScratchSize: 0
; MemoryBound: 0
; FloatMode: 240
; IeeeMode: 1
; LDSByteSize: 4112 bytes/workgroup (compile time only)
; SGPRBlocks: 12
; VGPRBlocks: 4
; NumSGPRsForWavesPerEU: 102
; NumVGPRsForWavesPerEU: 36
; Occupancy: 16
; WaveLimiterHint : 1
; COMPUTE_PGM_RSRC2:SCRATCH_EN: 0
; COMPUTE_PGM_RSRC2:USER_SGPR: 13
; COMPUTE_PGM_RSRC2:TRAP_HANDLER: 0
; COMPUTE_PGM_RSRC2:TGID_X_EN: 1
; COMPUTE_PGM_RSRC2:TGID_Y_EN: 1
; COMPUTE_PGM_RSRC2:TGID_Z_EN: 1
; COMPUTE_PGM_RSRC2:TIDIG_COMP_CNT: 0
	.section	.text._ZN2at6native12_GLOBAL__N_114gatherKthValueIaiLin1EEEvNS_4cuda6detail10TensorInfoIKT_T0_EES8_S8_S8_S8_NS5_IS6_S8_EENS5_IlS8_EE,"axG",@progbits,_ZN2at6native12_GLOBAL__N_114gatherKthValueIaiLin1EEEvNS_4cuda6detail10TensorInfoIKT_T0_EES8_S8_S8_S8_NS5_IS6_S8_EENS5_IlS8_EE,comdat
	.globl	_ZN2at6native12_GLOBAL__N_114gatherKthValueIaiLin1EEEvNS_4cuda6detail10TensorInfoIKT_T0_EES8_S8_S8_S8_NS5_IS6_S8_EENS5_IlS8_EE ; -- Begin function _ZN2at6native12_GLOBAL__N_114gatherKthValueIaiLin1EEEvNS_4cuda6detail10TensorInfoIKT_T0_EES8_S8_S8_S8_NS5_IS6_S8_EENS5_IlS8_EE
	.p2align	8
	.type	_ZN2at6native12_GLOBAL__N_114gatherKthValueIaiLin1EEEvNS_4cuda6detail10TensorInfoIKT_T0_EES8_S8_S8_S8_NS5_IS6_S8_EENS5_IlS8_EE,@function
_ZN2at6native12_GLOBAL__N_114gatherKthValueIaiLin1EEEvNS_4cuda6detail10TensorInfoIKT_T0_EES8_S8_S8_S8_NS5_IS6_S8_EENS5_IlS8_EE: ; @_ZN2at6native12_GLOBAL__N_114gatherKthValueIaiLin1EEEvNS_4cuda6detail10TensorInfoIKT_T0_EES8_S8_S8_S8_NS5_IS6_S8_EENS5_IlS8_EE
; %bb.0:
	s_clause 0x1
	s_load_b64 s[6:7], s[0:1], 0x298
	s_load_b128 s[36:39], s[0:1], 0xd8
	s_add_u32 s4, s0, 0x298
	s_addc_u32 s5, s1, 0
	s_waitcnt lgkmcnt(0)
	s_mul_i32 s2, s7, s15
	s_delay_alu instid0(SALU_CYCLE_1) | instskip(NEXT) | instid1(SALU_CYCLE_1)
	s_add_i32 s2, s2, s14
	s_mul_i32 s2, s2, s6
	s_delay_alu instid0(SALU_CYCLE_1) | instskip(NEXT) | instid1(SALU_CYCLE_1)
	s_add_i32 s33, s2, s13
	s_cmp_ge_i32 s33, s38
	s_cbranch_scc1 .LBB11_272
; %bb.1:
	s_load_b32 s8, s[0:1], 0xd0
	s_mov_b32 s3, 0
	s_mov_b32 s7, s33
	s_waitcnt lgkmcnt(0)
	s_cmp_lt_i32 s8, 2
	s_cbranch_scc1 .LBB11_4
; %bb.2:
	s_add_i32 s2, s8, -1
	s_delay_alu instid0(SALU_CYCLE_1)
	s_lshl_b64 s[10:11], s[2:3], 2
	s_add_i32 s2, s8, 1
	s_add_u32 s7, s10, s0
	s_addc_u32 s9, s11, s1
	s_add_u32 s8, s7, 8
	s_addc_u32 s9, s9, 0
	s_mov_b32 s7, s33
	s_set_inst_prefetch_distance 0x1
	.p2align	6
.LBB11_3:                               ; =>This Inner Loop Header: Depth=1
	s_clause 0x1
	s_load_b32 s10, s[8:9], 0x0
	s_load_b32 s11, s[8:9], 0x64
	s_mov_b32 s16, s7
	s_waitcnt lgkmcnt(0)
	s_abs_i32 s12, s10
	s_delay_alu instid0(SALU_CYCLE_1)
	v_cvt_f32_u32_e32 v1, s12
	s_sub_i32 s15, 0, s12
	s_waitcnt_depctr 0xfff
	v_rcp_iflag_f32_e32 v1, v1
	s_waitcnt_depctr 0xfff
	v_mul_f32_e32 v1, 0x4f7ffffe, v1
	s_delay_alu instid0(VALU_DEP_1) | instskip(NEXT) | instid1(VALU_DEP_1)
	v_cvt_u32_f32_e32 v1, v1
	v_readfirstlane_b32 s14, v1
	s_delay_alu instid0(VALU_DEP_1) | instskip(NEXT) | instid1(SALU_CYCLE_1)
	s_mul_i32 s15, s15, s14
	s_mul_hi_u32 s7, s14, s15
	s_abs_i32 s15, s16
	s_add_i32 s14, s14, s7
	s_delay_alu instid0(SALU_CYCLE_1)
	s_mul_hi_u32 s7, s15, s14
	s_xor_b32 s14, s16, s10
	s_mul_i32 s17, s7, s12
	s_ashr_i32 s14, s14, 31
	s_sub_i32 s15, s15, s17
	s_add_i32 s17, s7, 1
	s_sub_i32 s18, s15, s12
	s_cmp_ge_u32 s15, s12
	s_cselect_b32 s7, s17, s7
	s_cselect_b32 s15, s18, s15
	s_add_i32 s17, s7, 1
	s_cmp_ge_u32 s15, s12
	s_cselect_b32 s7, s17, s7
	s_add_i32 s2, s2, -1
	s_xor_b32 s7, s7, s14
	s_delay_alu instid0(SALU_CYCLE_1) | instskip(NEXT) | instid1(SALU_CYCLE_1)
	s_sub_i32 s7, s7, s14
	s_mul_i32 s10, s7, s10
	s_delay_alu instid0(SALU_CYCLE_1) | instskip(NEXT) | instid1(SALU_CYCLE_1)
	s_sub_i32 s10, s16, s10
	s_mul_i32 s10, s11, s10
	s_delay_alu instid0(SALU_CYCLE_1)
	s_add_i32 s3, s10, s3
	s_add_u32 s8, s8, -4
	s_addc_u32 s9, s9, -1
	s_cmp_gt_u32 s2, 2
	s_cbranch_scc1 .LBB11_3
.LBB11_4:
	s_set_inst_prefetch_distance 0x2
	s_load_b32 s2, s[0:1], 0x1b8
	s_add_u32 s8, s0, 0xe8
	s_addc_u32 s9, s1, 0
	s_mov_b32 s29, 0
	s_mov_b32 s38, s33
	s_waitcnt lgkmcnt(0)
	s_cmp_lt_i32 s2, 2
	s_cbranch_scc1 .LBB11_7
; %bb.5:
	s_add_i32 s28, s2, -1
	s_add_i32 s2, s2, 1
	s_lshl_b64 s[10:11], s[28:29], 2
	s_mov_b32 s38, s33
	s_add_u32 s10, s10, s8
	s_addc_u32 s11, s11, s9
	s_add_u32 s10, s10, 8
	s_addc_u32 s11, s11, 0
	s_set_inst_prefetch_distance 0x1
	.p2align	6
.LBB11_6:                               ; =>This Inner Loop Header: Depth=1
	s_clause 0x1
	s_load_b32 s12, s[10:11], 0x0
	s_load_b32 s14, s[10:11], 0x64
	s_abs_i32 s19, s38
	s_mov_b32 s18, s38
	s_waitcnt lgkmcnt(0)
	s_abs_i32 s15, s12
	s_delay_alu instid0(SALU_CYCLE_1)
	v_cvt_f32_u32_e32 v1, s15
	s_sub_i32 s17, 0, s15
	s_waitcnt_depctr 0xfff
	v_rcp_iflag_f32_e32 v1, v1
	s_waitcnt_depctr 0xfff
	v_mul_f32_e32 v1, 0x4f7ffffe, v1
	s_delay_alu instid0(VALU_DEP_1) | instskip(NEXT) | instid1(VALU_DEP_1)
	v_cvt_u32_f32_e32 v1, v1
	v_readfirstlane_b32 s16, v1
	s_delay_alu instid0(VALU_DEP_1) | instskip(NEXT) | instid1(SALU_CYCLE_1)
	s_mul_i32 s17, s17, s16
	s_mul_hi_u32 s17, s16, s17
	s_delay_alu instid0(SALU_CYCLE_1) | instskip(SKIP_4) | instid1(SALU_CYCLE_1)
	s_add_i32 s16, s16, s17
	s_xor_b32 s17, s38, s12
	s_mul_hi_u32 s16, s19, s16
	s_ashr_i32 s17, s17, 31
	s_mul_i32 s20, s16, s15
	s_sub_i32 s19, s19, s20
	s_add_i32 s20, s16, 1
	s_sub_i32 s21, s19, s15
	s_cmp_ge_u32 s19, s15
	s_cselect_b32 s16, s20, s16
	s_cselect_b32 s19, s21, s19
	s_add_i32 s20, s16, 1
	s_cmp_ge_u32 s19, s15
	s_cselect_b32 s15, s20, s16
	s_add_i32 s2, s2, -1
	s_xor_b32 s15, s15, s17
	s_delay_alu instid0(SALU_CYCLE_1) | instskip(NEXT) | instid1(SALU_CYCLE_1)
	s_sub_i32 s38, s15, s17
	s_mul_i32 s12, s38, s12
	s_delay_alu instid0(SALU_CYCLE_1) | instskip(NEXT) | instid1(SALU_CYCLE_1)
	s_sub_i32 s12, s18, s12
	s_mul_i32 s12, s14, s12
	s_delay_alu instid0(SALU_CYCLE_1)
	s_add_i32 s29, s12, s29
	s_add_u32 s10, s10, -4
	s_addc_u32 s11, s11, -1
	s_cmp_gt_u32 s2, 2
	s_cbranch_scc1 .LBB11_6
.LBB11_7:
	s_set_inst_prefetch_distance 0x2
	s_clause 0x1
	s_load_b32 s12, s[0:1], 0x6c
	s_load_b32 s2, s[0:1], 0x290
	s_add_u32 s10, s0, 0x1c0
	s_addc_u32 s11, s1, 0
	s_mov_b32 s31, 0
	s_waitcnt lgkmcnt(0)
	s_cmp_lt_i32 s2, 2
	s_cbranch_scc1 .LBB11_10
; %bb.8:
	s_add_i32 s30, s2, -1
	s_add_i32 s2, s2, 1
	s_lshl_b64 s[14:15], s[30:31], 2
	s_delay_alu instid0(SALU_CYCLE_1)
	s_add_u32 s10, s14, s10
	s_addc_u32 s11, s15, s11
	s_add_u32 s10, s10, 8
	s_addc_u32 s11, s11, 0
	s_set_inst_prefetch_distance 0x1
	.p2align	6
.LBB11_9:                               ; =>This Inner Loop Header: Depth=1
	s_clause 0x1
	s_load_b32 s14, s[10:11], 0x0
	s_load_b32 s15, s[10:11], 0x64
	s_abs_i32 s20, s33
	s_mov_b32 s19, s33
	s_waitcnt lgkmcnt(0)
	s_abs_i32 s16, s14
	s_delay_alu instid0(SALU_CYCLE_1)
	v_cvt_f32_u32_e32 v1, s16
	s_sub_i32 s18, 0, s16
	s_waitcnt_depctr 0xfff
	v_rcp_iflag_f32_e32 v1, v1
	s_waitcnt_depctr 0xfff
	v_mul_f32_e32 v1, 0x4f7ffffe, v1
	s_delay_alu instid0(VALU_DEP_1) | instskip(NEXT) | instid1(VALU_DEP_1)
	v_cvt_u32_f32_e32 v1, v1
	v_readfirstlane_b32 s17, v1
	s_delay_alu instid0(VALU_DEP_1) | instskip(NEXT) | instid1(SALU_CYCLE_1)
	s_mul_i32 s18, s18, s17
	s_mul_hi_u32 s18, s17, s18
	s_delay_alu instid0(SALU_CYCLE_1) | instskip(SKIP_4) | instid1(SALU_CYCLE_1)
	s_add_i32 s17, s17, s18
	s_xor_b32 s18, s33, s14
	s_mul_hi_u32 s17, s20, s17
	s_ashr_i32 s18, s18, 31
	s_mul_i32 s21, s17, s16
	s_sub_i32 s20, s20, s21
	s_add_i32 s21, s17, 1
	s_sub_i32 s22, s20, s16
	s_cmp_ge_u32 s20, s16
	s_cselect_b32 s17, s21, s17
	s_cselect_b32 s20, s22, s20
	s_add_i32 s21, s17, 1
	s_cmp_ge_u32 s20, s16
	s_cselect_b32 s16, s21, s17
	s_add_i32 s2, s2, -1
	s_xor_b32 s16, s16, s18
	s_delay_alu instid0(SALU_CYCLE_1) | instskip(NEXT) | instid1(SALU_CYCLE_1)
	s_sub_i32 s33, s16, s18
	s_mul_i32 s14, s33, s14
	s_delay_alu instid0(SALU_CYCLE_1) | instskip(NEXT) | instid1(SALU_CYCLE_1)
	s_sub_i32 s14, s19, s14
	s_mul_i32 s14, s15, s14
	s_delay_alu instid0(SALU_CYCLE_1)
	s_add_i32 s31, s14, s31
	s_add_u32 s10, s10, -4
	s_addc_u32 s11, s11, -1
	s_cmp_gt_u32 s2, 2
	s_cbranch_scc1 .LBB11_9
.LBB11_10:
	s_set_inst_prefetch_distance 0x2
	s_clause 0x3
	s_load_b32 s30, s[8:9], 0x6c
	s_load_b64 s[8:9], s[0:1], 0x0
	s_load_b64 s[40:41], s[0:1], 0xe8
	s_load_b64 s[34:35], s[0:1], 0x1c0
	v_cmp_eq_u32_e64 s2, 0, v0
	s_mov_b32 s48, 0
	s_delay_alu instid0(VALU_DEP_1)
	s_and_saveexec_b32 s10, s2
	s_cbranch_execz .LBB11_12
; %bb.11:
	v_dual_mov_b32 v1, 0 :: v_dual_mov_b32 v2, s36
	s_delay_alu instid0(VALU_DEP_1)
	v_mov_b32_e32 v3, v1
	ds_store_b96 v1, v[1:3] offset:4096
.LBB11_12:
	s_or_b32 exec_lo, exec_lo, s10
	s_waitcnt lgkmcnt(0)
	s_barrier
	buffer_gl0_inv
	s_load_b32 s10, s[4:5], 0xc
	s_mul_i32 s7, s12, s7
	v_mbcnt_lo_u32_b32 v12, -1, 0
	s_add_i32 s7, s7, s3
	v_cmp_gt_u32_e32 vcc_lo, 32, v0
	s_ashr_i32 s11, s7, 31
	s_add_u32 s42, s8, s7
	s_addc_u32 s43, s9, s11
	v_cmp_gt_i32_e64 s3, 4, v12
	s_load_b32 s46, s[0:1], 0x22c
	v_mul_lo_u32 v11, v0, s39
	v_cmp_gt_u32_e64 s0, 2, v0
	v_lshl_or_b32 v20, v12, 2, 0xc00
	s_and_b32 s50, vcc_lo, s3
	v_mov_b32_e32 v22, 0
	s_mov_b32 s60, 6
	s_mov_b32 s70, 0
	;; [unrolled: 1-line block ×3, first 2 shown]
	v_lshlrev_b32_e32 v18, 2, v11
	s_mov_b32 s73, 0
	s_waitcnt lgkmcnt(0)
	s_and_b32 s47, s10, 0xffff
	s_bfe_u32 s1, s10, 0xb0005
	s_lshl_b32 s49, s47, 2
	s_add_i32 s51, s47, -1
	v_cvt_f32_u32_e32 v1, s49
	s_add_i32 s63, s51, s36
	s_cmpk_gt_i32 s36, 0xc00
	v_cvt_f32_u32_e32 v2, s47
	s_cselect_b32 s52, -1, 0
	v_rcp_iflag_f32_e32 v1, v1
	s_cmp_gt_u32 s47, 31
	s_mov_b32 s10, s39
	s_cselect_b32 s53, -1, 0
	s_cmp_lt_u32 s13, s6
	v_rcp_iflag_f32_e32 v2, v2
	s_cselect_b32 s3, 12, 18
	v_lshlrev_b32_e32 v13, 2, v0
	s_add_u32 s44, s4, s3
	s_addc_u32 s45, s5, 0
	s_waitcnt_depctr 0xfff
	v_mul_f32_e32 v1, 0x4f7ffffe, v1
	s_add_i32 s3, s1, -1
	s_bfe_u32 s55, s47, 0x30005
	s_cmp_gt_u32 s3, 6
	s_mul_i32 s54, s39, s47
	v_cvt_u32_f32_e32 v1, v1
	s_cselect_b32 s56, -1, 0
	s_and_b32 s57, s1, 0x7f8
	s_cmp_lg_u32 s55, 0
	v_mul_f32_e32 v2, 0x4f7ffffe, v2
	v_readfirstlane_b32 s4, v1
	s_cselect_b32 s58, -1, 0
	s_sub_i32 s3, 0, s49
	v_lshrrev_b32_e32 v1, 3, v0
	v_cvt_u32_f32_e32 v2, v2
	s_mul_i32 s5, s3, s4
	v_cmp_gt_u32_e64 s1, s36, v0
	s_mul_hi_u32 s5, s4, s5
	v_dual_mov_b32 v21, 0 :: v_dual_and_b32 v14, 0x7c, v1
	s_add_i32 s59, s4, s5
	v_cmp_gt_i32_e64 s3, s36, v0
	s_mul_hi_u32 s4, s36, s59
                                        ; implicit-def: $sgpr65
                                        ; implicit-def: $sgpr67
                                        ; implicit-def: $sgpr66
                                        ; implicit-def: $sgpr69
                                        ; implicit-def: $sgpr71
                                        ; implicit-def: $sgpr68
	s_delay_alu instid0(SALU_CYCLE_1) | instskip(NEXT) | instid1(SALU_CYCLE_1)
	s_mul_i32 s4, s4, s49
	s_sub_i32 s5, s36, s4
	v_cmp_eq_u32_e64 s4, 0, v12
	s_sub_i32 s6, s5, s49
	s_cmp_ge_u32 s5, s49
	s_cselect_b32 s5, s6, s5
	v_readfirstlane_b32 s6, v2
	s_sub_i32 s7, s5, s49
	s_cmp_ge_u32 s5, s49
	v_lshlrev_b64 v[1:2], v12, -1
	s_cselect_b32 s9, s7, s5
	s_sub_i32 s5, 0, s47
	s_sub_i32 s62, s36, s9
	s_mul_i32 s5, s5, s6
	v_add_co_u32 v5, s7, s42, v11
	s_mul_hi_u32 s5, s6, s5
	v_add_nc_u32_e32 v16, s62, v0
	v_add_co_ci_u32_e64 v6, null, s43, 0, s7
	s_abs_i32 s7, s63
	s_add_i32 s61, s6, s5
	s_delay_alu instid0(VALU_DEP_2)
	v_mul_lo_u32 v2, v16, s39
	s_mul_hi_u32 s5, s7, s61
	s_ashr_i32 s8, s63, 31
	s_mul_i32 s5, s5, s47
	v_not_b32_e32 v15, v1
	s_sub_i32 s5, s7, s5
	v_add3_u32 v1, s47, s36, v0
	s_sub_i32 s6, s5, s47
	s_cmp_ge_u32 s5, s47
	v_ashrrev_i32_e32 v3, 31, v2
	s_cselect_b32 s6, s6, s5
	v_add_co_u32 v7, vcc_lo, s42, v2
	s_sub_i32 s7, s6, s47
	s_cmp_ge_u32 s6, s47
	v_add_co_ci_u32_e32 v8, vcc_lo, s43, v3, vcc_lo
	s_cselect_b32 s7, s7, s6
	v_or_b32_e32 v2, 2, v13
	v_or_b32_e32 v3, 3, v13
	v_subrev_nc_u32_e32 v1, s9, v1
	s_xor_b32 s11, s7, s8
	v_cmp_gt_i32_e64 s5, s62, v13
	s_sub_i32 s8, s8, s11
	v_mad_u64_u32 v[9:10], null, s39, v13, s[10:11]
	v_mul_lo_u32 v10, s39, v2
	v_mul_lo_u32 v17, s39, v3
	;; [unrolled: 1-line block ×3, first 2 shown]
	s_add_i32 s63, s63, s8
	v_cmp_gt_u32_e64 s6, s36, v16
	v_cmp_gt_i32_e64 s7, s36, v16
	v_cmp_gt_i32_e64 s8, s63, v0
	s_lshl_b32 s64, s54, 2
	s_branch .LBB11_17
.LBB11_13:                              ;   in Loop: Header=BB11_17 Depth=1
	s_xor_b32 s70, s70, 1
	s_add_i32 s13, s60, -2
	s_cmp_eq_u32 s60, 0
	s_mov_b32 s9, 0
	s_cselect_b32 s11, -1, 0
	s_mov_b32 s60, s13
.LBB11_14:                              ;   in Loop: Header=BB11_17 Depth=1
	s_and_not1_b32 s13, s15, exec_lo
	s_and_b32 s9, s9, exec_lo
	s_and_not1_b32 s17, s17, exec_lo
	s_or_b32 s15, s13, s9
	s_and_not1_b32 s14, s14, exec_lo
	s_or_not1_b32 s13, s11, exec_lo
	s_mov_b32 s37, s22
.LBB11_15:                              ;   in Loop: Header=BB11_17 Depth=1
	s_or_b32 exec_lo, exec_lo, s10
	s_delay_alu instid0(SALU_CYCLE_1)
	s_and_not1_b32 s9, s68, exec_lo
	s_and_b32 s10, s15, exec_lo
	s_and_not1_b32 s11, s69, exec_lo
	s_or_b32 s68, s9, s10
	s_and_not1_b32 s9, s71, exec_lo
	s_and_b32 s10, s17, exec_lo
	s_and_b32 s14, s14, exec_lo
	s_or_b32 s71, s9, s10
	s_or_b32 s69, s11, s14
	s_or_not1_b32 s14, s13, exec_lo
.LBB11_16:                              ;   in Loop: Header=BB11_17 Depth=1
	s_or_b32 exec_lo, exec_lo, s12
	s_delay_alu instid0(SALU_CYCLE_1)
	s_and_b32 s9, exec_lo, s14
	v_mov_b32_e32 v1, s72
	s_or_b32 s48, s9, s48
	s_and_not1_b32 s9, s66, exec_lo
	s_and_b32 s10, s68, exec_lo
	s_and_not1_b32 s11, s65, exec_lo
	s_or_b32 s66, s9, s10
	s_and_not1_b32 s9, s67, exec_lo
	s_and_b32 s10, s71, exec_lo
	s_and_b32 s12, s69, exec_lo
	s_or_b32 s67, s9, s10
	s_or_b32 s65, s11, s12
	s_and_not1_b32 exec_lo, exec_lo, s48
	s_cbranch_execz .LBB11_248
.LBB11_17:                              ; =>This Loop Header: Depth=1
                                        ;     Child Loop BB11_22 Depth 2
                                        ;     Child Loop BB11_41 Depth 2
	;; [unrolled: 1-line block ×16, first 2 shown]
	ds_load_b64 v[1:2], v21 offset:4096
	s_waitcnt lgkmcnt(0)
	v_readfirstlane_b32 s74, v1
	s_delay_alu instid0(VALU_DEP_1)
	s_cmp_gt_i32 s74, 0
	s_cbranch_scc1 .LBB11_48
; %bb.18:                               ;   in Loop: Header=BB11_17 Depth=1
	s_and_b32 vcc_lo, exec_lo, s52
	s_cbranch_vccz .LBB11_30
; %bb.19:                               ;   in Loop: Header=BB11_17 Depth=1
	v_cmp_gt_i32_e32 vcc_lo, 0xc01, v2
	s_mov_b32 s10, 0
	s_mov_b32 s9, 0
	s_cbranch_vccz .LBB11_35
; %bb.20:                               ;   in Loop: Header=BB11_17 Depth=1
	global_load_u16 v1, v21, s[44:45]
	global_load_u8 v23, v[5:6], off
	v_mov_b32_e32 v4, v0
	s_mov_b32 s11, 0
	s_waitcnt vmcnt(1)
	v_add_nc_u32_e32 v2, v0, v1
	v_mul_lo_u32 v3, s39, v1
	s_delay_alu instid0(VALU_DEP_2)
	v_mul_lo_u32 v2, s39, v2
	s_branch .LBB11_22
.LBB11_21:                              ;   in Loop: Header=BB11_22 Depth=2
	s_or_b32 exec_lo, exec_lo, s9
	v_cmp_le_i32_e32 vcc_lo, s36, v4
	v_dual_mov_b32 v23, v24 :: v_dual_add_nc_u32 v2, v2, v3
	s_or_b32 s11, vcc_lo, s11
	s_delay_alu instid0(SALU_CYCLE_1)
	s_and_not1_b32 exec_lo, exec_lo, s11
	s_cbranch_execz .LBB11_31
.LBB11_22:                              ;   Parent Loop BB11_17 Depth=1
                                        ; =>  This Inner Loop Header: Depth=2
	s_waitcnt lgkmcnt(0)
	v_dual_mov_b32 v25, 0 :: v_dual_add_nc_u32 v4, v4, v1
	v_mov_b32_e32 v24, 0
	s_mov_b32 s9, exec_lo
	s_delay_alu instid0(VALU_DEP_2)
	v_cmpx_gt_u32_e64 s36, v4
	s_cbranch_execz .LBB11_24
; %bb.23:                               ;   in Loop: Header=BB11_22 Depth=2
	global_load_u8 v24, v2, s[42:43]
.LBB11_24:                              ;   in Loop: Header=BB11_22 Depth=2
	s_or_b32 exec_lo, exec_lo, s9
	s_waitcnt vmcnt(0)
	v_bfe_i32 v26, v23, 0, 8
	s_delay_alu instid0(VALU_DEP_1) | instskip(NEXT) | instid1(VALU_DEP_1)
	v_add_nc_u32_e32 v26, 0x80, v26
	v_and_b32_e32 v26, s73, v26
	s_delay_alu instid0(VALU_DEP_1) | instskip(SKIP_2) | instid1(SALU_CYCLE_1)
	v_cmp_eq_u32_e32 vcc_lo, s72, v26
	s_cmp_lg_u32 vcc_lo, 0
	s_cselect_b32 s9, -1, 0
	s_and_b32 s9, s4, s9
	s_delay_alu instid0(SALU_CYCLE_1)
	s_and_saveexec_b32 s12, s9
	s_cbranch_execz .LBB11_28
; %bb.25:                               ;   in Loop: Header=BB11_22 Depth=2
	s_mov_b32 s15, exec_lo
	s_bcnt1_i32_b32 s13, vcc_lo
	v_mbcnt_lo_u32_b32 v25, s15, 0
	s_mov_b32 s14, exec_lo
                                        ; implicit-def: $vgpr26
	s_delay_alu instid0(VALU_DEP_1)
	v_cmpx_eq_u32_e32 0, v25
	s_cbranch_execz .LBB11_27
; %bb.26:                               ;   in Loop: Header=BB11_22 Depth=2
	s_bcnt1_i32_b32 s9, s15
	s_delay_alu instid0(SALU_CYCLE_1) | instskip(NEXT) | instid1(SALU_CYCLE_1)
	s_mul_i32 s9, s13, s9
	v_mov_b32_e32 v26, s9
	ds_add_rtn_u32 v26, v21, v26 offset:4104
.LBB11_27:                              ;   in Loop: Header=BB11_22 Depth=2
	s_or_b32 exec_lo, exec_lo, s14
	s_waitcnt lgkmcnt(0)
	v_readfirstlane_b32 s9, v26
	s_delay_alu instid0(VALU_DEP_1)
	v_mad_u32_u24 v25, s13, v25, s9
.LBB11_28:                              ;   in Loop: Header=BB11_22 Depth=2
	s_or_b32 exec_lo, exec_lo, s12
	ds_bpermute_b32 v25, v21, v25
	s_and_saveexec_b32 s9, vcc_lo
	s_cbranch_execz .LBB11_21
; %bb.29:                               ;   in Loop: Header=BB11_22 Depth=2
	v_and_b32_e32 v26, vcc_lo, v15
	s_waitcnt lgkmcnt(0)
	s_delay_alu instid0(VALU_DEP_1)
	v_bcnt_u32_b32 v25, v26, v25
	ds_store_b8 v25, v23
	s_branch .LBB11_21
.LBB11_30:                              ;   in Loop: Header=BB11_17 Depth=1
	s_mov_b32 s10, -1
	s_mov_b32 s9, 0
	s_branch .LBB11_34
.LBB11_31:                              ;   in Loop: Header=BB11_17 Depth=1
	s_or_b32 exec_lo, exec_lo, s11
	s_waitcnt lgkmcnt(0)
	s_barrier
	buffer_gl0_inv
	s_and_saveexec_b32 s9, s2
	s_cbranch_execz .LBB11_33
; %bb.32:                               ;   in Loop: Header=BB11_17 Depth=1
	ds_load_b32 v1, v21 offset:4104
	s_waitcnt lgkmcnt(0)
	ds_store_b32 v21, v1 offset:4096
.LBB11_33:                              ;   in Loop: Header=BB11_17 Depth=1
	s_or_b32 exec_lo, exec_lo, s9
	s_waitcnt lgkmcnt(0)
	s_mov_b32 s9, -1
	s_barrier
.LBB11_34:                              ;   in Loop: Header=BB11_17 Depth=1
                                        ; implicit-def: $sgpr74
.LBB11_35:                              ;   in Loop: Header=BB11_17 Depth=1
	s_and_b32 vcc_lo, exec_lo, s10
	s_cbranch_vccz .LBB11_46
; %bb.36:                               ;   in Loop: Header=BB11_17 Depth=1
	v_mov_b32_e32 v1, 0
	s_and_saveexec_b32 s9, s1
	s_cbranch_execz .LBB11_38
; %bb.37:                               ;   in Loop: Header=BB11_17 Depth=1
	global_load_u8 v1, v[5:6], off
.LBB11_38:                              ;   in Loop: Header=BB11_17 Depth=1
	s_or_b32 exec_lo, exec_lo, s9
	s_and_saveexec_b32 s9, s3
	s_cbranch_execz .LBB11_43
; %bb.39:                               ;   in Loop: Header=BB11_17 Depth=1
	global_load_u16 v2, v21, s[44:45]
	v_mov_b32_e32 v23, v0
	s_mov_b32 s10, 0
	s_waitcnt vmcnt(0)
	v_add_nc_u32_e32 v3, v0, v2
	v_mul_lo_u32 v4, s39, v2
	s_delay_alu instid0(VALU_DEP_2)
	v_mul_lo_u32 v3, s39, v3
	s_branch .LBB11_41
	.p2align	6
.LBB11_40:                              ;   in Loop: Header=BB11_41 Depth=2
	s_or_b32 exec_lo, exec_lo, s11
	v_cmp_le_i32_e32 vcc_lo, s36, v24
	ds_store_b8 v23, v1
	v_add_nc_u32_e32 v3, v3, v4
	s_waitcnt vmcnt(0)
	v_mov_b32_e32 v1, v25
	v_mov_b32_e32 v23, v24
	s_or_b32 s10, vcc_lo, s10
	s_delay_alu instid0(SALU_CYCLE_1)
	s_and_not1_b32 exec_lo, exec_lo, s10
	s_cbranch_execz .LBB11_43
.LBB11_41:                              ;   Parent Loop BB11_17 Depth=1
                                        ; =>  This Inner Loop Header: Depth=2
	s_delay_alu instid0(VALU_DEP_1) | instskip(SKIP_1) | instid1(VALU_DEP_1)
	v_dual_mov_b32 v25, 0 :: v_dual_add_nc_u32 v24, v23, v2
	s_mov_b32 s11, exec_lo
	v_cmpx_gt_u32_e64 s36, v24
	s_cbranch_execz .LBB11_40
; %bb.42:                               ;   in Loop: Header=BB11_41 Depth=2
	global_load_u8 v25, v3, s[42:43]
	s_branch .LBB11_40
.LBB11_43:                              ;   in Loop: Header=BB11_17 Depth=1
	s_or_b32 exec_lo, exec_lo, s9
	s_waitcnt vmcnt(0) lgkmcnt(0)
	s_barrier
	buffer_gl0_inv
	s_and_saveexec_b32 s9, s2
	s_cbranch_execz .LBB11_45
; %bb.44:                               ;   in Loop: Header=BB11_17 Depth=1
	v_mov_b32_e32 v1, s36
	ds_store_b32 v21, v1 offset:4096
.LBB11_45:                              ;   in Loop: Header=BB11_17 Depth=1
	s_or_b32 exec_lo, exec_lo, s9
	s_mov_b32 s9, -1
	s_waitcnt lgkmcnt(0)
	s_barrier
                                        ; implicit-def: $sgpr74
.LBB11_46:                              ;   in Loop: Header=BB11_17 Depth=1
	s_and_b32 vcc_lo, exec_lo, s9
	s_cbranch_vccz .LBB11_48
; %bb.47:                               ;   in Loop: Header=BB11_17 Depth=1
	buffer_gl0_inv
	ds_load_b32 v1, v21 offset:4096
	s_waitcnt lgkmcnt(0)
	v_readfirstlane_b32 s74, v1
.LBB11_48:                              ;   in Loop: Header=BB11_17 Depth=1
	s_delay_alu instid0(VALU_DEP_1)
	s_cmp_lt_i32 s74, 1
	s_cbranch_scc0 .LBB11_52
; %bb.49:                               ;   in Loop: Header=BB11_17 Depth=1
	v_dual_mov_b32 v1, 0 :: v_dual_mov_b32 v2, 0
	v_dual_mov_b32 v3, 0 :: v_dual_mov_b32 v4, 0
	s_mov_b32 s76, 0
	s_and_saveexec_b32 s75, s5
	s_cbranch_execnz .LBB11_53
; %bb.50:                               ;   in Loop: Header=BB11_17 Depth=1
	s_or_b32 exec_lo, exec_lo, s75
	v_mov_b32_e32 v25, 0
	s_and_saveexec_b32 s9, s6
	s_cbranch_execnz .LBB11_56
.LBB11_51:                              ;   in Loop: Header=BB11_17 Depth=1
	s_or_b32 exec_lo, exec_lo, s9
	s_and_saveexec_b32 s13, s7
	s_cbranch_execnz .LBB11_57
	s_branch .LBB11_62
.LBB11_52:                              ;   in Loop: Header=BB11_17 Depth=1
                                        ; implicit-def: $vgpr4
	s_cbranch_execnz .LBB11_63
	s_branch .LBB11_72
.LBB11_53:                              ;   in Loop: Header=BB11_17 Depth=1
	v_mov_b32_e32 v23, v13
	s_and_b32 s77, s60, 0xfe
	s_mov_b32 s78, 0
	s_mov_b32 s79, 0
	;; [unrolled: 1-line block ×5, first 2 shown]
.LBB11_54:                              ;   Parent Loop BB11_17 Depth=1
                                        ; =>  This Inner Loop Header: Depth=2
	v_add_nc_u32_e32 v2, s78, v18
	v_add_nc_u32_e32 v1, s78, v9
	;; [unrolled: 1-line block ×5, first 2 shown]
	v_ashrrev_i32_e32 v25, 31, v2
	v_ashrrev_i32_e32 v28, 31, v1
	v_ashrrev_i32_e32 v29, 31, v3
	v_ashrrev_i32_e32 v30, 31, v4
	v_add_co_u32 v26, s11, s42, v2
	v_add_co_u32 v1, vcc_lo, s42, v1
	v_add_co_u32 v3, s9, s42, v3
	v_add_co_ci_u32_e64 v27, s11, s43, v25, s11
	v_add_co_u32 v24, s10, s42, v4
	v_add_co_ci_u32_e32 v2, vcc_lo, s43, v28, vcc_lo
	v_add_co_ci_u32_e64 v4, vcc_lo, s43, v29, s9
	v_add_co_ci_u32_e64 v25, vcc_lo, s43, v30, s10
	s_clause 0x3
	global_load_i8 v26, v[26:27], off
	global_load_i8 v1, v[1:2], off
	;; [unrolled: 1-line block ×4, first 2 shown]
	v_cmp_le_i32_e32 vcc_lo, s62, v23
	s_add_i32 s78, s78, s64
	s_waitcnt vmcnt(3)
	v_add_nc_u32_e32 v4, 0x80, v26
	s_waitcnt vmcnt(2)
	v_add_nc_u32_e32 v1, 0x80, v1
	;; [unrolled: 2-line block ×4, first 2 shown]
	v_and_b32_e32 v24, s73, v4
	v_bfe_u32 v4, v4, s77, 2
	v_and_b32_e32 v25, s73, v1
	v_bfe_u32 v1, v1, s77, 2
	;; [unrolled: 2-line block ×3, first 2 shown]
	v_cmp_eq_u32_e64 s9, s72, v24
	v_cmp_eq_u32_e64 s13, 0, v4
	v_and_b32_e32 v27, s73, v3
	v_bfe_u32 v3, v3, s77, 2
	v_cmp_eq_u32_e64 s10, s72, v25
	v_cmp_eq_u32_e64 s14, 0, v1
	;; [unrolled: 1-line block ×4, first 2 shown]
	s_and_b32 s13, s9, s13
	v_cmp_eq_u32_e64 s12, s72, v27
	v_cmp_eq_u32_e64 s16, 0, v3
	;; [unrolled: 1-line block ×5, first 2 shown]
	v_cndmask_b32_e64 v1, 0, 1, s13
	s_and_b32 s13, s10, s14
	v_cmp_eq_u32_e64 s17, 1, v4
	v_cmp_eq_u32_e64 s19, 1, v2
	;; [unrolled: 1-line block ×4, first 2 shown]
	v_cndmask_b32_e64 v2, 0, 1, s13
	s_and_b32 s13, s11, s15
	v_cmp_eq_u32_e64 s20, 1, v3
	v_cmp_eq_u32_e64 s24, 2, v3
	;; [unrolled: 1-line block ×3, first 2 shown]
	v_cndmask_b32_e64 v3, 0, 1, s13
	s_and_b32 s13, s12, s16
	v_cmp_eq_u32_e64 s21, 2, v4
	v_cmp_eq_u32_e64 s25, 3, v4
	v_cndmask_b32_e64 v4, 0, 1, s13
	s_and_b32 s13, s9, s17
	s_delay_alu instid0(SALU_CYCLE_1) | instskip(SKIP_1) | instid1(SALU_CYCLE_1)
	v_cndmask_b32_e64 v24, 0, 1, s13
	s_and_b32 s13, s10, s18
	v_cndmask_b32_e64 v25, 0, 1, s13
	s_and_b32 s13, s11, s19
	s_delay_alu instid0(SALU_CYCLE_1) | instskip(SKIP_1) | instid1(VALU_DEP_2)
	v_cndmask_b32_e64 v26, 0, 1, s13
	s_and_b32 s13, s12, s20
	v_cmp_ne_u32_e64 s14, 0, v25
	v_cndmask_b32_e64 v27, 0, 1, s13
	s_and_b32 s13, s9, s21
	s_and_b32 s9, s9, s25
	v_cndmask_b32_e64 v28, 0, 1, s13
	s_and_b32 s13, s10, s22
	v_cndmask_b32_e64 v32, 0, 1, s9
	;; [unrolled: 2-line block ×7, first 2 shown]
	v_cndmask_b32_e64 v35, 0, 1, s9
	v_cmp_ne_u32_e64 s9, 0, v1
	v_cmp_ne_u32_e64 s13, 0, v24
	;; [unrolled: 1-line block ×11, first 2 shown]
	s_bcnt1_i32_b32 s9, s9
	s_bcnt1_i32_b32 s13, s13
	;; [unrolled: 1-line block ×4, first 2 shown]
	v_cmp_ne_u32_e64 s12, 0, v4
	v_cmp_ne_u32_e64 s16, 0, v27
	v_cmp_ne_u32_e64 s20, 0, v31
	v_cmp_ne_u32_e64 s24, 0, v35
	s_bcnt1_i32_b32 s10, s10
	s_bcnt1_i32_b32 s14, s14
	s_bcnt1_i32_b32 s18, s18
	s_bcnt1_i32_b32 s22, s22
	s_add_i32 s9, s9, s82
	s_add_i32 s13, s13, s81
	s_add_i32 s17, s17, s80
	s_add_i32 s21, s21, s79
	s_bcnt1_i32_b32 s11, s11
	s_bcnt1_i32_b32 s15, s15
	s_bcnt1_i32_b32 s19, s19
	s_bcnt1_i32_b32 s23, s23
	s_add_i32 s9, s9, s10
	s_add_i32 s10, s13, s14
	s_add_i32 s13, s17, s18
	s_add_i32 s14, s21, s22
	;; [unrolled: 8-line block ×3, first 2 shown]
	s_add_i32 s82, s9, s12
	s_add_i32 s81, s10, s16
	;; [unrolled: 1-line block ×4, first 2 shown]
	v_mov_b32_e32 v3, s80
	v_dual_mov_b32 v1, s82 :: v_dual_mov_b32 v2, s81
	v_mov_b32_e32 v4, s79
	s_or_b32 s76, vcc_lo, s76
	s_delay_alu instid0(SALU_CYCLE_1)
	s_and_not1_b32 exec_lo, exec_lo, s76
	s_cbranch_execnz .LBB11_54
; %bb.55:                               ;   in Loop: Header=BB11_17 Depth=1
	s_or_b32 exec_lo, exec_lo, s76
	s_delay_alu instid0(SALU_CYCLE_1)
	s_or_b32 exec_lo, exec_lo, s75
	v_mov_b32_e32 v25, 0
	s_and_saveexec_b32 s9, s6
	s_cbranch_execz .LBB11_51
.LBB11_56:                              ;   in Loop: Header=BB11_17 Depth=1
	global_load_u8 v25, v[7:8], off
	s_or_b32 exec_lo, exec_lo, s9
	s_and_saveexec_b32 s13, s7
	s_cbranch_execz .LBB11_62
.LBB11_57:                              ;   in Loop: Header=BB11_17 Depth=1
	v_dual_mov_b32 v23, v19 :: v_dual_mov_b32 v24, v16
	s_and_b32 s15, s60, 0xfe
	s_mov_b32 s14, 0
	s_branch .LBB11_59
.LBB11_58:                              ;   in Loop: Header=BB11_59 Depth=2
	s_or_b32 exec_lo, exec_lo, s9
	s_waitcnt vmcnt(0)
	v_bfe_i32 v25, v25, 0, 8
	v_add_nc_u32_e32 v23, s54, v23
	s_delay_alu instid0(VALU_DEP_2) | instskip(NEXT) | instid1(VALU_DEP_1)
	v_add_nc_u32_e32 v25, 0x80, v25
	v_and_b32_e32 v27, s73, v25
	v_bfe_u32 v25, v25, s15, 2
	s_delay_alu instid0(VALU_DEP_2) | instskip(NEXT) | instid1(VALU_DEP_2)
	v_cmp_eq_u32_e32 vcc_lo, s72, v27
	v_cmp_eq_u32_e64 s9, 0, v25
	v_cmp_eq_u32_e64 s10, 1, v25
	;; [unrolled: 1-line block ×4, first 2 shown]
	s_delay_alu instid0(VALU_DEP_4) | instskip(NEXT) | instid1(SALU_CYCLE_1)
	s_and_b32 s9, vcc_lo, s9
	v_cndmask_b32_e64 v25, 0, 1, s9
	s_and_b32 s9, vcc_lo, s10
	s_delay_alu instid0(SALU_CYCLE_1) | instskip(SKIP_1) | instid1(SALU_CYCLE_1)
	v_cndmask_b32_e64 v27, 0, 1, s9
	s_and_b32 s9, vcc_lo, s11
	v_cndmask_b32_e64 v28, 0, 1, s9
	s_and_b32 s9, vcc_lo, s12
	v_cmp_ne_u32_e32 vcc_lo, 0, v25
	v_cndmask_b32_e64 v29, 0, 1, s9
	v_cmp_ne_u32_e64 s9, 0, v27
	v_cmp_ne_u32_e64 s10, 0, v28
	v_cmp_le_i32_e64 s12, s36, v24
	s_bcnt1_i32_b32 s16, vcc_lo
	v_cmp_ne_u32_e64 s11, 0, v29
	s_bcnt1_i32_b32 s9, s9
	s_bcnt1_i32_b32 s10, s10
	v_add_nc_u32_e32 v1, s16, v1
	v_dual_mov_b32 v25, v26 :: v_dual_add_nc_u32 v2, s9, v2
	s_bcnt1_i32_b32 s11, s11
	v_add_nc_u32_e32 v3, s10, v3
	v_add_nc_u32_e32 v4, s11, v4
	s_or_b32 s14, s12, s14
	s_delay_alu instid0(SALU_CYCLE_1)
	s_and_not1_b32 exec_lo, exec_lo, s14
	s_cbranch_execz .LBB11_61
.LBB11_59:                              ;   Parent Loop BB11_17 Depth=1
                                        ; =>  This Inner Loop Header: Depth=2
	s_delay_alu instid0(VALU_DEP_1) | instskip(SKIP_2) | instid1(VALU_DEP_2)
	v_add_nc_u32_e32 v24, s47, v24
	v_mov_b32_e32 v26, 0
	s_mov_b32 s9, exec_lo
	v_cmpx_gt_u32_e64 s36, v24
	s_cbranch_execz .LBB11_58
; %bb.60:                               ;   in Loop: Header=BB11_59 Depth=2
	v_ashrrev_i32_e32 v27, 31, v23
	v_add_co_u32 v26, vcc_lo, s42, v23
	s_delay_alu instid0(VALU_DEP_2)
	v_add_co_ci_u32_e32 v27, vcc_lo, s43, v27, vcc_lo
	global_load_u8 v26, v[26:27], off
	s_branch .LBB11_58
.LBB11_61:                              ;   in Loop: Header=BB11_17 Depth=1
	s_or_b32 exec_lo, exec_lo, s14
.LBB11_62:                              ;   in Loop: Header=BB11_17 Depth=1
	s_delay_alu instid0(SALU_CYCLE_1)
	s_or_b32 exec_lo, exec_lo, s13
	s_branch .LBB11_72
.LBB11_63:                              ;   in Loop: Header=BB11_17 Depth=1
	s_mul_hi_u32 s9, s74, s59
	v_dual_mov_b32 v1, 0 :: v_dual_mov_b32 v2, 0
	s_mul_i32 s9, s9, s49
	v_dual_mov_b32 v3, 0 :: v_dual_mov_b32 v4, 0
	s_sub_i32 s9, s74, s9
	s_mov_b32 s77, 0
	s_sub_i32 s10, s9, s49
	s_cmp_ge_u32 s9, s49
	s_mov_b32 s76, exec_lo
	s_cselect_b32 s9, s10, s9
	s_delay_alu instid0(SALU_CYCLE_1) | instskip(SKIP_2) | instid1(SALU_CYCLE_1)
	s_sub_i32 s10, s9, s49
	s_cmp_ge_u32 s9, s49
	s_cselect_b32 s9, s10, s9
	s_sub_i32 s75, s74, s9
	s_delay_alu instid0(SALU_CYCLE_1)
	v_cmpx_gt_u32_e64 s75, v13
	s_cbranch_execz .LBB11_67
; %bb.64:                               ;   in Loop: Header=BB11_17 Depth=1
	v_mov_b32_e32 v23, v13
	s_and_b32 s78, s60, 0xfe
	s_mov_b32 s79, 0
	s_mov_b32 s80, 0
	;; [unrolled: 1-line block ×4, first 2 shown]
.LBB11_65:                              ;   Parent Loop BB11_17 Depth=1
                                        ; =>  This Inner Loop Header: Depth=2
	ds_load_b32 v1, v23
	s_waitcnt lgkmcnt(0)
	v_bfe_i32 v2, v1, 0, 8
	v_bfe_i32 v3, v1, 8, 8
	;; [unrolled: 1-line block ×3, first 2 shown]
	v_ashrrev_i32_e32 v1, 24, v1
	s_delay_alu instid0(VALU_DEP_4) | instskip(NEXT) | instid1(VALU_DEP_4)
	v_add_nc_u32_e32 v2, 0x80, v2
	v_add_nc_u32_e32 v3, 0x80, v3
	s_delay_alu instid0(VALU_DEP_4) | instskip(NEXT) | instid1(VALU_DEP_4)
	v_add_nc_u32_e32 v4, 0x80, v4
	v_add_nc_u32_e32 v1, 0x80, v1
	s_delay_alu instid0(VALU_DEP_4)
	v_and_b32_e32 v24, s73, v2
	v_bfe_u32 v2, v2, s78, 2
	s_waitcnt vmcnt(0)
	v_and_b32_e32 v25, s73, v3
	v_bfe_u32 v3, v3, s78, 2
	v_and_b32_e32 v26, s73, v4
	v_bfe_u32 v4, v4, s78, 2
	v_cmp_eq_u32_e64 s9, s72, v24
	v_cmp_eq_u32_e64 s13, 0, v2
	v_and_b32_e32 v27, s73, v1
	v_bfe_u32 v1, v1, s78, 2
	v_cmp_eq_u32_e64 s10, s72, v25
	v_cmp_eq_u32_e64 s14, 0, v3
	;; [unrolled: 1-line block ×4, first 2 shown]
	s_and_b32 s13, s9, s13
	v_cmp_eq_u32_e64 s12, s72, v27
	v_cmp_eq_u32_e64 s16, 0, v1
	;; [unrolled: 1-line block ×5, first 2 shown]
	v_cndmask_b32_e64 v1, 0, 1, s13
	s_and_b32 s13, s10, s14
	v_cmp_eq_u32_e64 s17, 1, v2
	v_cmp_eq_u32_e64 s21, 2, v2
	v_cmp_eq_u32_e64 s25, 3, v2
	v_cndmask_b32_e64 v2, 0, 1, s13
	s_and_b32 s13, s11, s15
	v_cmp_eq_u32_e64 s18, 1, v3
	v_cmp_eq_u32_e64 s22, 2, v3
	v_cmp_eq_u32_e64 s26, 3, v3
	;; [unrolled: 5-line block ×3, first 2 shown]
	v_cndmask_b32_e64 v4, 0, 1, s13
	s_and_b32 s13, s9, s17
	s_delay_alu instid0(SALU_CYCLE_1) | instskip(SKIP_1) | instid1(SALU_CYCLE_1)
	v_cndmask_b32_e64 v24, 0, 1, s13
	s_and_b32 s13, s10, s18
	v_cndmask_b32_e64 v25, 0, 1, s13
	s_and_b32 s13, s11, s19
	s_delay_alu instid0(SALU_CYCLE_1) | instskip(SKIP_1) | instid1(VALU_DEP_2)
	v_cndmask_b32_e64 v26, 0, 1, s13
	s_and_b32 s13, s12, s20
	v_cmp_ne_u32_e64 s14, 0, v25
	v_cndmask_b32_e64 v27, 0, 1, s13
	s_and_b32 s13, s9, s21
	s_and_b32 s9, s9, s25
	v_cndmask_b32_e64 v28, 0, 1, s13
	s_and_b32 s13, s10, s22
	v_cndmask_b32_e64 v32, 0, 1, s9
	;; [unrolled: 2-line block ×7, first 2 shown]
	v_cndmask_b32_e64 v35, 0, 1, s9
	v_cmp_ne_u32_e64 s9, 0, v1
	v_cmp_ne_u32_e64 s13, 0, v24
	;; [unrolled: 1-line block ×6, first 2 shown]
	s_bcnt1_i32_b32 s9, s9
	s_bcnt1_i32_b32 s13, s13
	v_cmp_ne_u32_e64 s16, 0, v27
	v_cmp_ne_u32_e64 s18, 0, v29
	;; [unrolled: 1-line block ×3, first 2 shown]
	s_bcnt1_i32_b32 s10, s10
	s_bcnt1_i32_b32 s14, s14
	s_add_i32 s9, s9, s82
	s_add_i32 s13, s13, s81
	v_cmp_ne_u32_e64 s11, 0, v3
	v_cmp_ne_u32_e64 s19, 0, v30
	;; [unrolled: 1-line block ×3, first 2 shown]
	s_bcnt1_i32_b32 s15, s15
	s_add_i32 s9, s9, s10
	s_add_i32 s10, s13, s14
	s_bcnt1_i32_b32 s17, s17
	s_bcnt1_i32_b32 s21, s21
	v_cmp_ne_u32_e64 s12, 0, v4
	v_cmp_ne_u32_e64 s20, 0, v31
	;; [unrolled: 1-line block ×3, first 2 shown]
	s_bcnt1_i32_b32 s16, s16
	s_add_i32 s10, s10, s15
	s_bcnt1_i32_b32 s18, s18
	s_bcnt1_i32_b32 s22, s22
	s_add_i32 s17, s17, s80
	s_add_i32 s21, s21, s79
	;; [unrolled: 1-line block ×3, first 2 shown]
	s_delay_alu instid0(SALU_CYCLE_1)
	v_dual_mov_b32 v2, s81 :: v_dual_add_nc_u32 v23, s49, v23
	s_bcnt1_i32_b32 s11, s11
	s_bcnt1_i32_b32 s19, s19
	;; [unrolled: 1-line block ×3, first 2 shown]
	s_add_i32 s13, s17, s18
	s_add_i32 s14, s21, s22
	s_bcnt1_i32_b32 s12, s12
	s_bcnt1_i32_b32 s20, s20
	;; [unrolled: 1-line block ×3, first 2 shown]
	s_add_i32 s9, s9, s11
	s_add_i32 s11, s13, s19
	;; [unrolled: 1-line block ×3, first 2 shown]
	v_cmp_le_i32_e32 vcc_lo, s75, v23
	s_add_i32 s82, s9, s12
	s_add_i32 s80, s11, s20
	;; [unrolled: 1-line block ×3, first 2 shown]
	v_mov_b32_e32 v1, s82
	v_dual_mov_b32 v3, s80 :: v_dual_mov_b32 v4, s79
	s_or_b32 s77, vcc_lo, s77
	s_delay_alu instid0(SALU_CYCLE_1)
	s_and_not1_b32 exec_lo, exec_lo, s77
	s_cbranch_execnz .LBB11_65
; %bb.66:                               ;   in Loop: Header=BB11_17 Depth=1
	s_or_b32 exec_lo, exec_lo, s77
.LBB11_67:                              ;   in Loop: Header=BB11_17 Depth=1
	s_delay_alu instid0(SALU_CYCLE_1) | instskip(SKIP_2) | instid1(VALU_DEP_1)
	s_or_b32 exec_lo, exec_lo, s76
	v_add_nc_u32_e32 v23, s75, v0
	s_mov_b32 s14, exec_lo
	v_cmpx_gt_i32_e64 s74, v23
	s_cbranch_execz .LBB11_71
; %bb.68:                               ;   in Loop: Header=BB11_17 Depth=1
	s_and_b32 s16, s60, 0xfe
	s_mov_b32 s15, 0
.LBB11_69:                              ;   Parent Loop BB11_17 Depth=1
                                        ; =>  This Inner Loop Header: Depth=2
	ds_load_i8 v24, v23
	v_add_nc_u32_e32 v23, s47, v23
	s_delay_alu instid0(VALU_DEP_1) | instskip(SKIP_3) | instid1(VALU_DEP_1)
	v_cmp_le_i32_e32 vcc_lo, s74, v23
	s_waitcnt lgkmcnt(0)
	v_add_nc_u32_e32 v24, 0x80, v24
	s_waitcnt vmcnt(0)
	v_and_b32_e32 v25, s73, v24
	v_bfe_u32 v24, v24, s16, 2
	s_delay_alu instid0(VALU_DEP_2) | instskip(NEXT) | instid1(VALU_DEP_2)
	v_cmp_eq_u32_e64 s9, s72, v25
	v_cmp_eq_u32_e64 s10, 0, v24
	;; [unrolled: 1-line block ×5, first 2 shown]
	s_delay_alu instid0(VALU_DEP_4) | instskip(NEXT) | instid1(SALU_CYCLE_1)
	s_and_b32 s10, s9, s10
	v_cndmask_b32_e64 v24, 0, 1, s10
	s_and_b32 s10, s9, s11
	s_delay_alu instid0(SALU_CYCLE_1)
	v_cndmask_b32_e64 v25, 0, 1, s10
	s_and_b32 s10, s9, s12
	s_and_b32 s9, s9, s13
	v_cndmask_b32_e64 v26, 0, 1, s10
	v_cndmask_b32_e64 v27, 0, 1, s9
	v_cmp_ne_u32_e64 s9, 0, v24
	v_cmp_ne_u32_e64 s10, 0, v25
	s_delay_alu instid0(VALU_DEP_4) | instskip(NEXT) | instid1(VALU_DEP_4)
	v_cmp_ne_u32_e64 s11, 0, v26
	v_cmp_ne_u32_e64 s12, 0, v27
	s_delay_alu instid0(VALU_DEP_4) | instskip(NEXT) | instid1(VALU_DEP_3)
	s_bcnt1_i32_b32 s9, s9
	s_bcnt1_i32_b32 s10, s10
	v_add_nc_u32_e32 v1, s9, v1
	s_bcnt1_i32_b32 s11, s11
	s_bcnt1_i32_b32 s12, s12
	v_add_nc_u32_e32 v2, s10, v2
	v_add_nc_u32_e32 v3, s11, v3
	;; [unrolled: 1-line block ×3, first 2 shown]
	s_or_b32 s15, vcc_lo, s15
	s_delay_alu instid0(SALU_CYCLE_1)
	s_and_not1_b32 exec_lo, exec_lo, s15
	s_cbranch_execnz .LBB11_69
; %bb.70:                               ;   in Loop: Header=BB11_17 Depth=1
	s_or_b32 exec_lo, exec_lo, s15
.LBB11_71:                              ;   in Loop: Header=BB11_17 Depth=1
	s_delay_alu instid0(SALU_CYCLE_1)
	s_or_b32 exec_lo, exec_lo, s14
.LBB11_72:                              ;   in Loop: Header=BB11_17 Depth=1
	s_lshl_b32 s9, s70, 7
	s_and_saveexec_b32 s10, s4
	s_cbranch_execz .LBB11_74
; %bb.73:                               ;   in Loop: Header=BB11_17 Depth=1
	v_or_b32_e32 v23, s9, v14
	s_delay_alu instid0(VALU_DEP_1)
	v_lshlrev_b32_e32 v23, 2, v23
	ds_store_b128 v23, v[1:4] offset:3072
.LBB11_74:                              ;   in Loop: Header=BB11_17 Depth=1
	s_or_b32 exec_lo, exec_lo, s10
	s_waitcnt vmcnt(0) lgkmcnt(0)
	s_barrier
	buffer_gl0_inv
	s_and_saveexec_b32 s10, s50
	s_cbranch_execz .LBB11_84
; %bb.75:                               ;   in Loop: Header=BB11_17 Depth=1
	v_mov_b32_e32 v1, 0
	s_and_not1_b32 vcc_lo, exec_lo, s53
	s_cbranch_vccnz .LBB11_83
; %bb.76:                               ;   in Loop: Header=BB11_17 Depth=1
	v_mov_b32_e32 v1, 0
	s_and_not1_b32 vcc_lo, exec_lo, s56
	s_mov_b32 s11, 0
	s_cbranch_vccnz .LBB11_80
; %bb.77:                               ;   in Loop: Header=BB11_17 Depth=1
	v_lshl_add_u32 v2, s70, 9, v20
	v_mov_b32_e32 v1, 0
	.p2align	6
.LBB11_78:                              ;   Parent Loop BB11_17 Depth=1
                                        ; =>  This Inner Loop Header: Depth=2
	ds_load_2addr_b32 v[3:4], v2 offset1:4
	ds_load_2addr_b32 v[23:24], v2 offset0:8 offset1:12
	ds_load_2addr_b32 v[25:26], v2 offset0:16 offset1:20
	ds_load_2addr_b32 v[27:28], v2 offset0:24 offset1:28
	v_add_nc_u32_e32 v2, 0x80, v2
	s_add_i32 s11, s11, 8
	s_delay_alu instid0(SALU_CYCLE_1) | instskip(SKIP_3) | instid1(VALU_DEP_1)
	s_cmp_eq_u32 s57, s11
	s_waitcnt lgkmcnt(3)
	v_add3_u32 v1, v3, v1, v4
	s_waitcnt lgkmcnt(2)
	v_add3_u32 v1, v23, v1, v24
	s_waitcnt lgkmcnt(1)
	s_delay_alu instid0(VALU_DEP_1) | instskip(SKIP_1) | instid1(VALU_DEP_1)
	v_add3_u32 v1, v25, v1, v26
	s_waitcnt lgkmcnt(0)
	v_add3_u32 v1, v27, v1, v28
	s_cbranch_scc0 .LBB11_78
; %bb.79:                               ;   in Loop: Header=BB11_17 Depth=1
	s_mov_b32 s11, s57
.LBB11_80:                              ;   in Loop: Header=BB11_17 Depth=1
	s_and_not1_b32 vcc_lo, exec_lo, s58
	s_cbranch_vccnz .LBB11_83
; %bb.81:                               ;   in Loop: Header=BB11_17 Depth=1
	s_lshl_b32 s12, s70, 9
	s_lshl_b32 s11, s11, 4
	s_delay_alu instid0(SALU_CYCLE_1)
	v_add3_u32 v2, s12, s11, v20
	s_mov_b32 s11, s55
.LBB11_82:                              ;   Parent Loop BB11_17 Depth=1
                                        ; =>  This Inner Loop Header: Depth=2
	ds_load_b32 v3, v2
	v_add_nc_u32_e32 v2, 16, v2
	s_add_i32 s11, s11, -1
	s_delay_alu instid0(SALU_CYCLE_1)
	s_cmp_lg_u32 s11, 0
	s_waitcnt lgkmcnt(0)
	v_add_nc_u32_e32 v1, v3, v1
	s_cbranch_scc1 .LBB11_82
.LBB11_83:                              ;   in Loop: Header=BB11_17 Depth=1
	v_add_lshl_u32 v2, s9, v12, 2
	ds_store_b32 v2, v1 offset:3072
.LBB11_84:                              ;   in Loop: Header=BB11_17 Depth=1
	s_or_b32 exec_lo, exec_lo, s10
	s_lshl_b32 s9, s9, 2
	s_waitcnt lgkmcnt(0)
	v_mov_b32_e32 v1, s9
	s_barrier
	buffer_gl0_inv
	s_and_b32 s18, s60, 0xfe
	s_mov_b32 s14, -1
	ds_load_b128 v[1:4], v1 offset:3072
	s_lshl_b32 s11, 3, s18
	s_delay_alu instid0(SALU_CYCLE_1) | instskip(SKIP_4) | instid1(VALU_DEP_3)
	s_not_b32 s19, s11
	s_waitcnt lgkmcnt(0)
	v_readfirstlane_b32 s13, v1
	v_readfirstlane_b32 s21, v2
	;; [unrolled: 1-line block ×3, first 2 shown]
	s_cmp_eq_u32 s13, 1
	s_cselect_b32 s9, -1, 0
	s_cmp_eq_u32 s37, 1
	s_cselect_b32 s10, -1, 0
	s_delay_alu instid0(SALU_CYCLE_1)
	s_and_b32 s15, s9, s10
	v_readfirstlane_b32 s10, v4
	s_and_b32 vcc_lo, exec_lo, s15
	s_cbranch_vccz .LBB11_96
; %bb.85:                               ;   in Loop: Header=BB11_17 Depth=1
	ds_load_b32 v1, v21 offset:4096
	s_waitcnt lgkmcnt(0)
	s_barrier
	buffer_gl0_inv
	v_readfirstlane_b32 s12, v1
	s_and_saveexec_b32 s9, s0
	s_cbranch_execz .LBB11_87
; %bb.86:                               ;   in Loop: Header=BB11_17 Depth=1
	ds_store_b8 v0, v21 offset:3072
.LBB11_87:                              ;   in Loop: Header=BB11_17 Depth=1
	s_or_b32 exec_lo, exec_lo, s9
	s_and_b32 s72, s72, s19
	s_or_b32 s73, s73, s11
	s_cmp_lt_i32 s12, 1
	s_waitcnt lgkmcnt(0)
	s_barrier
	buffer_gl0_inv
	s_cbranch_scc0 .LBB11_97
; %bb.88:                               ;   in Loop: Header=BB11_17 Depth=1
	s_mov_b32 s9, 0
                                        ; implicit-def: $vgpr22
	s_and_saveexec_b32 s17, s8
	s_cbranch_execz .LBB11_99
; %bb.89:                               ;   in Loop: Header=BB11_17 Depth=1
	v_dual_mov_b32 v1, v11 :: v_dual_mov_b32 v2, v0
	s_mov_b32 s20, 0
                                        ; implicit-def: $sgpr22
	s_set_inst_prefetch_distance 0x1
	s_branch .LBB11_91
	.p2align	6
.LBB11_90:                              ;   in Loop: Header=BB11_91 Depth=2
	s_or_b32 exec_lo, exec_lo, s9
	s_waitcnt vmcnt(0) lgkmcnt(0)
	s_barrier
	buffer_gl0_inv
	ds_load_u16 v3, v21 offset:3072
	v_add_nc_u32_e32 v2, s47, v2
	v_add_nc_u32_e32 v1, s54, v1
	s_waitcnt lgkmcnt(0)
	s_barrier
	buffer_gl0_inv
	v_cmp_le_i32_e32 vcc_lo, s63, v2
	v_and_b32_e32 v4, 0xff, v3
	s_delay_alu instid0(VALU_DEP_1) | instskip(NEXT) | instid1(VALU_DEP_1)
	v_cmp_ne_u16_e64 s9, 0, v4
	s_or_b32 s23, vcc_lo, s9
	s_delay_alu instid0(SALU_CYCLE_1) | instskip(NEXT) | instid1(SALU_CYCLE_1)
	s_and_b32 s23, exec_lo, s23
	s_or_b32 s20, s23, s20
	s_and_not1_b32 s22, s22, exec_lo
	s_and_b32 s9, s9, exec_lo
	s_delay_alu instid0(SALU_CYCLE_1)
	s_or_b32 s22, s22, s9
	s_and_not1_b32 exec_lo, exec_lo, s20
	s_cbranch_execz .LBB11_98
.LBB11_91:                              ;   Parent Loop BB11_17 Depth=1
                                        ; =>  This Inner Loop Header: Depth=2
	s_delay_alu instid0(VALU_DEP_1)
	v_cmp_gt_i32_e32 vcc_lo, s36, v2
	v_mov_b32_e32 v3, 0
	s_and_saveexec_b32 s23, vcc_lo
	s_cbranch_execz .LBB11_93
; %bb.92:                               ;   in Loop: Header=BB11_91 Depth=2
	v_ashrrev_i32_e32 v4, 31, v1
	v_add_co_u32 v3, s9, s42, v1
	s_delay_alu instid0(VALU_DEP_1)
	v_add_co_ci_u32_e64 v4, s9, s43, v4, s9
	global_load_u8 v3, v[3:4], off
.LBB11_93:                              ;   in Loop: Header=BB11_91 Depth=2
	s_or_b32 exec_lo, exec_lo, s23
	s_and_saveexec_b32 s9, vcc_lo
	s_cbranch_execz .LBB11_90
; %bb.94:                               ;   in Loop: Header=BB11_91 Depth=2
	s_waitcnt vmcnt(0)
	v_bfe_i32 v4, v3, 0, 8
	s_delay_alu instid0(VALU_DEP_1) | instskip(NEXT) | instid1(VALU_DEP_1)
	v_add_nc_u32_e32 v4, 0x80, v4
	v_and_b32_e32 v4, s73, v4
	s_delay_alu instid0(VALU_DEP_1)
	v_cmp_eq_u32_e32 vcc_lo, s72, v4
	s_and_b32 exec_lo, exec_lo, vcc_lo
	s_cbranch_execz .LBB11_90
; %bb.95:                               ;   in Loop: Header=BB11_91 Depth=2
	v_lshlrev_b16 v3, 8, v3
	s_delay_alu instid0(VALU_DEP_1)
	v_or_b32_e32 v3, 1, v3
	ds_store_b16 v21, v3 offset:3072
	s_branch .LBB11_90
.LBB11_96:                              ;   in Loop: Header=BB11_17 Depth=1
	s_mov_b32 s9, -1
                                        ; implicit-def: $sgpr17
                                        ; implicit-def: $sgpr22
                                        ; implicit-def: $sgpr20
	s_branch .LBB11_110
.LBB11_97:                              ;   in Loop: Header=BB11_17 Depth=1
	s_mov_b32 s17, -1
	s_mov_b32 s9, 0
                                        ; implicit-def: $sgpr20
                                        ; implicit-def: $vgpr22
	s_mov_b32 s22, s17
	s_cbranch_execnz .LBB11_100
	s_branch .LBB11_110
.LBB11_98:                              ;   in Loop: Header=BB11_17 Depth=1
	s_set_inst_prefetch_distance 0x2
	s_or_b32 exec_lo, exec_lo, s20
	v_lshrrev_b16 v22, 8, v3
	s_and_b32 s9, s22, exec_lo
.LBB11_99:                              ;   in Loop: Header=BB11_17 Depth=1
	s_or_b32 exec_lo, exec_lo, s17
	s_mov_b32 s20, -1
	s_mov_b32 s17, 0
	s_delay_alu instid0(SALU_CYCLE_1)
	s_mov_b32 s22, s17
	s_branch .LBB11_110
.LBB11_100:                             ;   in Loop: Header=BB11_17 Depth=1
	s_add_i32 s20, s12, s51
                                        ; implicit-def: $vgpr22
	s_delay_alu instid0(SALU_CYCLE_1) | instskip(NEXT) | instid1(SALU_CYCLE_1)
	s_abs_i32 s9, s20
	s_mul_hi_u32 s17, s9, s61
	s_delay_alu instid0(SALU_CYCLE_1) | instskip(NEXT) | instid1(SALU_CYCLE_1)
	s_mul_i32 s17, s17, s47
	s_sub_i32 s9, s9, s17
	s_ashr_i32 s17, s20, 31
	s_sub_i32 s22, s9, s47
	s_cmp_ge_u32 s9, s47
	s_cselect_b32 s9, s22, s9
	s_delay_alu instid0(SALU_CYCLE_1) | instskip(SKIP_2) | instid1(SALU_CYCLE_1)
	s_sub_i32 s22, s9, s47
	s_cmp_ge_u32 s9, s47
	s_cselect_b32 s9, s22, s9
	s_xor_b32 s9, s9, s17
	s_delay_alu instid0(SALU_CYCLE_1)
	s_sub_i32 s9, s17, s9
	s_mov_b32 s17, exec_lo
	s_add_i32 s20, s20, s9
	s_mov_b32 s9, 0
	v_cmpx_gt_i32_e64 s20, v0
	s_cbranch_execz .LBB11_109
; %bb.101:                              ;   in Loop: Header=BB11_17 Depth=1
	v_mov_b32_e32 v1, v0
	s_mov_b32 s22, 0
                                        ; implicit-def: $sgpr23
	s_set_inst_prefetch_distance 0x1
	s_branch .LBB11_103
	.p2align	6
.LBB11_102:                             ;   in Loop: Header=BB11_103 Depth=2
	s_or_b32 exec_lo, exec_lo, s9
	s_waitcnt lgkmcnt(0)
	s_barrier
	buffer_gl0_inv
	ds_load_u16 v2, v21 offset:3072
	v_add_nc_u32_e32 v1, s47, v1
	s_waitcnt lgkmcnt(0)
	s_barrier
	buffer_gl0_inv
	v_cmp_le_i32_e32 vcc_lo, s20, v1
	v_and_b32_e32 v3, 0xff, v2
	s_delay_alu instid0(VALU_DEP_1) | instskip(NEXT) | instid1(VALU_DEP_1)
	v_cmp_ne_u16_e64 s9, 0, v3
	s_or_b32 s24, vcc_lo, s9
	s_delay_alu instid0(SALU_CYCLE_1) | instskip(NEXT) | instid1(SALU_CYCLE_1)
	s_and_b32 s24, exec_lo, s24
	s_or_b32 s22, s24, s22
	s_and_not1_b32 s23, s23, exec_lo
	s_and_b32 s9, s9, exec_lo
	s_delay_alu instid0(SALU_CYCLE_1)
	s_or_b32 s23, s23, s9
	s_and_not1_b32 exec_lo, exec_lo, s22
	s_cbranch_execz .LBB11_108
.LBB11_103:                             ;   Parent Loop BB11_17 Depth=1
                                        ; =>  This Inner Loop Header: Depth=2
	s_delay_alu instid0(VALU_DEP_1)
	v_cmp_gt_i32_e32 vcc_lo, s12, v1
	v_mov_b32_e32 v2, 0
	s_and_saveexec_b32 s9, vcc_lo
	s_cbranch_execz .LBB11_105
; %bb.104:                              ;   in Loop: Header=BB11_103 Depth=2
	ds_load_u8 v2, v1
.LBB11_105:                             ;   in Loop: Header=BB11_103 Depth=2
	s_or_b32 exec_lo, exec_lo, s9
	s_and_saveexec_b32 s9, vcc_lo
	s_cbranch_execz .LBB11_102
; %bb.106:                              ;   in Loop: Header=BB11_103 Depth=2
	s_waitcnt lgkmcnt(0)
	v_bfe_i32 v3, v2, 0, 8
	s_delay_alu instid0(VALU_DEP_1) | instskip(NEXT) | instid1(VALU_DEP_1)
	v_add_nc_u32_e32 v3, 0x80, v3
	v_and_b32_e32 v3, s73, v3
	s_delay_alu instid0(VALU_DEP_1)
	v_cmp_eq_u32_e32 vcc_lo, s72, v3
	s_and_b32 exec_lo, exec_lo, vcc_lo
	s_cbranch_execz .LBB11_102
; %bb.107:                              ;   in Loop: Header=BB11_103 Depth=2
	v_lshlrev_b16 v2, 8, v2
	s_delay_alu instid0(VALU_DEP_1)
	v_or_b32_e32 v2, 1, v2
	ds_store_b16 v21, v2 offset:3072
	s_branch .LBB11_102
.LBB11_108:                             ;   in Loop: Header=BB11_17 Depth=1
	s_set_inst_prefetch_distance 0x2
	s_or_b32 exec_lo, exec_lo, s22
	v_lshrrev_b16 v22, 8, v2
	s_and_b32 s9, s23, exec_lo
.LBB11_109:                             ;   in Loop: Header=BB11_17 Depth=1
	s_or_b32 exec_lo, exec_lo, s17
	s_mov_b32 s22, -1
	s_mov_b32 s17, 0
	s_mov_b32 s20, 0
.LBB11_110:                             ;   in Loop: Header=BB11_17 Depth=1
	s_and_not1_b32 s12, s68, exec_lo
	s_and_b32 s17, s17, exec_lo
	s_and_b32 s20, s20, exec_lo
	s_or_b32 s68, s12, s17
	s_and_not1_b32 s12, s71, exec_lo
	s_and_b32 s17, s22, exec_lo
	s_and_not1_b32 s22, s69, exec_lo
	s_or_b32 s71, s12, s17
	s_or_b32 s69, s22, s20
	s_and_saveexec_b32 s12, s9
	s_cbranch_execz .LBB11_16
; %bb.111:                              ;   in Loop: Header=BB11_17 Depth=1
	s_xor_b32 s9, s15, -1
	s_mov_b32 s14, 0
	s_and_not1_b32 vcc_lo, exec_lo, s9
	s_mov_b32 s22, 1
	s_cbranch_vccnz .LBB11_122
; %bb.112:                              ;   in Loop: Header=BB11_17 Depth=1
	s_cmp_gt_i32 s37, s13
	s_mov_b32 s14, -1
                                        ; implicit-def: $sgpr9
                                        ; implicit-def: $sgpr15
                                        ; implicit-def: $sgpr17
	s_cbranch_scc1 .LBB11_118
; %bb.113:                              ;   in Loop: Header=BB11_17 Depth=1
	ds_load_b32 v1, v21 offset:4096
	s_waitcnt lgkmcnt(0)
	v_cmp_ne_u32_e32 vcc_lo, 0, v1
	s_cbranch_vccnz .LBB11_117
; %bb.114:                              ;   in Loop: Header=BB11_17 Depth=1
	s_and_saveexec_b32 s9, s2
	s_cbranch_execz .LBB11_116
; %bb.115:                              ;   in Loop: Header=BB11_17 Depth=1
	v_mov_b32_e32 v1, s13
	ds_store_b32 v21, v1 offset:4100
.LBB11_116:                             ;   in Loop: Header=BB11_17 Depth=1
	s_or_b32 exec_lo, exec_lo, s9
	s_waitcnt lgkmcnt(0)
	s_barrier
	buffer_gl0_inv
.LBB11_117:                             ;   in Loop: Header=BB11_17 Depth=1
	s_and_b32 s15, s72, s19
	s_or_b32 s17, s73, s11
	s_mov_b32 s14, 0
	s_mov_b32 s9, 8
.LBB11_118:                             ;   in Loop: Header=BB11_17 Depth=1
	s_and_not1_b32 vcc_lo, exec_lo, s14
	s_cbranch_vccnz .LBB11_120
; %bb.119:                              ;   in Loop: Header=BB11_17 Depth=1
	s_sub_i32 s37, s37, s13
	s_mov_b32 s14, -1
	s_mov_b32 s9, 0
	s_mov_b32 s15, s72
	;; [unrolled: 1-line block ×3, first 2 shown]
.LBB11_120:                             ;   in Loop: Header=BB11_17 Depth=1
	s_delay_alu instid0(SALU_CYCLE_1)
	s_mov_b32 s73, s17
	s_mov_b32 s72, s15
	;; [unrolled: 1-line block ×3, first 2 shown]
	s_and_b32 vcc_lo, exec_lo, s14
	s_mov_b32 s13, -1
	s_cbranch_vccnz .LBB11_123
.LBB11_121:                             ;   in Loop: Header=BB11_17 Depth=1
	s_mov_b32 s25, -1
                                        ; implicit-def: $sgpr14
                                        ; implicit-def: $sgpr17
                                        ; implicit-def: $sgpr15
	s_delay_alu instid0(SALU_CYCLE_1) | instskip(NEXT) | instid1(SALU_CYCLE_1)
	s_and_saveexec_b32 s10, s25
	s_xor_b32 s10, exec_lo, s10
	s_cbranch_execz .LBB11_15
	s_branch .LBB11_246
.LBB11_122:                             ;   in Loop: Header=BB11_17 Depth=1
	s_mov_b32 s9, 1
	s_and_b32 vcc_lo, exec_lo, s14
	s_mov_b32 s13, -1
	s_cbranch_vccz .LBB11_121
.LBB11_123:                             ;   in Loop: Header=BB11_17 Depth=1
	s_cmp_eq_u32 s21, 1
	s_mov_b32 s24, -1
	s_cselect_b32 s9, -1, 0
	s_cmp_eq_u32 s22, 1
	s_cselect_b32 s14, -1, 0
	s_delay_alu instid0(SALU_CYCLE_1) | instskip(NEXT) | instid1(SALU_CYCLE_1)
	s_and_b32 s23, s9, s14
	s_and_b32 vcc_lo, exec_lo, s23
	s_cbranch_vccz .LBB11_135
; %bb.124:                              ;   in Loop: Header=BB11_17 Depth=1
	ds_load_b32 v1, v21 offset:4096
	s_waitcnt lgkmcnt(0)
	s_barrier
	buffer_gl0_inv
	v_readfirstlane_b32 s20, v1
	s_and_saveexec_b32 s9, s0
	s_cbranch_execz .LBB11_126
; %bb.125:                              ;   in Loop: Header=BB11_17 Depth=1
	ds_store_b8 v0, v21 offset:3072
.LBB11_126:                             ;   in Loop: Header=BB11_17 Depth=1
	s_or_b32 exec_lo, exec_lo, s9
	s_lshl_b32 s9, 1, s18
	s_and_b32 s14, s72, s19
	s_or_b32 s73, s73, s11
	s_or_b32 s72, s14, s9
	s_cmp_gt_i32 s20, 0
	s_waitcnt lgkmcnt(0)
	s_barrier
	buffer_gl0_inv
	s_cbranch_scc1 .LBB11_136
; %bb.127:                              ;   in Loop: Header=BB11_17 Depth=1
	s_mov_b32 s24, 0
                                        ; implicit-def: $vgpr22
	s_and_saveexec_b32 s14, s8
	s_cbranch_execz .LBB11_138
; %bb.128:                              ;   in Loop: Header=BB11_17 Depth=1
	v_dual_mov_b32 v1, v11 :: v_dual_mov_b32 v2, v0
	s_mov_b32 s15, 0
                                        ; implicit-def: $sgpr17
	s_set_inst_prefetch_distance 0x1
	s_branch .LBB11_130
	.p2align	6
.LBB11_129:                             ;   in Loop: Header=BB11_130 Depth=2
	s_or_b32 exec_lo, exec_lo, s9
	s_waitcnt vmcnt(0) lgkmcnt(0)
	s_barrier
	buffer_gl0_inv
	ds_load_u16 v3, v21 offset:3072
	v_add_nc_u32_e32 v2, s47, v2
	v_add_nc_u32_e32 v1, s54, v1
	s_waitcnt lgkmcnt(0)
	s_barrier
	buffer_gl0_inv
	v_cmp_le_i32_e32 vcc_lo, s63, v2
	v_and_b32_e32 v4, 0xff, v3
	s_delay_alu instid0(VALU_DEP_1) | instskip(NEXT) | instid1(VALU_DEP_1)
	v_cmp_ne_u16_e64 s9, 0, v4
	s_or_b32 s24, vcc_lo, s9
	s_delay_alu instid0(SALU_CYCLE_1) | instskip(NEXT) | instid1(SALU_CYCLE_1)
	s_and_b32 s24, exec_lo, s24
	s_or_b32 s15, s24, s15
	s_and_not1_b32 s17, s17, exec_lo
	s_and_b32 s9, s9, exec_lo
	s_delay_alu instid0(SALU_CYCLE_1)
	s_or_b32 s17, s17, s9
	s_and_not1_b32 exec_lo, exec_lo, s15
	s_cbranch_execz .LBB11_137
.LBB11_130:                             ;   Parent Loop BB11_17 Depth=1
                                        ; =>  This Inner Loop Header: Depth=2
	s_delay_alu instid0(VALU_DEP_1)
	v_cmp_gt_i32_e32 vcc_lo, s36, v2
	v_mov_b32_e32 v3, 0
	s_and_saveexec_b32 s24, vcc_lo
	s_cbranch_execz .LBB11_132
; %bb.131:                              ;   in Loop: Header=BB11_130 Depth=2
	v_ashrrev_i32_e32 v4, 31, v1
	v_add_co_u32 v3, s9, s42, v1
	s_delay_alu instid0(VALU_DEP_1)
	v_add_co_ci_u32_e64 v4, s9, s43, v4, s9
	global_load_u8 v3, v[3:4], off
.LBB11_132:                             ;   in Loop: Header=BB11_130 Depth=2
	s_or_b32 exec_lo, exec_lo, s24
	s_and_saveexec_b32 s9, vcc_lo
	s_cbranch_execz .LBB11_129
; %bb.133:                              ;   in Loop: Header=BB11_130 Depth=2
	s_waitcnt vmcnt(0)
	v_bfe_i32 v4, v3, 0, 8
	s_delay_alu instid0(VALU_DEP_1) | instskip(NEXT) | instid1(VALU_DEP_1)
	v_add_nc_u32_e32 v4, 0x80, v4
	v_and_b32_e32 v4, s73, v4
	s_delay_alu instid0(VALU_DEP_1)
	v_cmp_eq_u32_e32 vcc_lo, s72, v4
	s_and_b32 exec_lo, exec_lo, vcc_lo
	s_cbranch_execz .LBB11_129
; %bb.134:                              ;   in Loop: Header=BB11_130 Depth=2
	v_lshlrev_b16 v3, 8, v3
	s_delay_alu instid0(VALU_DEP_1)
	v_or_b32_e32 v3, 1, v3
	ds_store_b16 v21, v3 offset:3072
	s_branch .LBB11_129
.LBB11_135:                             ;   in Loop: Header=BB11_17 Depth=1
                                        ; implicit-def: $sgpr15
                                        ; implicit-def: $sgpr17
                                        ; implicit-def: $sgpr14
	s_branch .LBB11_149
.LBB11_136:                             ;   in Loop: Header=BB11_17 Depth=1
	s_mov_b32 s15, -1
	s_mov_b32 s24, 0
                                        ; implicit-def: $sgpr14
                                        ; implicit-def: $vgpr22
	s_mov_b32 s17, s15
	s_cbranch_execnz .LBB11_139
	s_branch .LBB11_149
.LBB11_137:                             ;   in Loop: Header=BB11_17 Depth=1
	s_set_inst_prefetch_distance 0x2
	s_or_b32 exec_lo, exec_lo, s15
	v_lshrrev_b16 v22, 8, v3
	s_and_b32 s24, s17, exec_lo
.LBB11_138:                             ;   in Loop: Header=BB11_17 Depth=1
	s_or_b32 exec_lo, exec_lo, s14
	s_mov_b32 s14, -1
	s_mov_b32 s15, 0
	s_delay_alu instid0(SALU_CYCLE_1)
	s_mov_b32 s17, s15
	s_branch .LBB11_149
.LBB11_139:                             ;   in Loop: Header=BB11_17 Depth=1
	s_add_i32 s15, s20, s51
	s_mov_b32 s24, 0
	s_abs_i32 s9, s15
                                        ; implicit-def: $vgpr22
	s_delay_alu instid0(SALU_CYCLE_1) | instskip(NEXT) | instid1(SALU_CYCLE_1)
	s_mul_hi_u32 s14, s9, s61
	s_mul_i32 s14, s14, s47
	s_delay_alu instid0(SALU_CYCLE_1) | instskip(SKIP_4) | instid1(SALU_CYCLE_1)
	s_sub_i32 s9, s9, s14
	s_ashr_i32 s14, s15, 31
	s_sub_i32 s17, s9, s47
	s_cmp_ge_u32 s9, s47
	s_cselect_b32 s9, s17, s9
	s_sub_i32 s17, s9, s47
	s_cmp_ge_u32 s9, s47
	s_cselect_b32 s9, s17, s9
	s_delay_alu instid0(SALU_CYCLE_1) | instskip(NEXT) | instid1(SALU_CYCLE_1)
	s_xor_b32 s9, s9, s14
	s_sub_i32 s9, s14, s9
	s_mov_b32 s14, exec_lo
	s_add_i32 s15, s15, s9
	s_delay_alu instid0(SALU_CYCLE_1)
	v_cmpx_gt_i32_e64 s15, v0
	s_cbranch_execz .LBB11_148
; %bb.140:                              ;   in Loop: Header=BB11_17 Depth=1
	v_mov_b32_e32 v1, v0
	s_mov_b32 s17, 0
                                        ; implicit-def: $sgpr24
	s_set_inst_prefetch_distance 0x1
	s_branch .LBB11_142
	.p2align	6
.LBB11_141:                             ;   in Loop: Header=BB11_142 Depth=2
	s_or_b32 exec_lo, exec_lo, s9
	s_waitcnt lgkmcnt(0)
	s_barrier
	buffer_gl0_inv
	ds_load_u16 v2, v21 offset:3072
	v_add_nc_u32_e32 v1, s47, v1
	s_waitcnt lgkmcnt(0)
	s_barrier
	buffer_gl0_inv
	v_cmp_le_i32_e32 vcc_lo, s15, v1
	v_and_b32_e32 v3, 0xff, v2
	s_delay_alu instid0(VALU_DEP_1) | instskip(NEXT) | instid1(VALU_DEP_1)
	v_cmp_ne_u16_e64 s9, 0, v3
	s_or_b32 s25, vcc_lo, s9
	s_delay_alu instid0(SALU_CYCLE_1) | instskip(NEXT) | instid1(SALU_CYCLE_1)
	s_and_b32 s25, exec_lo, s25
	s_or_b32 s17, s25, s17
	s_and_not1_b32 s24, s24, exec_lo
	s_and_b32 s9, s9, exec_lo
	s_delay_alu instid0(SALU_CYCLE_1)
	s_or_b32 s24, s24, s9
	s_and_not1_b32 exec_lo, exec_lo, s17
	s_cbranch_execz .LBB11_147
.LBB11_142:                             ;   Parent Loop BB11_17 Depth=1
                                        ; =>  This Inner Loop Header: Depth=2
	s_delay_alu instid0(VALU_DEP_1)
	v_cmp_gt_i32_e32 vcc_lo, s20, v1
	v_mov_b32_e32 v2, 0
	s_and_saveexec_b32 s9, vcc_lo
	s_cbranch_execz .LBB11_144
; %bb.143:                              ;   in Loop: Header=BB11_142 Depth=2
	ds_load_u8 v2, v1
.LBB11_144:                             ;   in Loop: Header=BB11_142 Depth=2
	s_or_b32 exec_lo, exec_lo, s9
	s_and_saveexec_b32 s9, vcc_lo
	s_cbranch_execz .LBB11_141
; %bb.145:                              ;   in Loop: Header=BB11_142 Depth=2
	s_waitcnt lgkmcnt(0)
	v_bfe_i32 v3, v2, 0, 8
	s_delay_alu instid0(VALU_DEP_1) | instskip(NEXT) | instid1(VALU_DEP_1)
	v_add_nc_u32_e32 v3, 0x80, v3
	v_and_b32_e32 v3, s73, v3
	s_delay_alu instid0(VALU_DEP_1)
	v_cmp_eq_u32_e32 vcc_lo, s72, v3
	s_and_b32 exec_lo, exec_lo, vcc_lo
	s_cbranch_execz .LBB11_141
; %bb.146:                              ;   in Loop: Header=BB11_142 Depth=2
	v_lshlrev_b16 v2, 8, v2
	s_delay_alu instid0(VALU_DEP_1)
	v_or_b32_e32 v2, 1, v2
	ds_store_b16 v21, v2 offset:3072
	s_branch .LBB11_141
.LBB11_147:                             ;   in Loop: Header=BB11_17 Depth=1
	s_set_inst_prefetch_distance 0x2
	s_or_b32 exec_lo, exec_lo, s17
	v_lshrrev_b16 v22, 8, v2
	s_and_b32 s24, s24, exec_lo
.LBB11_148:                             ;   in Loop: Header=BB11_17 Depth=1
	s_or_b32 exec_lo, exec_lo, s14
	s_mov_b32 s17, -1
	s_mov_b32 s15, 0
	s_mov_b32 s14, 0
.LBB11_149:                             ;   in Loop: Header=BB11_17 Depth=1
	s_mov_b32 s25, 0
                                        ; implicit-def: $sgpr9
	s_and_saveexec_b32 s20, s24
	s_cbranch_execz .LBB11_245
; %bb.150:                              ;   in Loop: Header=BB11_17 Depth=1
	s_xor_b32 s9, s23, -1
	s_mov_b32 s23, 0
	s_and_not1_b32 vcc_lo, exec_lo, s9
	s_mov_b32 s26, 1
	s_cbranch_vccnz .LBB11_161
; %bb.151:                              ;   in Loop: Header=BB11_17 Depth=1
	s_cmp_gt_i32 s22, s21
	s_mov_b32 s23, -1
                                        ; implicit-def: $sgpr9
                                        ; implicit-def: $sgpr24
                                        ; implicit-def: $sgpr25
	s_cbranch_scc1 .LBB11_157
; %bb.152:                              ;   in Loop: Header=BB11_17 Depth=1
	ds_load_b32 v1, v21 offset:4096
	s_waitcnt lgkmcnt(0)
	v_cmp_ne_u32_e32 vcc_lo, 0, v1
	s_cbranch_vccnz .LBB11_156
; %bb.153:                              ;   in Loop: Header=BB11_17 Depth=1
	s_and_saveexec_b32 s9, s2
	s_cbranch_execz .LBB11_155
; %bb.154:                              ;   in Loop: Header=BB11_17 Depth=1
	v_mov_b32_e32 v1, s21
	ds_store_b32 v21, v1 offset:4100
.LBB11_155:                             ;   in Loop: Header=BB11_17 Depth=1
	s_or_b32 exec_lo, exec_lo, s9
	s_waitcnt lgkmcnt(0)
	s_barrier
	buffer_gl0_inv
.LBB11_156:                             ;   in Loop: Header=BB11_17 Depth=1
	s_lshl_b32 s9, 1, s18
	s_and_b32 s23, s72, s19
	s_or_b32 s25, s73, s11
	s_or_b32 s24, s23, s9
	s_mov_b32 s23, 0
	s_mov_b32 s9, 8
.LBB11_157:                             ;   in Loop: Header=BB11_17 Depth=1
	s_and_not1_b32 vcc_lo, exec_lo, s23
	s_cbranch_vccnz .LBB11_159
; %bb.158:                              ;   in Loop: Header=BB11_17 Depth=1
	s_sub_i32 s22, s22, s21
	s_mov_b32 s23, -1
	s_mov_b32 s9, 0
	s_mov_b32 s24, s72
	;; [unrolled: 1-line block ×3, first 2 shown]
.LBB11_159:                             ;   in Loop: Header=BB11_17 Depth=1
	s_delay_alu instid0(SALU_CYCLE_1)
	s_mov_b32 s73, s25
	s_mov_b32 s72, s24
	;; [unrolled: 1-line block ×3, first 2 shown]
	s_and_not1_b32 vcc_lo, exec_lo, s23
	s_mov_b32 s28, -1
	s_cbranch_vccz .LBB11_162
.LBB11_160:                             ;   in Loop: Header=BB11_17 Depth=1
                                        ; implicit-def: $sgpr22
                                        ; implicit-def: $sgpr23
                                        ; implicit-def: $sgpr21
	s_branch .LBB11_244
.LBB11_161:                             ;   in Loop: Header=BB11_17 Depth=1
	s_mov_b32 s9, 1
	s_and_not1_b32 vcc_lo, exec_lo, s23
	s_mov_b32 s28, -1
	s_cbranch_vccnz .LBB11_160
.LBB11_162:                             ;   in Loop: Header=BB11_17 Depth=1
	s_cmp_eq_u32 s16, 1
	s_mov_b32 s27, -1
	s_cselect_b32 s9, -1, 0
	s_cmp_eq_u32 s26, 1
	s_cselect_b32 s21, -1, 0
	s_delay_alu instid0(SALU_CYCLE_1) | instskip(NEXT) | instid1(SALU_CYCLE_1)
	s_and_b32 s25, s9, s21
	s_and_b32 vcc_lo, exec_lo, s25
	s_cbranch_vccz .LBB11_174
; %bb.163:                              ;   in Loop: Header=BB11_17 Depth=1
	ds_load_b32 v1, v21 offset:4096
	s_waitcnt lgkmcnt(0)
	s_barrier
	buffer_gl0_inv
	v_readfirstlane_b32 s24, v1
	s_and_saveexec_b32 s9, s0
	s_cbranch_execz .LBB11_165
; %bb.164:                              ;   in Loop: Header=BB11_17 Depth=1
	ds_store_b8 v0, v21 offset:3072
.LBB11_165:                             ;   in Loop: Header=BB11_17 Depth=1
	s_or_b32 exec_lo, exec_lo, s9
	s_lshl_b32 s9, 2, s18
	s_and_b32 s21, s72, s19
	s_or_b32 s73, s73, s11
	s_or_b32 s72, s21, s9
	s_cmp_gt_i32 s24, 0
	s_waitcnt lgkmcnt(0)
	s_barrier
	buffer_gl0_inv
	s_cbranch_scc1 .LBB11_175
; %bb.166:                              ;   in Loop: Header=BB11_17 Depth=1
	s_mov_b32 s27, 0
                                        ; implicit-def: $vgpr22
	s_and_saveexec_b32 s21, s8
	s_cbranch_execz .LBB11_177
; %bb.167:                              ;   in Loop: Header=BB11_17 Depth=1
	v_dual_mov_b32 v1, v11 :: v_dual_mov_b32 v2, v0
	s_mov_b32 s22, 0
                                        ; implicit-def: $sgpr23
	s_set_inst_prefetch_distance 0x1
	s_branch .LBB11_169
	.p2align	6
.LBB11_168:                             ;   in Loop: Header=BB11_169 Depth=2
	s_or_b32 exec_lo, exec_lo, s9
	s_waitcnt vmcnt(0) lgkmcnt(0)
	s_barrier
	buffer_gl0_inv
	ds_load_u16 v3, v21 offset:3072
	v_add_nc_u32_e32 v2, s47, v2
	v_add_nc_u32_e32 v1, s54, v1
	s_waitcnt lgkmcnt(0)
	s_barrier
	buffer_gl0_inv
	v_cmp_le_i32_e32 vcc_lo, s63, v2
	v_and_b32_e32 v4, 0xff, v3
	s_delay_alu instid0(VALU_DEP_1) | instskip(NEXT) | instid1(VALU_DEP_1)
	v_cmp_ne_u16_e64 s9, 0, v4
	s_or_b32 s27, vcc_lo, s9
	s_delay_alu instid0(SALU_CYCLE_1) | instskip(NEXT) | instid1(SALU_CYCLE_1)
	s_and_b32 s27, exec_lo, s27
	s_or_b32 s22, s27, s22
	s_and_not1_b32 s23, s23, exec_lo
	s_and_b32 s9, s9, exec_lo
	s_delay_alu instid0(SALU_CYCLE_1)
	s_or_b32 s23, s23, s9
	s_and_not1_b32 exec_lo, exec_lo, s22
	s_cbranch_execz .LBB11_176
.LBB11_169:                             ;   Parent Loop BB11_17 Depth=1
                                        ; =>  This Inner Loop Header: Depth=2
	s_delay_alu instid0(VALU_DEP_1)
	v_cmp_gt_i32_e32 vcc_lo, s36, v2
	v_mov_b32_e32 v3, 0
	s_and_saveexec_b32 s27, vcc_lo
	s_cbranch_execz .LBB11_171
; %bb.170:                              ;   in Loop: Header=BB11_169 Depth=2
	v_ashrrev_i32_e32 v4, 31, v1
	v_add_co_u32 v3, s9, s42, v1
	s_delay_alu instid0(VALU_DEP_1)
	v_add_co_ci_u32_e64 v4, s9, s43, v4, s9
	global_load_u8 v3, v[3:4], off
.LBB11_171:                             ;   in Loop: Header=BB11_169 Depth=2
	s_or_b32 exec_lo, exec_lo, s27
	s_and_saveexec_b32 s9, vcc_lo
	s_cbranch_execz .LBB11_168
; %bb.172:                              ;   in Loop: Header=BB11_169 Depth=2
	s_waitcnt vmcnt(0)
	v_bfe_i32 v4, v3, 0, 8
	s_delay_alu instid0(VALU_DEP_1) | instskip(NEXT) | instid1(VALU_DEP_1)
	v_add_nc_u32_e32 v4, 0x80, v4
	v_and_b32_e32 v4, s73, v4
	s_delay_alu instid0(VALU_DEP_1)
	v_cmp_eq_u32_e32 vcc_lo, s72, v4
	s_and_b32 exec_lo, exec_lo, vcc_lo
	s_cbranch_execz .LBB11_168
; %bb.173:                              ;   in Loop: Header=BB11_169 Depth=2
	v_lshlrev_b16 v3, 8, v3
	s_delay_alu instid0(VALU_DEP_1)
	v_or_b32_e32 v3, 1, v3
	ds_store_b16 v21, v3 offset:3072
	s_branch .LBB11_168
.LBB11_174:                             ;   in Loop: Header=BB11_17 Depth=1
                                        ; implicit-def: $sgpr21
                                        ; implicit-def: $sgpr23
                                        ; implicit-def: $sgpr22
	s_branch .LBB11_188
.LBB11_175:                             ;   in Loop: Header=BB11_17 Depth=1
	s_mov_b32 s21, -1
	s_mov_b32 s27, 0
                                        ; implicit-def: $sgpr22
                                        ; implicit-def: $vgpr22
	s_mov_b32 s23, s21
	s_cbranch_execnz .LBB11_178
	s_branch .LBB11_188
.LBB11_176:                             ;   in Loop: Header=BB11_17 Depth=1
	s_set_inst_prefetch_distance 0x2
	s_or_b32 exec_lo, exec_lo, s22
	v_lshrrev_b16 v22, 8, v3
	s_and_b32 s27, s23, exec_lo
.LBB11_177:                             ;   in Loop: Header=BB11_17 Depth=1
	s_or_b32 exec_lo, exec_lo, s21
	s_mov_b32 s22, -1
	s_mov_b32 s21, 0
	s_delay_alu instid0(SALU_CYCLE_1)
	s_mov_b32 s23, s21
	s_branch .LBB11_188
.LBB11_178:                             ;   in Loop: Header=BB11_17 Depth=1
	s_add_i32 s22, s24, s51
	s_mov_b32 s27, 0
	s_abs_i32 s9, s22
                                        ; implicit-def: $vgpr22
	s_delay_alu instid0(SALU_CYCLE_1) | instskip(NEXT) | instid1(SALU_CYCLE_1)
	s_mul_hi_u32 s21, s9, s61
	s_mul_i32 s21, s21, s47
	s_delay_alu instid0(SALU_CYCLE_1) | instskip(SKIP_4) | instid1(SALU_CYCLE_1)
	s_sub_i32 s9, s9, s21
	s_ashr_i32 s21, s22, 31
	s_sub_i32 s23, s9, s47
	s_cmp_ge_u32 s9, s47
	s_cselect_b32 s9, s23, s9
	s_sub_i32 s23, s9, s47
	s_cmp_ge_u32 s9, s47
	s_cselect_b32 s9, s23, s9
	s_delay_alu instid0(SALU_CYCLE_1) | instskip(NEXT) | instid1(SALU_CYCLE_1)
	s_xor_b32 s9, s9, s21
	s_sub_i32 s9, s21, s9
	s_mov_b32 s21, exec_lo
	s_add_i32 s22, s22, s9
	s_delay_alu instid0(SALU_CYCLE_1)
	v_cmpx_gt_i32_e64 s22, v0
	s_cbranch_execz .LBB11_187
; %bb.179:                              ;   in Loop: Header=BB11_17 Depth=1
	v_mov_b32_e32 v1, v0
	s_mov_b32 s23, 0
                                        ; implicit-def: $sgpr27
	s_set_inst_prefetch_distance 0x1
	s_branch .LBB11_181
	.p2align	6
.LBB11_180:                             ;   in Loop: Header=BB11_181 Depth=2
	s_or_b32 exec_lo, exec_lo, s9
	s_waitcnt lgkmcnt(0)
	s_barrier
	buffer_gl0_inv
	ds_load_u16 v2, v21 offset:3072
	v_add_nc_u32_e32 v1, s47, v1
	s_waitcnt lgkmcnt(0)
	s_barrier
	buffer_gl0_inv
	v_cmp_le_i32_e32 vcc_lo, s22, v1
	v_and_b32_e32 v3, 0xff, v2
	s_delay_alu instid0(VALU_DEP_1) | instskip(NEXT) | instid1(VALU_DEP_1)
	v_cmp_ne_u16_e64 s9, 0, v3
	s_or_b32 s28, vcc_lo, s9
	s_delay_alu instid0(SALU_CYCLE_1) | instskip(NEXT) | instid1(SALU_CYCLE_1)
	s_and_b32 s28, exec_lo, s28
	s_or_b32 s23, s28, s23
	s_and_not1_b32 s27, s27, exec_lo
	s_and_b32 s9, s9, exec_lo
	s_delay_alu instid0(SALU_CYCLE_1)
	s_or_b32 s27, s27, s9
	s_and_not1_b32 exec_lo, exec_lo, s23
	s_cbranch_execz .LBB11_186
.LBB11_181:                             ;   Parent Loop BB11_17 Depth=1
                                        ; =>  This Inner Loop Header: Depth=2
	s_delay_alu instid0(VALU_DEP_1)
	v_cmp_gt_i32_e32 vcc_lo, s24, v1
	v_mov_b32_e32 v2, 0
	s_and_saveexec_b32 s9, vcc_lo
	s_cbranch_execz .LBB11_183
; %bb.182:                              ;   in Loop: Header=BB11_181 Depth=2
	ds_load_u8 v2, v1
.LBB11_183:                             ;   in Loop: Header=BB11_181 Depth=2
	s_or_b32 exec_lo, exec_lo, s9
	s_and_saveexec_b32 s9, vcc_lo
	s_cbranch_execz .LBB11_180
; %bb.184:                              ;   in Loop: Header=BB11_181 Depth=2
	s_waitcnt lgkmcnt(0)
	v_bfe_i32 v3, v2, 0, 8
	s_delay_alu instid0(VALU_DEP_1) | instskip(NEXT) | instid1(VALU_DEP_1)
	v_add_nc_u32_e32 v3, 0x80, v3
	v_and_b32_e32 v3, s73, v3
	s_delay_alu instid0(VALU_DEP_1)
	v_cmp_eq_u32_e32 vcc_lo, s72, v3
	s_and_b32 exec_lo, exec_lo, vcc_lo
	s_cbranch_execz .LBB11_180
; %bb.185:                              ;   in Loop: Header=BB11_181 Depth=2
	v_lshlrev_b16 v2, 8, v2
	s_delay_alu instid0(VALU_DEP_1)
	v_or_b32_e32 v2, 1, v2
	ds_store_b16 v21, v2 offset:3072
	s_branch .LBB11_180
.LBB11_186:                             ;   in Loop: Header=BB11_17 Depth=1
	s_set_inst_prefetch_distance 0x2
	s_or_b32 exec_lo, exec_lo, s23
	v_lshrrev_b16 v22, 8, v2
	s_and_b32 s27, s27, exec_lo
.LBB11_187:                             ;   in Loop: Header=BB11_17 Depth=1
	s_or_b32 exec_lo, exec_lo, s21
	s_mov_b32 s23, -1
	s_mov_b32 s21, 0
	s_mov_b32 s22, 0
.LBB11_188:                             ;   in Loop: Header=BB11_17 Depth=1
	s_mov_b32 s28, 0
                                        ; implicit-def: $sgpr9
	s_and_saveexec_b32 s24, s27
	s_cbranch_execz .LBB11_243
; %bb.189:                              ;   in Loop: Header=BB11_17 Depth=1
	s_xor_b32 s9, s25, -1
	s_mov_b32 s27, 0
	s_and_not1_b32 vcc_lo, exec_lo, s9
	s_mov_b32 s25, 1
	s_cbranch_vccnz .LBB11_200
; %bb.190:                              ;   in Loop: Header=BB11_17 Depth=1
	s_cmp_gt_i32 s26, s16
	s_mov_b32 s27, -1
                                        ; implicit-def: $sgpr9
                                        ; implicit-def: $sgpr25
                                        ; implicit-def: $sgpr28
	s_cbranch_scc1 .LBB11_196
; %bb.191:                              ;   in Loop: Header=BB11_17 Depth=1
	ds_load_b32 v1, v21 offset:4096
	s_waitcnt lgkmcnt(0)
	v_cmp_ne_u32_e32 vcc_lo, 0, v1
	s_cbranch_vccnz .LBB11_195
; %bb.192:                              ;   in Loop: Header=BB11_17 Depth=1
	s_and_saveexec_b32 s9, s2
	s_cbranch_execz .LBB11_194
; %bb.193:                              ;   in Loop: Header=BB11_17 Depth=1
	v_mov_b32_e32 v1, s16
	ds_store_b32 v21, v1 offset:4100
.LBB11_194:                             ;   in Loop: Header=BB11_17 Depth=1
	s_or_b32 exec_lo, exec_lo, s9
	s_waitcnt lgkmcnt(0)
	s_barrier
	buffer_gl0_inv
.LBB11_195:                             ;   in Loop: Header=BB11_17 Depth=1
	s_lshl_b32 s9, 2, s18
	s_and_b32 s18, s72, s19
	s_or_b32 s28, s73, s11
	s_or_b32 s25, s18, s9
	s_mov_b32 s27, 0
	s_mov_b32 s9, 8
.LBB11_196:                             ;   in Loop: Header=BB11_17 Depth=1
	s_and_not1_b32 vcc_lo, exec_lo, s27
	s_cbranch_vccnz .LBB11_198
; %bb.197:                              ;   in Loop: Header=BB11_17 Depth=1
	s_sub_i32 s26, s26, s16
	s_mov_b32 s27, -1
	s_mov_b32 s9, 0
	s_mov_b32 s25, s72
	;; [unrolled: 1-line block ×3, first 2 shown]
.LBB11_198:                             ;   in Loop: Header=BB11_17 Depth=1
	s_delay_alu instid0(SALU_CYCLE_1)
	s_mov_b32 s73, s28
	s_mov_b32 s72, s25
	;; [unrolled: 1-line block ×3, first 2 shown]
	s_and_not1_b32 vcc_lo, exec_lo, s27
	s_mov_b32 s37, -1
	s_cbranch_vccz .LBB11_201
.LBB11_199:                             ;   in Loop: Header=BB11_17 Depth=1
                                        ; implicit-def: $sgpr19
                                        ; implicit-def: $sgpr27
                                        ; implicit-def: $sgpr26
	s_branch .LBB11_242
.LBB11_200:                             ;   in Loop: Header=BB11_17 Depth=1
	s_mov_b32 s9, 1
	s_and_not1_b32 vcc_lo, exec_lo, s27
	s_mov_b32 s37, -1
	s_cbranch_vccnz .LBB11_199
.LBB11_201:                             ;   in Loop: Header=BB11_17 Depth=1
	s_cmp_eq_u32 s10, 1
	s_mov_b32 s28, -1
	s_cselect_b32 s9, -1, 0
	s_cmp_eq_u32 s25, 1
	s_cselect_b32 s16, -1, 0
	s_delay_alu instid0(SALU_CYCLE_1) | instskip(NEXT) | instid1(SALU_CYCLE_1)
	s_and_b32 s16, s9, s16
	s_and_b32 vcc_lo, exec_lo, s16
	s_cbranch_vccz .LBB11_213
; %bb.202:                              ;   in Loop: Header=BB11_17 Depth=1
	ds_load_b32 v1, v21 offset:4096
	s_waitcnt lgkmcnt(0)
	s_barrier
	buffer_gl0_inv
	v_readfirstlane_b32 s18, v1
	s_and_saveexec_b32 s9, s0
	s_cbranch_execz .LBB11_204
; %bb.203:                              ;   in Loop: Header=BB11_17 Depth=1
	ds_store_b8 v0, v21 offset:3072
.LBB11_204:                             ;   in Loop: Header=BB11_17 Depth=1
	s_or_b32 exec_lo, exec_lo, s9
	s_or_b32 s72, s72, s11
	s_or_b32 s73, s73, s11
	s_cmp_gt_i32 s18, 0
	s_waitcnt lgkmcnt(0)
	s_barrier
	buffer_gl0_inv
	s_cbranch_scc1 .LBB11_214
; %bb.205:                              ;   in Loop: Header=BB11_17 Depth=1
	s_mov_b32 s28, 0
                                        ; implicit-def: $vgpr22
	s_and_saveexec_b32 s19, s8
	s_cbranch_execz .LBB11_216
; %bb.206:                              ;   in Loop: Header=BB11_17 Depth=1
	v_dual_mov_b32 v1, v11 :: v_dual_mov_b32 v2, v0
	s_mov_b32 s26, 0
                                        ; implicit-def: $sgpr27
	s_set_inst_prefetch_distance 0x1
	s_branch .LBB11_208
	.p2align	6
.LBB11_207:                             ;   in Loop: Header=BB11_208 Depth=2
	s_or_b32 exec_lo, exec_lo, s9
	s_waitcnt vmcnt(0) lgkmcnt(0)
	s_barrier
	buffer_gl0_inv
	ds_load_u16 v3, v21 offset:3072
	v_add_nc_u32_e32 v2, s47, v2
	v_add_nc_u32_e32 v1, s54, v1
	s_waitcnt lgkmcnt(0)
	s_barrier
	buffer_gl0_inv
	v_cmp_le_i32_e32 vcc_lo, s63, v2
	v_and_b32_e32 v4, 0xff, v3
	s_delay_alu instid0(VALU_DEP_1) | instskip(NEXT) | instid1(VALU_DEP_1)
	v_cmp_ne_u16_e64 s9, 0, v4
	s_or_b32 s28, vcc_lo, s9
	s_delay_alu instid0(SALU_CYCLE_1) | instskip(NEXT) | instid1(SALU_CYCLE_1)
	s_and_b32 s28, exec_lo, s28
	s_or_b32 s26, s28, s26
	s_and_not1_b32 s27, s27, exec_lo
	s_and_b32 s9, s9, exec_lo
	s_delay_alu instid0(SALU_CYCLE_1)
	s_or_b32 s27, s27, s9
	s_and_not1_b32 exec_lo, exec_lo, s26
	s_cbranch_execz .LBB11_215
.LBB11_208:                             ;   Parent Loop BB11_17 Depth=1
                                        ; =>  This Inner Loop Header: Depth=2
	s_delay_alu instid0(VALU_DEP_1)
	v_cmp_gt_i32_e32 vcc_lo, s36, v2
	v_mov_b32_e32 v3, 0
	s_and_saveexec_b32 s28, vcc_lo
	s_cbranch_execz .LBB11_210
; %bb.209:                              ;   in Loop: Header=BB11_208 Depth=2
	v_ashrrev_i32_e32 v4, 31, v1
	v_add_co_u32 v3, s9, s42, v1
	s_delay_alu instid0(VALU_DEP_1)
	v_add_co_ci_u32_e64 v4, s9, s43, v4, s9
	global_load_u8 v3, v[3:4], off
.LBB11_210:                             ;   in Loop: Header=BB11_208 Depth=2
	s_or_b32 exec_lo, exec_lo, s28
	s_and_saveexec_b32 s9, vcc_lo
	s_cbranch_execz .LBB11_207
; %bb.211:                              ;   in Loop: Header=BB11_208 Depth=2
	s_waitcnt vmcnt(0)
	v_bfe_i32 v4, v3, 0, 8
	s_delay_alu instid0(VALU_DEP_1) | instskip(NEXT) | instid1(VALU_DEP_1)
	v_add_nc_u32_e32 v4, 0x80, v4
	v_and_b32_e32 v4, s73, v4
	s_delay_alu instid0(VALU_DEP_1)
	v_cmp_eq_u32_e32 vcc_lo, s72, v4
	s_and_b32 exec_lo, exec_lo, vcc_lo
	s_cbranch_execz .LBB11_207
; %bb.212:                              ;   in Loop: Header=BB11_208 Depth=2
	v_lshlrev_b16 v3, 8, v3
	s_delay_alu instid0(VALU_DEP_1)
	v_or_b32_e32 v3, 1, v3
	ds_store_b16 v21, v3 offset:3072
	s_branch .LBB11_207
.LBB11_213:                             ;   in Loop: Header=BB11_17 Depth=1
                                        ; implicit-def: $sgpr19
                                        ; implicit-def: $sgpr27
                                        ; implicit-def: $sgpr26
	s_branch .LBB11_227
.LBB11_214:                             ;   in Loop: Header=BB11_17 Depth=1
	s_mov_b32 s19, -1
	s_mov_b32 s28, 0
                                        ; implicit-def: $sgpr26
                                        ; implicit-def: $vgpr22
	s_mov_b32 s27, s19
	s_cbranch_execnz .LBB11_217
	s_branch .LBB11_227
.LBB11_215:                             ;   in Loop: Header=BB11_17 Depth=1
	s_set_inst_prefetch_distance 0x2
	s_or_b32 exec_lo, exec_lo, s26
	v_lshrrev_b16 v22, 8, v3
	s_and_b32 s28, s27, exec_lo
.LBB11_216:                             ;   in Loop: Header=BB11_17 Depth=1
	s_or_b32 exec_lo, exec_lo, s19
	s_mov_b32 s26, -1
	s_mov_b32 s19, 0
	s_delay_alu instid0(SALU_CYCLE_1)
	s_mov_b32 s27, s19
	s_branch .LBB11_227
.LBB11_217:                             ;   in Loop: Header=BB11_17 Depth=1
	s_add_i32 s26, s18, s51
	s_mov_b32 s28, 0
	s_abs_i32 s9, s26
                                        ; implicit-def: $vgpr22
	s_delay_alu instid0(SALU_CYCLE_1) | instskip(NEXT) | instid1(SALU_CYCLE_1)
	s_mul_hi_u32 s19, s9, s61
	s_mul_i32 s19, s19, s47
	s_delay_alu instid0(SALU_CYCLE_1) | instskip(SKIP_4) | instid1(SALU_CYCLE_1)
	s_sub_i32 s9, s9, s19
	s_ashr_i32 s19, s26, 31
	s_sub_i32 s27, s9, s47
	s_cmp_ge_u32 s9, s47
	s_cselect_b32 s9, s27, s9
	s_sub_i32 s27, s9, s47
	s_cmp_ge_u32 s9, s47
	s_cselect_b32 s9, s27, s9
	s_delay_alu instid0(SALU_CYCLE_1) | instskip(NEXT) | instid1(SALU_CYCLE_1)
	s_xor_b32 s9, s9, s19
	s_sub_i32 s9, s19, s9
	s_mov_b32 s19, exec_lo
	s_add_i32 s26, s26, s9
	s_delay_alu instid0(SALU_CYCLE_1)
	v_cmpx_gt_i32_e64 s26, v0
	s_cbranch_execz .LBB11_226
; %bb.218:                              ;   in Loop: Header=BB11_17 Depth=1
	v_mov_b32_e32 v1, v0
	s_mov_b32 s27, 0
                                        ; implicit-def: $sgpr28
	s_set_inst_prefetch_distance 0x1
	s_branch .LBB11_220
	.p2align	6
.LBB11_219:                             ;   in Loop: Header=BB11_220 Depth=2
	s_or_b32 exec_lo, exec_lo, s9
	s_waitcnt lgkmcnt(0)
	s_barrier
	buffer_gl0_inv
	ds_load_u16 v2, v21 offset:3072
	v_add_nc_u32_e32 v1, s47, v1
	s_waitcnt lgkmcnt(0)
	s_barrier
	buffer_gl0_inv
	v_cmp_le_i32_e32 vcc_lo, s26, v1
	v_and_b32_e32 v3, 0xff, v2
	s_delay_alu instid0(VALU_DEP_1) | instskip(NEXT) | instid1(VALU_DEP_1)
	v_cmp_ne_u16_e64 s9, 0, v3
	s_or_b32 s37, vcc_lo, s9
	s_delay_alu instid0(SALU_CYCLE_1) | instskip(NEXT) | instid1(SALU_CYCLE_1)
	s_and_b32 s37, exec_lo, s37
	s_or_b32 s27, s37, s27
	s_and_not1_b32 s28, s28, exec_lo
	s_and_b32 s9, s9, exec_lo
	s_delay_alu instid0(SALU_CYCLE_1)
	s_or_b32 s28, s28, s9
	s_and_not1_b32 exec_lo, exec_lo, s27
	s_cbranch_execz .LBB11_225
.LBB11_220:                             ;   Parent Loop BB11_17 Depth=1
                                        ; =>  This Inner Loop Header: Depth=2
	s_delay_alu instid0(VALU_DEP_1)
	v_cmp_gt_i32_e32 vcc_lo, s18, v1
	v_mov_b32_e32 v2, 0
	s_and_saveexec_b32 s9, vcc_lo
	s_cbranch_execz .LBB11_222
; %bb.221:                              ;   in Loop: Header=BB11_220 Depth=2
	ds_load_u8 v2, v1
.LBB11_222:                             ;   in Loop: Header=BB11_220 Depth=2
	s_or_b32 exec_lo, exec_lo, s9
	s_and_saveexec_b32 s9, vcc_lo
	s_cbranch_execz .LBB11_219
; %bb.223:                              ;   in Loop: Header=BB11_220 Depth=2
	s_waitcnt lgkmcnt(0)
	v_bfe_i32 v3, v2, 0, 8
	s_delay_alu instid0(VALU_DEP_1) | instskip(NEXT) | instid1(VALU_DEP_1)
	v_add_nc_u32_e32 v3, 0x80, v3
	v_and_b32_e32 v3, s73, v3
	s_delay_alu instid0(VALU_DEP_1)
	v_cmp_eq_u32_e32 vcc_lo, s72, v3
	s_and_b32 exec_lo, exec_lo, vcc_lo
	s_cbranch_execz .LBB11_219
; %bb.224:                              ;   in Loop: Header=BB11_220 Depth=2
	v_lshlrev_b16 v2, 8, v2
	s_delay_alu instid0(VALU_DEP_1)
	v_or_b32_e32 v2, 1, v2
	ds_store_b16 v21, v2 offset:3072
	s_branch .LBB11_219
.LBB11_225:                             ;   in Loop: Header=BB11_17 Depth=1
	s_set_inst_prefetch_distance 0x2
	s_or_b32 exec_lo, exec_lo, s27
	v_lshrrev_b16 v22, 8, v2
	s_and_b32 s28, s28, exec_lo
.LBB11_226:                             ;   in Loop: Header=BB11_17 Depth=1
	s_or_b32 exec_lo, exec_lo, s19
	s_mov_b32 s27, -1
	s_mov_b32 s19, 0
	s_mov_b32 s26, 0
.LBB11_227:                             ;   in Loop: Header=BB11_17 Depth=1
	s_mov_b32 s37, 0
                                        ; implicit-def: $sgpr9
	s_and_saveexec_b32 s18, s28
	s_cbranch_execz .LBB11_241
; %bb.228:                              ;   in Loop: Header=BB11_17 Depth=1
	s_xor_b32 s9, s16, -1
	s_delay_alu instid0(SALU_CYCLE_1)
	s_and_not1_b32 vcc_lo, exec_lo, s9
	s_mov_b32 s9, 1
	s_cbranch_vccnz .LBB11_235
; %bb.229:                              ;   in Loop: Header=BB11_17 Depth=1
	s_cmp_gt_i32 s25, s10
	s_cbranch_scc1 .LBB11_236
; %bb.230:                              ;   in Loop: Header=BB11_17 Depth=1
	ds_load_b32 v1, v21 offset:4096
	s_waitcnt lgkmcnt(0)
	v_cmp_ne_u32_e32 vcc_lo, 0, v1
	s_cbranch_vccnz .LBB11_234
; %bb.231:                              ;   in Loop: Header=BB11_17 Depth=1
	s_and_saveexec_b32 s9, s2
	s_cbranch_execz .LBB11_233
; %bb.232:                              ;   in Loop: Header=BB11_17 Depth=1
	v_mov_b32_e32 v1, s10
	ds_store_b32 v21, v1 offset:4100
.LBB11_233:                             ;   in Loop: Header=BB11_17 Depth=1
	s_or_b32 exec_lo, exec_lo, s9
	s_waitcnt lgkmcnt(0)
	s_barrier
	buffer_gl0_inv
.LBB11_234:                             ;   in Loop: Header=BB11_17 Depth=1
	s_or_b32 s16, s72, s11
	s_or_b32 s11, s73, s11
	s_mov_b32 s28, 0
	s_mov_b32 s9, 8
	s_branch .LBB11_237
.LBB11_235:                             ;   in Loop: Header=BB11_17 Depth=1
	s_mov_b32 s25, 1
	s_branch .LBB11_240
.LBB11_236:                             ;   in Loop: Header=BB11_17 Depth=1
	s_mov_b32 s28, -1
                                        ; implicit-def: $sgpr9
                                        ; implicit-def: $sgpr16
                                        ; implicit-def: $sgpr11
.LBB11_237:                             ;   in Loop: Header=BB11_17 Depth=1
	s_delay_alu instid0(SALU_CYCLE_1)
	s_and_not1_b32 vcc_lo, exec_lo, s28
	s_cbranch_vccnz .LBB11_239
; %bb.238:                              ;   in Loop: Header=BB11_17 Depth=1
	s_sub_i32 s25, s25, s10
	s_mov_b32 s9, 8
	s_mov_b32 s16, s72
	;; [unrolled: 1-line block ×3, first 2 shown]
.LBB11_239:                             ;   in Loop: Header=BB11_17 Depth=1
	s_mov_b32 s72, s16
	s_mov_b32 s73, s11
.LBB11_240:                             ;   in Loop: Header=BB11_17 Depth=1
	s_mov_b32 s37, exec_lo
.LBB11_241:                             ;   in Loop: Header=BB11_17 Depth=1
	s_or_b32 exec_lo, exec_lo, s18
.LBB11_242:                             ;   in Loop: Header=BB11_17 Depth=1
	s_delay_alu instid0(SALU_CYCLE_1)
	s_and_not1_b32 s10, s21, exec_lo
	s_and_b32 s11, s19, exec_lo
	s_and_not1_b32 s16, s22, exec_lo
	s_or_b32 s21, s10, s11
	s_and_not1_b32 s10, s23, exec_lo
	s_and_b32 s11, s27, exec_lo
	s_and_b32 s18, s26, exec_lo
	s_or_b32 s23, s10, s11
	s_or_b32 s22, s16, s18
	s_and_b32 s28, s37, exec_lo
	s_mov_b32 s26, s25
.LBB11_243:                             ;   in Loop: Header=BB11_17 Depth=1
	s_or_b32 exec_lo, exec_lo, s24
.LBB11_244:                             ;   in Loop: Header=BB11_17 Depth=1
	s_delay_alu instid0(SALU_CYCLE_1)
	s_and_not1_b32 s10, s15, exec_lo
	s_and_b32 s11, s21, exec_lo
	s_and_not1_b32 s14, s14, exec_lo
	s_or_b32 s15, s10, s11
	s_and_not1_b32 s10, s17, exec_lo
	s_and_b32 s11, s23, exec_lo
	s_and_b32 s16, s22, exec_lo
	s_or_b32 s17, s10, s11
	s_or_b32 s14, s14, s16
	s_and_b32 s25, s28, exec_lo
	s_mov_b32 s22, s26
.LBB11_245:                             ;   in Loop: Header=BB11_17 Depth=1
	s_or_b32 exec_lo, exec_lo, s20
	s_and_saveexec_b32 s10, s25
	s_delay_alu instid0(SALU_CYCLE_1)
	s_xor_b32 s10, exec_lo, s10
	s_cbranch_execz .LBB11_15
.LBB11_246:                             ;   in Loop: Header=BB11_17 Depth=1
	s_and_b32 s9, s9, -9
	s_delay_alu instid0(SALU_CYCLE_1)
	s_cmp_eq_u32 s9, 0
	s_cbranch_scc1 .LBB11_13
; %bb.247:                              ;   in Loop: Header=BB11_17 Depth=1
	s_mov_b32 s9, -1
	s_mov_b32 s11, -1
                                        ; implicit-def: $sgpr73
                                        ; implicit-def: $sgpr22
                                        ; implicit-def: $sgpr60
                                        ; implicit-def: $sgpr70
	s_branch .LBB11_14
.LBB11_248:
	s_or_b32 exec_lo, exec_lo, s48
	s_xor_b32 s4, s67, -1
	s_xor_b32 s0, s65, -1
	;; [unrolled: 1-line block ×3, first 2 shown]
	s_mov_b32 s1, 0
	s_and_saveexec_b32 s5, s0
	s_delay_alu instid0(SALU_CYCLE_1)
	s_xor_b32 s0, exec_lo, s5
	s_cbranch_execz .LBB11_269
; %bb.249:
	s_and_saveexec_b32 s1, s4
	s_delay_alu instid0(SALU_CYCLE_1)
	s_xor_b32 s1, exec_lo, s1
	s_cbranch_execz .LBB11_267
; %bb.250:
	s_and_saveexec_b32 s4, s3
	s_delay_alu instid0(SALU_CYCLE_1)
	s_xor_b32 s3, exec_lo, s4
; %bb.251:
	v_xor_b32_e32 v22, 0xffffff80, v1
; %bb.252:
	s_or_b32 exec_lo, exec_lo, s3
	s_and_saveexec_b32 s3, s2
	s_cbranch_execz .LBB11_254
; %bb.253:
	v_dual_mov_b32 v1, 0 :: v_dual_mov_b32 v2, s36
	ds_store_b32 v1, v2 offset:4108
.LBB11_254:
	s_or_b32 exec_lo, exec_lo, s3
	v_mov_b32_e32 v1, 0
	s_waitcnt lgkmcnt(0)
	s_barrier
	buffer_gl0_inv
	s_mov_b32 s3, exec_lo
	ds_load_b32 v1, v1 offset:4108
	s_waitcnt lgkmcnt(0)
	v_min_i32_e32 v1, s36, v1
	s_delay_alu instid0(VALU_DEP_1)
	v_cmpx_lt_i32_e64 v0, v1
	s_cbranch_execz .LBB11_264
; %bb.255:
	v_and_b32_e32 v3, 0xff, v22
	s_mov_b32 s4, 0
                                        ; implicit-def: $sgpr5
                                        ; implicit-def: $sgpr7
                                        ; implicit-def: $sgpr6
	s_set_inst_prefetch_distance 0x1
	s_branch .LBB11_257
	.p2align	6
.LBB11_256:                             ;   in Loop: Header=BB11_257 Depth=1
	s_or_b32 exec_lo, exec_lo, s8
	s_delay_alu instid0(SALU_CYCLE_1) | instskip(NEXT) | instid1(SALU_CYCLE_1)
	s_and_b32 s8, exec_lo, s7
	s_or_b32 s4, s8, s4
	s_and_not1_b32 s5, s5, exec_lo
	s_and_b32 s8, s6, exec_lo
	s_delay_alu instid0(SALU_CYCLE_1)
	s_or_b32 s5, s5, s8
	s_and_not1_b32 exec_lo, exec_lo, s4
	s_cbranch_execz .LBB11_259
.LBB11_257:                             ; =>This Inner Loop Header: Depth=1
	v_ashrrev_i32_e32 v2, 31, v11
	v_add_co_u32 v4, vcc_lo, s42, v11
	s_or_b32 s6, s6, exec_lo
	s_or_b32 s7, s7, exec_lo
	s_delay_alu instid0(VALU_DEP_2)
	v_add_co_ci_u32_e32 v5, vcc_lo, s43, v2, vcc_lo
	v_mov_b32_e32 v2, v0
	s_mov_b32 s8, exec_lo
                                        ; implicit-def: $vgpr0
	global_load_u8 v4, v[4:5], off
	s_waitcnt vmcnt(0)
	v_cmpx_ne_u16_e64 v4, v3
	s_cbranch_execz .LBB11_256
; %bb.258:                              ;   in Loop: Header=BB11_257 Depth=1
	v_add_nc_u32_e32 v0, s47, v2
	s_and_not1_b32 s7, s7, exec_lo
	v_add_nc_u32_e32 v11, s54, v11
	s_and_not1_b32 s6, s6, exec_lo
	s_delay_alu instid0(VALU_DEP_2) | instskip(SKIP_1) | instid1(SALU_CYCLE_1)
	v_cmp_ge_i32_e32 vcc_lo, v0, v1
	s_and_b32 s9, vcc_lo, exec_lo
	s_or_b32 s7, s7, s9
	s_branch .LBB11_256
.LBB11_259:
	s_set_inst_prefetch_distance 0x2
	s_or_b32 exec_lo, exec_lo, s4
	s_and_saveexec_b32 s4, s5
	s_delay_alu instid0(SALU_CYCLE_1)
	s_xor_b32 s4, exec_lo, s4
	s_cbranch_execz .LBB11_264
; %bb.260:
	s_mov_b32 s5, exec_lo
	s_brev_b32 s4, -2
.LBB11_261:                             ; =>This Inner Loop Header: Depth=1
	s_ctz_i32_b32 s6, s5
	s_delay_alu instid0(SALU_CYCLE_1) | instskip(SKIP_1) | instid1(SALU_CYCLE_1)
	v_readlane_b32 s7, v2, s6
	s_lshl_b32 s6, 1, s6
	s_and_not1_b32 s5, s5, s6
	s_delay_alu instid0(VALU_DEP_1)
	s_min_i32 s4, s4, s7
	s_cmp_lg_u32 s5, 0
	s_cbranch_scc1 .LBB11_261
; %bb.262:
	v_mbcnt_lo_u32_b32 v0, exec_lo, 0
	s_mov_b32 s5, exec_lo
	s_delay_alu instid0(VALU_DEP_1)
	v_cmpx_eq_u32_e32 0, v0
	s_xor_b32 s5, exec_lo, s5
	s_cbranch_execz .LBB11_264
; %bb.263:
	v_dual_mov_b32 v0, 0 :: v_dual_mov_b32 v1, s4
	ds_min_i32 v0, v1 offset:4108
.LBB11_264:
	s_or_b32 exec_lo, exec_lo, s3
	s_waitcnt lgkmcnt(0)
	s_barrier
	buffer_gl0_inv
	s_and_saveexec_b32 s3, s2
	s_cbranch_execz .LBB11_266
; %bb.265:
	v_mov_b32_e32 v2, 0
	s_mul_i32 s2, s30, s38
	s_mul_i32 s4, s46, s33
	s_add_i32 s2, s2, s29
	s_add_i32 s4, s4, s31
	ds_load_b32 v0, v2 offset:4108
	s_ashr_i32 s5, s2, 31
	s_add_u32 s6, s40, s2
	s_addc_u32 s7, s41, s5
	s_ashr_i32 s5, s4, 31
	s_delay_alu instid0(SALU_CYCLE_1) | instskip(NEXT) | instid1(SALU_CYCLE_1)
	s_lshl_b64 s[4:5], s[4:5], 3
	s_add_u32 s4, s34, s4
	s_addc_u32 s5, s35, s5
	s_waitcnt lgkmcnt(0)
	v_ashrrev_i32_e32 v1, 31, v0
	s_clause 0x1
	global_store_b64 v2, v[0:1], s[4:5]
	global_store_b8 v2, v22, s[6:7]
.LBB11_266:
	s_or_b32 exec_lo, exec_lo, s3
.LBB11_267:
	s_or_saveexec_b32 s1, s1
	s_mov_b32 s2, 0
	s_xor_b32 exec_lo, exec_lo, s1
	s_cbranch_execnz .LBB11_275
.LBB11_268:
	s_or_b32 exec_lo, exec_lo, s1
	s_delay_alu instid0(SALU_CYCLE_1)
	s_and_b32 s1, s2, exec_lo
.LBB11_269:
	s_and_not1_saveexec_b32 s0, s0
	s_cbranch_execnz .LBB11_273
; %bb.270:
	s_or_b32 exec_lo, exec_lo, s0
	s_and_saveexec_b32 s0, s1
.LBB11_271:
	; divergent unreachable
.LBB11_272:
	s_nop 0
	s_sendmsg sendmsg(MSG_DEALLOC_VGPRS)
	s_endpgm
.LBB11_273:
	s_cbranch_execnz .LBB11_277
; %bb.274:
	s_or_b32 s1, s1, exec_lo
	s_or_b32 exec_lo, exec_lo, s0
	s_and_saveexec_b32 s0, s1
	s_cbranch_execnz .LBB11_271
	s_branch .LBB11_272
.LBB11_275:
	s_cbranch_execnz .LBB11_279
; %bb.276:
	s_mov_b32 s2, exec_lo
	s_branch .LBB11_268
.LBB11_277:
	s_trap 2
	s_sendmsg_rtn_b32 s0, sendmsg(MSG_RTN_GET_DOORBELL)
	s_mov_b32 ttmp2, m0
	s_waitcnt lgkmcnt(0)
	s_and_b32 s0, s0, 0x3ff
	s_delay_alu instid0(SALU_CYCLE_1) | instskip(NEXT) | instid1(SALU_CYCLE_1)
	s_bitset1_b32 s0, 10
	s_mov_b32 m0, s0
	s_sendmsg sendmsg(MSG_INTERRUPT)
	s_mov_b32 m0, ttmp2
.LBB11_278:                             ; =>This Inner Loop Header: Depth=1
	s_sethalt 5
	s_branch .LBB11_278
.LBB11_279:
	s_trap 2
	s_sendmsg_rtn_b32 s0, sendmsg(MSG_RTN_GET_DOORBELL)
	s_mov_b32 ttmp2, m0
	s_waitcnt lgkmcnt(0)
	s_and_b32 s0, s0, 0x3ff
	s_delay_alu instid0(SALU_CYCLE_1) | instskip(NEXT) | instid1(SALU_CYCLE_1)
	s_bitset1_b32 s0, 10
	s_mov_b32 m0, s0
	s_sendmsg sendmsg(MSG_INTERRUPT)
	s_mov_b32 m0, ttmp2
.LBB11_280:                             ; =>This Inner Loop Header: Depth=1
	s_sethalt 5
	s_branch .LBB11_280
	.section	.rodata,"a",@progbits
	.p2align	6, 0x0
	.amdhsa_kernel _ZN2at6native12_GLOBAL__N_114gatherKthValueIaiLin1EEEvNS_4cuda6detail10TensorInfoIKT_T0_EES8_S8_S8_S8_NS5_IS6_S8_EENS5_IlS8_EE
		.amdhsa_group_segment_fixed_size 4112
		.amdhsa_private_segment_fixed_size 0
		.amdhsa_kernarg_size 920
		.amdhsa_user_sgpr_count 13
		.amdhsa_user_sgpr_dispatch_ptr 0
		.amdhsa_user_sgpr_queue_ptr 0
		.amdhsa_user_sgpr_kernarg_segment_ptr 1
		.amdhsa_user_sgpr_dispatch_id 0
		.amdhsa_user_sgpr_private_segment_size 0
		.amdhsa_wavefront_size32 1
		.amdhsa_uses_dynamic_stack 0
		.amdhsa_enable_private_segment 0
		.amdhsa_system_sgpr_workgroup_id_x 1
		.amdhsa_system_sgpr_workgroup_id_y 1
		.amdhsa_system_sgpr_workgroup_id_z 1
		.amdhsa_system_sgpr_workgroup_info 0
		.amdhsa_system_vgpr_workitem_id 0
		.amdhsa_next_free_vgpr 36
		.amdhsa_next_free_sgpr 83
		.amdhsa_reserve_vcc 1
		.amdhsa_float_round_mode_32 0
		.amdhsa_float_round_mode_16_64 0
		.amdhsa_float_denorm_mode_32 3
		.amdhsa_float_denorm_mode_16_64 3
		.amdhsa_dx10_clamp 1
		.amdhsa_ieee_mode 1
		.amdhsa_fp16_overflow 0
		.amdhsa_workgroup_processor_mode 1
		.amdhsa_memory_ordered 1
		.amdhsa_forward_progress 0
		.amdhsa_shared_vgpr_count 0
		.amdhsa_exception_fp_ieee_invalid_op 0
		.amdhsa_exception_fp_denorm_src 0
		.amdhsa_exception_fp_ieee_div_zero 0
		.amdhsa_exception_fp_ieee_overflow 0
		.amdhsa_exception_fp_ieee_underflow 0
		.amdhsa_exception_fp_ieee_inexact 0
		.amdhsa_exception_int_div_zero 0
	.end_amdhsa_kernel
	.section	.text._ZN2at6native12_GLOBAL__N_114gatherKthValueIaiLin1EEEvNS_4cuda6detail10TensorInfoIKT_T0_EES8_S8_S8_S8_NS5_IS6_S8_EENS5_IlS8_EE,"axG",@progbits,_ZN2at6native12_GLOBAL__N_114gatherKthValueIaiLin1EEEvNS_4cuda6detail10TensorInfoIKT_T0_EES8_S8_S8_S8_NS5_IS6_S8_EENS5_IlS8_EE,comdat
.Lfunc_end11:
	.size	_ZN2at6native12_GLOBAL__N_114gatherKthValueIaiLin1EEEvNS_4cuda6detail10TensorInfoIKT_T0_EES8_S8_S8_S8_NS5_IS6_S8_EENS5_IlS8_EE, .Lfunc_end11-_ZN2at6native12_GLOBAL__N_114gatherKthValueIaiLin1EEEvNS_4cuda6detail10TensorInfoIKT_T0_EES8_S8_S8_S8_NS5_IS6_S8_EENS5_IlS8_EE
                                        ; -- End function
	.section	.AMDGPU.csdata,"",@progbits
; Kernel info:
; codeLenInByte = 10572
; NumSgprs: 85
; NumVgprs: 36
; ScratchSize: 0
; MemoryBound: 0
; FloatMode: 240
; IeeeMode: 1
; LDSByteSize: 4112 bytes/workgroup (compile time only)
; SGPRBlocks: 10
; VGPRBlocks: 4
; NumSGPRsForWavesPerEU: 85
; NumVGPRsForWavesPerEU: 36
; Occupancy: 16
; WaveLimiterHint : 1
; COMPUTE_PGM_RSRC2:SCRATCH_EN: 0
; COMPUTE_PGM_RSRC2:USER_SGPR: 13
; COMPUTE_PGM_RSRC2:TRAP_HANDLER: 0
; COMPUTE_PGM_RSRC2:TGID_X_EN: 1
; COMPUTE_PGM_RSRC2:TGID_Y_EN: 1
; COMPUTE_PGM_RSRC2:TGID_Z_EN: 1
; COMPUTE_PGM_RSRC2:TIDIG_COMP_CNT: 0
	.section	.text._ZN2at6native12_GLOBAL__N_114gatherKthValueIalLi1EEEvNS_4cuda6detail10TensorInfoIKT_T0_EES8_S8_S8_S8_NS5_IS6_S8_EENS5_IlS8_EE,"axG",@progbits,_ZN2at6native12_GLOBAL__N_114gatherKthValueIalLi1EEEvNS_4cuda6detail10TensorInfoIKT_T0_EES8_S8_S8_S8_NS5_IS6_S8_EENS5_IlS8_EE,comdat
	.globl	_ZN2at6native12_GLOBAL__N_114gatherKthValueIalLi1EEEvNS_4cuda6detail10TensorInfoIKT_T0_EES8_S8_S8_S8_NS5_IS6_S8_EENS5_IlS8_EE ; -- Begin function _ZN2at6native12_GLOBAL__N_114gatherKthValueIalLi1EEEvNS_4cuda6detail10TensorInfoIKT_T0_EES8_S8_S8_S8_NS5_IS6_S8_EENS5_IlS8_EE
	.p2align	8
	.type	_ZN2at6native12_GLOBAL__N_114gatherKthValueIalLi1EEEvNS_4cuda6detail10TensorInfoIKT_T0_EES8_S8_S8_S8_NS5_IS6_S8_EENS5_IlS8_EE,@function
_ZN2at6native12_GLOBAL__N_114gatherKthValueIalLi1EEEvNS_4cuda6detail10TensorInfoIKT_T0_EES8_S8_S8_S8_NS5_IS6_S8_EENS5_IlS8_EE: ; @_ZN2at6native12_GLOBAL__N_114gatherKthValueIalLi1EEEvNS_4cuda6detail10TensorInfoIKT_T0_EES8_S8_S8_S8_NS5_IS6_S8_EENS5_IlS8_EE
; %bb.0:
	s_clause 0x1
	s_load_b64 s[6:7], s[0:1], 0x500
	s_load_b256 s[24:31], s[0:1], 0x1a0
	s_add_u32 s4, s0, 0x500
	s_addc_u32 s5, s1, 0
	s_mov_b32 s35, 0
	s_waitcnt lgkmcnt(0)
	s_mul_i32 s2, s7, s15
	s_delay_alu instid0(SALU_CYCLE_1) | instskip(NEXT) | instid1(SALU_CYCLE_1)
	s_add_i32 s2, s2, s14
	s_mul_i32 s2, s2, s6
	s_delay_alu instid0(SALU_CYCLE_1) | instskip(NEXT) | instid1(SALU_CYCLE_1)
	s_add_i32 s34, s2, s13
	v_cmp_ge_i64_e64 s2, s[34:35], s[28:29]
	s_delay_alu instid0(VALU_DEP_1)
	s_and_b32 vcc_lo, exec_lo, s2
	s_cbranch_vccnz .LBB12_300
; %bb.1:
	s_clause 0x5
	s_load_b64 s[38:39], s[0:1], 0x430
	s_load_b64 s[28:29], s[0:1], 0x360
	;; [unrolled: 1-line block ×6, first 2 shown]
	v_cmp_eq_u32_e64 s0, 0, v0
	s_delay_alu instid0(VALU_DEP_1)
	s_and_saveexec_b32 s1, s0
	s_cbranch_execz .LBB12_3
; %bb.2:
	v_dual_mov_b32 v1, 0 :: v_dual_mov_b32 v4, s25
	s_delay_alu instid0(VALU_DEP_1)
	v_dual_mov_b32 v3, s24 :: v_dual_mov_b32 v2, v1
	ds_store_b32 v1, v1 offset:5136
	ds_store_b128 v1, v[1:4] offset:5120
.LBB12_3:
	s_or_b32 exec_lo, exec_lo, s1
	v_mad_u64_u32 v[2:3], null, v0, s30, 0
	s_waitcnt lgkmcnt(0)
	s_mul_i32 s1, s9, s34
	s_mul_hi_u32 s7, s8, s34
	s_mul_i32 s8, s8, s34
	s_add_i32 s7, s7, s1
	s_add_u32 s42, s2, s8
	s_addc_u32 s43, s3, s7
	v_dual_mov_b32 v1, v3 :: v_dual_lshlrev_b32 v14, 2, v0
	s_barrier
	buffer_gl0_inv
	s_load_b32 s7, s[4:5], 0xc
	v_or_b32_e32 v9, 3, v14
	v_or_b32_e32 v12, 2, v14
	v_mbcnt_lo_u32_b32 v29, -1, 0
	v_mad_u64_u32 v[3:4], null, v0, s31, v[1:2]
	s_delay_alu instid0(VALU_DEP_4) | instskip(NEXT) | instid1(VALU_DEP_4)
	v_mad_u64_u32 v[16:17], null, s30, v9, 0
	v_mad_u64_u32 v[18:19], null, s30, v12, 0
	s_delay_alu instid0(VALU_DEP_4)
	v_lshlrev_b64 v[4:5], v29, -1
	v_mad_u64_u32 v[20:21], null, s30, v14, s[30:31]
	v_cmp_gt_u32_e32 vcc_lo, 32, v0
	v_cmp_gt_i32_e64 s1, 4, v29
	v_lshrrev_b32_e32 v6, 3, v0
	v_not_b32_e32 v31, v4
	v_dual_mov_b32 v4, v17 :: v_dual_mov_b32 v5, v19
	s_delay_alu instid0(VALU_DEP_3)
	v_dual_mov_b32 v13, 0 :: v_dual_and_b32 v30, 0x7c, v6
	s_waitcnt lgkmcnt(0)
	s_and_b32 s33, s7, 0xffff
	s_and_b32 s65, vcc_lo, s1
	v_mad_u64_u32 v[7:8], null, s31, v9, v[4:5]
	s_bfe_u32 s8, s7, 0xb0005
	v_mov_b32_e32 v6, v21
	s_add_u32 s68, s33, -1
	s_addc_u32 s69, 0, -1
	s_add_u32 s70, s68, s24
	s_addc_u32 s47, s69, s25
	s_delay_alu instid0(VALU_DEP_2)
	v_mov_b32_e32 v17, v7
	s_cmp_lt_u32 s13, s6
	v_mad_u64_u32 v[8:9], null, s31, v12, v[5:6]
	v_mad_u64_u32 v[4:5], null, s31, v14, v[6:7]
	s_cselect_b32 s6, 12, 18
	v_mov_b32_e32 v1, v13
	s_add_u32 s48, s4, s6
	s_addc_u32 s49, s5, 0
	s_add_i32 s4, s8, -1
	s_bfe_u32 s71, s33, 0x30005
	s_delay_alu instid0(VALU_DEP_2)
	v_mov_b32_e32 v32, v4
	v_add_co_u32 v10, vcc_lo, s42, v2
	s_cmp_gt_u32 s4, 6
	v_add_co_u32 v33, s4, s24, v0
	v_cmp_lt_i64_e64 s66, 0xc00, s[24:25]
	v_cmp_gt_i64_e64 s1, s[24:25], v[0:1]
	v_lshlrev_b64 v[21:22], 2, v[2:3]
	v_cmp_eq_u32_e64 s2, 0, v29
	v_cmp_gt_u32_e64 s3, 2, v0
	v_add_co_ci_u32_e32 v11, vcc_lo, s43, v3, vcc_lo
	v_mov_b32_e32 v15, v13
	v_cmp_gt_u16_e64 s67, s7, 31
	s_cselect_b32 s72, -1, 0
	s_and_b32 s73, s8, 0x7f8
	v_mov_b32_e32 v19, v8
	v_add_co_ci_u32_e64 v34, null, s25, 0, s4
	v_lshl_or_b32 v35, v29, 3, 0xc00
	v_cvt_f32_ubyte0_e32 v36, 0
	v_mov_b32_e32 v37, 0
	s_cmp_lg_u32 s71, 0
	s_mul_i32 s4, s31, s33
	s_mul_hi_u32 s5, s30, s33
	s_mov_b32 s45, 0
	s_mov_b32 s75, 6
	s_cselect_b32 s74, -1, 0
	s_lshl_b64 s[50:51], s[30:31], 2
	s_add_i32 s35, s5, s4
	s_mul_i32 s64, s30, s33
	s_mov_b32 s76, 0
	s_mov_b32 s80, 0
	;; [unrolled: 1-line block ×4, first 2 shown]
                                        ; implicit-def: $sgpr77
                                        ; implicit-def: $sgpr79
                                        ; implicit-def: $sgpr78
                                        ; implicit-def: $sgpr82
                                        ; implicit-def: $sgpr83
                                        ; implicit-def: $sgpr81
	s_branch .LBB12_8
.LBB12_4:                               ;   in Loop: Header=BB12_8 Depth=1
	s_xor_b32 s80, s80, 1
	s_add_i32 s7, s75, -2
	s_cmp_eq_u32 s75, 0
	s_mov_b32 s5, 0
	s_cselect_b32 s6, -1, 0
	s_mov_b32 s75, s7
.LBB12_5:                               ;   in Loop: Header=BB12_8 Depth=1
	s_and_not1_b32 s7, s20, exec_lo
	s_and_b32 s5, s5, exec_lo
	s_and_not1_b32 s21, s21, exec_lo
	s_or_b32 s20, s7, s5
	s_and_not1_b32 s19, s19, exec_lo
	s_or_not1_b32 s15, s6, exec_lo
.LBB12_6:                               ;   in Loop: Header=BB12_8 Depth=1
	s_or_b32 exec_lo, exec_lo, s4
	s_delay_alu instid0(SALU_CYCLE_1)
	s_and_not1_b32 s4, s81, exec_lo
	s_and_b32 s5, s20, exec_lo
	s_and_not1_b32 s6, s82, exec_lo
	s_or_b32 s81, s4, s5
	s_and_not1_b32 s4, s83, exec_lo
	s_and_b32 s5, s21, exec_lo
	s_and_b32 s7, s19, exec_lo
	s_or_b32 s83, s4, s5
	s_or_b32 s82, s6, s7
	s_or_not1_b32 s19, s15, exec_lo
.LBB12_7:                               ;   in Loop: Header=BB12_8 Depth=1
	s_or_b32 exec_lo, exec_lo, s14
	s_delay_alu instid0(SALU_CYCLE_1)
	s_and_b32 s4, exec_lo, s19
	v_mov_b32_e32 v2, s85
	s_or_b32 s76, s4, s76
	s_and_not1_b32 s4, s78, exec_lo
	s_and_b32 s5, s81, exec_lo
	s_and_not1_b32 s6, s77, exec_lo
	s_or_b32 s78, s4, s5
	s_and_not1_b32 s4, s79, exec_lo
	s_and_b32 s5, s83, exec_lo
	s_and_b32 s7, s82, exec_lo
	s_or_b32 s79, s4, s5
	s_or_b32 s77, s6, s7
	s_and_not1_b32 exec_lo, exec_lo, s76
	s_cbranch_execz .LBB12_274
.LBB12_8:                               ; =>This Loop Header: Depth=1
                                        ;     Child Loop BB12_13 Depth 2
                                        ;     Child Loop BB12_32 Depth 2
	;; [unrolled: 1-line block ×16, first 2 shown]
	ds_load_b128 v[2:5], v13 offset:5120
	s_waitcnt lgkmcnt(0)
	v_readfirstlane_b32 s53, v3
	v_readfirstlane_b32 s52, v2
	s_delay_alu instid0(VALU_DEP_1) | instskip(NEXT) | instid1(VALU_DEP_1)
	v_cmp_gt_i64_e64 s4, s[52:53], 0
	s_and_b32 vcc_lo, exec_lo, s4
	s_cbranch_vccnz .LBB12_39
; %bb.9:                                ;   in Loop: Header=BB12_8 Depth=1
	s_and_b32 vcc_lo, exec_lo, s66
	s_cbranch_vccz .LBB12_21
; %bb.10:                               ;   in Loop: Header=BB12_8 Depth=1
	v_cmp_gt_i64_e32 vcc_lo, 0xc01, v[4:5]
	s_mov_b32 s6, 0
	s_mov_b32 s4, 0
	s_cbranch_vccz .LBB12_26
; %bb.11:                               ;   in Loop: Header=BB12_8 Depth=1
	global_load_u16 v6, v13, s[48:49]
	global_load_u8 v7, v[10:11], off
	s_mov_b32 s8, 0
	s_waitcnt vmcnt(1)
	v_readfirstlane_b32 s4, v6
	v_and_b32_e32 v6, 0xffff, v6
	s_delay_alu instid0(VALU_DEP_2) | instskip(NEXT) | instid1(SALU_CYCLE_1)
	s_and_b32 s4, 0xffff, s4
	v_add_nc_u32_e32 v8, s4, v0
	s_mul_i32 s5, s31, s4
	s_mul_hi_u32 s7, s30, s4
	s_mul_i32 s9, s30, s4
	s_add_i32 s7, s7, s5
	v_mad_u64_u32 v[2:3], null, s30, v8, s[42:43]
	s_delay_alu instid0(VALU_DEP_1) | instskip(NEXT) | instid1(VALU_DEP_1)
	v_mad_u64_u32 v[4:5], null, s31, v8, v[3:4]
	v_mov_b32_e32 v3, v4
	v_dual_mov_b32 v5, v1 :: v_dual_mov_b32 v4, v0
	s_branch .LBB12_13
.LBB12_12:                              ;   in Loop: Header=BB12_13 Depth=2
	s_or_b32 exec_lo, exec_lo, s5
	v_add_co_u32 v2, vcc_lo, v2, s9
	v_add_co_ci_u32_e32 v3, vcc_lo, s7, v3, vcc_lo
	v_mov_b32_e32 v7, v8
	s_and_not1_b32 exec_lo, exec_lo, s8
	s_cbranch_execz .LBB12_22
.LBB12_13:                              ;   Parent Loop BB12_8 Depth=1
                                        ; =>  This Inner Loop Header: Depth=2
	s_delay_alu instid0(VALU_DEP_1) | instskip(NEXT) | instid1(VALU_DEP_2)
	v_add_co_u32 v4, vcc_lo, v4, v6
	v_add_co_ci_u32_e32 v5, vcc_lo, 0, v5, vcc_lo
	s_waitcnt lgkmcnt(0)
	v_dual_mov_b32 v9, 0 :: v_dual_mov_b32 v8, 0
	s_mov_b32 s5, exec_lo
	s_delay_alu instid0(VALU_DEP_2)
	v_cmp_le_i64_e32 vcc_lo, s[24:25], v[4:5]
	v_cmpx_gt_i64_e64 s[24:25], v[4:5]
	s_cbranch_execz .LBB12_15
; %bb.14:                               ;   in Loop: Header=BB12_13 Depth=2
	global_load_u8 v8, v[2:3], off
.LBB12_15:                              ;   in Loop: Header=BB12_13 Depth=2
	s_or_b32 exec_lo, exec_lo, s5
	s_waitcnt vmcnt(0)
	v_bfe_i32 v12, v7, 0, 8
	s_delay_alu instid0(VALU_DEP_1) | instskip(NEXT) | instid1(VALU_DEP_1)
	v_add_nc_u32_e32 v12, 0x80, v12
	v_and_b32_e32 v12, s84, v12
	s_delay_alu instid0(VALU_DEP_1) | instskip(NEXT) | instid1(VALU_DEP_1)
	v_cmp_eq_u32_e64 s4, s85, v12
	s_cmp_lg_u32 s4, 0
	s_cselect_b32 s5, -1, 0
	s_delay_alu instid0(SALU_CYCLE_1) | instskip(NEXT) | instid1(SALU_CYCLE_1)
	s_and_b32 s5, s2, s5
	s_and_saveexec_b32 s10, s5
	s_cbranch_execz .LBB12_19
; %bb.16:                               ;   in Loop: Header=BB12_13 Depth=2
	s_mov_b32 s13, exec_lo
	s_bcnt1_i32_b32 s11, s4
	v_mbcnt_lo_u32_b32 v9, s13, 0
	s_mov_b32 s12, exec_lo
                                        ; implicit-def: $vgpr12
	s_delay_alu instid0(VALU_DEP_1)
	v_cmpx_eq_u32_e32 0, v9
	s_cbranch_execz .LBB12_18
; %bb.17:                               ;   in Loop: Header=BB12_13 Depth=2
	s_bcnt1_i32_b32 s5, s13
	s_delay_alu instid0(SALU_CYCLE_1) | instskip(NEXT) | instid1(SALU_CYCLE_1)
	s_mul_i32 s5, s11, s5
	v_mov_b32_e32 v12, s5
	ds_add_rtn_u32 v12, v13, v12 offset:5136
.LBB12_18:                              ;   in Loop: Header=BB12_13 Depth=2
	s_or_b32 exec_lo, exec_lo, s12
	s_waitcnt lgkmcnt(0)
	v_readfirstlane_b32 s5, v12
	s_delay_alu instid0(VALU_DEP_1)
	v_mad_u32_u24 v9, s11, v9, s5
.LBB12_19:                              ;   in Loop: Header=BB12_13 Depth=2
	s_or_b32 exec_lo, exec_lo, s10
	ds_bpermute_b32 v9, v13, v9
	s_and_b32 s5, exec_lo, vcc_lo
	s_delay_alu instid0(SALU_CYCLE_1)
	s_or_b32 s8, s5, s8
	s_and_saveexec_b32 s5, s4
	s_cbranch_execz .LBB12_12
; %bb.20:                               ;   in Loop: Header=BB12_13 Depth=2
	v_and_b32_e32 v12, s4, v31
	s_waitcnt lgkmcnt(0)
	s_delay_alu instid0(VALU_DEP_1)
	v_bcnt_u32_b32 v9, v12, v9
	ds_store_b8 v9, v7
	s_branch .LBB12_12
.LBB12_21:                              ;   in Loop: Header=BB12_8 Depth=1
	s_mov_b32 s6, -1
	s_mov_b32 s4, 0
	s_branch .LBB12_25
.LBB12_22:                              ;   in Loop: Header=BB12_8 Depth=1
	s_or_b32 exec_lo, exec_lo, s8
	s_waitcnt lgkmcnt(0)
	s_barrier
	buffer_gl0_inv
	s_and_saveexec_b32 s4, s0
	s_cbranch_execz .LBB12_24
; %bb.23:                               ;   in Loop: Header=BB12_8 Depth=1
	ds_load_b32 v2, v13 offset:5136
	s_waitcnt lgkmcnt(0)
	v_ashrrev_i32_e32 v3, 31, v2
	ds_store_b64 v13, v[2:3] offset:5120
.LBB12_24:                              ;   in Loop: Header=BB12_8 Depth=1
	s_or_b32 exec_lo, exec_lo, s4
	s_waitcnt lgkmcnt(0)
	s_mov_b32 s4, -1
	s_barrier
.LBB12_25:                              ;   in Loop: Header=BB12_8 Depth=1
                                        ; implicit-def: $sgpr52_sgpr53
.LBB12_26:                              ;   in Loop: Header=BB12_8 Depth=1
	s_and_b32 vcc_lo, exec_lo, s6
	s_cbranch_vccz .LBB12_37
; %bb.27:                               ;   in Loop: Header=BB12_8 Depth=1
	v_mov_b32_e32 v6, 0
	s_and_saveexec_b32 s4, s1
	s_cbranch_execz .LBB12_29
; %bb.28:                               ;   in Loop: Header=BB12_8 Depth=1
	global_load_u8 v6, v[10:11], off
.LBB12_29:                              ;   in Loop: Header=BB12_8 Depth=1
	s_or_b32 exec_lo, exec_lo, s4
	s_and_saveexec_b32 s5, s1
	s_cbranch_execz .LBB12_34
; %bb.30:                               ;   in Loop: Header=BB12_8 Depth=1
	global_load_u16 v8, v13, s[48:49]
	s_mov_b32 s9, 0
	s_waitcnt vmcnt(0)
	v_readfirstlane_b32 s4, v8
	v_and_b32_e32 v8, 0xffff, v8
	s_delay_alu instid0(VALU_DEP_2) | instskip(NEXT) | instid1(SALU_CYCLE_1)
	s_and_b32 s6, 0xffff, s4
	v_add_nc_u32_e32 v7, s6, v0
	s_mul_i32 s4, s31, s6
	s_mul_hi_u32 s7, s30, s6
	s_mul_i32 s8, s30, s6
	s_add_i32 s7, s7, s4
	v_mad_u64_u32 v[2:3], null, s30, v7, s[42:43]
	s_delay_alu instid0(VALU_DEP_1) | instskip(SKIP_1) | instid1(VALU_DEP_2)
	v_mad_u64_u32 v[4:5], null, s31, v7, v[3:4]
	v_mov_b32_e32 v7, v0
	v_mov_b32_e32 v3, v4
	v_dual_mov_b32 v5, v1 :: v_dual_mov_b32 v4, v0
	s_branch .LBB12_32
	.p2align	6
.LBB12_31:                              ;   in Loop: Header=BB12_32 Depth=2
	s_or_b32 exec_lo, exec_lo, s10
	s_delay_alu instid0(SALU_CYCLE_1)
	s_and_b32 s4, exec_lo, vcc_lo
	v_add_co_u32 v2, vcc_lo, v2, s8
	ds_store_b8 v7, v6
	s_waitcnt vmcnt(0)
	v_dual_mov_b32 v6, v9 :: v_dual_add_nc_u32 v7, s6, v7
	v_add_co_ci_u32_e32 v3, vcc_lo, s7, v3, vcc_lo
	s_or_b32 s9, s4, s9
	s_delay_alu instid0(SALU_CYCLE_1)
	s_and_not1_b32 exec_lo, exec_lo, s9
	s_cbranch_execz .LBB12_34
.LBB12_32:                              ;   Parent Loop BB12_8 Depth=1
                                        ; =>  This Inner Loop Header: Depth=2
	s_delay_alu instid0(VALU_DEP_1) | instskip(NEXT) | instid1(VALU_DEP_2)
	v_add_co_u32 v4, vcc_lo, v4, v8
	v_add_co_ci_u32_e32 v5, vcc_lo, 0, v5, vcc_lo
	v_mov_b32_e32 v9, 0
	s_mov_b32 s10, exec_lo
	s_delay_alu instid0(VALU_DEP_2)
	v_cmp_le_i64_e32 vcc_lo, s[24:25], v[4:5]
	v_cmpx_gt_i64_e64 s[24:25], v[4:5]
	s_cbranch_execz .LBB12_31
; %bb.33:                               ;   in Loop: Header=BB12_32 Depth=2
	global_load_u8 v9, v[2:3], off
	s_branch .LBB12_31
.LBB12_34:                              ;   in Loop: Header=BB12_8 Depth=1
	s_or_b32 exec_lo, exec_lo, s5
	s_waitcnt vmcnt(0) lgkmcnt(0)
	s_barrier
	buffer_gl0_inv
	s_and_saveexec_b32 s4, s0
	s_cbranch_execz .LBB12_36
; %bb.35:                               ;   in Loop: Header=BB12_8 Depth=1
	v_dual_mov_b32 v2, s24 :: v_dual_mov_b32 v3, s25
	ds_store_b64 v13, v[2:3] offset:5120
.LBB12_36:                              ;   in Loop: Header=BB12_8 Depth=1
	s_or_b32 exec_lo, exec_lo, s4
	s_mov_b32 s4, -1
	s_waitcnt lgkmcnt(0)
	s_barrier
                                        ; implicit-def: $sgpr52_sgpr53
.LBB12_37:                              ;   in Loop: Header=BB12_8 Depth=1
	s_and_b32 vcc_lo, exec_lo, s4
	s_cbranch_vccz .LBB12_39
; %bb.38:                               ;   in Loop: Header=BB12_8 Depth=1
	buffer_gl0_inv
	ds_load_b64 v[2:3], v13 offset:5120
	s_waitcnt lgkmcnt(0)
	v_readfirstlane_b32 s52, v2
.LBB12_39:                              ;   in Loop: Header=BB12_8 Depth=1
	s_delay_alu instid0(VALU_DEP_1)
	s_cmp_lt_i32 s52, 1
	s_cbranch_scc0 .LBB12_54
; %bb.40:                               ;   in Loop: Header=BB12_8 Depth=1
	global_load_u16 v2, v13, s[48:49]
	s_mov_b32 s5, s25
	s_waitcnt vmcnt(0)
	v_readfirstlane_b32 s4, v2
	s_delay_alu instid0(VALU_DEP_1)
	s_and_b32 s44, s4, 0xffff
	s_mov_b32 s4, s45
	s_lshl_b32 s46, s44, 2
	s_cmp_lg_u64 s[4:5], 0
	s_cbranch_scc0 .LBB12_74
; %bb.41:                               ;   in Loop: Header=BB12_8 Depth=1
	v_cvt_f32_u32_e32 v2, s46
	s_sub_u32 s6, 0, s46
	s_subb_u32 s7, 0, 0
	s_delay_alu instid0(VALU_DEP_1) | instskip(NEXT) | instid1(VALU_DEP_1)
	v_fmac_f32_e32 v2, 0x4f800000, v36
	v_rcp_f32_e32 v2, v2
	s_waitcnt_depctr 0xfff
	v_mul_f32_e32 v2, 0x5f7ffffc, v2
	s_delay_alu instid0(VALU_DEP_1) | instskip(NEXT) | instid1(VALU_DEP_1)
	v_mul_f32_e32 v3, 0x2f800000, v2
	v_trunc_f32_e32 v3, v3
	s_delay_alu instid0(VALU_DEP_1) | instskip(SKIP_1) | instid1(VALU_DEP_2)
	v_fmac_f32_e32 v2, 0xcf800000, v3
	v_cvt_u32_f32_e32 v3, v3
	v_cvt_u32_f32_e32 v2, v2
	s_delay_alu instid0(VALU_DEP_2) | instskip(NEXT) | instid1(VALU_DEP_2)
	v_readfirstlane_b32 s4, v3
	v_readfirstlane_b32 s5, v2
	s_delay_alu instid0(VALU_DEP_2) | instskip(NEXT) | instid1(VALU_DEP_1)
	s_mul_i32 s8, s6, s4
	s_mul_hi_u32 s10, s6, s5
	s_mul_i32 s9, s7, s5
	s_add_i32 s8, s10, s8
	s_mul_i32 s11, s6, s5
	s_add_i32 s8, s8, s9
	s_mul_hi_u32 s10, s5, s11
	s_mul_hi_u32 s12, s4, s11
	s_mul_i32 s9, s4, s11
	s_mul_hi_u32 s11, s5, s8
	s_mul_i32 s5, s5, s8
	s_mul_hi_u32 s13, s4, s8
	s_add_u32 s5, s10, s5
	s_addc_u32 s10, 0, s11
	s_add_u32 s5, s5, s9
	s_mul_i32 s8, s4, s8
	s_addc_u32 s5, s10, s12
	s_addc_u32 s9, s13, 0
	s_add_u32 s5, s5, s8
	s_addc_u32 s8, 0, s9
	v_add_co_u32 v2, s5, v2, s5
	s_delay_alu instid0(VALU_DEP_1) | instskip(SKIP_1) | instid1(VALU_DEP_1)
	s_cmp_lg_u32 s5, 0
	s_addc_u32 s4, s4, s8
	v_readfirstlane_b32 s5, v2
	s_mul_i32 s8, s6, s4
	s_delay_alu instid0(VALU_DEP_1)
	s_mul_hi_u32 s9, s6, s5
	s_mul_i32 s7, s7, s5
	s_add_i32 s8, s9, s8
	s_mul_i32 s6, s6, s5
	s_add_i32 s8, s8, s7
	s_mul_hi_u32 s9, s4, s6
	s_mul_i32 s10, s4, s6
	s_mul_hi_u32 s6, s5, s6
	s_mul_hi_u32 s11, s5, s8
	s_mul_i32 s5, s5, s8
	s_mul_hi_u32 s7, s4, s8
	s_add_u32 s5, s6, s5
	s_addc_u32 s6, 0, s11
	s_add_u32 s5, s5, s10
	s_mul_i32 s8, s4, s8
	s_addc_u32 s5, s6, s9
	s_addc_u32 s6, s7, 0
	s_add_u32 s5, s5, s8
	s_addc_u32 s6, 0, s6
	v_add_co_u32 v2, s5, v2, s5
	s_delay_alu instid0(VALU_DEP_1) | instskip(SKIP_2) | instid1(VALU_DEP_1)
	s_cmp_lg_u32 s5, 0
	s_addc_u32 s8, s4, s6
	s_ashr_i32 s6, s25, 31
	v_readfirstlane_b32 s9, v2
	s_add_u32 s4, s24, s6
	s_mov_b32 s7, s6
	s_addc_u32 s5, s25, s6
	s_delay_alu instid0(SALU_CYCLE_1) | instskip(NEXT) | instid1(SALU_CYCLE_1)
	s_xor_b64 s[4:5], s[4:5], s[6:7]
	s_mul_i32 s10, s4, s8
	s_mul_hi_u32 s11, s4, s9
	s_mul_hi_u32 s7, s4, s8
	;; [unrolled: 1-line block ×3, first 2 shown]
	s_mul_i32 s9, s5, s9
	s_add_u32 s10, s11, s10
	s_addc_u32 s7, 0, s7
	s_mul_hi_u32 s12, s5, s8
	s_add_u32 s9, s10, s9
	s_mul_i32 s8, s5, s8
	s_addc_u32 s7, s7, s13
	s_addc_u32 s9, s12, 0
	s_add_u32 s7, s7, s8
	s_addc_u32 s8, 0, s9
	s_mul_hi_u32 s9, s46, s7
	s_mul_i32 s7, s46, s7
	s_mul_i32 s8, s46, s8
	v_sub_co_u32 v2, s4, s4, s7
	s_add_i32 s9, s9, s8
	s_cmp_lg_u32 s4, 0
	s_delay_alu instid0(VALU_DEP_1) | instskip(SKIP_2) | instid1(VALU_DEP_1)
	v_sub_co_u32 v3, s4, v2, s46
	s_subb_u32 s5, s5, s9
	s_cmp_lg_u32 s4, 0
	v_cmp_le_u32_e32 vcc_lo, s46, v3
	v_sub_co_u32 v4, s4, v3, s46
	s_subb_u32 s7, s5, 0
	s_cmp_lg_u32 s4, 0
	v_cndmask_b32_e64 v5, 0, -1, vcc_lo
	s_subb_u32 s4, s7, 0
	s_cmp_eq_u32 s7, 0
	v_mov_b32_e32 v7, s4
	s_cselect_b32 vcc_lo, -1, 0
	s_cmp_eq_u32 s5, 0
	v_cndmask_b32_e32 v5, -1, v5, vcc_lo
	v_cmp_le_u32_e32 vcc_lo, s46, v2
	s_cselect_b32 s4, -1, 0
	v_cndmask_b32_e64 v6, 0, -1, vcc_lo
	s_delay_alu instid0(VALU_DEP_3) | instskip(NEXT) | instid1(VALU_DEP_2)
	v_cmp_ne_u32_e32 vcc_lo, 0, v5
	v_cndmask_b32_e64 v5, -1, v6, s4
	v_cndmask_b32_e32 v3, v3, v4, vcc_lo
	v_cndmask_b32_e32 v6, s7, v7, vcc_lo
	s_delay_alu instid0(VALU_DEP_3) | instskip(NEXT) | instid1(VALU_DEP_3)
	v_cmp_ne_u32_e32 vcc_lo, 0, v5
	v_cndmask_b32_e32 v2, v2, v3, vcc_lo
	s_delay_alu instid0(VALU_DEP_3) | instskip(NEXT) | instid1(VALU_DEP_2)
	v_cndmask_b32_e32 v4, s5, v6, vcc_lo
	v_xor_b32_e32 v2, s6, v2
	s_delay_alu instid0(VALU_DEP_2) | instskip(NEXT) | instid1(VALU_DEP_2)
	v_xor_b32_e32 v3, s6, v4
	v_sub_co_u32 v23, vcc_lo, v2, s6
	s_delay_alu instid0(VALU_DEP_2)
	v_subrev_co_ci_u32_e32 v24, vcc_lo, s6, v3, vcc_lo
	s_cbranch_execnz .LBB12_43
.LBB12_42:                              ;   in Loop: Header=BB12_8 Depth=1
	v_cvt_f32_u32_e32 v2, s46
	s_sub_i32 s4, 0, s46
	s_delay_alu instid0(VALU_DEP_1) | instskip(SKIP_2) | instid1(VALU_DEP_1)
	v_rcp_iflag_f32_e32 v2, v2
	s_waitcnt_depctr 0xfff
	v_mul_f32_e32 v2, 0x4f7ffffe, v2
	v_cvt_u32_f32_e32 v2, v2
	s_delay_alu instid0(VALU_DEP_1) | instskip(NEXT) | instid1(VALU_DEP_1)
	v_mul_lo_u32 v3, s4, v2
	v_mul_hi_u32 v3, v2, v3
	s_delay_alu instid0(VALU_DEP_1) | instskip(NEXT) | instid1(VALU_DEP_1)
	v_add_nc_u32_e32 v2, v2, v3
	v_mul_hi_u32 v2, s24, v2
	s_delay_alu instid0(VALU_DEP_1) | instskip(NEXT) | instid1(VALU_DEP_1)
	v_mul_lo_u32 v2, v2, s46
	v_sub_nc_u32_e32 v2, s24, v2
	s_delay_alu instid0(VALU_DEP_1) | instskip(SKIP_1) | instid1(VALU_DEP_2)
	v_subrev_nc_u32_e32 v3, s46, v2
	v_cmp_le_u32_e32 vcc_lo, s46, v2
	v_cndmask_b32_e32 v2, v2, v3, vcc_lo
	s_delay_alu instid0(VALU_DEP_1) | instskip(SKIP_1) | instid1(VALU_DEP_2)
	v_subrev_nc_u32_e32 v3, s46, v2
	v_cmp_le_u32_e32 vcc_lo, s46, v2
	v_cndmask_b32_e32 v12, v2, v3, vcc_lo
	s_delay_alu instid0(VALU_DEP_1)
	v_dual_mov_b32 v24, v13 :: v_dual_mov_b32 v23, v12
.LBB12_43:                              ;   in Loop: Header=BB12_8 Depth=1
	v_mov_b32_e32 v2, 0
	v_mov_b32_e32 v3, 0
	s_delay_alu instid0(VALU_DEP_3) | instskip(NEXT) | instid1(VALU_DEP_4)
	v_sub_co_u32 v25, vcc_lo, s24, v23
	v_sub_co_ci_u32_e32 v26, vcc_lo, s25, v24, vcc_lo
	s_delay_alu instid0(VALU_DEP_3)
	v_dual_mov_b32 v5, v3 :: v_dual_mov_b32 v4, v2
	v_dual_mov_b32 v7, v3 :: v_dual_mov_b32 v6, v2
	;; [unrolled: 1-line block ×3, first 2 shown]
	s_mov_b64 s[54:55], 0
	s_mov_b32 s53, exec_lo
	v_cmpx_gt_i64_e64 v[25:26], v[14:15]
	s_cbranch_execz .LBB12_47
; %bb.44:                               ;   in Loop: Header=BB12_8 Depth=1
	v_dual_mov_b32 v28, v15 :: v_dual_mov_b32 v27, v14
	s_mul_i32 s4, s51, s44
	s_mul_hi_u32 s5, s50, s44
	s_and_b32 s86, s75, 0xfe
	s_add_i32 s87, s5, s4
	s_mul_i32 s88, s50, s44
	s_mov_b32 s89, 0
	s_mov_b64 s[56:57], s[42:43]
	s_mov_b64 s[58:59], 0
	;; [unrolled: 1-line block ×4, first 2 shown]
.LBB12_45:                              ;   Parent Loop BB12_8 Depth=1
                                        ; =>  This Inner Loop Header: Depth=2
	v_add_co_u32 v2, vcc_lo, s56, v21
	v_add_co_ci_u32_e32 v3, vcc_lo, s57, v22, vcc_lo
	v_add_co_u32 v4, vcc_lo, s56, v20
	v_add_co_ci_u32_e32 v5, vcc_lo, s57, v32, vcc_lo
	;; [unrolled: 2-line block ×4, first 2 shown]
	s_clause 0x3
	global_load_i8 v2, v[2:3], off
	global_load_i8 v3, v[4:5], off
	;; [unrolled: 1-line block ×4, first 2 shown]
	v_add_co_u32 v27, vcc_lo, v27, s46
	v_add_co_ci_u32_e32 v28, vcc_lo, 0, v28, vcc_lo
	s_delay_alu instid0(VALU_DEP_1)
	v_cmp_ge_i64_e32 vcc_lo, v[27:28], v[25:26]
	s_waitcnt vmcnt(3)
	v_add_nc_u32_e32 v2, 0x80, v2
	s_waitcnt vmcnt(2)
	v_add_nc_u32_e32 v3, 0x80, v3
	s_waitcnt vmcnt(1)
	v_add_nc_u32_e32 v4, 0x80, v4
	s_waitcnt vmcnt(0)
	v_add_nc_u32_e32 v5, 0x80, v5
	v_and_b32_e32 v6, s84, v2
	v_bfe_u32 v2, v2, s86, 2
	v_and_b32_e32 v7, s84, v3
	v_bfe_u32 v3, v3, s86, 2
	;; [unrolled: 2-line block ×3, first 2 shown]
	v_cmp_eq_u32_e64 s4, s85, v6
	v_cmp_eq_u32_e64 s8, 0, v2
	v_and_b32_e32 v9, s84, v5
	v_bfe_u32 v5, v5, s86, 2
	v_cmp_eq_u32_e64 s5, s85, v7
	v_cmp_eq_u32_e64 s9, 0, v3
	;; [unrolled: 1-line block ×4, first 2 shown]
	s_and_b32 s8, s4, s8
	v_cmp_eq_u32_e64 s7, s85, v9
	v_cmp_eq_u32_e64 s11, 0, v5
	;; [unrolled: 1-line block ×5, first 2 shown]
	v_cndmask_b32_e64 v2, 0, 1, s8
	s_and_b32 s8, s5, s9
	v_cmp_eq_u32_e64 s13, 1, v3
	v_cmp_eq_u32_e64 s17, 2, v3
	v_cmp_eq_u32_e64 s21, 3, v3
	v_cndmask_b32_e64 v3, 0, 1, s8
	s_and_b32 s8, s6, s10
	v_cmp_eq_u32_e64 s14, 1, v4
	v_cmp_eq_u32_e64 s18, 2, v4
	v_cmp_eq_u32_e64 s22, 3, v4
	;; [unrolled: 5-line block ×3, first 2 shown]
	v_cndmask_b32_e64 v5, 0, 1, s8
	v_cmp_ne_u32_e64 s8, 0, v2
	v_cmp_ne_u32_e64 s9, 0, v3
	;; [unrolled: 1-line block ×3, first 2 shown]
	s_delay_alu instid0(VALU_DEP_4) | instskip(NEXT) | instid1(VALU_DEP_4)
	v_cmp_ne_u32_e64 s11, 0, v5
	s_bcnt1_i32_b32 s8, s8
	s_delay_alu instid0(VALU_DEP_3) | instskip(NEXT) | instid1(VALU_DEP_2)
	s_bcnt1_i32_b32 s9, s9
	s_bcnt1_i32_b32 s10, s10
	s_add_i32 s8, s9, s8
	s_bcnt1_i32_b32 s11, s11
	s_add_i32 s8, s8, s10
	s_delay_alu instid0(SALU_CYCLE_1) | instskip(NEXT) | instid1(SALU_CYCLE_1)
	s_add_i32 s8, s8, s11
	s_add_u32 s62, s62, s8
	s_addc_u32 s63, s63, 0
	s_and_b32 s8, s4, s12
	v_mov_b32_e32 v2, s62
	v_cndmask_b32_e64 v4, 0, 1, s8
	s_and_b32 s8, s5, s13
	v_mov_b32_e32 v3, s63
	v_cndmask_b32_e64 v5, 0, 1, s8
	s_and_b32 s8, s6, s14
	s_delay_alu instid0(SALU_CYCLE_1) | instskip(SKIP_1) | instid1(VALU_DEP_2)
	v_cndmask_b32_e64 v6, 0, 1, s8
	s_and_b32 s8, s7, s15
	v_cmp_ne_u32_e64 s9, 0, v5
	v_cndmask_b32_e64 v7, 0, 1, s8
	v_cmp_ne_u32_e64 s8, 0, v4
	v_cmp_ne_u32_e64 s10, 0, v6
	s_delay_alu instid0(VALU_DEP_4) | instskip(NEXT) | instid1(VALU_DEP_3)
	s_bcnt1_i32_b32 s9, s9
	v_cmp_ne_u32_e64 s11, 0, v7
	s_delay_alu instid0(VALU_DEP_3) | instskip(NEXT) | instid1(VALU_DEP_2)
	s_bcnt1_i32_b32 s8, s8
	s_bcnt1_i32_b32 s10, s10
	s_add_i32 s8, s9, s8
	s_delay_alu instid0(VALU_DEP_1) | instskip(SKIP_1) | instid1(SALU_CYCLE_1)
	s_bcnt1_i32_b32 s11, s11
	s_add_i32 s8, s8, s10
	s_add_i32 s8, s8, s11
	s_delay_alu instid0(SALU_CYCLE_1) | instskip(SKIP_2) | instid1(SALU_CYCLE_1)
	s_add_u32 s60, s60, s8
	s_addc_u32 s61, s61, 0
	s_and_b32 s8, s4, s16
	v_cndmask_b32_e64 v4, 0, 1, s8
	s_and_b32 s8, s5, s17
	s_delay_alu instid0(SALU_CYCLE_1) | instskip(SKIP_1) | instid1(SALU_CYCLE_1)
	v_cndmask_b32_e64 v5, 0, 1, s8
	s_and_b32 s8, s6, s18
	v_cndmask_b32_e64 v6, 0, 1, s8
	s_and_b32 s8, s7, s19
	s_delay_alu instid0(VALU_DEP_2) | instskip(SKIP_3) | instid1(VALU_DEP_4)
	v_cmp_ne_u32_e64 s9, 0, v5
	v_cndmask_b32_e64 v7, 0, 1, s8
	v_cmp_ne_u32_e64 s8, 0, v4
	v_cmp_ne_u32_e64 s10, 0, v6
	s_bcnt1_i32_b32 s9, s9
	s_delay_alu instid0(VALU_DEP_3) | instskip(NEXT) | instid1(VALU_DEP_3)
	v_cmp_ne_u32_e64 s11, 0, v7
	s_bcnt1_i32_b32 s8, s8
	s_delay_alu instid0(VALU_DEP_2) | instskip(SKIP_1) | instid1(VALU_DEP_1)
	s_bcnt1_i32_b32 s10, s10
	s_add_i32 s8, s9, s8
	s_bcnt1_i32_b32 s11, s11
	s_add_i32 s8, s8, s10
	s_delay_alu instid0(SALU_CYCLE_1) | instskip(NEXT) | instid1(SALU_CYCLE_1)
	s_add_i32 s8, s8, s11
	s_add_u32 s58, s58, s8
	s_addc_u32 s59, s59, 0
	s_and_b32 s4, s4, s20
	s_delay_alu instid0(SALU_CYCLE_1) | instskip(SKIP_1) | instid1(SALU_CYCLE_1)
	v_cndmask_b32_e64 v4, 0, 1, s4
	s_and_b32 s4, s5, s21
	v_cndmask_b32_e64 v5, 0, 1, s4
	s_and_b32 s4, s6, s22
	s_delay_alu instid0(SALU_CYCLE_1) | instskip(SKIP_1) | instid1(VALU_DEP_2)
	v_cndmask_b32_e64 v6, 0, 1, s4
	s_and_b32 s4, s7, s23
	v_cmp_ne_u32_e64 s5, 0, v5
	v_cndmask_b32_e64 v7, 0, 1, s4
	v_cmp_ne_u32_e64 s4, 0, v4
	v_cmp_ne_u32_e64 s6, 0, v6
	v_mov_b32_e32 v4, s60
	s_bcnt1_i32_b32 s5, s5
	v_cmp_ne_u32_e64 s7, 0, v7
	v_mov_b32_e32 v6, s58
	s_bcnt1_i32_b32 s4, s4
	s_bcnt1_i32_b32 s6, s6
	s_add_i32 s4, s5, s4
	s_bcnt1_i32_b32 s5, s7
	s_add_i32 s4, s4, s6
	v_mov_b32_e32 v5, s61
	s_add_i32 s4, s4, s5
	v_mov_b32_e32 v7, s59
	s_add_u32 s54, s54, s4
	s_addc_u32 s55, s55, 0
	s_delay_alu instid0(SALU_CYCLE_1) | instskip(SKIP_3) | instid1(SALU_CYCLE_1)
	v_dual_mov_b32 v8, s54 :: v_dual_mov_b32 v9, s55
	s_add_u32 s56, s56, s88
	s_addc_u32 s57, s57, s87
	s_or_b32 s89, vcc_lo, s89
	s_and_not1_b32 exec_lo, exec_lo, s89
	s_cbranch_execnz .LBB12_45
; %bb.46:                               ;   in Loop: Header=BB12_8 Depth=1
	s_or_b32 exec_lo, exec_lo, s89
.LBB12_47:                              ;   in Loop: Header=BB12_8 Depth=1
	s_delay_alu instid0(SALU_CYCLE_1) | instskip(SKIP_3) | instid1(VALU_DEP_2)
	s_or_b32 exec_lo, exec_lo, s53
	v_add_co_u32 v25, vcc_lo, v25, v0
	v_add_co_ci_u32_e32 v26, vcc_lo, 0, v26, vcc_lo
	v_mov_b32_e32 v12, 0
	v_cmp_gt_i64_e32 vcc_lo, s[24:25], v[25:26]
	s_and_saveexec_b32 s4, vcc_lo
	s_cbranch_execz .LBB12_49
; %bb.48:                               ;   in Loop: Header=BB12_8 Depth=1
	v_mad_u64_u32 v[27:28], null, v25, s30, s[42:43]
	v_mul_lo_u32 v12, v25, s31
	v_mul_lo_u32 v38, v26, s30
	s_delay_alu instid0(VALU_DEP_1)
	v_add3_u32 v28, v38, v28, v12
	global_load_u8 v12, v[27:28], off
.LBB12_49:                              ;   in Loop: Header=BB12_8 Depth=1
	s_or_b32 exec_lo, exec_lo, s4
	s_and_saveexec_b32 s8, vcc_lo
	s_cbranch_execz .LBB12_56
; %bb.50:                               ;   in Loop: Header=BB12_8 Depth=1
	v_add_co_u32 v27, vcc_lo, v33, s44
	v_add_co_ci_u32_e32 v28, vcc_lo, 0, v34, vcc_lo
	s_mul_i32 s4, s31, s44
	s_delay_alu instid0(VALU_DEP_2) | instskip(NEXT) | instid1(VALU_DEP_2)
	v_sub_co_u32 v27, vcc_lo, v27, v23
	v_sub_co_ci_u32_e32 v23, vcc_lo, v28, v24, vcc_lo
	s_mul_hi_u32 s5, s30, s44
	s_delay_alu instid0(VALU_DEP_2) | instskip(SKIP_1) | instid1(VALU_DEP_2)
	v_mul_lo_u32 v38, s31, v27
	s_and_b32 s9, s75, 0xfe
	v_mul_lo_u32 v28, s30, v23
	v_mad_u64_u32 v[23:24], null, s30, v27, s[42:43]
	s_add_i32 s10, s5, s4
	s_mul_i32 s11, s30, s44
	s_mov_b32 s12, 0
	s_delay_alu instid0(VALU_DEP_1)
	v_add3_u32 v24, v38, v24, v28
	s_branch .LBB12_52
.LBB12_51:                              ;   in Loop: Header=BB12_52 Depth=2
	s_or_b32 exec_lo, exec_lo, s5
	s_waitcnt vmcnt(0)
	v_bfe_i32 v12, v12, 0, 8
	s_and_b32 s6, exec_lo, vcc_lo
	s_delay_alu instid0(SALU_CYCLE_1) | instskip(NEXT) | instid1(VALU_DEP_1)
	s_or_b32 s12, s6, s12
	v_add_nc_u32_e32 v12, 0x80, v12
	s_delay_alu instid0(VALU_DEP_1) | instskip(SKIP_1) | instid1(VALU_DEP_2)
	v_and_b32_e32 v28, s84, v12
	v_bfe_u32 v12, v12, s9, 2
	v_cmp_eq_u32_e64 s4, s85, v28
	s_delay_alu instid0(VALU_DEP_2) | instskip(SKIP_2) | instid1(VALU_DEP_3)
	v_cmp_eq_u32_e64 s5, 0, v12
	v_cmp_eq_u32_e32 vcc_lo, 1, v12
	v_cmp_eq_u32_e64 s6, 2, v12
	s_and_b32 s5, s4, s5
	s_delay_alu instid0(SALU_CYCLE_1) | instskip(SKIP_4) | instid1(SALU_CYCLE_1)
	v_cndmask_b32_e64 v28, 0, 1, s5
	s_and_b32 s5, s4, vcc_lo
	v_cmp_eq_u32_e32 vcc_lo, 3, v12
	v_cndmask_b32_e64 v38, 0, 1, s5
	s_and_b32 s5, s4, s6
	v_cndmask_b32_e64 v39, 0, 1, s5
	v_cmp_ne_u32_e64 s5, 0, v28
	s_delay_alu instid0(VALU_DEP_3) | instskip(SKIP_1) | instid1(SALU_CYCLE_1)
	v_cmp_ne_u32_e64 s6, 0, v38
	s_and_b32 s4, s4, vcc_lo
	v_cndmask_b32_e64 v12, 0, 1, s4
	s_delay_alu instid0(VALU_DEP_3)
	s_bcnt1_i32_b32 s4, s5
	v_cmp_ne_u32_e64 s7, 0, v39
	v_add_co_u32 v2, vcc_lo, v2, s4
	s_bcnt1_i32_b32 s5, s6
	v_add_co_ci_u32_e32 v3, vcc_lo, 0, v3, vcc_lo
	v_add_co_u32 v4, vcc_lo, v4, s5
	v_add_co_ci_u32_e32 v5, vcc_lo, 0, v5, vcc_lo
	s_bcnt1_i32_b32 s6, s7
	v_cmp_ne_u32_e32 vcc_lo, 0, v12
	v_add_co_u32 v6, s4, v6, s6
	s_delay_alu instid0(VALU_DEP_1)
	v_add_co_ci_u32_e64 v7, s4, 0, v7, s4
	s_bcnt1_i32_b32 s4, vcc_lo
	v_mov_b32_e32 v12, v27
	v_add_co_u32 v8, vcc_lo, v8, s4
	v_add_co_ci_u32_e32 v9, vcc_lo, 0, v9, vcc_lo
	v_add_co_u32 v23, vcc_lo, v23, s11
	v_add_co_ci_u32_e32 v24, vcc_lo, s10, v24, vcc_lo
	s_and_not1_b32 exec_lo, exec_lo, s12
	s_cbranch_execz .LBB12_55
.LBB12_52:                              ;   Parent Loop BB12_8 Depth=1
                                        ; =>  This Inner Loop Header: Depth=2
	v_add_co_u32 v25, vcc_lo, v25, s44
	v_add_co_ci_u32_e32 v26, vcc_lo, 0, v26, vcc_lo
	v_mov_b32_e32 v27, 0
	s_mov_b32 s5, exec_lo
	s_delay_alu instid0(VALU_DEP_2)
	v_cmp_le_i64_e32 vcc_lo, s[24:25], v[25:26]
	v_cmpx_gt_i64_e64 s[24:25], v[25:26]
	s_cbranch_execz .LBB12_51
; %bb.53:                               ;   in Loop: Header=BB12_52 Depth=2
	global_load_u8 v27, v[23:24], off
	s_branch .LBB12_51
.LBB12_54:                              ;   in Loop: Header=BB12_8 Depth=1
                                        ; implicit-def: $vgpr8_vgpr9
                                        ; implicit-def: $vgpr4_vgpr5
	s_cbranch_execnz .LBB12_57
	s_branch .LBB12_66
.LBB12_55:                              ;   in Loop: Header=BB12_8 Depth=1
	s_or_b32 exec_lo, exec_lo, s12
.LBB12_56:                              ;   in Loop: Header=BB12_8 Depth=1
	s_delay_alu instid0(SALU_CYCLE_1)
	s_or_b32 exec_lo, exec_lo, s8
	s_branch .LBB12_66
.LBB12_57:                              ;   in Loop: Header=BB12_8 Depth=1
	global_load_u16 v12, v13, s[48:49]
	s_mov_b64 s[54:55], 0
	s_mov_b32 s53, exec_lo
	s_waitcnt vmcnt(0)
	v_readfirstlane_b32 s4, v12
	s_delay_alu instid0(VALU_DEP_1) | instskip(NEXT) | instid1(SALU_CYCLE_1)
	s_and_b32 s4, 0xffff, s4
	s_lshl_b32 s46, s4, 2
	s_delay_alu instid0(SALU_CYCLE_1) | instskip(SKIP_1) | instid1(VALU_DEP_1)
	v_cvt_f32_u32_e32 v2, s46
	s_sub_i32 s5, 0, s46
	v_rcp_iflag_f32_e32 v2, v2
	s_waitcnt_depctr 0xfff
	v_mul_f32_e32 v2, 0x4f7ffffe, v2
	s_delay_alu instid0(VALU_DEP_1) | instskip(NEXT) | instid1(VALU_DEP_1)
	v_cvt_u32_f32_e32 v2, v2
	v_readfirstlane_b32 s4, v2
	v_mov_b32_e32 v2, 0
	v_mov_b32_e32 v3, 0
	s_delay_alu instid0(VALU_DEP_3) | instskip(NEXT) | instid1(VALU_DEP_1)
	s_mul_i32 s5, s5, s4
	v_dual_mov_b32 v5, v3 :: v_dual_mov_b32 v4, v2
	s_mul_hi_u32 s5, s4, s5
	v_dual_mov_b32 v7, v3 :: v_dual_mov_b32 v6, v2
	s_add_i32 s4, s4, s5
	v_dual_mov_b32 v9, v3 :: v_dual_mov_b32 v8, v2
	s_mul_hi_u32 s4, s52, s4
	s_delay_alu instid0(SALU_CYCLE_1) | instskip(NEXT) | instid1(SALU_CYCLE_1)
	s_mul_i32 s4, s4, s46
	s_sub_i32 s4, s52, s4
	s_delay_alu instid0(SALU_CYCLE_1) | instskip(SKIP_2) | instid1(SALU_CYCLE_1)
	s_sub_i32 s5, s4, s46
	s_cmp_ge_u32 s4, s46
	s_cselect_b32 s4, s5, s4
	s_sub_i32 s5, s4, s46
	s_cmp_ge_u32 s4, s46
	s_cselect_b32 s4, s5, s4
	s_delay_alu instid0(SALU_CYCLE_1) | instskip(NEXT) | instid1(SALU_CYCLE_1)
	s_sub_i32 s44, s52, s4
	v_cmpx_gt_u32_e64 s44, v14
	s_cbranch_execz .LBB12_61
; %bb.58:                               ;   in Loop: Header=BB12_8 Depth=1
	v_dual_mov_b32 v25, v14 :: v_dual_mov_b32 v24, v15
	v_mov_b32_e32 v23, v14
	s_and_b32 s63, s75, 0xfe
	s_mov_b32 s62, 0
	s_mov_b64 s[56:57], 0
	s_mov_b64 s[58:59], 0
	;; [unrolled: 1-line block ×3, first 2 shown]
.LBB12_59:                              ;   Parent Loop BB12_8 Depth=1
                                        ; =>  This Inner Loop Header: Depth=2
	ds_load_b32 v2, v25
	v_add_co_u32 v23, vcc_lo, v23, s46
	v_add_co_ci_u32_e32 v24, vcc_lo, 0, v24, vcc_lo
	s_delay_alu instid0(VALU_DEP_1)
	v_cmp_le_u64_e32 vcc_lo, s[44:45], v[23:24]
	s_waitcnt lgkmcnt(0)
	v_bfe_i32 v3, v2, 0, 8
	v_bfe_i32 v4, v2, 8, 8
	;; [unrolled: 1-line block ×3, first 2 shown]
	v_ashrrev_i32_e32 v2, 24, v2
	s_delay_alu instid0(VALU_DEP_4) | instskip(NEXT) | instid1(VALU_DEP_4)
	v_add_nc_u32_e32 v3, 0x80, v3
	v_add_nc_u32_e32 v4, 0x80, v4
	s_delay_alu instid0(VALU_DEP_4) | instskip(NEXT) | instid1(VALU_DEP_4)
	v_add_nc_u32_e32 v5, 0x80, v5
	v_add_nc_u32_e32 v2, 0x80, v2
	s_delay_alu instid0(VALU_DEP_4)
	v_and_b32_e32 v6, s84, v3
	v_bfe_u32 v3, v3, s63, 2
	v_and_b32_e32 v7, s84, v4
	v_bfe_u32 v4, v4, s63, 2
	;; [unrolled: 2-line block ×3, first 2 shown]
	v_cmp_eq_u32_e64 s4, s85, v6
	v_cmp_eq_u32_e64 s8, 0, v3
	v_and_b32_e32 v9, s84, v2
	v_bfe_u32 v2, v2, s63, 2
	v_cmp_eq_u32_e64 s5, s85, v7
	v_cmp_eq_u32_e64 s9, 0, v4
	;; [unrolled: 1-line block ×4, first 2 shown]
	s_and_b32 s8, s4, s8
	v_cmp_eq_u32_e64 s7, s85, v9
	v_cmp_eq_u32_e64 s11, 0, v2
	;; [unrolled: 1-line block ×5, first 2 shown]
	v_cndmask_b32_e64 v2, 0, 1, s8
	s_and_b32 s8, s5, s9
	v_cmp_eq_u32_e64 s12, 1, v3
	v_cmp_eq_u32_e64 s16, 2, v3
	v_cmp_eq_u32_e64 s20, 3, v3
	v_cndmask_b32_e64 v3, 0, 1, s8
	s_and_b32 s8, s6, s10
	v_cmp_eq_u32_e64 s13, 1, v4
	v_cmp_eq_u32_e64 s17, 2, v4
	v_cmp_eq_u32_e64 s21, 3, v4
	;; [unrolled: 5-line block ×3, first 2 shown]
	v_cndmask_b32_e64 v5, 0, 1, s8
	v_cmp_ne_u32_e64 s8, 0, v2
	v_cmp_ne_u32_e64 s9, 0, v3
	;; [unrolled: 1-line block ×3, first 2 shown]
	s_delay_alu instid0(VALU_DEP_4) | instskip(NEXT) | instid1(VALU_DEP_4)
	v_cmp_ne_u32_e64 s11, 0, v5
	s_bcnt1_i32_b32 s8, s8
	s_delay_alu instid0(VALU_DEP_3) | instskip(NEXT) | instid1(VALU_DEP_2)
	s_bcnt1_i32_b32 s9, s9
	s_bcnt1_i32_b32 s10, s10
	s_add_i32 s8, s9, s8
	s_bcnt1_i32_b32 s11, s11
	s_add_i32 s8, s8, s10
	s_delay_alu instid0(SALU_CYCLE_1) | instskip(NEXT) | instid1(SALU_CYCLE_1)
	s_add_i32 s8, s8, s11
	s_add_u32 s60, s60, s8
	s_addc_u32 s61, s61, 0
	s_and_b32 s8, s4, s12
	v_add_nc_u32_e32 v25, s46, v25
	v_cndmask_b32_e64 v2, 0, 1, s8
	s_and_b32 s8, s5, s13
	s_delay_alu instid0(SALU_CYCLE_1) | instskip(SKIP_1) | instid1(SALU_CYCLE_1)
	v_cndmask_b32_e64 v3, 0, 1, s8
	s_and_b32 s8, s6, s14
	v_cndmask_b32_e64 v4, 0, 1, s8
	s_and_b32 s8, s7, s15
	s_delay_alu instid0(VALU_DEP_2) | instskip(SKIP_3) | instid1(VALU_DEP_4)
	v_cmp_ne_u32_e64 s9, 0, v3
	v_cndmask_b32_e64 v5, 0, 1, s8
	v_cmp_ne_u32_e64 s8, 0, v2
	v_cmp_ne_u32_e64 s10, 0, v4
	s_bcnt1_i32_b32 s9, s9
	s_delay_alu instid0(VALU_DEP_3) | instskip(NEXT) | instid1(VALU_DEP_3)
	v_cmp_ne_u32_e64 s11, 0, v5
	s_bcnt1_i32_b32 s8, s8
	s_delay_alu instid0(VALU_DEP_2) | instskip(SKIP_1) | instid1(VALU_DEP_1)
	s_bcnt1_i32_b32 s10, s10
	s_add_i32 s8, s9, s8
	s_bcnt1_i32_b32 s11, s11
	s_add_i32 s8, s8, s10
	s_delay_alu instid0(SALU_CYCLE_1) | instskip(NEXT) | instid1(SALU_CYCLE_1)
	s_add_i32 s8, s8, s11
	s_add_u32 s58, s58, s8
	s_addc_u32 s59, s59, 0
	s_and_b32 s8, s4, s16
	s_delay_alu instid0(SALU_CYCLE_1) | instskip(SKIP_1) | instid1(SALU_CYCLE_1)
	v_cndmask_b32_e64 v2, 0, 1, s8
	s_and_b32 s8, s5, s17
	v_cndmask_b32_e64 v3, 0, 1, s8
	s_and_b32 s8, s6, s18
	s_delay_alu instid0(SALU_CYCLE_1) | instskip(SKIP_1) | instid1(VALU_DEP_2)
	v_cndmask_b32_e64 v4, 0, 1, s8
	s_and_b32 s8, s7, s19
	v_cmp_ne_u32_e64 s9, 0, v3
	v_cndmask_b32_e64 v5, 0, 1, s8
	v_cmp_ne_u32_e64 s8, 0, v2
	v_cmp_ne_u32_e64 s10, 0, v4
	s_delay_alu instid0(VALU_DEP_4) | instskip(NEXT) | instid1(VALU_DEP_3)
	s_bcnt1_i32_b32 s9, s9
	v_cmp_ne_u32_e64 s11, 0, v5
	s_delay_alu instid0(VALU_DEP_3) | instskip(NEXT) | instid1(VALU_DEP_2)
	s_bcnt1_i32_b32 s8, s8
	s_bcnt1_i32_b32 s10, s10
	s_add_i32 s8, s9, s8
	s_delay_alu instid0(VALU_DEP_1) | instskip(SKIP_1) | instid1(SALU_CYCLE_1)
	s_bcnt1_i32_b32 s11, s11
	s_add_i32 s8, s8, s10
	s_add_i32 s8, s8, s11
	s_delay_alu instid0(SALU_CYCLE_1)
	s_add_u32 s56, s56, s8
	s_addc_u32 s57, s57, 0
	s_and_b32 s4, s4, s20
	v_mov_b32_e32 v6, s56
	v_cndmask_b32_e64 v2, 0, 1, s4
	s_and_b32 s4, s5, s21
	v_mov_b32_e32 v7, s57
	v_cndmask_b32_e64 v3, 0, 1, s4
	s_and_b32 s4, s6, s22
	s_delay_alu instid0(SALU_CYCLE_1) | instskip(SKIP_1) | instid1(VALU_DEP_2)
	v_cndmask_b32_e64 v4, 0, 1, s4
	s_and_b32 s4, s7, s23
	v_cmp_ne_u32_e64 s5, 0, v3
	v_cndmask_b32_e64 v5, 0, 1, s4
	v_cmp_ne_u32_e64 s4, 0, v2
	v_mov_b32_e32 v2, s60
	v_cmp_ne_u32_e64 s6, 0, v4
	s_bcnt1_i32_b32 s5, s5
	v_cmp_ne_u32_e64 s7, 0, v5
	s_bcnt1_i32_b32 s4, s4
	v_mov_b32_e32 v4, s58
	s_bcnt1_i32_b32 s6, s6
	s_add_i32 s4, s5, s4
	s_bcnt1_i32_b32 s5, s7
	s_add_i32 s4, s4, s6
	v_mov_b32_e32 v3, s61
	s_add_i32 s4, s4, s5
	v_mov_b32_e32 v5, s59
	s_add_u32 s54, s54, s4
	s_addc_u32 s55, s55, 0
	s_delay_alu instid0(SALU_CYCLE_1) | instskip(SKIP_1) | instid1(SALU_CYCLE_1)
	v_dual_mov_b32 v8, s54 :: v_dual_mov_b32 v9, s55
	s_or_b32 s62, vcc_lo, s62
	s_and_not1_b32 exec_lo, exec_lo, s62
	s_cbranch_execnz .LBB12_59
; %bb.60:                               ;   in Loop: Header=BB12_8 Depth=1
	s_or_b32 exec_lo, exec_lo, s62
.LBB12_61:                              ;   in Loop: Header=BB12_8 Depth=1
	s_delay_alu instid0(SALU_CYCLE_1) | instskip(SKIP_3) | instid1(VALU_DEP_1)
	s_or_b32 exec_lo, exec_lo, s53
	v_and_b32_e32 v25, 0xffff, v12
	v_add_nc_u32_e32 v12, s44, v0
	s_mov_b32 s9, exec_lo
	v_cmpx_gt_u32_e64 s52, v12
	s_cbranch_execz .LBB12_65
; %bb.62:                               ;   in Loop: Header=BB12_8 Depth=1
	v_dual_mov_b32 v24, v13 :: v_dual_mov_b32 v23, v12
	s_mov_b32 s11, 0
	s_and_b32 s10, s52, 0x7fffffff
	s_and_b32 s13, s75, 0xfe
	s_mov_b32 s12, s11
.LBB12_63:                              ;   Parent Loop BB12_8 Depth=1
                                        ; =>  This Inner Loop Header: Depth=2
	ds_load_i8 v26, v12
	v_add_co_u32 v23, vcc_lo, v23, v25
	v_add_co_ci_u32_e32 v24, vcc_lo, 0, v24, vcc_lo
	v_add_nc_u32_e32 v12, v12, v25
	s_delay_alu instid0(VALU_DEP_2) | instskip(SKIP_2) | instid1(VALU_DEP_1)
	v_cmp_le_u64_e32 vcc_lo, s[10:11], v[23:24]
	s_waitcnt lgkmcnt(0)
	v_add_nc_u32_e32 v26, 0x80, v26
	v_and_b32_e32 v27, s84, v26
	v_bfe_u32 v26, v26, s13, 2
	s_delay_alu instid0(VALU_DEP_2) | instskip(NEXT) | instid1(VALU_DEP_2)
	v_cmp_eq_u32_e64 s4, s85, v27
	v_cmp_eq_u32_e64 s5, 0, v26
	;; [unrolled: 1-line block ×5, first 2 shown]
	s_delay_alu instid0(VALU_DEP_4) | instskip(NEXT) | instid1(SALU_CYCLE_1)
	s_and_b32 s5, s4, s5
	v_cndmask_b32_e64 v26, 0, 1, s5
	s_and_b32 s5, s4, s6
	s_delay_alu instid0(SALU_CYCLE_1)
	v_cndmask_b32_e64 v27, 0, 1, s5
	s_and_b32 s5, s4, s7
	s_and_b32 s4, s4, s8
	v_cndmask_b32_e64 v28, 0, 1, s5
	v_cndmask_b32_e64 v38, 0, 1, s4
	v_cmp_ne_u32_e64 s4, 0, v26
	v_cmp_ne_u32_e64 s5, 0, v27
	s_delay_alu instid0(VALU_DEP_4) | instskip(NEXT) | instid1(VALU_DEP_4)
	v_cmp_ne_u32_e64 s6, 0, v28
	v_cmp_ne_u32_e64 s7, 0, v38
	s_delay_alu instid0(VALU_DEP_4) | instskip(NEXT) | instid1(VALU_DEP_3)
	s_bcnt1_i32_b32 s4, s4
	s_bcnt1_i32_b32 s5, s5
	v_add_co_u32 v2, s4, v2, s4
	s_delay_alu instid0(VALU_DEP_1)
	v_add_co_ci_u32_e64 v3, s4, 0, v3, s4
	v_add_co_u32 v4, s4, v4, s5
	s_bcnt1_i32_b32 s6, s6
	v_add_co_ci_u32_e64 v5, s4, 0, v5, s4
	v_add_co_u32 v6, s4, v6, s6
	s_bcnt1_i32_b32 s7, s7
	v_add_co_ci_u32_e64 v7, s4, 0, v7, s4
	v_add_co_u32 v8, s4, v8, s7
	s_delay_alu instid0(VALU_DEP_1) | instskip(SKIP_1) | instid1(SALU_CYCLE_1)
	v_add_co_ci_u32_e64 v9, s4, 0, v9, s4
	s_or_b32 s12, vcc_lo, s12
	s_and_not1_b32 exec_lo, exec_lo, s12
	s_cbranch_execnz .LBB12_63
; %bb.64:                               ;   in Loop: Header=BB12_8 Depth=1
	s_or_b32 exec_lo, exec_lo, s12
.LBB12_65:                              ;   in Loop: Header=BB12_8 Depth=1
	s_delay_alu instid0(SALU_CYCLE_1)
	s_or_b32 exec_lo, exec_lo, s9
.LBB12_66:                              ;   in Loop: Header=BB12_8 Depth=1
	s_lshl_b32 s4, s80, 7
	s_and_saveexec_b32 s5, s2
	s_cbranch_execz .LBB12_68
; %bb.67:                               ;   in Loop: Header=BB12_8 Depth=1
	s_waitcnt vmcnt(0)
	v_or_b32_e32 v12, s4, v30
	s_delay_alu instid0(VALU_DEP_1)
	v_lshlrev_b32_e32 v12, 3, v12
	ds_store_b128 v12, v[2:5] offset:3072
	ds_store_b128 v12, v[6:9] offset:3088
.LBB12_68:                              ;   in Loop: Header=BB12_8 Depth=1
	s_or_b32 exec_lo, exec_lo, s5
	s_waitcnt vmcnt(0) lgkmcnt(0)
	s_barrier
	buffer_gl0_inv
	s_and_saveexec_b32 s5, s65
	s_cbranch_execz .LBB12_79
; %bb.69:                               ;   in Loop: Header=BB12_8 Depth=1
	v_mov_b32_e32 v2, 0
	v_mov_b32_e32 v3, 0
	s_and_not1_b32 vcc_lo, exec_lo, s67
	s_cbranch_vccnz .LBB12_78
; %bb.70:                               ;   in Loop: Header=BB12_8 Depth=1
	v_mov_b32_e32 v2, 0
	v_mov_b32_e32 v3, 0
	s_and_not1_b32 vcc_lo, exec_lo, s72
	s_cbranch_vccnz .LBB12_75
; %bb.71:                               ;   in Loop: Header=BB12_8 Depth=1
	v_lshl_add_u32 v4, s80, 10, v35
	s_mov_b32 s6, 0
	s_set_inst_prefetch_distance 0x1
	.p2align	6
.LBB12_72:                              ;   Parent Loop BB12_8 Depth=1
                                        ; =>  This Inner Loop Header: Depth=2
	ds_load_2addr_b64 v[5:8], v4 offset1:4
	ds_load_2addr_b64 v[23:26], v4 offset0:8 offset1:12
	ds_load_2addr_b64 v[38:41], v4 offset0:16 offset1:20
	s_add_i32 s6, s6, 8
	s_delay_alu instid0(SALU_CYCLE_1) | instskip(SKIP_3) | instid1(VALU_DEP_2)
	s_cmp_eq_u32 s73, s6
	s_waitcnt lgkmcnt(2)
	v_add_co_u32 v2, vcc_lo, v5, v2
	v_add_co_ci_u32_e32 v3, vcc_lo, v6, v3, vcc_lo
	v_add_co_u32 v2, vcc_lo, v7, v2
	s_delay_alu instid0(VALU_DEP_2)
	v_add_co_ci_u32_e32 v3, vcc_lo, v8, v3, vcc_lo
	ds_load_2addr_b64 v[5:8], v4 offset0:24 offset1:28
	s_waitcnt lgkmcnt(2)
	v_add_co_u32 v2, vcc_lo, v23, v2
	v_add_co_ci_u32_e32 v3, vcc_lo, v24, v3, vcc_lo
	v_add_nc_u32_e32 v4, 0x100, v4
	s_delay_alu instid0(VALU_DEP_3) | instskip(NEXT) | instid1(VALU_DEP_3)
	v_add_co_u32 v2, vcc_lo, v25, v2
	v_add_co_ci_u32_e32 v3, vcc_lo, v26, v3, vcc_lo
	s_waitcnt lgkmcnt(1)
	s_delay_alu instid0(VALU_DEP_2) | instskip(NEXT) | instid1(VALU_DEP_2)
	v_add_co_u32 v2, vcc_lo, v38, v2
	v_add_co_ci_u32_e32 v3, vcc_lo, v39, v3, vcc_lo
	s_delay_alu instid0(VALU_DEP_2) | instskip(NEXT) | instid1(VALU_DEP_2)
	v_add_co_u32 v2, vcc_lo, v40, v2
	v_add_co_ci_u32_e32 v3, vcc_lo, v41, v3, vcc_lo
	s_waitcnt lgkmcnt(0)
	s_delay_alu instid0(VALU_DEP_2) | instskip(NEXT) | instid1(VALU_DEP_2)
	v_add_co_u32 v2, vcc_lo, v5, v2
	v_add_co_ci_u32_e32 v3, vcc_lo, v6, v3, vcc_lo
	s_delay_alu instid0(VALU_DEP_2) | instskip(NEXT) | instid1(VALU_DEP_2)
	v_add_co_u32 v2, vcc_lo, v7, v2
	v_add_co_ci_u32_e32 v3, vcc_lo, v8, v3, vcc_lo
	s_cbranch_scc0 .LBB12_72
; %bb.73:                               ;   in Loop: Header=BB12_8 Depth=1
	s_set_inst_prefetch_distance 0x2
	s_mov_b32 s6, s73
	s_and_not1_b32 vcc_lo, exec_lo, s74
	s_cbranch_vccz .LBB12_76
	s_branch .LBB12_78
.LBB12_74:                              ;   in Loop: Header=BB12_8 Depth=1
                                        ; implicit-def: $vgpr23_vgpr24
	s_branch .LBB12_42
.LBB12_75:                              ;   in Loop: Header=BB12_8 Depth=1
	s_mov_b32 s6, 0
	s_and_not1_b32 vcc_lo, exec_lo, s74
	s_cbranch_vccnz .LBB12_78
.LBB12_76:                              ;   in Loop: Header=BB12_8 Depth=1
	s_lshl_b32 s7, s80, 10
	s_lshl_b32 s6, s6, 5
	s_delay_alu instid0(SALU_CYCLE_1)
	v_add3_u32 v4, s7, s6, v35
	s_mov_b32 s6, s71
.LBB12_77:                              ;   Parent Loop BB12_8 Depth=1
                                        ; =>  This Inner Loop Header: Depth=2
	ds_load_b64 v[5:6], v4
	v_add_nc_u32_e32 v4, 32, v4
	s_add_i32 s6, s6, -1
	s_delay_alu instid0(SALU_CYCLE_1)
	s_cmp_lg_u32 s6, 0
	s_waitcnt lgkmcnt(0)
	v_add_co_u32 v2, vcc_lo, v5, v2
	v_add_co_ci_u32_e32 v3, vcc_lo, v6, v3, vcc_lo
	s_cbranch_scc1 .LBB12_77
.LBB12_78:                              ;   in Loop: Header=BB12_8 Depth=1
	v_add_lshl_u32 v4, s4, v29, 3
	ds_store_b64 v4, v[2:3] offset:3072
.LBB12_79:                              ;   in Loop: Header=BB12_8 Depth=1
	s_or_b32 exec_lo, exec_lo, s5
	s_lshl_b32 s4, s4, 3
	s_waitcnt lgkmcnt(0)
	v_mov_b32_e32 v6, s4
	s_barrier
	buffer_gl0_inv
	s_and_b32 s17, s75, 0xfe
	s_mov_b32 s19, -1
	ds_load_b128 v[2:5], v6 offset:3072
	ds_load_b128 v[6:9], v6 offset:3088
	s_lshl_b32 s16, 3, s17
	s_delay_alu instid0(SALU_CYCLE_1)
	s_not_b32 s18, s16
	s_waitcnt lgkmcnt(1)
	v_readfirstlane_b32 s13, v3
	v_readfirstlane_b32 s12, v2
	;; [unrolled: 1-line block ×4, first 2 shown]
	s_waitcnt lgkmcnt(0)
	v_readfirstlane_b32 s8, v6
	v_readfirstlane_b32 s9, v7
	s_cmp_eq_u64 s[12:13], 1
	v_readfirstlane_b32 s6, v8
	s_cselect_b32 s4, -1, 0
	s_cmp_eq_u64 s[26:27], 1
	v_readfirstlane_b32 s7, v9
	s_cselect_b32 s5, -1, 0
	s_delay_alu instid0(SALU_CYCLE_1) | instskip(NEXT) | instid1(SALU_CYCLE_1)
	s_and_b32 s20, s4, s5
	s_and_b32 vcc_lo, exec_lo, s20
	s_cbranch_vccz .LBB12_94
; %bb.80:                               ;   in Loop: Header=BB12_8 Depth=1
	ds_load_b64 v[2:3], v13 offset:5120
	s_waitcnt lgkmcnt(0)
	s_barrier
	buffer_gl0_inv
	v_readfirstlane_b32 s14, v2
	v_readfirstlane_b32 s15, v3
	s_and_saveexec_b32 s4, s3
	s_cbranch_execz .LBB12_82
; %bb.81:                               ;   in Loop: Header=BB12_8 Depth=1
	ds_store_b8 v0, v13 offset:3072
.LBB12_82:                              ;   in Loop: Header=BB12_8 Depth=1
	s_or_b32 exec_lo, exec_lo, s4
	s_delay_alu instid0(VALU_DEP_1)
	v_cmp_lt_i64_e64 s4, s[14:15], 1
	s_and_b32 s85, s85, s18
	s_or_b32 s84, s84, s16
	s_waitcnt lgkmcnt(0)
	s_barrier
	buffer_gl0_inv
	s_and_b32 vcc_lo, exec_lo, s4
	s_cbranch_vccz .LBB12_95
; %bb.83:                               ;   in Loop: Header=BB12_8 Depth=1
	s_mov_b32 s46, s45
	s_delay_alu instid0(SALU_CYCLE_1)
	s_cmp_lg_u64 s[46:47], 0
	s_cbranch_scc0 .LBB12_140
; %bb.84:                               ;   in Loop: Header=BB12_8 Depth=1
	v_cvt_f32_u32_e32 v2, s33
	s_sub_u32 s21, 0, s33
	s_subb_u32 s22, 0, 0
	s_delay_alu instid0(VALU_DEP_1) | instskip(NEXT) | instid1(VALU_DEP_1)
	v_fmac_f32_e32 v2, 0x4f800000, v36
	v_rcp_f32_e32 v2, v2
	s_waitcnt_depctr 0xfff
	v_mul_f32_e32 v2, 0x5f7ffffc, v2
	s_delay_alu instid0(VALU_DEP_1) | instskip(NEXT) | instid1(VALU_DEP_1)
	v_mul_f32_e32 v3, 0x2f800000, v2
	v_trunc_f32_e32 v3, v3
	s_delay_alu instid0(VALU_DEP_1) | instskip(SKIP_1) | instid1(VALU_DEP_2)
	v_fmac_f32_e32 v2, 0xcf800000, v3
	v_cvt_u32_f32_e32 v3, v3
	v_cvt_u32_f32_e32 v2, v2
	s_delay_alu instid0(VALU_DEP_2) | instskip(NEXT) | instid1(VALU_DEP_2)
	v_readfirstlane_b32 s4, v3
	v_readfirstlane_b32 s5, v2
	s_delay_alu instid0(VALU_DEP_2) | instskip(NEXT) | instid1(VALU_DEP_1)
	s_mul_i32 s23, s21, s4
	s_mul_hi_u32 s46, s21, s5
	s_mul_i32 s44, s22, s5
	s_add_i32 s23, s46, s23
	s_mul_i32 s52, s21, s5
	s_add_i32 s23, s23, s44
	s_mul_hi_u32 s46, s5, s52
	s_mul_hi_u32 s53, s4, s52
	s_mul_i32 s44, s4, s52
	s_mul_hi_u32 s52, s5, s23
	s_mul_i32 s5, s5, s23
	s_mul_hi_u32 s54, s4, s23
	s_add_u32 s5, s46, s5
	s_addc_u32 s46, 0, s52
	s_add_u32 s5, s5, s44
	s_mul_i32 s23, s4, s23
	s_addc_u32 s5, s46, s53
	s_addc_u32 s44, s54, 0
	s_add_u32 s5, s5, s23
	s_addc_u32 s23, 0, s44
	v_add_co_u32 v2, s5, v2, s5
	s_delay_alu instid0(VALU_DEP_1) | instskip(SKIP_1) | instid1(VALU_DEP_1)
	s_cmp_lg_u32 s5, 0
	s_addc_u32 s4, s4, s23
	v_readfirstlane_b32 s5, v2
	s_mul_i32 s23, s21, s4
	s_delay_alu instid0(VALU_DEP_1)
	s_mul_hi_u32 s44, s21, s5
	s_mul_i32 s22, s22, s5
	s_add_i32 s23, s44, s23
	s_mul_i32 s21, s21, s5
	s_add_i32 s23, s23, s22
	s_mul_hi_u32 s44, s4, s21
	s_mul_i32 s46, s4, s21
	s_mul_hi_u32 s21, s5, s21
	s_mul_hi_u32 s52, s5, s23
	s_mul_i32 s5, s5, s23
	s_mul_hi_u32 s22, s4, s23
	s_add_u32 s5, s21, s5
	s_addc_u32 s21, 0, s52
	s_add_u32 s5, s5, s46
	s_mul_i32 s23, s4, s23
	s_addc_u32 s5, s21, s44
	s_addc_u32 s21, s22, 0
	s_add_u32 s5, s5, s23
	s_addc_u32 s21, 0, s21
	v_add_co_u32 v2, s5, v2, s5
	s_delay_alu instid0(VALU_DEP_1) | instskip(SKIP_2) | instid1(VALU_DEP_1)
	s_cmp_lg_u32 s5, 0
	s_addc_u32 s21, s4, s21
	s_ashr_i32 s22, s47, 31
	v_readfirstlane_b32 s44, v2
	s_add_u32 s4, s70, s22
	s_mov_b32 s23, s22
	s_addc_u32 s5, s47, s22
	s_delay_alu instid0(SALU_CYCLE_1) | instskip(NEXT) | instid1(SALU_CYCLE_1)
	s_xor_b64 s[4:5], s[4:5], s[22:23]
	s_mul_i32 s46, s4, s21
	s_mul_hi_u32 s52, s4, s44
	s_mul_hi_u32 s23, s4, s21
	;; [unrolled: 1-line block ×3, first 2 shown]
	s_mul_i32 s44, s5, s44
	s_add_u32 s46, s52, s46
	s_addc_u32 s23, 0, s23
	s_mul_hi_u32 s53, s5, s21
	s_add_u32 s44, s46, s44
	s_mul_i32 s21, s5, s21
	s_addc_u32 s23, s23, s54
	s_addc_u32 s44, s53, 0
	s_add_u32 s21, s23, s21
	s_addc_u32 s23, 0, s44
	s_mul_hi_u32 s44, s33, s21
	s_mul_i32 s21, s33, s21
	s_mul_i32 s23, s33, s23
	v_sub_co_u32 v2, s4, s4, s21
	s_add_i32 s44, s44, s23
	s_cmp_lg_u32 s4, 0
	s_delay_alu instid0(VALU_DEP_1) | instskip(SKIP_2) | instid1(VALU_DEP_1)
	v_sub_co_u32 v3, s4, v2, s33
	s_subb_u32 s5, s5, s44
	s_cmp_lg_u32 s4, 0
	v_cmp_le_u32_e32 vcc_lo, s33, v3
	v_sub_co_u32 v4, s4, v3, s33
	s_subb_u32 s21, s5, 0
	s_cmp_lg_u32 s4, 0
	v_cndmask_b32_e64 v5, 0, -1, vcc_lo
	s_subb_u32 s4, s21, 0
	s_cmp_eq_u32 s21, 0
	v_mov_b32_e32 v7, s4
	s_cselect_b32 vcc_lo, -1, 0
	s_cmp_eq_u32 s5, 0
	v_cndmask_b32_e32 v5, -1, v5, vcc_lo
	v_cmp_le_u32_e32 vcc_lo, s33, v2
	s_cselect_b32 s4, -1, 0
	v_cndmask_b32_e64 v6, 0, -1, vcc_lo
	s_delay_alu instid0(VALU_DEP_3) | instskip(NEXT) | instid1(VALU_DEP_2)
	v_cmp_ne_u32_e32 vcc_lo, 0, v5
	v_cndmask_b32_e64 v5, -1, v6, s4
	v_cndmask_b32_e32 v3, v3, v4, vcc_lo
	v_cndmask_b32_e32 v6, s21, v7, vcc_lo
	s_delay_alu instid0(VALU_DEP_3) | instskip(NEXT) | instid1(VALU_DEP_3)
	v_cmp_ne_u32_e32 vcc_lo, 0, v5
	v_cndmask_b32_e32 v2, v2, v3, vcc_lo
	s_delay_alu instid0(VALU_DEP_3) | instskip(NEXT) | instid1(VALU_DEP_2)
	v_cndmask_b32_e32 v4, s5, v6, vcc_lo
	v_xor_b32_e32 v2, s22, v2
	s_delay_alu instid0(VALU_DEP_2) | instskip(NEXT) | instid1(VALU_DEP_2)
	v_xor_b32_e32 v3, s22, v4
	v_sub_co_u32 v2, vcc_lo, v2, s22
	s_delay_alu instid0(VALU_DEP_2)
	v_subrev_co_ci_u32_e32 v3, vcc_lo, s22, v3, vcc_lo
	s_cbranch_execnz .LBB12_86
.LBB12_85:                              ;   in Loop: Header=BB12_8 Depth=1
	v_cvt_f32_u32_e32 v2, s33
	s_sub_i32 s4, 0, s33
	s_delay_alu instid0(VALU_DEP_1) | instskip(SKIP_2) | instid1(VALU_DEP_1)
	v_rcp_iflag_f32_e32 v2, v2
	s_waitcnt_depctr 0xfff
	v_mul_f32_e32 v2, 0x4f7ffffe, v2
	v_cvt_u32_f32_e32 v2, v2
	s_delay_alu instid0(VALU_DEP_1) | instskip(NEXT) | instid1(VALU_DEP_1)
	v_mul_lo_u32 v3, s4, v2
	v_mul_hi_u32 v3, v2, v3
	s_delay_alu instid0(VALU_DEP_1) | instskip(NEXT) | instid1(VALU_DEP_1)
	v_add_nc_u32_e32 v2, v2, v3
	v_mul_hi_u32 v2, s70, v2
	s_delay_alu instid0(VALU_DEP_1) | instskip(NEXT) | instid1(VALU_DEP_1)
	v_mul_lo_u32 v2, v2, s33
	v_sub_nc_u32_e32 v2, s70, v2
	s_delay_alu instid0(VALU_DEP_1) | instskip(SKIP_1) | instid1(VALU_DEP_2)
	v_subrev_nc_u32_e32 v3, s33, v2
	v_cmp_le_u32_e32 vcc_lo, s33, v2
	v_cndmask_b32_e32 v2, v2, v3, vcc_lo
	s_delay_alu instid0(VALU_DEP_1) | instskip(SKIP_1) | instid1(VALU_DEP_2)
	v_subrev_nc_u32_e32 v3, s33, v2
	v_cmp_le_u32_e32 vcc_lo, s33, v2
	v_cndmask_b32_e32 v12, v2, v3, vcc_lo
	s_delay_alu instid0(VALU_DEP_1)
	v_dual_mov_b32 v2, v12 :: v_dual_mov_b32 v3, v13
.LBB12_86:                              ;   in Loop: Header=BB12_8 Depth=1
	s_delay_alu instid0(VALU_DEP_1) | instskip(NEXT) | instid1(VALU_DEP_2)
	v_sub_co_u32 v2, vcc_lo, s70, v2
	v_sub_co_ci_u32_e32 v3, vcc_lo, s47, v3, vcc_lo
	s_mov_b32 s4, 0
	s_mov_b32 s5, exec_lo
                                        ; implicit-def: $vgpr37
	s_delay_alu instid0(VALU_DEP_1)
	v_cmpx_gt_i64_e64 v[2:3], v[0:1]
	s_cbranch_execz .LBB12_97
; %bb.87:                               ;   in Loop: Header=BB12_8 Depth=1
	v_dual_mov_b32 v4, v10 :: v_dual_mov_b32 v5, v11
	v_dual_mov_b32 v7, v1 :: v_dual_mov_b32 v6, v0
	s_mov_b32 s21, 0
                                        ; implicit-def: $sgpr22
	s_set_inst_prefetch_distance 0x1
	s_branch .LBB12_89
	.p2align	6
.LBB12_88:                              ;   in Loop: Header=BB12_89 Depth=2
	s_or_b32 exec_lo, exec_lo, s4
	s_waitcnt vmcnt(0) lgkmcnt(0)
	s_barrier
	buffer_gl0_inv
	ds_load_u16 v8, v13 offset:3072
	v_add_co_u32 v6, vcc_lo, v6, s33
	v_add_co_ci_u32_e32 v7, vcc_lo, 0, v7, vcc_lo
	s_waitcnt lgkmcnt(0)
	s_barrier
	buffer_gl0_inv
	v_cmp_ge_i64_e32 vcc_lo, v[6:7], v[2:3]
	v_and_b32_e32 v9, 0xff, v8
	s_delay_alu instid0(VALU_DEP_1) | instskip(NEXT) | instid1(VALU_DEP_1)
	v_cmp_ne_u16_e64 s4, 0, v9
	s_or_b32 s23, s4, vcc_lo
	v_add_co_u32 v4, vcc_lo, v4, s64
	s_and_b32 s23, exec_lo, s23
	v_add_co_ci_u32_e32 v5, vcc_lo, s35, v5, vcc_lo
	s_or_b32 s21, s23, s21
	s_and_not1_b32 s22, s22, exec_lo
	s_and_b32 s4, s4, exec_lo
	s_delay_alu instid0(SALU_CYCLE_1)
	s_or_b32 s22, s22, s4
	s_and_not1_b32 exec_lo, exec_lo, s21
	s_cbranch_execz .LBB12_96
.LBB12_89:                              ;   Parent Loop BB12_8 Depth=1
                                        ; =>  This Inner Loop Header: Depth=2
	s_delay_alu instid0(VALU_DEP_1)
	v_cmp_gt_i64_e32 vcc_lo, s[24:25], v[6:7]
	v_mov_b32_e32 v8, 0
	s_and_saveexec_b32 s4, vcc_lo
	s_cbranch_execz .LBB12_91
; %bb.90:                               ;   in Loop: Header=BB12_89 Depth=2
	global_load_u8 v8, v[4:5], off
.LBB12_91:                              ;   in Loop: Header=BB12_89 Depth=2
	s_or_b32 exec_lo, exec_lo, s4
	s_and_saveexec_b32 s4, vcc_lo
	s_cbranch_execz .LBB12_88
; %bb.92:                               ;   in Loop: Header=BB12_89 Depth=2
	s_waitcnt vmcnt(0)
	v_bfe_i32 v9, v8, 0, 8
	s_delay_alu instid0(VALU_DEP_1) | instskip(NEXT) | instid1(VALU_DEP_1)
	v_add_nc_u32_e32 v9, 0x80, v9
	v_and_b32_e32 v9, s84, v9
	s_delay_alu instid0(VALU_DEP_1)
	v_cmp_eq_u32_e32 vcc_lo, s85, v9
	s_and_b32 exec_lo, exec_lo, vcc_lo
	s_cbranch_execz .LBB12_88
; %bb.93:                               ;   in Loop: Header=BB12_89 Depth=2
	v_lshlrev_b16 v8, 8, v8
	s_delay_alu instid0(VALU_DEP_1)
	v_or_b32_e32 v8, 1, v8
	ds_store_b16 v13, v8 offset:3072
	s_branch .LBB12_88
.LBB12_94:                              ;   in Loop: Header=BB12_8 Depth=1
	s_mov_b32 s4, -1
                                        ; implicit-def: $sgpr5
                                        ; implicit-def: $sgpr22
                                        ; implicit-def: $sgpr21
	s_branch .LBB12_111
.LBB12_95:                              ;   in Loop: Header=BB12_8 Depth=1
	s_mov_b32 s5, -1
	s_mov_b32 s4, 0
                                        ; implicit-def: $sgpr21
                                        ; implicit-def: $vgpr37
	s_mov_b32 s22, s5
	s_cbranch_execnz .LBB12_98
	s_branch .LBB12_111
.LBB12_96:                              ;   in Loop: Header=BB12_8 Depth=1
	s_set_inst_prefetch_distance 0x2
	s_or_b32 exec_lo, exec_lo, s21
	v_lshrrev_b16 v37, 8, v8
	s_and_b32 s4, s22, exec_lo
.LBB12_97:                              ;   in Loop: Header=BB12_8 Depth=1
	s_or_b32 exec_lo, exec_lo, s5
	s_mov_b32 s21, -1
	s_mov_b32 s5, 0
	s_delay_alu instid0(SALU_CYCLE_1)
	s_mov_b32 s22, s5
	s_branch .LBB12_111
.LBB12_98:                              ;   in Loop: Header=BB12_8 Depth=1
	s_add_u32 s21, s68, s14
	s_addc_u32 s5, s69, s15
	s_mov_b32 s4, s45
	s_delay_alu instid0(SALU_CYCLE_1)
	s_cmp_lg_u64 s[4:5], 0
	s_cbranch_scc0 .LBB12_141
; %bb.99:                               ;   in Loop: Header=BB12_8 Depth=1
	v_cvt_f32_u32_e32 v2, s33
	s_sub_u32 s23, 0, s33
	s_subb_u32 s44, 0, 0
	s_delay_alu instid0(VALU_DEP_1) | instskip(NEXT) | instid1(VALU_DEP_1)
	v_fmac_f32_e32 v2, 0x4f800000, v36
	v_rcp_f32_e32 v2, v2
	s_waitcnt_depctr 0xfff
	v_mul_f32_e32 v2, 0x5f7ffffc, v2
	s_delay_alu instid0(VALU_DEP_1) | instskip(NEXT) | instid1(VALU_DEP_1)
	v_mul_f32_e32 v3, 0x2f800000, v2
	v_trunc_f32_e32 v3, v3
	s_delay_alu instid0(VALU_DEP_1) | instskip(SKIP_1) | instid1(VALU_DEP_2)
	v_fmac_f32_e32 v2, 0xcf800000, v3
	v_cvt_u32_f32_e32 v3, v3
	v_cvt_u32_f32_e32 v2, v2
	s_delay_alu instid0(VALU_DEP_2) | instskip(NEXT) | instid1(VALU_DEP_2)
	v_readfirstlane_b32 s4, v3
	v_readfirstlane_b32 s22, v2
	s_delay_alu instid0(VALU_DEP_2) | instskip(NEXT) | instid1(VALU_DEP_1)
	s_mul_i32 s46, s23, s4
	s_mul_hi_u32 s53, s23, s22
	s_mul_i32 s52, s44, s22
	s_add_i32 s46, s53, s46
	s_mul_i32 s54, s23, s22
	s_add_i32 s46, s46, s52
	s_mul_hi_u32 s53, s22, s54
	s_mul_hi_u32 s55, s4, s54
	s_mul_i32 s52, s4, s54
	s_mul_hi_u32 s54, s22, s46
	s_mul_i32 s22, s22, s46
	s_mul_hi_u32 s56, s4, s46
	s_add_u32 s22, s53, s22
	s_addc_u32 s53, 0, s54
	s_add_u32 s22, s22, s52
	s_mul_i32 s46, s4, s46
	s_addc_u32 s22, s53, s55
	s_addc_u32 s52, s56, 0
	s_add_u32 s22, s22, s46
	s_addc_u32 s46, 0, s52
	v_add_co_u32 v2, s22, v2, s22
	s_delay_alu instid0(VALU_DEP_1) | instskip(SKIP_1) | instid1(VALU_DEP_1)
	s_cmp_lg_u32 s22, 0
	s_addc_u32 s4, s4, s46
	v_readfirstlane_b32 s22, v2
	s_mul_i32 s46, s23, s4
	s_delay_alu instid0(VALU_DEP_1)
	s_mul_hi_u32 s52, s23, s22
	s_mul_i32 s44, s44, s22
	s_add_i32 s46, s52, s46
	s_mul_i32 s23, s23, s22
	s_add_i32 s46, s46, s44
	s_mul_hi_u32 s52, s4, s23
	s_mul_i32 s53, s4, s23
	s_mul_hi_u32 s23, s22, s23
	s_mul_hi_u32 s54, s22, s46
	s_mul_i32 s22, s22, s46
	s_mul_hi_u32 s44, s4, s46
	s_add_u32 s22, s23, s22
	s_addc_u32 s23, 0, s54
	s_add_u32 s22, s22, s53
	s_mul_i32 s46, s4, s46
	s_addc_u32 s22, s23, s52
	s_addc_u32 s23, s44, 0
	s_add_u32 s22, s22, s46
	s_addc_u32 s23, 0, s23
	v_add_co_u32 v2, s22, v2, s22
	s_delay_alu instid0(VALU_DEP_1) | instskip(SKIP_2) | instid1(VALU_DEP_1)
	s_cmp_lg_u32 s22, 0
	s_addc_u32 s4, s4, s23
	s_ashr_i32 s22, s5, 31
	v_readfirstlane_b32 s44, v2
	s_add_u32 s52, s21, s22
	s_mov_b32 s23, s22
	s_addc_u32 s53, s5, s22
	s_delay_alu instid0(SALU_CYCLE_1) | instskip(NEXT) | instid1(SALU_CYCLE_1)
	s_xor_b64 s[52:53], s[52:53], s[22:23]
	s_mul_i32 s46, s52, s4
	s_mul_hi_u32 s54, s52, s44
	s_mul_hi_u32 s23, s52, s4
	;; [unrolled: 1-line block ×3, first 2 shown]
	s_mul_i32 s44, s53, s44
	s_add_u32 s46, s54, s46
	s_addc_u32 s23, 0, s23
	s_mul_hi_u32 s55, s53, s4
	s_add_u32 s44, s46, s44
	s_mul_i32 s4, s53, s4
	s_addc_u32 s23, s23, s56
	s_addc_u32 s44, s55, 0
	s_add_u32 s4, s23, s4
	s_addc_u32 s23, 0, s44
	s_mul_hi_u32 s44, s33, s4
	s_mul_i32 s4, s33, s4
	s_mul_i32 s23, s33, s23
	v_sub_co_u32 v2, s4, s52, s4
	s_add_i32 s44, s44, s23
	s_cmp_lg_u32 s4, 0
	s_delay_alu instid0(VALU_DEP_1) | instskip(SKIP_2) | instid1(VALU_DEP_1)
	v_sub_co_u32 v3, s4, v2, s33
	s_subb_u32 s23, s53, s44
	s_cmp_lg_u32 s4, 0
	v_cmp_le_u32_e32 vcc_lo, s33, v3
	v_sub_co_u32 v4, s4, v3, s33
	s_subb_u32 s44, s23, 0
	s_cmp_lg_u32 s4, 0
	v_cndmask_b32_e64 v5, 0, -1, vcc_lo
	s_subb_u32 s4, s44, 0
	s_cmp_eq_u32 s44, 0
	v_mov_b32_e32 v7, s4
	s_cselect_b32 vcc_lo, -1, 0
	s_cmp_eq_u32 s23, 0
	v_cndmask_b32_e32 v5, -1, v5, vcc_lo
	v_cmp_le_u32_e32 vcc_lo, s33, v2
	s_cselect_b32 s4, -1, 0
	v_cndmask_b32_e64 v6, 0, -1, vcc_lo
	s_delay_alu instid0(VALU_DEP_3) | instskip(NEXT) | instid1(VALU_DEP_2)
	v_cmp_ne_u32_e32 vcc_lo, 0, v5
	v_cndmask_b32_e64 v5, -1, v6, s4
	v_cndmask_b32_e32 v3, v3, v4, vcc_lo
	v_cndmask_b32_e32 v6, s44, v7, vcc_lo
	s_delay_alu instid0(VALU_DEP_3) | instskip(NEXT) | instid1(VALU_DEP_3)
	v_cmp_ne_u32_e32 vcc_lo, 0, v5
	v_cndmask_b32_e32 v2, v2, v3, vcc_lo
	s_delay_alu instid0(VALU_DEP_3) | instskip(NEXT) | instid1(VALU_DEP_2)
	v_cndmask_b32_e32 v4, s23, v6, vcc_lo
	v_xor_b32_e32 v2, s22, v2
	s_delay_alu instid0(VALU_DEP_2) | instskip(NEXT) | instid1(VALU_DEP_2)
	v_xor_b32_e32 v3, s22, v4
	v_sub_co_u32 v2, vcc_lo, v2, s22
	s_delay_alu instid0(VALU_DEP_2)
	v_subrev_co_ci_u32_e32 v3, vcc_lo, s22, v3, vcc_lo
	s_cbranch_execnz .LBB12_101
.LBB12_100:                             ;   in Loop: Header=BB12_8 Depth=1
	v_cvt_f32_u32_e32 v2, s33
	s_sub_i32 s4, 0, s33
	s_delay_alu instid0(VALU_DEP_1) | instskip(SKIP_2) | instid1(VALU_DEP_1)
	v_rcp_iflag_f32_e32 v2, v2
	s_waitcnt_depctr 0xfff
	v_mul_f32_e32 v2, 0x4f7ffffe, v2
	v_cvt_u32_f32_e32 v2, v2
	s_delay_alu instid0(VALU_DEP_1) | instskip(NEXT) | instid1(VALU_DEP_1)
	v_mul_lo_u32 v3, s4, v2
	v_mul_hi_u32 v3, v2, v3
	s_delay_alu instid0(VALU_DEP_1) | instskip(NEXT) | instid1(VALU_DEP_1)
	v_add_nc_u32_e32 v2, v2, v3
	v_mul_hi_u32 v2, s21, v2
	s_delay_alu instid0(VALU_DEP_1) | instskip(NEXT) | instid1(VALU_DEP_1)
	v_mul_lo_u32 v2, v2, s33
	v_sub_nc_u32_e32 v2, s21, v2
	s_delay_alu instid0(VALU_DEP_1) | instskip(SKIP_1) | instid1(VALU_DEP_2)
	v_subrev_nc_u32_e32 v3, s33, v2
	v_cmp_le_u32_e32 vcc_lo, s33, v2
	v_cndmask_b32_e32 v2, v2, v3, vcc_lo
	s_delay_alu instid0(VALU_DEP_1) | instskip(SKIP_1) | instid1(VALU_DEP_2)
	v_subrev_nc_u32_e32 v3, s33, v2
	v_cmp_le_u32_e32 vcc_lo, s33, v2
	v_cndmask_b32_e32 v12, v2, v3, vcc_lo
	s_delay_alu instid0(VALU_DEP_1)
	v_dual_mov_b32 v2, v12 :: v_dual_mov_b32 v3, v13
.LBB12_101:                             ;   in Loop: Header=BB12_8 Depth=1
	s_delay_alu instid0(VALU_DEP_1) | instskip(NEXT) | instid1(VALU_DEP_2)
	v_sub_co_u32 v2, vcc_lo, s21, v2
	v_sub_co_ci_u32_e32 v3, vcc_lo, s5, v3, vcc_lo
	s_mov_b32 s4, 0
	s_mov_b32 s5, exec_lo
                                        ; implicit-def: $vgpr37
	s_delay_alu instid0(VALU_DEP_1)
	v_cmpx_gt_i64_e64 v[2:3], v[0:1]
	s_cbranch_execz .LBB12_110
; %bb.102:                              ;   in Loop: Header=BB12_8 Depth=1
	v_dual_mov_b32 v6, v0 :: v_dual_mov_b32 v5, v1
	v_mov_b32_e32 v4, v0
	s_mov_b32 s21, 0
                                        ; implicit-def: $sgpr22
	s_set_inst_prefetch_distance 0x1
	s_branch .LBB12_104
	.p2align	6
.LBB12_103:                             ;   in Loop: Header=BB12_104 Depth=2
	s_or_b32 exec_lo, exec_lo, s4
	s_waitcnt lgkmcnt(0)
	s_barrier
	buffer_gl0_inv
	ds_load_u16 v7, v13 offset:3072
	v_add_co_u32 v4, vcc_lo, v4, s33
	v_add_co_ci_u32_e32 v5, vcc_lo, 0, v5, vcc_lo
	v_add_nc_u32_e32 v6, s33, v6
	s_waitcnt lgkmcnt(0)
	s_barrier
	s_delay_alu instid0(VALU_DEP_2) | instskip(SKIP_2) | instid1(VALU_DEP_1)
	v_cmp_ge_i64_e32 vcc_lo, v[4:5], v[2:3]
	buffer_gl0_inv
	v_and_b32_e32 v8, 0xff, v7
	v_cmp_ne_u16_e64 s4, 0, v8
	s_delay_alu instid0(VALU_DEP_1) | instskip(NEXT) | instid1(SALU_CYCLE_1)
	s_or_b32 s23, s4, vcc_lo
	s_and_b32 s23, exec_lo, s23
	s_delay_alu instid0(SALU_CYCLE_1) | instskip(SKIP_2) | instid1(SALU_CYCLE_1)
	s_or_b32 s21, s23, s21
	s_and_not1_b32 s22, s22, exec_lo
	s_and_b32 s4, s4, exec_lo
	s_or_b32 s22, s22, s4
	s_and_not1_b32 exec_lo, exec_lo, s21
	s_cbranch_execz .LBB12_109
.LBB12_104:                             ;   Parent Loop BB12_8 Depth=1
                                        ; =>  This Inner Loop Header: Depth=2
	s_delay_alu instid0(VALU_DEP_1)
	v_cmp_gt_i64_e32 vcc_lo, s[14:15], v[4:5]
	v_mov_b32_e32 v7, 0
	s_and_saveexec_b32 s4, vcc_lo
	s_cbranch_execz .LBB12_106
; %bb.105:                              ;   in Loop: Header=BB12_104 Depth=2
	ds_load_u8 v7, v6
.LBB12_106:                             ;   in Loop: Header=BB12_104 Depth=2
	s_or_b32 exec_lo, exec_lo, s4
	s_and_saveexec_b32 s4, vcc_lo
	s_cbranch_execz .LBB12_103
; %bb.107:                              ;   in Loop: Header=BB12_104 Depth=2
	s_waitcnt lgkmcnt(0)
	v_bfe_i32 v8, v7, 0, 8
	s_delay_alu instid0(VALU_DEP_1) | instskip(NEXT) | instid1(VALU_DEP_1)
	v_add_nc_u32_e32 v8, 0x80, v8
	v_and_b32_e32 v8, s84, v8
	s_delay_alu instid0(VALU_DEP_1)
	v_cmp_eq_u32_e32 vcc_lo, s85, v8
	s_and_b32 exec_lo, exec_lo, vcc_lo
	s_cbranch_execz .LBB12_103
; %bb.108:                              ;   in Loop: Header=BB12_104 Depth=2
	v_lshlrev_b16 v7, 8, v7
	s_delay_alu instid0(VALU_DEP_1)
	v_or_b32_e32 v7, 1, v7
	ds_store_b16 v13, v7 offset:3072
	s_branch .LBB12_103
.LBB12_109:                             ;   in Loop: Header=BB12_8 Depth=1
	s_set_inst_prefetch_distance 0x2
	s_or_b32 exec_lo, exec_lo, s21
	v_lshrrev_b16 v37, 8, v7
	s_and_b32 s4, s22, exec_lo
.LBB12_110:                             ;   in Loop: Header=BB12_8 Depth=1
	s_or_b32 exec_lo, exec_lo, s5
	s_mov_b32 s22, -1
	s_mov_b32 s5, 0
	s_mov_b32 s21, 0
.LBB12_111:                             ;   in Loop: Header=BB12_8 Depth=1
	s_and_not1_b32 s14, s81, exec_lo
	s_and_b32 s5, s5, exec_lo
	s_and_not1_b32 s15, s82, exec_lo
	s_or_b32 s81, s14, s5
	s_and_not1_b32 s5, s83, exec_lo
	s_and_b32 s14, s22, exec_lo
	s_and_b32 s21, s21, exec_lo
	s_or_b32 s83, s5, s14
	s_or_b32 s82, s15, s21
	s_and_saveexec_b32 s14, s4
	s_cbranch_execz .LBB12_7
; %bb.112:                              ;   in Loop: Header=BB12_8 Depth=1
	s_xor_b32 s4, s20, -1
	s_mov_b32 s46, 1
	s_and_not1_b32 vcc_lo, exec_lo, s4
	s_cbranch_vccnz .LBB12_123
; %bb.113:                              ;   in Loop: Header=BB12_8 Depth=1
	v_cmp_gt_i64_e64 s4, s[26:27], s[12:13]
                                        ; implicit-def: $sgpr46
                                        ; implicit-def: $sgpr5
                                        ; implicit-def: $sgpr15
	s_delay_alu instid0(VALU_DEP_1)
	s_and_b32 vcc_lo, exec_lo, s4
	s_mov_b32 s4, -1
	s_cbranch_vccnz .LBB12_119
; %bb.114:                              ;   in Loop: Header=BB12_8 Depth=1
	ds_load_b64 v[2:3], v13 offset:5120
	s_waitcnt lgkmcnt(0)
	v_cmp_ne_u64_e32 vcc_lo, 0, v[2:3]
	s_cbranch_vccnz .LBB12_118
; %bb.115:                              ;   in Loop: Header=BB12_8 Depth=1
	s_and_saveexec_b32 s4, s0
	s_cbranch_execz .LBB12_117
; %bb.116:                              ;   in Loop: Header=BB12_8 Depth=1
	v_dual_mov_b32 v2, s12 :: v_dual_mov_b32 v3, s13
	ds_store_b64 v13, v[2:3] offset:5128
.LBB12_117:                             ;   in Loop: Header=BB12_8 Depth=1
	s_or_b32 exec_lo, exec_lo, s4
	s_waitcnt lgkmcnt(0)
	s_barrier
	buffer_gl0_inv
.LBB12_118:                             ;   in Loop: Header=BB12_8 Depth=1
	s_and_b32 s5, s85, s18
	s_or_b32 s15, s84, s16
	s_mov_b32 s4, 0
	s_mov_b32 s46, 8
.LBB12_119:                             ;   in Loop: Header=BB12_8 Depth=1
	s_and_not1_b32 vcc_lo, exec_lo, s4
	s_cbranch_vccnz .LBB12_121
; %bb.120:                              ;   in Loop: Header=BB12_8 Depth=1
	s_sub_u32 s26, s26, s12
	s_subb_u32 s27, s27, s13
	s_mov_b32 s4, -1
	s_mov_b32 s46, 0
	s_mov_b32 s5, s85
	;; [unrolled: 1-line block ×3, first 2 shown]
.LBB12_121:                             ;   in Loop: Header=BB12_8 Depth=1
	s_delay_alu instid0(SALU_CYCLE_1)
	s_mov_b32 s84, s15
	s_mov_b32 s85, s5
	s_and_b32 vcc_lo, exec_lo, s4
	s_mov_b32 s15, -1
	s_cbranch_vccnz .LBB12_124
.LBB12_122:                             ;   in Loop: Header=BB12_8 Depth=1
	s_mov_b32 s5, -1
                                        ; implicit-def: $sgpr19
                                        ; implicit-def: $sgpr21
                                        ; implicit-def: $sgpr20
	s_delay_alu instid0(SALU_CYCLE_1) | instskip(NEXT) | instid1(SALU_CYCLE_1)
	s_and_saveexec_b32 s4, s5
	s_xor_b32 s4, exec_lo, s4
	s_cbranch_execz .LBB12_6
	s_branch .LBB12_270
.LBB12_123:                             ;   in Loop: Header=BB12_8 Depth=1
	s_mov_b64 s[26:27], 1
	s_mov_b32 s15, -1
	s_branch .LBB12_122
.LBB12_124:                             ;   in Loop: Header=BB12_8 Depth=1
	s_cmp_eq_u64 s[10:11], 1
	s_cselect_b32 s4, -1, 0
	s_cmp_eq_u64 s[26:27], 1
	s_cselect_b32 s5, -1, 0
	s_delay_alu instid0(SALU_CYCLE_1)
	s_and_b32 s22, s4, s5
	s_mov_b32 s4, -1
	s_and_b32 vcc_lo, exec_lo, s22
	s_cbranch_vccz .LBB12_139
; %bb.125:                              ;   in Loop: Header=BB12_8 Depth=1
	ds_load_b64 v[2:3], v13 offset:5120
	s_waitcnt lgkmcnt(0)
	s_barrier
	buffer_gl0_inv
	v_readfirstlane_b32 s12, v2
	v_readfirstlane_b32 s13, v3
	s_and_saveexec_b32 s4, s3
	s_cbranch_execz .LBB12_127
; %bb.126:                              ;   in Loop: Header=BB12_8 Depth=1
	ds_store_b8 v0, v13 offset:3072
.LBB12_127:                             ;   in Loop: Header=BB12_8 Depth=1
	s_or_b32 exec_lo, exec_lo, s4
	s_delay_alu instid0(VALU_DEP_1)
	v_cmp_gt_i64_e64 s19, s[12:13], 0
	s_lshl_b32 s4, 1, s17
	s_and_b32 s5, s85, s18
	s_or_b32 s84, s84, s16
	s_or_b32 s85, s5, s4
	s_waitcnt lgkmcnt(0)
	s_and_b32 vcc_lo, exec_lo, s19
	s_barrier
	buffer_gl0_inv
	s_cbranch_vccnz .LBB12_142
; %bb.128:                              ;   in Loop: Header=BB12_8 Depth=1
	s_mov_b32 s46, s45
	s_delay_alu instid0(SALU_CYCLE_1)
	s_cmp_lg_u64 s[46:47], 0
	s_cbranch_scc0 .LBB12_187
; %bb.129:                              ;   in Loop: Header=BB12_8 Depth=1
	v_cvt_f32_u32_e32 v2, s33
	s_sub_u32 s19, 0, s33
	s_subb_u32 s20, 0, 0
	s_delay_alu instid0(VALU_DEP_1) | instskip(NEXT) | instid1(VALU_DEP_1)
	v_fmac_f32_e32 v2, 0x4f800000, v36
	v_rcp_f32_e32 v2, v2
	s_waitcnt_depctr 0xfff
	v_mul_f32_e32 v2, 0x5f7ffffc, v2
	s_delay_alu instid0(VALU_DEP_1) | instskip(NEXT) | instid1(VALU_DEP_1)
	v_mul_f32_e32 v3, 0x2f800000, v2
	v_trunc_f32_e32 v3, v3
	s_delay_alu instid0(VALU_DEP_1) | instskip(SKIP_1) | instid1(VALU_DEP_2)
	v_fmac_f32_e32 v2, 0xcf800000, v3
	v_cvt_u32_f32_e32 v3, v3
	v_cvt_u32_f32_e32 v2, v2
	s_delay_alu instid0(VALU_DEP_2) | instskip(NEXT) | instid1(VALU_DEP_2)
	v_readfirstlane_b32 s4, v3
	v_readfirstlane_b32 s5, v2
	s_delay_alu instid0(VALU_DEP_2) | instskip(NEXT) | instid1(VALU_DEP_1)
	s_mul_i32 s21, s19, s4
	s_mul_hi_u32 s44, s19, s5
	s_mul_i32 s23, s20, s5
	s_add_i32 s21, s44, s21
	s_mul_i32 s46, s19, s5
	s_add_i32 s21, s21, s23
	s_mul_hi_u32 s44, s5, s46
	s_mul_hi_u32 s52, s4, s46
	s_mul_i32 s23, s4, s46
	s_mul_hi_u32 s46, s5, s21
	s_mul_i32 s5, s5, s21
	s_mul_hi_u32 s53, s4, s21
	s_add_u32 s5, s44, s5
	s_addc_u32 s44, 0, s46
	s_add_u32 s5, s5, s23
	s_mul_i32 s21, s4, s21
	s_addc_u32 s5, s44, s52
	s_addc_u32 s23, s53, 0
	s_add_u32 s5, s5, s21
	s_addc_u32 s21, 0, s23
	v_add_co_u32 v2, s5, v2, s5
	s_delay_alu instid0(VALU_DEP_1) | instskip(SKIP_1) | instid1(VALU_DEP_1)
	s_cmp_lg_u32 s5, 0
	s_addc_u32 s4, s4, s21
	v_readfirstlane_b32 s5, v2
	s_mul_i32 s21, s19, s4
	s_delay_alu instid0(VALU_DEP_1)
	s_mul_hi_u32 s23, s19, s5
	s_mul_i32 s20, s20, s5
	s_add_i32 s21, s23, s21
	s_mul_i32 s19, s19, s5
	s_add_i32 s21, s21, s20
	s_mul_hi_u32 s23, s4, s19
	s_mul_i32 s44, s4, s19
	s_mul_hi_u32 s19, s5, s19
	s_mul_hi_u32 s46, s5, s21
	s_mul_i32 s5, s5, s21
	s_mul_hi_u32 s20, s4, s21
	s_add_u32 s5, s19, s5
	s_addc_u32 s19, 0, s46
	s_add_u32 s5, s5, s44
	s_mul_i32 s21, s4, s21
	s_addc_u32 s5, s19, s23
	s_addc_u32 s19, s20, 0
	s_add_u32 s5, s5, s21
	s_addc_u32 s19, 0, s19
	v_add_co_u32 v2, s5, v2, s5
	s_delay_alu instid0(VALU_DEP_1) | instskip(SKIP_2) | instid1(VALU_DEP_1)
	s_cmp_lg_u32 s5, 0
	s_addc_u32 s19, s4, s19
	s_ashr_i32 s20, s47, 31
	v_readfirstlane_b32 s23, v2
	s_add_u32 s4, s70, s20
	s_mov_b32 s21, s20
	s_addc_u32 s5, s47, s20
	s_delay_alu instid0(SALU_CYCLE_1) | instskip(NEXT) | instid1(SALU_CYCLE_1)
	s_xor_b64 s[4:5], s[4:5], s[20:21]
	s_mul_i32 s44, s4, s19
	s_mul_hi_u32 s46, s4, s23
	s_mul_hi_u32 s21, s4, s19
	;; [unrolled: 1-line block ×3, first 2 shown]
	s_mul_i32 s23, s5, s23
	s_add_u32 s44, s46, s44
	s_addc_u32 s21, 0, s21
	s_mul_hi_u32 s52, s5, s19
	s_add_u32 s23, s44, s23
	s_mul_i32 s19, s5, s19
	s_addc_u32 s21, s21, s53
	s_addc_u32 s23, s52, 0
	s_add_u32 s19, s21, s19
	s_addc_u32 s21, 0, s23
	s_mul_hi_u32 s23, s33, s19
	s_mul_i32 s19, s33, s19
	s_mul_i32 s21, s33, s21
	v_sub_co_u32 v2, s4, s4, s19
	s_add_i32 s23, s23, s21
	s_cmp_lg_u32 s4, 0
	s_delay_alu instid0(VALU_DEP_1) | instskip(SKIP_2) | instid1(VALU_DEP_1)
	v_sub_co_u32 v3, s4, v2, s33
	s_subb_u32 s5, s5, s23
	s_cmp_lg_u32 s4, 0
	v_cmp_le_u32_e32 vcc_lo, s33, v3
	v_sub_co_u32 v4, s4, v3, s33
	s_subb_u32 s19, s5, 0
	s_cmp_lg_u32 s4, 0
	v_cndmask_b32_e64 v5, 0, -1, vcc_lo
	s_subb_u32 s4, s19, 0
	s_cmp_eq_u32 s19, 0
	v_mov_b32_e32 v7, s4
	s_cselect_b32 vcc_lo, -1, 0
	s_cmp_eq_u32 s5, 0
	v_cndmask_b32_e32 v5, -1, v5, vcc_lo
	v_cmp_le_u32_e32 vcc_lo, s33, v2
	s_cselect_b32 s4, -1, 0
	v_cndmask_b32_e64 v6, 0, -1, vcc_lo
	s_delay_alu instid0(VALU_DEP_3) | instskip(NEXT) | instid1(VALU_DEP_2)
	v_cmp_ne_u32_e32 vcc_lo, 0, v5
	v_cndmask_b32_e64 v5, -1, v6, s4
	v_cndmask_b32_e32 v3, v3, v4, vcc_lo
	v_cndmask_b32_e32 v6, s19, v7, vcc_lo
	s_delay_alu instid0(VALU_DEP_3) | instskip(NEXT) | instid1(VALU_DEP_3)
	v_cmp_ne_u32_e32 vcc_lo, 0, v5
	v_cndmask_b32_e32 v2, v2, v3, vcc_lo
	s_delay_alu instid0(VALU_DEP_3) | instskip(NEXT) | instid1(VALU_DEP_2)
	v_cndmask_b32_e32 v4, s5, v6, vcc_lo
	v_xor_b32_e32 v2, s20, v2
	s_delay_alu instid0(VALU_DEP_2) | instskip(NEXT) | instid1(VALU_DEP_2)
	v_xor_b32_e32 v3, s20, v4
	v_sub_co_u32 v2, vcc_lo, v2, s20
	s_delay_alu instid0(VALU_DEP_2)
	v_subrev_co_ci_u32_e32 v3, vcc_lo, s20, v3, vcc_lo
	s_cbranch_execnz .LBB12_131
.LBB12_130:                             ;   in Loop: Header=BB12_8 Depth=1
	v_cvt_f32_u32_e32 v2, s33
	s_sub_i32 s4, 0, s33
	s_delay_alu instid0(VALU_DEP_1) | instskip(SKIP_2) | instid1(VALU_DEP_1)
	v_rcp_iflag_f32_e32 v2, v2
	s_waitcnt_depctr 0xfff
	v_mul_f32_e32 v2, 0x4f7ffffe, v2
	v_cvt_u32_f32_e32 v2, v2
	s_delay_alu instid0(VALU_DEP_1) | instskip(NEXT) | instid1(VALU_DEP_1)
	v_mul_lo_u32 v3, s4, v2
	v_mul_hi_u32 v3, v2, v3
	s_delay_alu instid0(VALU_DEP_1) | instskip(NEXT) | instid1(VALU_DEP_1)
	v_add_nc_u32_e32 v2, v2, v3
	v_mul_hi_u32 v2, s70, v2
	s_delay_alu instid0(VALU_DEP_1) | instskip(NEXT) | instid1(VALU_DEP_1)
	v_mul_lo_u32 v2, v2, s33
	v_sub_nc_u32_e32 v2, s70, v2
	s_delay_alu instid0(VALU_DEP_1) | instskip(SKIP_1) | instid1(VALU_DEP_2)
	v_subrev_nc_u32_e32 v3, s33, v2
	v_cmp_le_u32_e32 vcc_lo, s33, v2
	v_cndmask_b32_e32 v2, v2, v3, vcc_lo
	s_delay_alu instid0(VALU_DEP_1) | instskip(SKIP_1) | instid1(VALU_DEP_2)
	v_subrev_nc_u32_e32 v3, s33, v2
	v_cmp_le_u32_e32 vcc_lo, s33, v2
	v_cndmask_b32_e32 v12, v2, v3, vcc_lo
	s_delay_alu instid0(VALU_DEP_1)
	v_dual_mov_b32 v2, v12 :: v_dual_mov_b32 v3, v13
.LBB12_131:                             ;   in Loop: Header=BB12_8 Depth=1
	s_delay_alu instid0(VALU_DEP_1) | instskip(NEXT) | instid1(VALU_DEP_2)
	v_sub_co_u32 v2, vcc_lo, s70, v2
	v_sub_co_ci_u32_e32 v3, vcc_lo, s47, v3, vcc_lo
	s_mov_b32 s4, 0
	s_mov_b32 s5, exec_lo
                                        ; implicit-def: $vgpr37
	s_delay_alu instid0(VALU_DEP_1)
	v_cmpx_gt_i64_e64 v[2:3], v[0:1]
	s_cbranch_execz .LBB12_144
; %bb.132:                              ;   in Loop: Header=BB12_8 Depth=1
	v_dual_mov_b32 v4, v10 :: v_dual_mov_b32 v5, v11
	v_dual_mov_b32 v7, v1 :: v_dual_mov_b32 v6, v0
	s_mov_b32 s19, 0
                                        ; implicit-def: $sgpr20
	s_set_inst_prefetch_distance 0x1
	s_branch .LBB12_134
	.p2align	6
.LBB12_133:                             ;   in Loop: Header=BB12_134 Depth=2
	s_or_b32 exec_lo, exec_lo, s4
	s_waitcnt vmcnt(0) lgkmcnt(0)
	s_barrier
	buffer_gl0_inv
	ds_load_u16 v8, v13 offset:3072
	v_add_co_u32 v6, vcc_lo, v6, s33
	v_add_co_ci_u32_e32 v7, vcc_lo, 0, v7, vcc_lo
	s_waitcnt lgkmcnt(0)
	s_barrier
	buffer_gl0_inv
	v_cmp_ge_i64_e32 vcc_lo, v[6:7], v[2:3]
	v_and_b32_e32 v9, 0xff, v8
	s_delay_alu instid0(VALU_DEP_1) | instskip(NEXT) | instid1(VALU_DEP_1)
	v_cmp_ne_u16_e64 s4, 0, v9
	s_or_b32 s21, s4, vcc_lo
	v_add_co_u32 v4, vcc_lo, v4, s64
	s_and_b32 s21, exec_lo, s21
	v_add_co_ci_u32_e32 v5, vcc_lo, s35, v5, vcc_lo
	s_or_b32 s19, s21, s19
	s_and_not1_b32 s20, s20, exec_lo
	s_and_b32 s4, s4, exec_lo
	s_delay_alu instid0(SALU_CYCLE_1)
	s_or_b32 s20, s20, s4
	s_and_not1_b32 exec_lo, exec_lo, s19
	s_cbranch_execz .LBB12_143
.LBB12_134:                             ;   Parent Loop BB12_8 Depth=1
                                        ; =>  This Inner Loop Header: Depth=2
	s_delay_alu instid0(VALU_DEP_1)
	v_cmp_gt_i64_e32 vcc_lo, s[24:25], v[6:7]
	v_mov_b32_e32 v8, 0
	s_and_saveexec_b32 s4, vcc_lo
	s_cbranch_execz .LBB12_136
; %bb.135:                              ;   in Loop: Header=BB12_134 Depth=2
	global_load_u8 v8, v[4:5], off
.LBB12_136:                             ;   in Loop: Header=BB12_134 Depth=2
	s_or_b32 exec_lo, exec_lo, s4
	s_and_saveexec_b32 s4, vcc_lo
	s_cbranch_execz .LBB12_133
; %bb.137:                              ;   in Loop: Header=BB12_134 Depth=2
	s_waitcnt vmcnt(0)
	v_bfe_i32 v9, v8, 0, 8
	s_delay_alu instid0(VALU_DEP_1) | instskip(NEXT) | instid1(VALU_DEP_1)
	v_add_nc_u32_e32 v9, 0x80, v9
	v_and_b32_e32 v9, s84, v9
	s_delay_alu instid0(VALU_DEP_1)
	v_cmp_eq_u32_e32 vcc_lo, s85, v9
	s_and_b32 exec_lo, exec_lo, vcc_lo
	s_cbranch_execz .LBB12_133
; %bb.138:                              ;   in Loop: Header=BB12_134 Depth=2
	v_lshlrev_b16 v8, 8, v8
	s_delay_alu instid0(VALU_DEP_1)
	v_or_b32_e32 v8, 1, v8
	ds_store_b16 v13, v8 offset:3072
	s_branch .LBB12_133
.LBB12_139:                             ;   in Loop: Header=BB12_8 Depth=1
                                        ; implicit-def: $sgpr20
                                        ; implicit-def: $sgpr21
                                        ; implicit-def: $sgpr19
	s_branch .LBB12_158
.LBB12_140:                             ;   in Loop: Header=BB12_8 Depth=1
                                        ; implicit-def: $vgpr2_vgpr3
	s_branch .LBB12_85
.LBB12_141:                             ;   in Loop: Header=BB12_8 Depth=1
                                        ; implicit-def: $vgpr2_vgpr3
	s_branch .LBB12_100
.LBB12_142:                             ;   in Loop: Header=BB12_8 Depth=1
	s_mov_b32 s20, -1
	s_mov_b32 s4, 0
                                        ; implicit-def: $sgpr19
                                        ; implicit-def: $vgpr37
	s_mov_b32 s21, s20
	s_cbranch_execnz .LBB12_145
	s_branch .LBB12_158
.LBB12_143:                             ;   in Loop: Header=BB12_8 Depth=1
	s_set_inst_prefetch_distance 0x2
	s_or_b32 exec_lo, exec_lo, s19
	v_lshrrev_b16 v37, 8, v8
	s_and_b32 s4, s20, exec_lo
.LBB12_144:                             ;   in Loop: Header=BB12_8 Depth=1
	s_or_b32 exec_lo, exec_lo, s5
	s_mov_b32 s19, -1
	s_mov_b32 s20, 0
	s_delay_alu instid0(SALU_CYCLE_1)
	s_mov_b32 s21, s20
	s_branch .LBB12_158
.LBB12_145:                             ;   in Loop: Header=BB12_8 Depth=1
	s_add_u32 s19, s68, s12
	s_addc_u32 s5, s69, s13
	s_mov_b32 s4, s45
	s_delay_alu instid0(SALU_CYCLE_1)
	s_cmp_lg_u64 s[4:5], 0
	s_cbranch_scc0 .LBB12_188
; %bb.146:                              ;   in Loop: Header=BB12_8 Depth=1
	v_cvt_f32_u32_e32 v2, s33
	s_sub_u32 s21, 0, s33
	s_subb_u32 s23, 0, 0
	s_delay_alu instid0(VALU_DEP_1) | instskip(NEXT) | instid1(VALU_DEP_1)
	v_fmac_f32_e32 v2, 0x4f800000, v36
	v_rcp_f32_e32 v2, v2
	s_waitcnt_depctr 0xfff
	v_mul_f32_e32 v2, 0x5f7ffffc, v2
	s_delay_alu instid0(VALU_DEP_1) | instskip(NEXT) | instid1(VALU_DEP_1)
	v_mul_f32_e32 v3, 0x2f800000, v2
	v_trunc_f32_e32 v3, v3
	s_delay_alu instid0(VALU_DEP_1) | instskip(SKIP_1) | instid1(VALU_DEP_2)
	v_fmac_f32_e32 v2, 0xcf800000, v3
	v_cvt_u32_f32_e32 v3, v3
	v_cvt_u32_f32_e32 v2, v2
	s_delay_alu instid0(VALU_DEP_2) | instskip(NEXT) | instid1(VALU_DEP_2)
	v_readfirstlane_b32 s4, v3
	v_readfirstlane_b32 s20, v2
	s_delay_alu instid0(VALU_DEP_2) | instskip(NEXT) | instid1(VALU_DEP_1)
	s_mul_i32 s44, s21, s4
	s_mul_hi_u32 s52, s21, s20
	s_mul_i32 s46, s23, s20
	s_add_i32 s44, s52, s44
	s_mul_i32 s53, s21, s20
	s_add_i32 s44, s44, s46
	s_mul_hi_u32 s52, s20, s53
	s_mul_hi_u32 s54, s4, s53
	s_mul_i32 s46, s4, s53
	s_mul_hi_u32 s53, s20, s44
	s_mul_i32 s20, s20, s44
	s_mul_hi_u32 s55, s4, s44
	s_add_u32 s20, s52, s20
	s_addc_u32 s52, 0, s53
	s_add_u32 s20, s20, s46
	s_mul_i32 s44, s4, s44
	s_addc_u32 s20, s52, s54
	s_addc_u32 s46, s55, 0
	s_add_u32 s20, s20, s44
	s_addc_u32 s44, 0, s46
	v_add_co_u32 v2, s20, v2, s20
	s_delay_alu instid0(VALU_DEP_1) | instskip(SKIP_1) | instid1(VALU_DEP_1)
	s_cmp_lg_u32 s20, 0
	s_addc_u32 s4, s4, s44
	v_readfirstlane_b32 s20, v2
	s_mul_i32 s44, s21, s4
	s_delay_alu instid0(VALU_DEP_1)
	s_mul_hi_u32 s46, s21, s20
	s_mul_i32 s23, s23, s20
	s_add_i32 s44, s46, s44
	s_mul_i32 s21, s21, s20
	s_add_i32 s44, s44, s23
	s_mul_hi_u32 s46, s4, s21
	s_mul_i32 s52, s4, s21
	s_mul_hi_u32 s21, s20, s21
	s_mul_hi_u32 s53, s20, s44
	s_mul_i32 s20, s20, s44
	s_mul_hi_u32 s23, s4, s44
	s_add_u32 s20, s21, s20
	s_addc_u32 s21, 0, s53
	s_add_u32 s20, s20, s52
	s_mul_i32 s44, s4, s44
	s_addc_u32 s20, s21, s46
	s_addc_u32 s21, s23, 0
	s_add_u32 s20, s20, s44
	s_addc_u32 s21, 0, s21
	v_add_co_u32 v2, s20, v2, s20
	s_delay_alu instid0(VALU_DEP_1) | instskip(SKIP_2) | instid1(VALU_DEP_1)
	s_cmp_lg_u32 s20, 0
	s_addc_u32 s4, s4, s21
	s_ashr_i32 s20, s5, 31
	v_readfirstlane_b32 s23, v2
	s_add_u32 s52, s19, s20
	s_mov_b32 s21, s20
	s_addc_u32 s53, s5, s20
	s_delay_alu instid0(SALU_CYCLE_1) | instskip(NEXT) | instid1(SALU_CYCLE_1)
	s_xor_b64 s[52:53], s[52:53], s[20:21]
	s_mul_i32 s44, s52, s4
	s_mul_hi_u32 s46, s52, s23
	s_mul_hi_u32 s21, s52, s4
	;; [unrolled: 1-line block ×3, first 2 shown]
	s_mul_i32 s23, s53, s23
	s_add_u32 s44, s46, s44
	s_addc_u32 s21, 0, s21
	s_mul_hi_u32 s54, s53, s4
	s_add_u32 s23, s44, s23
	s_mul_i32 s4, s53, s4
	s_addc_u32 s21, s21, s55
	s_addc_u32 s23, s54, 0
	s_add_u32 s4, s21, s4
	s_addc_u32 s21, 0, s23
	s_mul_hi_u32 s23, s33, s4
	s_mul_i32 s4, s33, s4
	s_mul_i32 s21, s33, s21
	v_sub_co_u32 v2, s4, s52, s4
	s_add_i32 s23, s23, s21
	s_cmp_lg_u32 s4, 0
	s_delay_alu instid0(VALU_DEP_1) | instskip(SKIP_2) | instid1(VALU_DEP_1)
	v_sub_co_u32 v3, s4, v2, s33
	s_subb_u32 s21, s53, s23
	s_cmp_lg_u32 s4, 0
	v_cmp_le_u32_e32 vcc_lo, s33, v3
	v_sub_co_u32 v4, s4, v3, s33
	s_subb_u32 s23, s21, 0
	s_cmp_lg_u32 s4, 0
	v_cndmask_b32_e64 v5, 0, -1, vcc_lo
	s_subb_u32 s4, s23, 0
	s_cmp_eq_u32 s23, 0
	v_mov_b32_e32 v7, s4
	s_cselect_b32 vcc_lo, -1, 0
	s_cmp_eq_u32 s21, 0
	v_cndmask_b32_e32 v5, -1, v5, vcc_lo
	v_cmp_le_u32_e32 vcc_lo, s33, v2
	s_cselect_b32 s4, -1, 0
	v_cndmask_b32_e64 v6, 0, -1, vcc_lo
	s_delay_alu instid0(VALU_DEP_3) | instskip(NEXT) | instid1(VALU_DEP_2)
	v_cmp_ne_u32_e32 vcc_lo, 0, v5
	v_cndmask_b32_e64 v5, -1, v6, s4
	v_cndmask_b32_e32 v3, v3, v4, vcc_lo
	v_cndmask_b32_e32 v6, s23, v7, vcc_lo
	s_delay_alu instid0(VALU_DEP_3) | instskip(NEXT) | instid1(VALU_DEP_3)
	v_cmp_ne_u32_e32 vcc_lo, 0, v5
	v_cndmask_b32_e32 v2, v2, v3, vcc_lo
	s_delay_alu instid0(VALU_DEP_3) | instskip(NEXT) | instid1(VALU_DEP_2)
	v_cndmask_b32_e32 v4, s21, v6, vcc_lo
	v_xor_b32_e32 v2, s20, v2
	s_delay_alu instid0(VALU_DEP_2) | instskip(NEXT) | instid1(VALU_DEP_2)
	v_xor_b32_e32 v3, s20, v4
	v_sub_co_u32 v2, vcc_lo, v2, s20
	s_delay_alu instid0(VALU_DEP_2)
	v_subrev_co_ci_u32_e32 v3, vcc_lo, s20, v3, vcc_lo
	s_cbranch_execnz .LBB12_148
.LBB12_147:                             ;   in Loop: Header=BB12_8 Depth=1
	v_cvt_f32_u32_e32 v2, s33
	s_sub_i32 s4, 0, s33
	s_delay_alu instid0(VALU_DEP_1) | instskip(SKIP_2) | instid1(VALU_DEP_1)
	v_rcp_iflag_f32_e32 v2, v2
	s_waitcnt_depctr 0xfff
	v_mul_f32_e32 v2, 0x4f7ffffe, v2
	v_cvt_u32_f32_e32 v2, v2
	s_delay_alu instid0(VALU_DEP_1) | instskip(NEXT) | instid1(VALU_DEP_1)
	v_mul_lo_u32 v3, s4, v2
	v_mul_hi_u32 v3, v2, v3
	s_delay_alu instid0(VALU_DEP_1) | instskip(NEXT) | instid1(VALU_DEP_1)
	v_add_nc_u32_e32 v2, v2, v3
	v_mul_hi_u32 v2, s19, v2
	s_delay_alu instid0(VALU_DEP_1) | instskip(NEXT) | instid1(VALU_DEP_1)
	v_mul_lo_u32 v2, v2, s33
	v_sub_nc_u32_e32 v2, s19, v2
	s_delay_alu instid0(VALU_DEP_1) | instskip(SKIP_1) | instid1(VALU_DEP_2)
	v_subrev_nc_u32_e32 v3, s33, v2
	v_cmp_le_u32_e32 vcc_lo, s33, v2
	v_cndmask_b32_e32 v2, v2, v3, vcc_lo
	s_delay_alu instid0(VALU_DEP_1) | instskip(SKIP_1) | instid1(VALU_DEP_2)
	v_subrev_nc_u32_e32 v3, s33, v2
	v_cmp_le_u32_e32 vcc_lo, s33, v2
	v_cndmask_b32_e32 v12, v2, v3, vcc_lo
	s_delay_alu instid0(VALU_DEP_1)
	v_dual_mov_b32 v2, v12 :: v_dual_mov_b32 v3, v13
.LBB12_148:                             ;   in Loop: Header=BB12_8 Depth=1
	s_delay_alu instid0(VALU_DEP_1) | instskip(NEXT) | instid1(VALU_DEP_2)
	v_sub_co_u32 v2, vcc_lo, s19, v2
	v_sub_co_ci_u32_e32 v3, vcc_lo, s5, v3, vcc_lo
	s_mov_b32 s4, 0
	s_mov_b32 s5, exec_lo
                                        ; implicit-def: $vgpr37
	s_delay_alu instid0(VALU_DEP_1)
	v_cmpx_gt_i64_e64 v[2:3], v[0:1]
	s_cbranch_execz .LBB12_157
; %bb.149:                              ;   in Loop: Header=BB12_8 Depth=1
	v_dual_mov_b32 v6, v0 :: v_dual_mov_b32 v5, v1
	v_mov_b32_e32 v4, v0
	s_mov_b32 s19, 0
                                        ; implicit-def: $sgpr20
	s_set_inst_prefetch_distance 0x1
	s_branch .LBB12_151
	.p2align	6
.LBB12_150:                             ;   in Loop: Header=BB12_151 Depth=2
	s_or_b32 exec_lo, exec_lo, s4
	s_waitcnt lgkmcnt(0)
	s_barrier
	buffer_gl0_inv
	ds_load_u16 v7, v13 offset:3072
	v_add_co_u32 v4, vcc_lo, v4, s33
	v_add_co_ci_u32_e32 v5, vcc_lo, 0, v5, vcc_lo
	v_add_nc_u32_e32 v6, s33, v6
	s_waitcnt lgkmcnt(0)
	s_barrier
	s_delay_alu instid0(VALU_DEP_2) | instskip(SKIP_2) | instid1(VALU_DEP_1)
	v_cmp_ge_i64_e32 vcc_lo, v[4:5], v[2:3]
	buffer_gl0_inv
	v_and_b32_e32 v8, 0xff, v7
	v_cmp_ne_u16_e64 s4, 0, v8
	s_delay_alu instid0(VALU_DEP_1) | instskip(NEXT) | instid1(SALU_CYCLE_1)
	s_or_b32 s21, s4, vcc_lo
	s_and_b32 s21, exec_lo, s21
	s_delay_alu instid0(SALU_CYCLE_1) | instskip(SKIP_2) | instid1(SALU_CYCLE_1)
	s_or_b32 s19, s21, s19
	s_and_not1_b32 s20, s20, exec_lo
	s_and_b32 s4, s4, exec_lo
	s_or_b32 s20, s20, s4
	s_and_not1_b32 exec_lo, exec_lo, s19
	s_cbranch_execz .LBB12_156
.LBB12_151:                             ;   Parent Loop BB12_8 Depth=1
                                        ; =>  This Inner Loop Header: Depth=2
	s_delay_alu instid0(VALU_DEP_1)
	v_cmp_gt_i64_e32 vcc_lo, s[12:13], v[4:5]
	v_mov_b32_e32 v7, 0
	s_and_saveexec_b32 s4, vcc_lo
	s_cbranch_execz .LBB12_153
; %bb.152:                              ;   in Loop: Header=BB12_151 Depth=2
	ds_load_u8 v7, v6
.LBB12_153:                             ;   in Loop: Header=BB12_151 Depth=2
	s_or_b32 exec_lo, exec_lo, s4
	s_and_saveexec_b32 s4, vcc_lo
	s_cbranch_execz .LBB12_150
; %bb.154:                              ;   in Loop: Header=BB12_151 Depth=2
	s_waitcnt lgkmcnt(0)
	v_bfe_i32 v8, v7, 0, 8
	s_delay_alu instid0(VALU_DEP_1) | instskip(NEXT) | instid1(VALU_DEP_1)
	v_add_nc_u32_e32 v8, 0x80, v8
	v_and_b32_e32 v8, s84, v8
	s_delay_alu instid0(VALU_DEP_1)
	v_cmp_eq_u32_e32 vcc_lo, s85, v8
	s_and_b32 exec_lo, exec_lo, vcc_lo
	s_cbranch_execz .LBB12_150
; %bb.155:                              ;   in Loop: Header=BB12_151 Depth=2
	v_lshlrev_b16 v7, 8, v7
	s_delay_alu instid0(VALU_DEP_1)
	v_or_b32_e32 v7, 1, v7
	ds_store_b16 v13, v7 offset:3072
	s_branch .LBB12_150
.LBB12_156:                             ;   in Loop: Header=BB12_8 Depth=1
	s_set_inst_prefetch_distance 0x2
	s_or_b32 exec_lo, exec_lo, s19
	v_lshrrev_b16 v37, 8, v7
	s_and_b32 s4, s20, exec_lo
.LBB12_157:                             ;   in Loop: Header=BB12_8 Depth=1
	s_or_b32 exec_lo, exec_lo, s5
	s_mov_b32 s21, -1
	s_mov_b32 s20, 0
	s_mov_b32 s19, 0
.LBB12_158:                             ;   in Loop: Header=BB12_8 Depth=1
	s_mov_b32 s5, 0
                                        ; implicit-def: $sgpr46
	s_and_saveexec_b32 s12, s4
	s_cbranch_execz .LBB12_269
; %bb.159:                              ;   in Loop: Header=BB12_8 Depth=1
	s_xor_b32 s4, s22, -1
	s_mov_b32 s46, 1
	s_and_not1_b32 vcc_lo, exec_lo, s4
	s_cbranch_vccnz .LBB12_170
; %bb.160:                              ;   in Loop: Header=BB12_8 Depth=1
	v_cmp_gt_i64_e64 s4, s[26:27], s[10:11]
                                        ; implicit-def: $sgpr46
                                        ; implicit-def: $sgpr5
                                        ; implicit-def: $sgpr13
	s_delay_alu instid0(VALU_DEP_1)
	s_and_b32 vcc_lo, exec_lo, s4
	s_mov_b32 s4, -1
	s_cbranch_vccnz .LBB12_166
; %bb.161:                              ;   in Loop: Header=BB12_8 Depth=1
	ds_load_b64 v[2:3], v13 offset:5120
	s_waitcnt lgkmcnt(0)
	v_cmp_ne_u64_e32 vcc_lo, 0, v[2:3]
	s_cbranch_vccnz .LBB12_165
; %bb.162:                              ;   in Loop: Header=BB12_8 Depth=1
	s_and_saveexec_b32 s4, s0
	s_cbranch_execz .LBB12_164
; %bb.163:                              ;   in Loop: Header=BB12_8 Depth=1
	v_dual_mov_b32 v2, s10 :: v_dual_mov_b32 v3, s11
	ds_store_b64 v13, v[2:3] offset:5128
.LBB12_164:                             ;   in Loop: Header=BB12_8 Depth=1
	s_or_b32 exec_lo, exec_lo, s4
	s_waitcnt lgkmcnt(0)
	s_barrier
	buffer_gl0_inv
.LBB12_165:                             ;   in Loop: Header=BB12_8 Depth=1
	s_lshl_b32 s4, 1, s17
	s_and_b32 s5, s85, s18
	s_or_b32 s13, s84, s16
	s_or_b32 s5, s5, s4
	s_mov_b32 s4, 0
	s_mov_b32 s46, 8
.LBB12_166:                             ;   in Loop: Header=BB12_8 Depth=1
	s_and_not1_b32 vcc_lo, exec_lo, s4
	s_cbranch_vccnz .LBB12_168
; %bb.167:                              ;   in Loop: Header=BB12_8 Depth=1
	s_sub_u32 s26, s26, s10
	s_subb_u32 s27, s27, s11
	s_mov_b32 s4, -1
	s_mov_b32 s46, 0
	s_mov_b32 s5, s85
	;; [unrolled: 1-line block ×3, first 2 shown]
.LBB12_168:                             ;   in Loop: Header=BB12_8 Depth=1
	s_delay_alu instid0(SALU_CYCLE_1)
	s_mov_b32 s84, s13
	s_mov_b32 s85, s5
	s_and_not1_b32 vcc_lo, exec_lo, s4
	s_mov_b32 s5, -1
	s_cbranch_vccz .LBB12_171
.LBB12_169:                             ;   in Loop: Header=BB12_8 Depth=1
                                        ; implicit-def: $sgpr22
                                        ; implicit-def: $sgpr23
                                        ; implicit-def: $sgpr13
	s_branch .LBB12_268
.LBB12_170:                             ;   in Loop: Header=BB12_8 Depth=1
	s_mov_b64 s[26:27], 1
	s_mov_b32 s5, -1
	s_cbranch_execnz .LBB12_169
.LBB12_171:                             ;   in Loop: Header=BB12_8 Depth=1
	s_cmp_eq_u64 s[8:9], 1
	s_cselect_b32 s4, -1, 0
	s_cmp_eq_u64 s[26:27], 1
	s_cselect_b32 s5, -1, 0
	s_delay_alu instid0(SALU_CYCLE_1)
	s_and_b32 s44, s4, s5
	s_mov_b32 s4, -1
	s_and_b32 vcc_lo, exec_lo, s44
	s_cbranch_vccz .LBB12_186
; %bb.172:                              ;   in Loop: Header=BB12_8 Depth=1
	ds_load_b64 v[2:3], v13 offset:5120
	s_waitcnt lgkmcnt(0)
	s_barrier
	buffer_gl0_inv
	v_readfirstlane_b32 s10, v2
	v_readfirstlane_b32 s11, v3
	s_and_saveexec_b32 s4, s3
	s_cbranch_execz .LBB12_174
; %bb.173:                              ;   in Loop: Header=BB12_8 Depth=1
	ds_store_b8 v0, v13 offset:3072
.LBB12_174:                             ;   in Loop: Header=BB12_8 Depth=1
	s_or_b32 exec_lo, exec_lo, s4
	s_delay_alu instid0(VALU_DEP_1)
	v_cmp_gt_i64_e64 s13, s[10:11], 0
	s_lshl_b32 s4, 2, s17
	s_and_b32 s5, s85, s18
	s_or_b32 s84, s84, s16
	s_or_b32 s85, s5, s4
	s_waitcnt lgkmcnt(0)
	s_and_b32 vcc_lo, exec_lo, s13
	s_barrier
	buffer_gl0_inv
	s_cbranch_vccnz .LBB12_189
; %bb.175:                              ;   in Loop: Header=BB12_8 Depth=1
	s_mov_b32 s46, s45
	s_delay_alu instid0(SALU_CYCLE_1)
	s_cmp_lg_u64 s[46:47], 0
	s_cbranch_scc0 .LBB12_234
; %bb.176:                              ;   in Loop: Header=BB12_8 Depth=1
	v_cvt_f32_u32_e32 v2, s33
	s_sub_u32 s13, 0, s33
	s_subb_u32 s22, 0, 0
	s_delay_alu instid0(VALU_DEP_1) | instskip(NEXT) | instid1(VALU_DEP_1)
	v_fmac_f32_e32 v2, 0x4f800000, v36
	v_rcp_f32_e32 v2, v2
	s_waitcnt_depctr 0xfff
	v_mul_f32_e32 v2, 0x5f7ffffc, v2
	s_delay_alu instid0(VALU_DEP_1) | instskip(NEXT) | instid1(VALU_DEP_1)
	v_mul_f32_e32 v3, 0x2f800000, v2
	v_trunc_f32_e32 v3, v3
	s_delay_alu instid0(VALU_DEP_1) | instskip(SKIP_1) | instid1(VALU_DEP_2)
	v_fmac_f32_e32 v2, 0xcf800000, v3
	v_cvt_u32_f32_e32 v3, v3
	v_cvt_u32_f32_e32 v2, v2
	s_delay_alu instid0(VALU_DEP_2) | instskip(NEXT) | instid1(VALU_DEP_2)
	v_readfirstlane_b32 s4, v3
	v_readfirstlane_b32 s5, v2
	s_delay_alu instid0(VALU_DEP_2) | instskip(NEXT) | instid1(VALU_DEP_1)
	s_mul_i32 s23, s13, s4
	s_mul_hi_u32 s52, s13, s5
	s_mul_i32 s46, s22, s5
	s_add_i32 s23, s52, s23
	s_mul_i32 s53, s13, s5
	s_add_i32 s23, s23, s46
	s_mul_hi_u32 s52, s5, s53
	s_mul_hi_u32 s54, s4, s53
	s_mul_i32 s46, s4, s53
	s_mul_hi_u32 s53, s5, s23
	s_mul_i32 s5, s5, s23
	s_mul_hi_u32 s55, s4, s23
	s_add_u32 s5, s52, s5
	s_addc_u32 s52, 0, s53
	s_add_u32 s5, s5, s46
	s_mul_i32 s23, s4, s23
	s_addc_u32 s5, s52, s54
	s_addc_u32 s46, s55, 0
	s_add_u32 s5, s5, s23
	s_addc_u32 s23, 0, s46
	v_add_co_u32 v2, s5, v2, s5
	s_delay_alu instid0(VALU_DEP_1) | instskip(SKIP_1) | instid1(VALU_DEP_1)
	s_cmp_lg_u32 s5, 0
	s_addc_u32 s4, s4, s23
	v_readfirstlane_b32 s5, v2
	s_mul_i32 s23, s13, s4
	s_delay_alu instid0(VALU_DEP_1)
	s_mul_hi_u32 s46, s13, s5
	s_mul_i32 s22, s22, s5
	s_add_i32 s23, s46, s23
	s_mul_i32 s13, s13, s5
	s_add_i32 s23, s23, s22
	s_mul_hi_u32 s46, s4, s13
	s_mul_i32 s52, s4, s13
	s_mul_hi_u32 s13, s5, s13
	s_mul_hi_u32 s53, s5, s23
	s_mul_i32 s5, s5, s23
	s_mul_hi_u32 s22, s4, s23
	s_add_u32 s5, s13, s5
	s_addc_u32 s13, 0, s53
	s_add_u32 s5, s5, s52
	s_mul_i32 s23, s4, s23
	s_addc_u32 s5, s13, s46
	s_addc_u32 s13, s22, 0
	s_add_u32 s5, s5, s23
	s_addc_u32 s13, 0, s13
	v_add_co_u32 v2, s5, v2, s5
	s_delay_alu instid0(VALU_DEP_1) | instskip(SKIP_2) | instid1(VALU_DEP_1)
	s_cmp_lg_u32 s5, 0
	s_addc_u32 s13, s4, s13
	s_ashr_i32 s22, s47, 31
	v_readfirstlane_b32 s46, v2
	s_add_u32 s4, s70, s22
	s_mov_b32 s23, s22
	s_addc_u32 s5, s47, s22
	s_delay_alu instid0(SALU_CYCLE_1) | instskip(NEXT) | instid1(SALU_CYCLE_1)
	s_xor_b64 s[4:5], s[4:5], s[22:23]
	s_mul_i32 s52, s4, s13
	s_mul_hi_u32 s53, s4, s46
	s_mul_hi_u32 s23, s4, s13
	;; [unrolled: 1-line block ×3, first 2 shown]
	s_mul_i32 s46, s5, s46
	s_add_u32 s52, s53, s52
	s_addc_u32 s23, 0, s23
	s_mul_hi_u32 s54, s5, s13
	s_add_u32 s46, s52, s46
	s_mul_i32 s13, s5, s13
	s_addc_u32 s23, s23, s55
	s_addc_u32 s46, s54, 0
	s_add_u32 s13, s23, s13
	s_addc_u32 s23, 0, s46
	s_mul_hi_u32 s46, s33, s13
	s_mul_i32 s13, s33, s13
	s_mul_i32 s23, s33, s23
	v_sub_co_u32 v2, s4, s4, s13
	s_add_i32 s46, s46, s23
	s_cmp_lg_u32 s4, 0
	s_delay_alu instid0(VALU_DEP_1) | instskip(SKIP_2) | instid1(VALU_DEP_1)
	v_sub_co_u32 v3, s4, v2, s33
	s_subb_u32 s5, s5, s46
	s_cmp_lg_u32 s4, 0
	v_cmp_le_u32_e32 vcc_lo, s33, v3
	v_sub_co_u32 v4, s4, v3, s33
	s_subb_u32 s13, s5, 0
	s_cmp_lg_u32 s4, 0
	v_cndmask_b32_e64 v5, 0, -1, vcc_lo
	s_subb_u32 s4, s13, 0
	s_cmp_eq_u32 s13, 0
	v_mov_b32_e32 v7, s4
	s_cselect_b32 vcc_lo, -1, 0
	s_cmp_eq_u32 s5, 0
	v_cndmask_b32_e32 v5, -1, v5, vcc_lo
	v_cmp_le_u32_e32 vcc_lo, s33, v2
	s_cselect_b32 s4, -1, 0
	v_cndmask_b32_e64 v6, 0, -1, vcc_lo
	s_delay_alu instid0(VALU_DEP_3) | instskip(NEXT) | instid1(VALU_DEP_2)
	v_cmp_ne_u32_e32 vcc_lo, 0, v5
	v_cndmask_b32_e64 v5, -1, v6, s4
	v_cndmask_b32_e32 v3, v3, v4, vcc_lo
	v_cndmask_b32_e32 v6, s13, v7, vcc_lo
	s_delay_alu instid0(VALU_DEP_3) | instskip(NEXT) | instid1(VALU_DEP_3)
	v_cmp_ne_u32_e32 vcc_lo, 0, v5
	v_cndmask_b32_e32 v2, v2, v3, vcc_lo
	s_delay_alu instid0(VALU_DEP_3) | instskip(NEXT) | instid1(VALU_DEP_2)
	v_cndmask_b32_e32 v4, s5, v6, vcc_lo
	v_xor_b32_e32 v2, s22, v2
	s_delay_alu instid0(VALU_DEP_2) | instskip(NEXT) | instid1(VALU_DEP_2)
	v_xor_b32_e32 v3, s22, v4
	v_sub_co_u32 v2, vcc_lo, v2, s22
	s_delay_alu instid0(VALU_DEP_2)
	v_subrev_co_ci_u32_e32 v3, vcc_lo, s22, v3, vcc_lo
	s_cbranch_execnz .LBB12_178
.LBB12_177:                             ;   in Loop: Header=BB12_8 Depth=1
	v_cvt_f32_u32_e32 v2, s33
	s_sub_i32 s4, 0, s33
	s_delay_alu instid0(VALU_DEP_1) | instskip(SKIP_2) | instid1(VALU_DEP_1)
	v_rcp_iflag_f32_e32 v2, v2
	s_waitcnt_depctr 0xfff
	v_mul_f32_e32 v2, 0x4f7ffffe, v2
	v_cvt_u32_f32_e32 v2, v2
	s_delay_alu instid0(VALU_DEP_1) | instskip(NEXT) | instid1(VALU_DEP_1)
	v_mul_lo_u32 v3, s4, v2
	v_mul_hi_u32 v3, v2, v3
	s_delay_alu instid0(VALU_DEP_1) | instskip(NEXT) | instid1(VALU_DEP_1)
	v_add_nc_u32_e32 v2, v2, v3
	v_mul_hi_u32 v2, s70, v2
	s_delay_alu instid0(VALU_DEP_1) | instskip(NEXT) | instid1(VALU_DEP_1)
	v_mul_lo_u32 v2, v2, s33
	v_sub_nc_u32_e32 v2, s70, v2
	s_delay_alu instid0(VALU_DEP_1) | instskip(SKIP_1) | instid1(VALU_DEP_2)
	v_subrev_nc_u32_e32 v3, s33, v2
	v_cmp_le_u32_e32 vcc_lo, s33, v2
	v_cndmask_b32_e32 v2, v2, v3, vcc_lo
	s_delay_alu instid0(VALU_DEP_1) | instskip(SKIP_1) | instid1(VALU_DEP_2)
	v_subrev_nc_u32_e32 v3, s33, v2
	v_cmp_le_u32_e32 vcc_lo, s33, v2
	v_cndmask_b32_e32 v12, v2, v3, vcc_lo
	s_delay_alu instid0(VALU_DEP_1)
	v_dual_mov_b32 v2, v12 :: v_dual_mov_b32 v3, v13
.LBB12_178:                             ;   in Loop: Header=BB12_8 Depth=1
	s_delay_alu instid0(VALU_DEP_1) | instskip(NEXT) | instid1(VALU_DEP_2)
	v_sub_co_u32 v2, vcc_lo, s70, v2
	v_sub_co_ci_u32_e32 v3, vcc_lo, s47, v3, vcc_lo
	s_mov_b32 s4, 0
	s_mov_b32 s5, exec_lo
                                        ; implicit-def: $vgpr37
	s_delay_alu instid0(VALU_DEP_1)
	v_cmpx_gt_i64_e64 v[2:3], v[0:1]
	s_cbranch_execz .LBB12_191
; %bb.179:                              ;   in Loop: Header=BB12_8 Depth=1
	v_dual_mov_b32 v4, v10 :: v_dual_mov_b32 v5, v11
	v_dual_mov_b32 v7, v1 :: v_dual_mov_b32 v6, v0
	s_mov_b32 s13, 0
                                        ; implicit-def: $sgpr22
	s_set_inst_prefetch_distance 0x1
	s_branch .LBB12_181
	.p2align	6
.LBB12_180:                             ;   in Loop: Header=BB12_181 Depth=2
	s_or_b32 exec_lo, exec_lo, s4
	s_waitcnt vmcnt(0) lgkmcnt(0)
	s_barrier
	buffer_gl0_inv
	ds_load_u16 v8, v13 offset:3072
	v_add_co_u32 v6, vcc_lo, v6, s33
	v_add_co_ci_u32_e32 v7, vcc_lo, 0, v7, vcc_lo
	s_waitcnt lgkmcnt(0)
	s_barrier
	buffer_gl0_inv
	v_cmp_ge_i64_e32 vcc_lo, v[6:7], v[2:3]
	v_and_b32_e32 v9, 0xff, v8
	s_delay_alu instid0(VALU_DEP_1) | instskip(NEXT) | instid1(VALU_DEP_1)
	v_cmp_ne_u16_e64 s4, 0, v9
	s_or_b32 s23, s4, vcc_lo
	v_add_co_u32 v4, vcc_lo, v4, s64
	s_and_b32 s23, exec_lo, s23
	v_add_co_ci_u32_e32 v5, vcc_lo, s35, v5, vcc_lo
	s_or_b32 s13, s23, s13
	s_and_not1_b32 s22, s22, exec_lo
	s_and_b32 s4, s4, exec_lo
	s_delay_alu instid0(SALU_CYCLE_1)
	s_or_b32 s22, s22, s4
	s_and_not1_b32 exec_lo, exec_lo, s13
	s_cbranch_execz .LBB12_190
.LBB12_181:                             ;   Parent Loop BB12_8 Depth=1
                                        ; =>  This Inner Loop Header: Depth=2
	s_delay_alu instid0(VALU_DEP_1)
	v_cmp_gt_i64_e32 vcc_lo, s[24:25], v[6:7]
	v_mov_b32_e32 v8, 0
	s_and_saveexec_b32 s4, vcc_lo
	s_cbranch_execz .LBB12_183
; %bb.182:                              ;   in Loop: Header=BB12_181 Depth=2
	global_load_u8 v8, v[4:5], off
.LBB12_183:                             ;   in Loop: Header=BB12_181 Depth=2
	s_or_b32 exec_lo, exec_lo, s4
	s_and_saveexec_b32 s4, vcc_lo
	s_cbranch_execz .LBB12_180
; %bb.184:                              ;   in Loop: Header=BB12_181 Depth=2
	s_waitcnt vmcnt(0)
	v_bfe_i32 v9, v8, 0, 8
	s_delay_alu instid0(VALU_DEP_1) | instskip(NEXT) | instid1(VALU_DEP_1)
	v_add_nc_u32_e32 v9, 0x80, v9
	v_and_b32_e32 v9, s84, v9
	s_delay_alu instid0(VALU_DEP_1)
	v_cmp_eq_u32_e32 vcc_lo, s85, v9
	s_and_b32 exec_lo, exec_lo, vcc_lo
	s_cbranch_execz .LBB12_180
; %bb.185:                              ;   in Loop: Header=BB12_181 Depth=2
	v_lshlrev_b16 v8, 8, v8
	s_delay_alu instid0(VALU_DEP_1)
	v_or_b32_e32 v8, 1, v8
	ds_store_b16 v13, v8 offset:3072
	s_branch .LBB12_180
.LBB12_186:                             ;   in Loop: Header=BB12_8 Depth=1
                                        ; implicit-def: $sgpr13
                                        ; implicit-def: $sgpr23
                                        ; implicit-def: $sgpr22
	s_branch .LBB12_205
.LBB12_187:                             ;   in Loop: Header=BB12_8 Depth=1
                                        ; implicit-def: $vgpr2_vgpr3
	s_branch .LBB12_130
.LBB12_188:                             ;   in Loop: Header=BB12_8 Depth=1
                                        ; implicit-def: $vgpr2_vgpr3
	s_branch .LBB12_147
.LBB12_189:                             ;   in Loop: Header=BB12_8 Depth=1
	s_mov_b32 s13, -1
	s_mov_b32 s4, 0
                                        ; implicit-def: $sgpr22
                                        ; implicit-def: $vgpr37
	s_mov_b32 s23, s13
	s_cbranch_execnz .LBB12_192
	s_branch .LBB12_205
.LBB12_190:                             ;   in Loop: Header=BB12_8 Depth=1
	s_set_inst_prefetch_distance 0x2
	s_or_b32 exec_lo, exec_lo, s13
	v_lshrrev_b16 v37, 8, v8
	s_and_b32 s4, s22, exec_lo
.LBB12_191:                             ;   in Loop: Header=BB12_8 Depth=1
	s_or_b32 exec_lo, exec_lo, s5
	s_mov_b32 s22, -1
	s_mov_b32 s13, 0
	s_delay_alu instid0(SALU_CYCLE_1)
	s_mov_b32 s23, s13
	s_branch .LBB12_205
.LBB12_192:                             ;   in Loop: Header=BB12_8 Depth=1
	s_add_u32 s13, s68, s10
	s_addc_u32 s5, s69, s11
	s_mov_b32 s4, s45
	s_delay_alu instid0(SALU_CYCLE_1)
	s_cmp_lg_u64 s[4:5], 0
	s_cbranch_scc0 .LBB12_235
; %bb.193:                              ;   in Loop: Header=BB12_8 Depth=1
	v_cvt_f32_u32_e32 v2, s33
	s_sub_u32 s23, 0, s33
	s_subb_u32 s46, 0, 0
	s_delay_alu instid0(VALU_DEP_1) | instskip(NEXT) | instid1(VALU_DEP_1)
	v_fmac_f32_e32 v2, 0x4f800000, v36
	v_rcp_f32_e32 v2, v2
	s_waitcnt_depctr 0xfff
	v_mul_f32_e32 v2, 0x5f7ffffc, v2
	s_delay_alu instid0(VALU_DEP_1) | instskip(NEXT) | instid1(VALU_DEP_1)
	v_mul_f32_e32 v3, 0x2f800000, v2
	v_trunc_f32_e32 v3, v3
	s_delay_alu instid0(VALU_DEP_1) | instskip(SKIP_1) | instid1(VALU_DEP_2)
	v_fmac_f32_e32 v2, 0xcf800000, v3
	v_cvt_u32_f32_e32 v3, v3
	v_cvt_u32_f32_e32 v2, v2
	s_delay_alu instid0(VALU_DEP_2) | instskip(NEXT) | instid1(VALU_DEP_2)
	v_readfirstlane_b32 s4, v3
	v_readfirstlane_b32 s22, v2
	s_delay_alu instid0(VALU_DEP_2) | instskip(NEXT) | instid1(VALU_DEP_1)
	s_mul_i32 s52, s23, s4
	s_mul_hi_u32 s54, s23, s22
	s_mul_i32 s53, s46, s22
	s_add_i32 s52, s54, s52
	s_mul_i32 s55, s23, s22
	s_add_i32 s52, s52, s53
	s_mul_hi_u32 s54, s22, s55
	s_mul_hi_u32 s56, s4, s55
	s_mul_i32 s53, s4, s55
	s_mul_hi_u32 s55, s22, s52
	s_mul_i32 s22, s22, s52
	s_mul_hi_u32 s57, s4, s52
	s_add_u32 s22, s54, s22
	s_addc_u32 s54, 0, s55
	s_add_u32 s22, s22, s53
	s_mul_i32 s52, s4, s52
	s_addc_u32 s22, s54, s56
	s_addc_u32 s53, s57, 0
	s_add_u32 s22, s22, s52
	s_addc_u32 s52, 0, s53
	v_add_co_u32 v2, s22, v2, s22
	s_delay_alu instid0(VALU_DEP_1) | instskip(SKIP_1) | instid1(VALU_DEP_1)
	s_cmp_lg_u32 s22, 0
	s_addc_u32 s4, s4, s52
	v_readfirstlane_b32 s22, v2
	s_mul_i32 s52, s23, s4
	s_delay_alu instid0(VALU_DEP_1)
	s_mul_hi_u32 s53, s23, s22
	s_mul_i32 s46, s46, s22
	s_add_i32 s52, s53, s52
	s_mul_i32 s23, s23, s22
	s_add_i32 s52, s52, s46
	s_mul_hi_u32 s53, s4, s23
	s_mul_i32 s54, s4, s23
	s_mul_hi_u32 s23, s22, s23
	s_mul_hi_u32 s55, s22, s52
	s_mul_i32 s22, s22, s52
	s_mul_hi_u32 s46, s4, s52
	s_add_u32 s22, s23, s22
	s_addc_u32 s23, 0, s55
	s_add_u32 s22, s22, s54
	s_mul_i32 s52, s4, s52
	s_addc_u32 s22, s23, s53
	s_addc_u32 s23, s46, 0
	s_add_u32 s22, s22, s52
	s_addc_u32 s23, 0, s23
	v_add_co_u32 v2, s22, v2, s22
	s_delay_alu instid0(VALU_DEP_1) | instskip(SKIP_2) | instid1(VALU_DEP_1)
	s_cmp_lg_u32 s22, 0
	s_addc_u32 s4, s4, s23
	s_ashr_i32 s22, s5, 31
	v_readfirstlane_b32 s46, v2
	s_add_u32 s52, s13, s22
	s_mov_b32 s23, s22
	s_addc_u32 s53, s5, s22
	s_delay_alu instid0(SALU_CYCLE_1) | instskip(NEXT) | instid1(SALU_CYCLE_1)
	s_xor_b64 s[52:53], s[52:53], s[22:23]
	s_mul_i32 s54, s52, s4
	s_mul_hi_u32 s55, s52, s46
	s_mul_hi_u32 s23, s52, s4
	;; [unrolled: 1-line block ×3, first 2 shown]
	s_mul_i32 s46, s53, s46
	s_add_u32 s54, s55, s54
	s_addc_u32 s23, 0, s23
	s_mul_hi_u32 s56, s53, s4
	s_add_u32 s46, s54, s46
	s_mul_i32 s4, s53, s4
	s_addc_u32 s23, s23, s57
	s_addc_u32 s46, s56, 0
	s_add_u32 s4, s23, s4
	s_addc_u32 s23, 0, s46
	s_mul_hi_u32 s46, s33, s4
	s_mul_i32 s4, s33, s4
	s_mul_i32 s23, s33, s23
	v_sub_co_u32 v2, s4, s52, s4
	s_add_i32 s46, s46, s23
	s_cmp_lg_u32 s4, 0
	s_delay_alu instid0(VALU_DEP_1) | instskip(SKIP_2) | instid1(VALU_DEP_1)
	v_sub_co_u32 v3, s4, v2, s33
	s_subb_u32 s23, s53, s46
	s_cmp_lg_u32 s4, 0
	v_cmp_le_u32_e32 vcc_lo, s33, v3
	v_sub_co_u32 v4, s4, v3, s33
	s_subb_u32 s46, s23, 0
	s_cmp_lg_u32 s4, 0
	v_cndmask_b32_e64 v5, 0, -1, vcc_lo
	s_subb_u32 s4, s46, 0
	s_cmp_eq_u32 s46, 0
	v_mov_b32_e32 v7, s4
	s_cselect_b32 vcc_lo, -1, 0
	s_cmp_eq_u32 s23, 0
	v_cndmask_b32_e32 v5, -1, v5, vcc_lo
	v_cmp_le_u32_e32 vcc_lo, s33, v2
	s_cselect_b32 s4, -1, 0
	v_cndmask_b32_e64 v6, 0, -1, vcc_lo
	s_delay_alu instid0(VALU_DEP_3) | instskip(NEXT) | instid1(VALU_DEP_2)
	v_cmp_ne_u32_e32 vcc_lo, 0, v5
	v_cndmask_b32_e64 v5, -1, v6, s4
	v_cndmask_b32_e32 v3, v3, v4, vcc_lo
	v_cndmask_b32_e32 v6, s46, v7, vcc_lo
	s_delay_alu instid0(VALU_DEP_3) | instskip(NEXT) | instid1(VALU_DEP_3)
	v_cmp_ne_u32_e32 vcc_lo, 0, v5
	v_cndmask_b32_e32 v2, v2, v3, vcc_lo
	s_delay_alu instid0(VALU_DEP_3) | instskip(NEXT) | instid1(VALU_DEP_2)
	v_cndmask_b32_e32 v4, s23, v6, vcc_lo
	v_xor_b32_e32 v2, s22, v2
	s_delay_alu instid0(VALU_DEP_2) | instskip(NEXT) | instid1(VALU_DEP_2)
	v_xor_b32_e32 v3, s22, v4
	v_sub_co_u32 v2, vcc_lo, v2, s22
	s_delay_alu instid0(VALU_DEP_2)
	v_subrev_co_ci_u32_e32 v3, vcc_lo, s22, v3, vcc_lo
	s_cbranch_execnz .LBB12_195
.LBB12_194:                             ;   in Loop: Header=BB12_8 Depth=1
	v_cvt_f32_u32_e32 v2, s33
	s_sub_i32 s4, 0, s33
	s_delay_alu instid0(VALU_DEP_1) | instskip(SKIP_2) | instid1(VALU_DEP_1)
	v_rcp_iflag_f32_e32 v2, v2
	s_waitcnt_depctr 0xfff
	v_mul_f32_e32 v2, 0x4f7ffffe, v2
	v_cvt_u32_f32_e32 v2, v2
	s_delay_alu instid0(VALU_DEP_1) | instskip(NEXT) | instid1(VALU_DEP_1)
	v_mul_lo_u32 v3, s4, v2
	v_mul_hi_u32 v3, v2, v3
	s_delay_alu instid0(VALU_DEP_1) | instskip(NEXT) | instid1(VALU_DEP_1)
	v_add_nc_u32_e32 v2, v2, v3
	v_mul_hi_u32 v2, s13, v2
	s_delay_alu instid0(VALU_DEP_1) | instskip(NEXT) | instid1(VALU_DEP_1)
	v_mul_lo_u32 v2, v2, s33
	v_sub_nc_u32_e32 v2, s13, v2
	s_delay_alu instid0(VALU_DEP_1) | instskip(SKIP_1) | instid1(VALU_DEP_2)
	v_subrev_nc_u32_e32 v3, s33, v2
	v_cmp_le_u32_e32 vcc_lo, s33, v2
	v_cndmask_b32_e32 v2, v2, v3, vcc_lo
	s_delay_alu instid0(VALU_DEP_1) | instskip(SKIP_1) | instid1(VALU_DEP_2)
	v_subrev_nc_u32_e32 v3, s33, v2
	v_cmp_le_u32_e32 vcc_lo, s33, v2
	v_cndmask_b32_e32 v12, v2, v3, vcc_lo
	s_delay_alu instid0(VALU_DEP_1)
	v_dual_mov_b32 v2, v12 :: v_dual_mov_b32 v3, v13
.LBB12_195:                             ;   in Loop: Header=BB12_8 Depth=1
	s_delay_alu instid0(VALU_DEP_1) | instskip(NEXT) | instid1(VALU_DEP_2)
	v_sub_co_u32 v2, vcc_lo, s13, v2
	v_sub_co_ci_u32_e32 v3, vcc_lo, s5, v3, vcc_lo
	s_mov_b32 s4, 0
	s_mov_b32 s5, exec_lo
                                        ; implicit-def: $vgpr37
	s_delay_alu instid0(VALU_DEP_1)
	v_cmpx_gt_i64_e64 v[2:3], v[0:1]
	s_cbranch_execz .LBB12_204
; %bb.196:                              ;   in Loop: Header=BB12_8 Depth=1
	v_dual_mov_b32 v6, v0 :: v_dual_mov_b32 v5, v1
	v_mov_b32_e32 v4, v0
	s_mov_b32 s13, 0
                                        ; implicit-def: $sgpr22
	s_set_inst_prefetch_distance 0x1
	s_branch .LBB12_198
	.p2align	6
.LBB12_197:                             ;   in Loop: Header=BB12_198 Depth=2
	s_or_b32 exec_lo, exec_lo, s4
	s_waitcnt lgkmcnt(0)
	s_barrier
	buffer_gl0_inv
	ds_load_u16 v7, v13 offset:3072
	v_add_co_u32 v4, vcc_lo, v4, s33
	v_add_co_ci_u32_e32 v5, vcc_lo, 0, v5, vcc_lo
	v_add_nc_u32_e32 v6, s33, v6
	s_waitcnt lgkmcnt(0)
	s_barrier
	s_delay_alu instid0(VALU_DEP_2) | instskip(SKIP_2) | instid1(VALU_DEP_1)
	v_cmp_ge_i64_e32 vcc_lo, v[4:5], v[2:3]
	buffer_gl0_inv
	v_and_b32_e32 v8, 0xff, v7
	v_cmp_ne_u16_e64 s4, 0, v8
	s_delay_alu instid0(VALU_DEP_1) | instskip(NEXT) | instid1(SALU_CYCLE_1)
	s_or_b32 s23, s4, vcc_lo
	s_and_b32 s23, exec_lo, s23
	s_delay_alu instid0(SALU_CYCLE_1) | instskip(SKIP_2) | instid1(SALU_CYCLE_1)
	s_or_b32 s13, s23, s13
	s_and_not1_b32 s22, s22, exec_lo
	s_and_b32 s4, s4, exec_lo
	s_or_b32 s22, s22, s4
	s_and_not1_b32 exec_lo, exec_lo, s13
	s_cbranch_execz .LBB12_203
.LBB12_198:                             ;   Parent Loop BB12_8 Depth=1
                                        ; =>  This Inner Loop Header: Depth=2
	s_delay_alu instid0(VALU_DEP_1)
	v_cmp_gt_i64_e32 vcc_lo, s[10:11], v[4:5]
	v_mov_b32_e32 v7, 0
	s_and_saveexec_b32 s4, vcc_lo
	s_cbranch_execz .LBB12_200
; %bb.199:                              ;   in Loop: Header=BB12_198 Depth=2
	ds_load_u8 v7, v6
.LBB12_200:                             ;   in Loop: Header=BB12_198 Depth=2
	s_or_b32 exec_lo, exec_lo, s4
	s_and_saveexec_b32 s4, vcc_lo
	s_cbranch_execz .LBB12_197
; %bb.201:                              ;   in Loop: Header=BB12_198 Depth=2
	s_waitcnt lgkmcnt(0)
	v_bfe_i32 v8, v7, 0, 8
	s_delay_alu instid0(VALU_DEP_1) | instskip(NEXT) | instid1(VALU_DEP_1)
	v_add_nc_u32_e32 v8, 0x80, v8
	v_and_b32_e32 v8, s84, v8
	s_delay_alu instid0(VALU_DEP_1)
	v_cmp_eq_u32_e32 vcc_lo, s85, v8
	s_and_b32 exec_lo, exec_lo, vcc_lo
	s_cbranch_execz .LBB12_197
; %bb.202:                              ;   in Loop: Header=BB12_198 Depth=2
	v_lshlrev_b16 v7, 8, v7
	s_delay_alu instid0(VALU_DEP_1)
	v_or_b32_e32 v7, 1, v7
	ds_store_b16 v13, v7 offset:3072
	s_branch .LBB12_197
.LBB12_203:                             ;   in Loop: Header=BB12_8 Depth=1
	s_set_inst_prefetch_distance 0x2
	s_or_b32 exec_lo, exec_lo, s13
	v_lshrrev_b16 v37, 8, v7
	s_and_b32 s4, s22, exec_lo
.LBB12_204:                             ;   in Loop: Header=BB12_8 Depth=1
	s_or_b32 exec_lo, exec_lo, s5
	s_mov_b32 s23, -1
	s_mov_b32 s13, 0
	s_mov_b32 s22, 0
.LBB12_205:                             ;   in Loop: Header=BB12_8 Depth=1
	s_mov_b32 s5, 0
                                        ; implicit-def: $sgpr46
	s_and_saveexec_b32 s10, s4
	s_cbranch_execz .LBB12_267
; %bb.206:                              ;   in Loop: Header=BB12_8 Depth=1
	s_xor_b32 s4, s44, -1
	s_mov_b32 s46, 1
	s_and_not1_b32 vcc_lo, exec_lo, s4
	s_cbranch_vccnz .LBB12_217
; %bb.207:                              ;   in Loop: Header=BB12_8 Depth=1
	v_cmp_gt_i64_e64 s4, s[26:27], s[8:9]
                                        ; implicit-def: $sgpr46
                                        ; implicit-def: $sgpr5
                                        ; implicit-def: $sgpr11
	s_delay_alu instid0(VALU_DEP_1)
	s_and_b32 vcc_lo, exec_lo, s4
	s_mov_b32 s4, -1
	s_cbranch_vccnz .LBB12_213
; %bb.208:                              ;   in Loop: Header=BB12_8 Depth=1
	ds_load_b64 v[2:3], v13 offset:5120
	s_waitcnt lgkmcnt(0)
	v_cmp_ne_u64_e32 vcc_lo, 0, v[2:3]
	s_cbranch_vccnz .LBB12_212
; %bb.209:                              ;   in Loop: Header=BB12_8 Depth=1
	s_and_saveexec_b32 s4, s0
	s_cbranch_execz .LBB12_211
; %bb.210:                              ;   in Loop: Header=BB12_8 Depth=1
	v_dual_mov_b32 v2, s8 :: v_dual_mov_b32 v3, s9
	ds_store_b64 v13, v[2:3] offset:5128
.LBB12_211:                             ;   in Loop: Header=BB12_8 Depth=1
	s_or_b32 exec_lo, exec_lo, s4
	s_waitcnt lgkmcnt(0)
	s_barrier
	buffer_gl0_inv
.LBB12_212:                             ;   in Loop: Header=BB12_8 Depth=1
	s_lshl_b32 s4, 2, s17
	s_and_b32 s5, s85, s18
	s_or_b32 s11, s84, s16
	s_or_b32 s5, s5, s4
	s_mov_b32 s4, 0
	s_mov_b32 s46, 8
.LBB12_213:                             ;   in Loop: Header=BB12_8 Depth=1
	s_and_not1_b32 vcc_lo, exec_lo, s4
	s_cbranch_vccnz .LBB12_215
; %bb.214:                              ;   in Loop: Header=BB12_8 Depth=1
	s_sub_u32 s26, s26, s8
	s_subb_u32 s27, s27, s9
	s_mov_b32 s4, -1
	s_mov_b32 s46, 0
	s_mov_b32 s5, s85
	;; [unrolled: 1-line block ×3, first 2 shown]
.LBB12_215:                             ;   in Loop: Header=BB12_8 Depth=1
	s_delay_alu instid0(SALU_CYCLE_1)
	s_mov_b32 s84, s11
	s_mov_b32 s85, s5
	s_and_not1_b32 vcc_lo, exec_lo, s4
	s_mov_b32 s9, -1
	s_cbranch_vccz .LBB12_218
.LBB12_216:                             ;   in Loop: Header=BB12_8 Depth=1
                                        ; implicit-def: $sgpr17
                                        ; implicit-def: $sgpr44
                                        ; implicit-def: $sgpr18
	s_branch .LBB12_266
.LBB12_217:                             ;   in Loop: Header=BB12_8 Depth=1
	s_mov_b64 s[26:27], 1
	s_mov_b32 s9, -1
	s_cbranch_execnz .LBB12_216
.LBB12_218:                             ;   in Loop: Header=BB12_8 Depth=1
	s_cmp_eq_u64 s[6:7], 1
	s_mov_b32 s52, -1
	s_cselect_b32 s4, -1, 0
	s_cmp_eq_u64 s[26:27], 1
	s_cselect_b32 s5, -1, 0
	s_delay_alu instid0(SALU_CYCLE_1) | instskip(NEXT) | instid1(SALU_CYCLE_1)
	s_and_b32 s11, s4, s5
	s_and_b32 vcc_lo, exec_lo, s11
	s_cbranch_vccz .LBB12_233
; %bb.219:                              ;   in Loop: Header=BB12_8 Depth=1
	ds_load_b64 v[2:3], v13 offset:5120
	s_waitcnt lgkmcnt(0)
	s_barrier
	buffer_gl0_inv
	v_readfirstlane_b32 s8, v2
	v_readfirstlane_b32 s9, v3
	s_and_saveexec_b32 s4, s3
	s_cbranch_execz .LBB12_221
; %bb.220:                              ;   in Loop: Header=BB12_8 Depth=1
	ds_store_b8 v0, v13 offset:3072
.LBB12_221:                             ;   in Loop: Header=BB12_8 Depth=1
	s_or_b32 exec_lo, exec_lo, s4
	s_delay_alu instid0(VALU_DEP_1)
	v_cmp_gt_i64_e64 s4, s[8:9], 0
	s_or_b32 s85, s85, s16
	s_or_b32 s84, s84, s16
	s_waitcnt lgkmcnt(0)
	s_barrier
	buffer_gl0_inv
	s_and_b32 vcc_lo, exec_lo, s4
	s_cbranch_vccnz .LBB12_236
; %bb.222:                              ;   in Loop: Header=BB12_8 Depth=1
	s_mov_b32 s46, s45
	s_delay_alu instid0(SALU_CYCLE_1)
	s_cmp_lg_u64 s[46:47], 0
	s_cbranch_scc0 .LBB12_272
; %bb.223:                              ;   in Loop: Header=BB12_8 Depth=1
	v_cvt_f32_u32_e32 v2, s33
	s_sub_u32 s17, 0, s33
	s_subb_u32 s18, 0, 0
	s_delay_alu instid0(VALU_DEP_1) | instskip(NEXT) | instid1(VALU_DEP_1)
	v_fmac_f32_e32 v2, 0x4f800000, v36
	v_rcp_f32_e32 v2, v2
	s_waitcnt_depctr 0xfff
	v_mul_f32_e32 v2, 0x5f7ffffc, v2
	s_delay_alu instid0(VALU_DEP_1) | instskip(NEXT) | instid1(VALU_DEP_1)
	v_mul_f32_e32 v3, 0x2f800000, v2
	v_trunc_f32_e32 v3, v3
	s_delay_alu instid0(VALU_DEP_1) | instskip(SKIP_1) | instid1(VALU_DEP_2)
	v_fmac_f32_e32 v2, 0xcf800000, v3
	v_cvt_u32_f32_e32 v3, v3
	v_cvt_u32_f32_e32 v2, v2
	s_delay_alu instid0(VALU_DEP_2) | instskip(NEXT) | instid1(VALU_DEP_2)
	v_readfirstlane_b32 s4, v3
	v_readfirstlane_b32 s5, v2
	s_delay_alu instid0(VALU_DEP_2) | instskip(NEXT) | instid1(VALU_DEP_1)
	s_mul_i32 s44, s17, s4
	s_mul_hi_u32 s52, s17, s5
	s_mul_i32 s46, s18, s5
	s_add_i32 s44, s52, s44
	s_mul_i32 s53, s17, s5
	s_add_i32 s44, s44, s46
	s_mul_hi_u32 s52, s5, s53
	s_mul_hi_u32 s54, s4, s53
	s_mul_i32 s46, s4, s53
	s_mul_hi_u32 s53, s5, s44
	s_mul_i32 s5, s5, s44
	s_mul_hi_u32 s55, s4, s44
	s_add_u32 s5, s52, s5
	s_addc_u32 s52, 0, s53
	s_add_u32 s5, s5, s46
	s_mul_i32 s44, s4, s44
	s_addc_u32 s5, s52, s54
	s_addc_u32 s46, s55, 0
	s_add_u32 s5, s5, s44
	s_addc_u32 s44, 0, s46
	v_add_co_u32 v2, s5, v2, s5
	s_delay_alu instid0(VALU_DEP_1) | instskip(SKIP_1) | instid1(VALU_DEP_1)
	s_cmp_lg_u32 s5, 0
	s_addc_u32 s4, s4, s44
	v_readfirstlane_b32 s5, v2
	s_mul_i32 s44, s17, s4
	s_delay_alu instid0(VALU_DEP_1)
	s_mul_hi_u32 s46, s17, s5
	s_mul_i32 s18, s18, s5
	s_add_i32 s44, s46, s44
	s_mul_i32 s17, s17, s5
	s_add_i32 s44, s44, s18
	s_mul_hi_u32 s46, s4, s17
	s_mul_i32 s52, s4, s17
	s_mul_hi_u32 s17, s5, s17
	s_mul_hi_u32 s53, s5, s44
	s_mul_i32 s5, s5, s44
	s_mul_hi_u32 s18, s4, s44
	s_add_u32 s5, s17, s5
	s_addc_u32 s17, 0, s53
	s_add_u32 s5, s5, s52
	s_mul_i32 s44, s4, s44
	s_addc_u32 s5, s17, s46
	s_addc_u32 s17, s18, 0
	s_add_u32 s5, s5, s44
	s_addc_u32 s17, 0, s17
	v_add_co_u32 v2, s5, v2, s5
	s_delay_alu instid0(VALU_DEP_1) | instskip(SKIP_2) | instid1(VALU_DEP_1)
	s_cmp_lg_u32 s5, 0
	s_addc_u32 s17, s4, s17
	s_ashr_i32 s52, s47, 31
	v_readfirstlane_b32 s18, v2
	s_add_u32 s4, s70, s52
	s_mov_b32 s53, s52
	s_addc_u32 s5, s47, s52
	s_delay_alu instid0(SALU_CYCLE_1) | instskip(NEXT) | instid1(SALU_CYCLE_1)
	s_xor_b64 s[4:5], s[4:5], s[52:53]
	s_mul_i32 s46, s4, s17
	s_mul_hi_u32 s53, s4, s18
	s_mul_hi_u32 s44, s4, s17
	;; [unrolled: 1-line block ×3, first 2 shown]
	s_mul_i32 s18, s5, s18
	s_add_u32 s46, s53, s46
	s_addc_u32 s44, 0, s44
	s_mul_hi_u32 s54, s5, s17
	s_add_u32 s18, s46, s18
	s_mul_i32 s17, s5, s17
	s_addc_u32 s18, s44, s55
	s_addc_u32 s44, s54, 0
	s_add_u32 s17, s18, s17
	s_addc_u32 s18, 0, s44
	s_mul_hi_u32 s44, s33, s17
	s_mul_i32 s17, s33, s17
	s_mul_i32 s18, s33, s18
	v_sub_co_u32 v2, s4, s4, s17
	s_add_i32 s44, s44, s18
	s_cmp_lg_u32 s4, 0
	s_delay_alu instid0(VALU_DEP_1) | instskip(SKIP_2) | instid1(VALU_DEP_1)
	v_sub_co_u32 v3, s4, v2, s33
	s_subb_u32 s5, s5, s44
	s_cmp_lg_u32 s4, 0
	v_cmp_le_u32_e32 vcc_lo, s33, v3
	v_sub_co_u32 v4, s4, v3, s33
	s_subb_u32 s17, s5, 0
	s_cmp_lg_u32 s4, 0
	v_cndmask_b32_e64 v5, 0, -1, vcc_lo
	s_subb_u32 s4, s17, 0
	s_cmp_eq_u32 s17, 0
	v_mov_b32_e32 v7, s4
	s_cselect_b32 vcc_lo, -1, 0
	s_cmp_eq_u32 s5, 0
	v_cndmask_b32_e32 v5, -1, v5, vcc_lo
	v_cmp_le_u32_e32 vcc_lo, s33, v2
	s_cselect_b32 s4, -1, 0
	v_cndmask_b32_e64 v6, 0, -1, vcc_lo
	s_delay_alu instid0(VALU_DEP_3) | instskip(NEXT) | instid1(VALU_DEP_2)
	v_cmp_ne_u32_e32 vcc_lo, 0, v5
	v_cndmask_b32_e64 v5, -1, v6, s4
	v_cndmask_b32_e32 v3, v3, v4, vcc_lo
	v_cndmask_b32_e32 v6, s17, v7, vcc_lo
	s_delay_alu instid0(VALU_DEP_3) | instskip(NEXT) | instid1(VALU_DEP_3)
	v_cmp_ne_u32_e32 vcc_lo, 0, v5
	v_cndmask_b32_e32 v2, v2, v3, vcc_lo
	s_delay_alu instid0(VALU_DEP_3) | instskip(NEXT) | instid1(VALU_DEP_2)
	v_cndmask_b32_e32 v4, s5, v6, vcc_lo
	v_xor_b32_e32 v2, s52, v2
	s_delay_alu instid0(VALU_DEP_2) | instskip(NEXT) | instid1(VALU_DEP_2)
	v_xor_b32_e32 v3, s52, v4
	v_sub_co_u32 v2, vcc_lo, v2, s52
	s_delay_alu instid0(VALU_DEP_2)
	v_subrev_co_ci_u32_e32 v3, vcc_lo, s52, v3, vcc_lo
	s_cbranch_execnz .LBB12_225
.LBB12_224:                             ;   in Loop: Header=BB12_8 Depth=1
	v_cvt_f32_u32_e32 v2, s33
	s_sub_i32 s4, 0, s33
	s_delay_alu instid0(VALU_DEP_1) | instskip(SKIP_2) | instid1(VALU_DEP_1)
	v_rcp_iflag_f32_e32 v2, v2
	s_waitcnt_depctr 0xfff
	v_mul_f32_e32 v2, 0x4f7ffffe, v2
	v_cvt_u32_f32_e32 v2, v2
	s_delay_alu instid0(VALU_DEP_1) | instskip(NEXT) | instid1(VALU_DEP_1)
	v_mul_lo_u32 v3, s4, v2
	v_mul_hi_u32 v3, v2, v3
	s_delay_alu instid0(VALU_DEP_1) | instskip(NEXT) | instid1(VALU_DEP_1)
	v_add_nc_u32_e32 v2, v2, v3
	v_mul_hi_u32 v2, s70, v2
	s_delay_alu instid0(VALU_DEP_1) | instskip(NEXT) | instid1(VALU_DEP_1)
	v_mul_lo_u32 v2, v2, s33
	v_sub_nc_u32_e32 v2, s70, v2
	s_delay_alu instid0(VALU_DEP_1) | instskip(SKIP_1) | instid1(VALU_DEP_2)
	v_subrev_nc_u32_e32 v3, s33, v2
	v_cmp_le_u32_e32 vcc_lo, s33, v2
	v_cndmask_b32_e32 v2, v2, v3, vcc_lo
	s_delay_alu instid0(VALU_DEP_1) | instskip(SKIP_1) | instid1(VALU_DEP_2)
	v_subrev_nc_u32_e32 v3, s33, v2
	v_cmp_le_u32_e32 vcc_lo, s33, v2
	v_cndmask_b32_e32 v12, v2, v3, vcc_lo
	s_delay_alu instid0(VALU_DEP_1)
	v_dual_mov_b32 v2, v12 :: v_dual_mov_b32 v3, v13
.LBB12_225:                             ;   in Loop: Header=BB12_8 Depth=1
	s_delay_alu instid0(VALU_DEP_1) | instskip(NEXT) | instid1(VALU_DEP_2)
	v_sub_co_u32 v2, vcc_lo, s70, v2
	v_sub_co_ci_u32_e32 v3, vcc_lo, s47, v3, vcc_lo
	s_mov_b32 s52, 0
	s_mov_b32 s5, exec_lo
                                        ; implicit-def: $vgpr37
	s_delay_alu instid0(VALU_DEP_1)
	v_cmpx_gt_i64_e64 v[2:3], v[0:1]
	s_cbranch_execz .LBB12_238
; %bb.226:                              ;   in Loop: Header=BB12_8 Depth=1
	v_dual_mov_b32 v4, v10 :: v_dual_mov_b32 v5, v11
	v_dual_mov_b32 v7, v1 :: v_dual_mov_b32 v6, v0
	s_mov_b32 s17, 0
                                        ; implicit-def: $sgpr18
	s_set_inst_prefetch_distance 0x1
	s_branch .LBB12_228
	.p2align	6
.LBB12_227:                             ;   in Loop: Header=BB12_228 Depth=2
	s_or_b32 exec_lo, exec_lo, s4
	s_waitcnt vmcnt(0) lgkmcnt(0)
	s_barrier
	buffer_gl0_inv
	ds_load_u16 v8, v13 offset:3072
	v_add_co_u32 v6, vcc_lo, v6, s33
	v_add_co_ci_u32_e32 v7, vcc_lo, 0, v7, vcc_lo
	s_waitcnt lgkmcnt(0)
	s_barrier
	buffer_gl0_inv
	v_cmp_ge_i64_e32 vcc_lo, v[6:7], v[2:3]
	v_and_b32_e32 v9, 0xff, v8
	s_delay_alu instid0(VALU_DEP_1) | instskip(NEXT) | instid1(VALU_DEP_1)
	v_cmp_ne_u16_e64 s4, 0, v9
	s_or_b32 s44, s4, vcc_lo
	v_add_co_u32 v4, vcc_lo, v4, s64
	s_and_b32 s44, exec_lo, s44
	v_add_co_ci_u32_e32 v5, vcc_lo, s35, v5, vcc_lo
	s_or_b32 s17, s44, s17
	s_and_not1_b32 s18, s18, exec_lo
	s_and_b32 s4, s4, exec_lo
	s_delay_alu instid0(SALU_CYCLE_1)
	s_or_b32 s18, s18, s4
	s_and_not1_b32 exec_lo, exec_lo, s17
	s_cbranch_execz .LBB12_237
.LBB12_228:                             ;   Parent Loop BB12_8 Depth=1
                                        ; =>  This Inner Loop Header: Depth=2
	s_delay_alu instid0(VALU_DEP_1)
	v_cmp_gt_i64_e32 vcc_lo, s[24:25], v[6:7]
	v_mov_b32_e32 v8, 0
	s_and_saveexec_b32 s4, vcc_lo
	s_cbranch_execz .LBB12_230
; %bb.229:                              ;   in Loop: Header=BB12_228 Depth=2
	global_load_u8 v8, v[4:5], off
.LBB12_230:                             ;   in Loop: Header=BB12_228 Depth=2
	s_or_b32 exec_lo, exec_lo, s4
	s_and_saveexec_b32 s4, vcc_lo
	s_cbranch_execz .LBB12_227
; %bb.231:                              ;   in Loop: Header=BB12_228 Depth=2
	s_waitcnt vmcnt(0)
	v_bfe_i32 v9, v8, 0, 8
	s_delay_alu instid0(VALU_DEP_1) | instskip(NEXT) | instid1(VALU_DEP_1)
	v_add_nc_u32_e32 v9, 0x80, v9
	v_and_b32_e32 v9, s84, v9
	s_delay_alu instid0(VALU_DEP_1)
	v_cmp_eq_u32_e32 vcc_lo, s85, v9
	s_and_b32 exec_lo, exec_lo, vcc_lo
	s_cbranch_execz .LBB12_227
; %bb.232:                              ;   in Loop: Header=BB12_228 Depth=2
	v_lshlrev_b16 v8, 8, v8
	s_delay_alu instid0(VALU_DEP_1)
	v_or_b32_e32 v8, 1, v8
	ds_store_b16 v13, v8 offset:3072
	s_branch .LBB12_227
.LBB12_233:                             ;   in Loop: Header=BB12_8 Depth=1
                                        ; implicit-def: $sgpr17
                                        ; implicit-def: $sgpr44
                                        ; implicit-def: $sgpr18
	s_branch .LBB12_252
.LBB12_234:                             ;   in Loop: Header=BB12_8 Depth=1
                                        ; implicit-def: $vgpr2_vgpr3
	s_branch .LBB12_177
.LBB12_235:                             ;   in Loop: Header=BB12_8 Depth=1
                                        ; implicit-def: $vgpr2_vgpr3
	s_branch .LBB12_194
.LBB12_236:                             ;   in Loop: Header=BB12_8 Depth=1
	s_mov_b32 s17, -1
	s_mov_b32 s52, 0
                                        ; implicit-def: $sgpr18
                                        ; implicit-def: $vgpr37
	s_mov_b32 s44, s17
	s_cbranch_execnz .LBB12_239
	s_branch .LBB12_252
.LBB12_237:                             ;   in Loop: Header=BB12_8 Depth=1
	s_set_inst_prefetch_distance 0x2
	s_or_b32 exec_lo, exec_lo, s17
	v_lshrrev_b16 v37, 8, v8
	s_and_b32 s52, s18, exec_lo
.LBB12_238:                             ;   in Loop: Header=BB12_8 Depth=1
	s_or_b32 exec_lo, exec_lo, s5
	s_mov_b32 s18, -1
	s_mov_b32 s17, 0
	s_delay_alu instid0(SALU_CYCLE_1)
	s_mov_b32 s44, s17
	s_branch .LBB12_252
.LBB12_239:                             ;   in Loop: Header=BB12_8 Depth=1
	s_add_u32 s17, s68, s8
	s_addc_u32 s5, s69, s9
	s_mov_b32 s4, s45
	s_delay_alu instid0(SALU_CYCLE_1)
	s_cmp_lg_u64 s[4:5], 0
	s_cbranch_scc0 .LBB12_273
; %bb.240:                              ;   in Loop: Header=BB12_8 Depth=1
	v_cvt_f32_u32_e32 v2, s33
	s_sub_u32 s44, 0, s33
	s_subb_u32 s46, 0, 0
	s_delay_alu instid0(VALU_DEP_1) | instskip(NEXT) | instid1(VALU_DEP_1)
	v_fmac_f32_e32 v2, 0x4f800000, v36
	v_rcp_f32_e32 v2, v2
	s_waitcnt_depctr 0xfff
	v_mul_f32_e32 v2, 0x5f7ffffc, v2
	s_delay_alu instid0(VALU_DEP_1) | instskip(NEXT) | instid1(VALU_DEP_1)
	v_mul_f32_e32 v3, 0x2f800000, v2
	v_trunc_f32_e32 v3, v3
	s_delay_alu instid0(VALU_DEP_1) | instskip(SKIP_1) | instid1(VALU_DEP_2)
	v_fmac_f32_e32 v2, 0xcf800000, v3
	v_cvt_u32_f32_e32 v3, v3
	v_cvt_u32_f32_e32 v2, v2
	s_delay_alu instid0(VALU_DEP_2) | instskip(NEXT) | instid1(VALU_DEP_2)
	v_readfirstlane_b32 s4, v3
	v_readfirstlane_b32 s18, v2
	s_delay_alu instid0(VALU_DEP_2) | instskip(NEXT) | instid1(VALU_DEP_1)
	s_mul_i32 s52, s44, s4
	s_mul_hi_u32 s54, s44, s18
	s_mul_i32 s53, s46, s18
	s_add_i32 s52, s54, s52
	s_mul_i32 s55, s44, s18
	s_add_i32 s52, s52, s53
	s_mul_hi_u32 s54, s18, s55
	s_mul_hi_u32 s56, s4, s55
	s_mul_i32 s53, s4, s55
	s_mul_hi_u32 s55, s18, s52
	s_mul_i32 s18, s18, s52
	s_mul_hi_u32 s57, s4, s52
	s_add_u32 s18, s54, s18
	s_addc_u32 s54, 0, s55
	s_add_u32 s18, s18, s53
	s_mul_i32 s52, s4, s52
	s_addc_u32 s18, s54, s56
	s_addc_u32 s53, s57, 0
	s_add_u32 s18, s18, s52
	s_addc_u32 s52, 0, s53
	v_add_co_u32 v2, s18, v2, s18
	s_delay_alu instid0(VALU_DEP_1) | instskip(SKIP_1) | instid1(VALU_DEP_1)
	s_cmp_lg_u32 s18, 0
	s_addc_u32 s4, s4, s52
	v_readfirstlane_b32 s18, v2
	s_mul_i32 s52, s44, s4
	s_delay_alu instid0(VALU_DEP_1)
	s_mul_hi_u32 s53, s44, s18
	s_mul_i32 s46, s46, s18
	s_add_i32 s52, s53, s52
	s_mul_i32 s44, s44, s18
	s_add_i32 s52, s52, s46
	s_mul_hi_u32 s53, s4, s44
	s_mul_i32 s54, s4, s44
	s_mul_hi_u32 s44, s18, s44
	s_mul_hi_u32 s55, s18, s52
	s_mul_i32 s18, s18, s52
	s_mul_hi_u32 s46, s4, s52
	s_add_u32 s18, s44, s18
	s_addc_u32 s44, 0, s55
	s_add_u32 s18, s18, s54
	s_mul_i32 s52, s4, s52
	s_addc_u32 s18, s44, s53
	s_addc_u32 s44, s46, 0
	s_add_u32 s18, s18, s52
	s_addc_u32 s44, 0, s44
	v_add_co_u32 v2, s18, v2, s18
	s_delay_alu instid0(VALU_DEP_1) | instskip(SKIP_2) | instid1(VALU_DEP_1)
	s_cmp_lg_u32 s18, 0
	s_addc_u32 s4, s4, s44
	s_ashr_i32 s52, s5, 31
	v_readfirstlane_b32 s18, v2
	s_add_u32 s54, s17, s52
	s_mov_b32 s53, s52
	s_addc_u32 s55, s5, s52
	s_delay_alu instid0(SALU_CYCLE_1) | instskip(NEXT) | instid1(SALU_CYCLE_1)
	s_xor_b64 s[54:55], s[54:55], s[52:53]
	s_mul_i32 s46, s54, s4
	s_mul_hi_u32 s53, s54, s18
	s_mul_hi_u32 s44, s54, s4
	;; [unrolled: 1-line block ×3, first 2 shown]
	s_mul_i32 s18, s55, s18
	s_add_u32 s46, s53, s46
	s_addc_u32 s44, 0, s44
	s_mul_hi_u32 s56, s55, s4
	s_add_u32 s18, s46, s18
	s_mul_i32 s4, s55, s4
	s_addc_u32 s18, s44, s57
	s_addc_u32 s44, s56, 0
	s_add_u32 s4, s18, s4
	s_addc_u32 s18, 0, s44
	s_mul_hi_u32 s44, s33, s4
	s_mul_i32 s4, s33, s4
	s_mul_i32 s18, s33, s18
	v_sub_co_u32 v2, s4, s54, s4
	s_add_i32 s44, s44, s18
	s_cmp_lg_u32 s4, 0
	s_delay_alu instid0(VALU_DEP_1) | instskip(SKIP_2) | instid1(VALU_DEP_1)
	v_sub_co_u32 v3, s4, v2, s33
	s_subb_u32 s18, s55, s44
	s_cmp_lg_u32 s4, 0
	v_cmp_le_u32_e32 vcc_lo, s33, v3
	v_sub_co_u32 v4, s4, v3, s33
	s_subb_u32 s44, s18, 0
	s_cmp_lg_u32 s4, 0
	v_cndmask_b32_e64 v5, 0, -1, vcc_lo
	s_subb_u32 s4, s44, 0
	s_cmp_eq_u32 s44, 0
	v_mov_b32_e32 v7, s4
	s_cselect_b32 vcc_lo, -1, 0
	s_cmp_eq_u32 s18, 0
	v_cndmask_b32_e32 v5, -1, v5, vcc_lo
	v_cmp_le_u32_e32 vcc_lo, s33, v2
	s_cselect_b32 s4, -1, 0
	v_cndmask_b32_e64 v6, 0, -1, vcc_lo
	s_delay_alu instid0(VALU_DEP_3) | instskip(NEXT) | instid1(VALU_DEP_2)
	v_cmp_ne_u32_e32 vcc_lo, 0, v5
	v_cndmask_b32_e64 v5, -1, v6, s4
	v_cndmask_b32_e32 v3, v3, v4, vcc_lo
	v_cndmask_b32_e32 v6, s44, v7, vcc_lo
	s_delay_alu instid0(VALU_DEP_3) | instskip(NEXT) | instid1(VALU_DEP_3)
	v_cmp_ne_u32_e32 vcc_lo, 0, v5
	v_cndmask_b32_e32 v2, v2, v3, vcc_lo
	s_delay_alu instid0(VALU_DEP_3) | instskip(NEXT) | instid1(VALU_DEP_2)
	v_cndmask_b32_e32 v4, s18, v6, vcc_lo
	v_xor_b32_e32 v2, s52, v2
	s_delay_alu instid0(VALU_DEP_2) | instskip(NEXT) | instid1(VALU_DEP_2)
	v_xor_b32_e32 v3, s52, v4
	v_sub_co_u32 v2, vcc_lo, v2, s52
	s_delay_alu instid0(VALU_DEP_2)
	v_subrev_co_ci_u32_e32 v3, vcc_lo, s52, v3, vcc_lo
	s_cbranch_execnz .LBB12_242
.LBB12_241:                             ;   in Loop: Header=BB12_8 Depth=1
	v_cvt_f32_u32_e32 v2, s33
	s_sub_i32 s4, 0, s33
	s_delay_alu instid0(VALU_DEP_1) | instskip(SKIP_2) | instid1(VALU_DEP_1)
	v_rcp_iflag_f32_e32 v2, v2
	s_waitcnt_depctr 0xfff
	v_mul_f32_e32 v2, 0x4f7ffffe, v2
	v_cvt_u32_f32_e32 v2, v2
	s_delay_alu instid0(VALU_DEP_1) | instskip(NEXT) | instid1(VALU_DEP_1)
	v_mul_lo_u32 v3, s4, v2
	v_mul_hi_u32 v3, v2, v3
	s_delay_alu instid0(VALU_DEP_1) | instskip(NEXT) | instid1(VALU_DEP_1)
	v_add_nc_u32_e32 v2, v2, v3
	v_mul_hi_u32 v2, s17, v2
	s_delay_alu instid0(VALU_DEP_1) | instskip(NEXT) | instid1(VALU_DEP_1)
	v_mul_lo_u32 v2, v2, s33
	v_sub_nc_u32_e32 v2, s17, v2
	s_delay_alu instid0(VALU_DEP_1) | instskip(SKIP_1) | instid1(VALU_DEP_2)
	v_subrev_nc_u32_e32 v3, s33, v2
	v_cmp_le_u32_e32 vcc_lo, s33, v2
	v_cndmask_b32_e32 v2, v2, v3, vcc_lo
	s_delay_alu instid0(VALU_DEP_1) | instskip(SKIP_1) | instid1(VALU_DEP_2)
	v_subrev_nc_u32_e32 v3, s33, v2
	v_cmp_le_u32_e32 vcc_lo, s33, v2
	v_cndmask_b32_e32 v12, v2, v3, vcc_lo
	s_delay_alu instid0(VALU_DEP_1)
	v_dual_mov_b32 v2, v12 :: v_dual_mov_b32 v3, v13
.LBB12_242:                             ;   in Loop: Header=BB12_8 Depth=1
	s_delay_alu instid0(VALU_DEP_1) | instskip(NEXT) | instid1(VALU_DEP_2)
	v_sub_co_u32 v2, vcc_lo, s17, v2
	v_sub_co_ci_u32_e32 v3, vcc_lo, s5, v3, vcc_lo
	s_mov_b32 s52, 0
	s_mov_b32 s5, exec_lo
                                        ; implicit-def: $vgpr37
	s_delay_alu instid0(VALU_DEP_1)
	v_cmpx_gt_i64_e64 v[2:3], v[0:1]
	s_cbranch_execz .LBB12_251
; %bb.243:                              ;   in Loop: Header=BB12_8 Depth=1
	v_dual_mov_b32 v6, v0 :: v_dual_mov_b32 v5, v1
	v_mov_b32_e32 v4, v0
	s_mov_b32 s17, 0
                                        ; implicit-def: $sgpr18
	s_set_inst_prefetch_distance 0x1
	s_branch .LBB12_245
	.p2align	6
.LBB12_244:                             ;   in Loop: Header=BB12_245 Depth=2
	s_or_b32 exec_lo, exec_lo, s4
	s_waitcnt lgkmcnt(0)
	s_barrier
	buffer_gl0_inv
	ds_load_u16 v7, v13 offset:3072
	v_add_co_u32 v4, vcc_lo, v4, s33
	v_add_co_ci_u32_e32 v5, vcc_lo, 0, v5, vcc_lo
	v_add_nc_u32_e32 v6, s33, v6
	s_waitcnt lgkmcnt(0)
	s_barrier
	s_delay_alu instid0(VALU_DEP_2) | instskip(SKIP_2) | instid1(VALU_DEP_1)
	v_cmp_ge_i64_e32 vcc_lo, v[4:5], v[2:3]
	buffer_gl0_inv
	v_and_b32_e32 v8, 0xff, v7
	v_cmp_ne_u16_e64 s4, 0, v8
	s_delay_alu instid0(VALU_DEP_1) | instskip(NEXT) | instid1(SALU_CYCLE_1)
	s_or_b32 s44, s4, vcc_lo
	s_and_b32 s44, exec_lo, s44
	s_delay_alu instid0(SALU_CYCLE_1) | instskip(SKIP_2) | instid1(SALU_CYCLE_1)
	s_or_b32 s17, s44, s17
	s_and_not1_b32 s18, s18, exec_lo
	s_and_b32 s4, s4, exec_lo
	s_or_b32 s18, s18, s4
	s_and_not1_b32 exec_lo, exec_lo, s17
	s_cbranch_execz .LBB12_250
.LBB12_245:                             ;   Parent Loop BB12_8 Depth=1
                                        ; =>  This Inner Loop Header: Depth=2
	s_delay_alu instid0(VALU_DEP_1)
	v_cmp_gt_i64_e32 vcc_lo, s[8:9], v[4:5]
	v_mov_b32_e32 v7, 0
	s_and_saveexec_b32 s4, vcc_lo
	s_cbranch_execz .LBB12_247
; %bb.246:                              ;   in Loop: Header=BB12_245 Depth=2
	ds_load_u8 v7, v6
.LBB12_247:                             ;   in Loop: Header=BB12_245 Depth=2
	s_or_b32 exec_lo, exec_lo, s4
	s_and_saveexec_b32 s4, vcc_lo
	s_cbranch_execz .LBB12_244
; %bb.248:                              ;   in Loop: Header=BB12_245 Depth=2
	s_waitcnt lgkmcnt(0)
	v_bfe_i32 v8, v7, 0, 8
	s_delay_alu instid0(VALU_DEP_1) | instskip(NEXT) | instid1(VALU_DEP_1)
	v_add_nc_u32_e32 v8, 0x80, v8
	v_and_b32_e32 v8, s84, v8
	s_delay_alu instid0(VALU_DEP_1)
	v_cmp_eq_u32_e32 vcc_lo, s85, v8
	s_and_b32 exec_lo, exec_lo, vcc_lo
	s_cbranch_execz .LBB12_244
; %bb.249:                              ;   in Loop: Header=BB12_245 Depth=2
	v_lshlrev_b16 v7, 8, v7
	s_delay_alu instid0(VALU_DEP_1)
	v_or_b32_e32 v7, 1, v7
	ds_store_b16 v13, v7 offset:3072
	s_branch .LBB12_244
.LBB12_250:                             ;   in Loop: Header=BB12_8 Depth=1
	s_set_inst_prefetch_distance 0x2
	s_or_b32 exec_lo, exec_lo, s17
	v_lshrrev_b16 v37, 8, v7
	s_and_b32 s52, s18, exec_lo
.LBB12_251:                             ;   in Loop: Header=BB12_8 Depth=1
	s_or_b32 exec_lo, exec_lo, s5
	s_mov_b32 s44, -1
	s_mov_b32 s17, 0
	s_mov_b32 s18, 0
.LBB12_252:                             ;   in Loop: Header=BB12_8 Depth=1
	s_mov_b32 s9, 0
                                        ; implicit-def: $sgpr46
                                        ; implicit-def: $sgpr4_sgpr5
	s_and_saveexec_b32 s8, s52
	s_cbranch_execz .LBB12_265
; %bb.253:                              ;   in Loop: Header=BB12_8 Depth=1
	s_xor_b32 s9, s11, -1
	s_mov_b64 s[4:5], 1
	s_and_not1_b32 vcc_lo, exec_lo, s9
	s_mov_b32 s46, 1
	s_cbranch_vccnz .LBB12_264
; %bb.254:                              ;   in Loop: Header=BB12_8 Depth=1
	v_cmp_gt_i64_e64 s4, s[26:27], s[6:7]
	s_delay_alu instid0(VALU_DEP_1)
	s_and_b32 vcc_lo, exec_lo, s4
	s_cbranch_vccnz .LBB12_260
; %bb.255:                              ;   in Loop: Header=BB12_8 Depth=1
	ds_load_b64 v[2:3], v13 offset:5120
	s_waitcnt lgkmcnt(0)
	v_cmp_ne_u64_e32 vcc_lo, 0, v[2:3]
	s_cbranch_vccnz .LBB12_259
; %bb.256:                              ;   in Loop: Header=BB12_8 Depth=1
	s_and_saveexec_b32 s4, s0
	s_cbranch_execz .LBB12_258
; %bb.257:                              ;   in Loop: Header=BB12_8 Depth=1
	v_dual_mov_b32 v2, s6 :: v_dual_mov_b32 v3, s7
	ds_store_b64 v13, v[2:3] offset:5128
.LBB12_258:                             ;   in Loop: Header=BB12_8 Depth=1
	s_or_b32 exec_lo, exec_lo, s4
	s_waitcnt lgkmcnt(0)
	s_barrier
	buffer_gl0_inv
.LBB12_259:                             ;   in Loop: Header=BB12_8 Depth=1
	s_or_b32 s9, s85, s16
	s_or_b32 s11, s84, s16
	s_mov_b32 s4, 0
	s_mov_b32 s46, 8
	s_branch .LBB12_261
.LBB12_260:                             ;   in Loop: Header=BB12_8 Depth=1
	s_mov_b32 s4, -1
                                        ; implicit-def: $sgpr46
                                        ; implicit-def: $sgpr9
                                        ; implicit-def: $sgpr11
.LBB12_261:                             ;   in Loop: Header=BB12_8 Depth=1
	s_delay_alu instid0(SALU_CYCLE_1)
	s_and_not1_b32 vcc_lo, exec_lo, s4
	s_cbranch_vccnz .LBB12_263
; %bb.262:                              ;   in Loop: Header=BB12_8 Depth=1
	s_sub_u32 s26, s26, s6
	s_subb_u32 s27, s27, s7
	s_mov_b32 s46, 8
	s_mov_b32 s9, s85
	s_mov_b32 s11, s84
.LBB12_263:                             ;   in Loop: Header=BB12_8 Depth=1
	s_mov_b64 s[4:5], s[26:27]
	s_mov_b32 s85, s9
	s_mov_b32 s84, s11
.LBB12_264:                             ;   in Loop: Header=BB12_8 Depth=1
	s_mov_b32 s9, exec_lo
.LBB12_265:                             ;   in Loop: Header=BB12_8 Depth=1
	s_or_b32 exec_lo, exec_lo, s8
	s_mov_b64 s[26:27], s[4:5]
.LBB12_266:                             ;   in Loop: Header=BB12_8 Depth=1
	s_and_not1_b32 s4, s13, exec_lo
	s_and_b32 s5, s17, exec_lo
	s_and_not1_b32 s6, s22, exec_lo
	s_or_b32 s13, s4, s5
	s_and_not1_b32 s4, s23, exec_lo
	s_and_b32 s5, s44, exec_lo
	s_and_b32 s7, s18, exec_lo
	s_or_b32 s23, s4, s5
	s_or_b32 s22, s6, s7
	s_and_b32 s5, s9, exec_lo
.LBB12_267:                             ;   in Loop: Header=BB12_8 Depth=1
	s_or_b32 exec_lo, exec_lo, s10
.LBB12_268:                             ;   in Loop: Header=BB12_8 Depth=1
	s_delay_alu instid0(SALU_CYCLE_1)
	s_and_not1_b32 s4, s20, exec_lo
	s_and_b32 s6, s13, exec_lo
	s_and_not1_b32 s7, s19, exec_lo
	s_or_b32 s20, s4, s6
	s_and_not1_b32 s4, s21, exec_lo
	s_and_b32 s6, s23, exec_lo
	s_and_b32 s8, s22, exec_lo
	s_or_b32 s21, s4, s6
	s_or_b32 s19, s7, s8
	s_and_b32 s5, s5, exec_lo
.LBB12_269:                             ;   in Loop: Header=BB12_8 Depth=1
	s_or_b32 exec_lo, exec_lo, s12
	s_and_saveexec_b32 s4, s5
	s_delay_alu instid0(SALU_CYCLE_1)
	s_xor_b32 s4, exec_lo, s4
	s_cbranch_execz .LBB12_6
.LBB12_270:                             ;   in Loop: Header=BB12_8 Depth=1
	s_and_b32 s5, s46, -9
	s_delay_alu instid0(SALU_CYCLE_1)
	s_cmp_eq_u32 s5, 0
	s_cbranch_scc1 .LBB12_4
; %bb.271:                              ;   in Loop: Header=BB12_8 Depth=1
	s_mov_b32 s5, -1
	s_mov_b32 s6, -1
                                        ; implicit-def: $sgpr84
                                        ; implicit-def: $sgpr75
                                        ; implicit-def: $sgpr80
	s_branch .LBB12_5
.LBB12_272:                             ;   in Loop: Header=BB12_8 Depth=1
                                        ; implicit-def: $vgpr2_vgpr3
	s_branch .LBB12_224
.LBB12_273:                             ;   in Loop: Header=BB12_8 Depth=1
                                        ; implicit-def: $vgpr2_vgpr3
	s_branch .LBB12_241
.LBB12_274:
	s_or_b32 exec_lo, exec_lo, s76
	s_xor_b32 s5, s79, -1
	s_xor_b32 s2, s77, -1
	;; [unrolled: 1-line block ×3, first 2 shown]
	s_mov_b32 s3, 0
	s_and_saveexec_b32 s6, s2
	s_delay_alu instid0(SALU_CYCLE_1)
	s_xor_b32 s2, exec_lo, s6
	s_cbranch_execz .LBB12_297
; %bb.275:
	s_and_saveexec_b32 s3, s5
	s_delay_alu instid0(SALU_CYCLE_1)
	s_xor_b32 s3, exec_lo, s3
	s_cbranch_execz .LBB12_295
; %bb.276:
	s_and_saveexec_b32 s5, s4
	s_delay_alu instid0(SALU_CYCLE_1)
	s_xor_b32 s4, exec_lo, s5
; %bb.277:
	v_xor_b32_e32 v37, 0xffffff80, v2
; %bb.278:
	s_or_b32 exec_lo, exec_lo, s4
	s_and_saveexec_b32 s4, s0
	s_cbranch_execz .LBB12_280
; %bb.279:
	v_dual_mov_b32 v2, 0 :: v_dual_mov_b32 v3, s24
	ds_store_b32 v2, v3 offset:5140
.LBB12_280:
	s_or_b32 exec_lo, exec_lo, s4
	s_waitcnt lgkmcnt(0)
	s_barrier
	buffer_gl0_inv
	s_and_saveexec_b32 s4, s1
	s_cbranch_execz .LBB12_292
; %bb.281:
	v_mov_b32_e32 v2, 0
	v_and_b32_e32 v6, 0xff, v37
	s_mov_b32 s5, 0
                                        ; implicit-def: $sgpr6
                                        ; implicit-def: $sgpr7
                                        ; implicit-def: $sgpr8
	ds_load_b32 v4, v2 offset:5140
	s_waitcnt lgkmcnt(0)
	v_ashrrev_i32_e32 v5, 31, v4
	s_set_inst_prefetch_distance 0x1
	s_branch .LBB12_284
	.p2align	6
.LBB12_282:                             ;   in Loop: Header=BB12_284 Depth=1
	s_or_b32 exec_lo, exec_lo, s11
	s_delay_alu instid0(SALU_CYCLE_1)
	s_and_not1_b32 s8, s8, exec_lo
	s_and_b32 s10, s10, exec_lo
	s_and_not1_b32 s7, s7, exec_lo
	s_and_b32 s1, s1, exec_lo
	s_or_b32 s8, s8, s10
	s_or_b32 s7, s7, s1
.LBB12_283:                             ;   in Loop: Header=BB12_284 Depth=1
	s_or_b32 exec_lo, exec_lo, s9
	s_delay_alu instid0(SALU_CYCLE_1) | instskip(NEXT) | instid1(SALU_CYCLE_1)
	s_and_b32 s1, exec_lo, s7
	s_or_b32 s5, s1, s5
	s_and_not1_b32 s1, s6, exec_lo
	s_and_b32 s6, s8, exec_lo
	s_delay_alu instid0(SALU_CYCLE_1)
	s_or_b32 s6, s1, s6
	s_and_not1_b32 exec_lo, exec_lo, s5
	s_cbranch_execz .LBB12_287
.LBB12_284:                             ; =>This Inner Loop Header: Depth=1
	v_dual_mov_b32 v3, v1 :: v_dual_mov_b32 v2, v0
	s_or_b32 s8, s8, exec_lo
	s_or_b32 s7, s7, exec_lo
	s_mov_b32 s9, exec_lo
                                        ; implicit-def: $vgpr0_vgpr1
	s_delay_alu instid0(VALU_DEP_1)
	v_cmpx_lt_i64_e64 v[2:3], v[4:5]
	s_cbranch_execz .LBB12_283
; %bb.285:                              ;   in Loop: Header=BB12_284 Depth=1
	global_load_u8 v0, v[10:11], off
	s_mov_b32 s1, -1
	s_mov_b32 s10, 0
	s_waitcnt vmcnt(0)
	v_cmp_ne_u16_e32 vcc_lo, v0, v6
                                        ; implicit-def: $vgpr0_vgpr1
	s_and_saveexec_b32 s11, vcc_lo
	s_cbranch_execz .LBB12_282
; %bb.286:                              ;   in Loop: Header=BB12_284 Depth=1
	v_add_co_u32 v0, vcc_lo, v2, s33
	v_add_co_ci_u32_e32 v1, vcc_lo, 0, v3, vcc_lo
	v_add_co_u32 v10, s1, v10, s64
	s_delay_alu instid0(VALU_DEP_1) | instskip(NEXT) | instid1(VALU_DEP_3)
	v_add_co_ci_u32_e64 v11, s1, s35, v11, s1
	v_cmp_le_i64_e32 vcc_lo, s[24:25], v[0:1]
	s_mov_b32 s10, exec_lo
	s_or_not1_b32 s1, vcc_lo, exec_lo
	s_branch .LBB12_282
.LBB12_287:
	s_set_inst_prefetch_distance 0x2
	s_or_b32 exec_lo, exec_lo, s5
	s_xor_b32 s1, s6, -1
	s_delay_alu instid0(SALU_CYCLE_1) | instskip(NEXT) | instid1(SALU_CYCLE_1)
	s_and_saveexec_b32 s5, s1
	s_xor_b32 s5, exec_lo, s5
	s_cbranch_execz .LBB12_292
; %bb.288:
	s_mov_b32 s5, exec_lo
	s_brev_b32 s1, -2
.LBB12_289:                             ; =>This Inner Loop Header: Depth=1
	s_ctz_i32_b32 s6, s5
	s_delay_alu instid0(SALU_CYCLE_1) | instskip(SKIP_1) | instid1(SALU_CYCLE_1)
	v_readlane_b32 s7, v2, s6
	s_lshl_b32 s6, 1, s6
	s_and_not1_b32 s5, s5, s6
	s_delay_alu instid0(VALU_DEP_1)
	s_min_i32 s1, s1, s7
	s_cmp_lg_u32 s5, 0
	s_cbranch_scc1 .LBB12_289
; %bb.290:
	v_mbcnt_lo_u32_b32 v0, exec_lo, 0
	s_mov_b32 s5, exec_lo
	s_delay_alu instid0(VALU_DEP_1)
	v_cmpx_eq_u32_e32 0, v0
	s_xor_b32 s5, exec_lo, s5
	s_cbranch_execz .LBB12_292
; %bb.291:
	v_dual_mov_b32 v0, 0 :: v_dual_mov_b32 v1, s1
	ds_min_i32 v0, v1 offset:5140
.LBB12_292:
	s_or_b32 exec_lo, exec_lo, s4
	s_waitcnt lgkmcnt(0)
	s_barrier
	buffer_gl0_inv
	s_and_saveexec_b32 s1, s0
	s_cbranch_execz .LBB12_294
; %bb.293:
	v_mov_b32_e32 v2, 0
	s_mul_i32 s0, s41, s34
	s_mul_hi_u32 s5, s40, s34
	s_mul_i32 s7, s39, s34
	s_mul_hi_u32 s8, s38, s34
	ds_load_b32 v0, v2 offset:5140
	s_mul_i32 s6, s40, s34
	s_mul_i32 s4, s38, s34
	s_add_i32 s0, s5, s0
	s_add_i32 s5, s8, s7
	s_add_u32 s6, s36, s6
	s_addc_u32 s7, s37, s0
	s_lshl_b64 s[4:5], s[4:5], 3
	s_delay_alu instid0(SALU_CYCLE_1)
	s_add_u32 s4, s28, s4
	s_addc_u32 s5, s29, s5
	s_waitcnt lgkmcnt(0)
	v_ashrrev_i32_e32 v1, 31, v0
	s_clause 0x1
	global_store_b64 v2, v[0:1], s[4:5]
	global_store_b8 v2, v37, s[6:7]
.LBB12_294:
	s_or_b32 exec_lo, exec_lo, s1
.LBB12_295:
	s_or_saveexec_b32 s0, s3
	s_mov_b32 s1, 0
	s_xor_b32 exec_lo, exec_lo, s0
	s_cbranch_execnz .LBB12_303
.LBB12_296:
	s_or_b32 exec_lo, exec_lo, s0
	s_delay_alu instid0(SALU_CYCLE_1)
	s_and_b32 s3, s1, exec_lo
.LBB12_297:
	s_and_not1_saveexec_b32 s0, s2
	s_cbranch_execnz .LBB12_301
; %bb.298:
	s_or_b32 exec_lo, exec_lo, s0
	s_and_saveexec_b32 s0, s3
.LBB12_299:
	; divergent unreachable
.LBB12_300:
	s_nop 0
	s_sendmsg sendmsg(MSG_DEALLOC_VGPRS)
	s_endpgm
.LBB12_301:
	s_cbranch_execnz .LBB12_305
; %bb.302:
	s_or_b32 s3, s3, exec_lo
	s_or_b32 exec_lo, exec_lo, s0
	s_and_saveexec_b32 s0, s3
	s_cbranch_execnz .LBB12_299
	s_branch .LBB12_300
.LBB12_303:
	s_cbranch_execnz .LBB12_307
; %bb.304:
	s_mov_b32 s1, exec_lo
	s_branch .LBB12_296
.LBB12_305:
	s_trap 2
	s_sendmsg_rtn_b32 s0, sendmsg(MSG_RTN_GET_DOORBELL)
	s_mov_b32 ttmp2, m0
	s_waitcnt lgkmcnt(0)
	s_and_b32 s0, s0, 0x3ff
	s_delay_alu instid0(SALU_CYCLE_1) | instskip(NEXT) | instid1(SALU_CYCLE_1)
	s_bitset1_b32 s0, 10
	s_mov_b32 m0, s0
	s_sendmsg sendmsg(MSG_INTERRUPT)
	s_mov_b32 m0, ttmp2
.LBB12_306:                             ; =>This Inner Loop Header: Depth=1
	s_sethalt 5
	s_branch .LBB12_306
.LBB12_307:
	s_trap 2
	s_sendmsg_rtn_b32 s0, sendmsg(MSG_RTN_GET_DOORBELL)
	s_mov_b32 ttmp2, m0
	s_waitcnt lgkmcnt(0)
	s_and_b32 s0, s0, 0x3ff
	s_delay_alu instid0(SALU_CYCLE_1) | instskip(NEXT) | instid1(SALU_CYCLE_1)
	s_bitset1_b32 s0, 10
	s_mov_b32 m0, s0
	s_sendmsg sendmsg(MSG_INTERRUPT)
	s_mov_b32 m0, ttmp2
.LBB12_308:                             ; =>This Inner Loop Header: Depth=1
	s_sethalt 5
	s_branch .LBB12_308
	.section	.rodata,"a",@progbits
	.p2align	6, 0x0
	.amdhsa_kernel _ZN2at6native12_GLOBAL__N_114gatherKthValueIalLi1EEEvNS_4cuda6detail10TensorInfoIKT_T0_EES8_S8_S8_S8_NS5_IS6_S8_EENS5_IlS8_EE
		.amdhsa_group_segment_fixed_size 5144
		.amdhsa_private_segment_fixed_size 0
		.amdhsa_kernarg_size 1536
		.amdhsa_user_sgpr_count 13
		.amdhsa_user_sgpr_dispatch_ptr 0
		.amdhsa_user_sgpr_queue_ptr 0
		.amdhsa_user_sgpr_kernarg_segment_ptr 1
		.amdhsa_user_sgpr_dispatch_id 0
		.amdhsa_user_sgpr_private_segment_size 0
		.amdhsa_wavefront_size32 1
		.amdhsa_uses_dynamic_stack 0
		.amdhsa_enable_private_segment 0
		.amdhsa_system_sgpr_workgroup_id_x 1
		.amdhsa_system_sgpr_workgroup_id_y 1
		.amdhsa_system_sgpr_workgroup_id_z 1
		.amdhsa_system_sgpr_workgroup_info 0
		.amdhsa_system_vgpr_workitem_id 0
		.amdhsa_next_free_vgpr 42
		.amdhsa_next_free_sgpr 90
		.amdhsa_reserve_vcc 1
		.amdhsa_float_round_mode_32 0
		.amdhsa_float_round_mode_16_64 0
		.amdhsa_float_denorm_mode_32 3
		.amdhsa_float_denorm_mode_16_64 3
		.amdhsa_dx10_clamp 1
		.amdhsa_ieee_mode 1
		.amdhsa_fp16_overflow 0
		.amdhsa_workgroup_processor_mode 1
		.amdhsa_memory_ordered 1
		.amdhsa_forward_progress 0
		.amdhsa_shared_vgpr_count 0
		.amdhsa_exception_fp_ieee_invalid_op 0
		.amdhsa_exception_fp_denorm_src 0
		.amdhsa_exception_fp_ieee_div_zero 0
		.amdhsa_exception_fp_ieee_overflow 0
		.amdhsa_exception_fp_ieee_underflow 0
		.amdhsa_exception_fp_ieee_inexact 0
		.amdhsa_exception_int_div_zero 0
	.end_amdhsa_kernel
	.section	.text._ZN2at6native12_GLOBAL__N_114gatherKthValueIalLi1EEEvNS_4cuda6detail10TensorInfoIKT_T0_EES8_S8_S8_S8_NS5_IS6_S8_EENS5_IlS8_EE,"axG",@progbits,_ZN2at6native12_GLOBAL__N_114gatherKthValueIalLi1EEEvNS_4cuda6detail10TensorInfoIKT_T0_EES8_S8_S8_S8_NS5_IS6_S8_EENS5_IlS8_EE,comdat
.Lfunc_end12:
	.size	_ZN2at6native12_GLOBAL__N_114gatherKthValueIalLi1EEEvNS_4cuda6detail10TensorInfoIKT_T0_EES8_S8_S8_S8_NS5_IS6_S8_EENS5_IlS8_EE, .Lfunc_end12-_ZN2at6native12_GLOBAL__N_114gatherKthValueIalLi1EEEvNS_4cuda6detail10TensorInfoIKT_T0_EES8_S8_S8_S8_NS5_IS6_S8_EENS5_IlS8_EE
                                        ; -- End function
	.section	.AMDGPU.csdata,"",@progbits
; Kernel info:
; codeLenInByte = 17160
; NumSgprs: 92
; NumVgprs: 42
; ScratchSize: 0
; MemoryBound: 0
; FloatMode: 240
; IeeeMode: 1
; LDSByteSize: 5144 bytes/workgroup (compile time only)
; SGPRBlocks: 11
; VGPRBlocks: 5
; NumSGPRsForWavesPerEU: 92
; NumVGPRsForWavesPerEU: 42
; Occupancy: 16
; WaveLimiterHint : 1
; COMPUTE_PGM_RSRC2:SCRATCH_EN: 0
; COMPUTE_PGM_RSRC2:USER_SGPR: 13
; COMPUTE_PGM_RSRC2:TRAP_HANDLER: 0
; COMPUTE_PGM_RSRC2:TGID_X_EN: 1
; COMPUTE_PGM_RSRC2:TGID_Y_EN: 1
; COMPUTE_PGM_RSRC2:TGID_Z_EN: 1
; COMPUTE_PGM_RSRC2:TIDIG_COMP_CNT: 0
	.section	.text._ZN2at6native12_GLOBAL__N_114gatherKthValueIalLi2EEEvNS_4cuda6detail10TensorInfoIKT_T0_EES8_S8_S8_S8_NS5_IS6_S8_EENS5_IlS8_EE,"axG",@progbits,_ZN2at6native12_GLOBAL__N_114gatherKthValueIalLi2EEEvNS_4cuda6detail10TensorInfoIKT_T0_EES8_S8_S8_S8_NS5_IS6_S8_EENS5_IlS8_EE,comdat
	.globl	_ZN2at6native12_GLOBAL__N_114gatherKthValueIalLi2EEEvNS_4cuda6detail10TensorInfoIKT_T0_EES8_S8_S8_S8_NS5_IS6_S8_EENS5_IlS8_EE ; -- Begin function _ZN2at6native12_GLOBAL__N_114gatherKthValueIalLi2EEEvNS_4cuda6detail10TensorInfoIKT_T0_EES8_S8_S8_S8_NS5_IS6_S8_EENS5_IlS8_EE
	.p2align	8
	.type	_ZN2at6native12_GLOBAL__N_114gatherKthValueIalLi2EEEvNS_4cuda6detail10TensorInfoIKT_T0_EES8_S8_S8_S8_NS5_IS6_S8_EENS5_IlS8_EE,@function
_ZN2at6native12_GLOBAL__N_114gatherKthValueIalLi2EEEvNS_4cuda6detail10TensorInfoIKT_T0_EES8_S8_S8_S8_NS5_IS6_S8_EENS5_IlS8_EE: ; @_ZN2at6native12_GLOBAL__N_114gatherKthValueIalLi2EEEvNS_4cuda6detail10TensorInfoIKT_T0_EES8_S8_S8_S8_NS5_IS6_S8_EENS5_IlS8_EE
; %bb.0:
	s_clause 0x1
	s_load_b64 s[10:11], s[0:1], 0x500
	s_load_b256 s[24:31], s[0:1], 0x1a0
	s_add_u32 s8, s0, 0x500
	s_addc_u32 s9, s1, 0
	s_mov_b32 s35, 0
	s_waitcnt lgkmcnt(0)
	s_mul_i32 s2, s11, s15
	s_delay_alu instid0(SALU_CYCLE_1) | instskip(NEXT) | instid1(SALU_CYCLE_1)
	s_add_i32 s2, s2, s14
	s_mul_i32 s2, s2, s10
	s_delay_alu instid0(SALU_CYCLE_1) | instskip(NEXT) | instid1(SALU_CYCLE_1)
	s_add_i32 s34, s2, s13
	v_cmp_ge_i64_e64 s2, s[34:35], s[28:29]
	s_delay_alu instid0(VALU_DEP_1)
	s_and_b32 vcc_lo, exec_lo, s2
	s_cbranch_vccnz .LBB13_312
; %bb.1:
	s_clause 0x1
	s_load_b64 s[14:15], s[0:1], 0x10
	s_load_b64 s[28:29], s[0:1], 0x1d0
	s_mov_b32 s2, s35
	s_waitcnt lgkmcnt(0)
	s_mov_b32 s3, s15
	s_delay_alu instid0(SALU_CYCLE_1)
	s_cmp_lg_u64 s[2:3], 0
	s_cbranch_scc0 .LBB13_296
; %bb.2:
	s_ashr_i32 s2, s15, 31
	s_delay_alu instid0(SALU_CYCLE_1) | instskip(SKIP_2) | instid1(SALU_CYCLE_1)
	s_add_u32 s4, s14, s2
	s_mov_b32 s3, s2
	s_addc_u32 s5, s15, s2
	s_xor_b64 s[4:5], s[4:5], s[2:3]
	s_delay_alu instid0(SALU_CYCLE_1) | instskip(SKIP_3) | instid1(VALU_DEP_1)
	v_cvt_f32_u32_e32 v1, s4
	v_cvt_f32_u32_e32 v2, s5
	s_sub_u32 s11, 0, s4
	s_subb_u32 s12, 0, s5
	v_fmamk_f32 v1, v2, 0x4f800000, v1
	s_delay_alu instid0(VALU_DEP_1) | instskip(SKIP_2) | instid1(VALU_DEP_1)
	v_rcp_f32_e32 v1, v1
	s_waitcnt_depctr 0xfff
	v_mul_f32_e32 v1, 0x5f7ffffc, v1
	v_mul_f32_e32 v2, 0x2f800000, v1
	s_delay_alu instid0(VALU_DEP_1) | instskip(NEXT) | instid1(VALU_DEP_1)
	v_trunc_f32_e32 v2, v2
	v_fmamk_f32 v1, v2, 0xcf800000, v1
	v_cvt_u32_f32_e32 v2, v2
	s_delay_alu instid0(VALU_DEP_2) | instskip(NEXT) | instid1(VALU_DEP_2)
	v_cvt_u32_f32_e32 v1, v1
	v_readfirstlane_b32 s6, v2
	s_delay_alu instid0(VALU_DEP_2) | instskip(NEXT) | instid1(VALU_DEP_2)
	v_readfirstlane_b32 s7, v1
	s_mul_i32 s16, s11, s6
	s_delay_alu instid0(VALU_DEP_1)
	s_mul_hi_u32 s18, s11, s7
	s_mul_i32 s17, s12, s7
	s_add_i32 s16, s18, s16
	s_mul_i32 s19, s11, s7
	s_add_i32 s16, s16, s17
	s_mul_hi_u32 s18, s7, s19
	s_mul_hi_u32 s20, s6, s19
	s_mul_i32 s17, s6, s19
	s_mul_hi_u32 s19, s7, s16
	s_mul_i32 s7, s7, s16
	s_mul_hi_u32 s21, s6, s16
	s_add_u32 s7, s18, s7
	s_addc_u32 s18, 0, s19
	s_add_u32 s7, s7, s17
	s_mul_i32 s16, s6, s16
	s_addc_u32 s7, s18, s20
	s_addc_u32 s17, s21, 0
	s_add_u32 s7, s7, s16
	s_addc_u32 s16, 0, s17
	v_add_co_u32 v1, s7, v1, s7
	s_delay_alu instid0(VALU_DEP_1) | instskip(SKIP_1) | instid1(VALU_DEP_1)
	s_cmp_lg_u32 s7, 0
	s_addc_u32 s6, s6, s16
	v_readfirstlane_b32 s7, v1
	s_mul_i32 s16, s11, s6
	s_delay_alu instid0(VALU_DEP_1)
	s_mul_hi_u32 s17, s11, s7
	s_mul_i32 s12, s12, s7
	s_add_i32 s16, s17, s16
	s_mul_i32 s11, s11, s7
	s_add_i32 s16, s16, s12
	s_mul_hi_u32 s17, s6, s11
	s_mul_i32 s18, s6, s11
	s_mul_hi_u32 s11, s7, s11
	s_mul_hi_u32 s19, s7, s16
	s_mul_i32 s7, s7, s16
	s_mul_hi_u32 s12, s6, s16
	s_add_u32 s7, s11, s7
	s_addc_u32 s11, 0, s19
	s_add_u32 s7, s7, s18
	s_mul_i32 s16, s6, s16
	s_addc_u32 s7, s11, s17
	s_addc_u32 s11, s12, 0
	s_add_u32 s7, s7, s16
	s_addc_u32 s11, 0, s11
	v_add_co_u32 v1, s7, v1, s7
	s_delay_alu instid0(VALU_DEP_1) | instskip(SKIP_2) | instid1(VALU_DEP_1)
	s_cmp_lg_u32 s7, 0
	s_addc_u32 s11, s6, s11
	s_ashr_i32 s6, 0, 31
	v_readfirstlane_b32 s12, v1
	s_add_u32 s16, s34, s6
	s_mov_b32 s7, s6
	s_addc_u32 s17, 0, s6
	s_delay_alu instid0(SALU_CYCLE_1) | instskip(NEXT) | instid1(SALU_CYCLE_1)
	s_xor_b64 s[16:17], s[16:17], s[6:7]
	s_mul_i32 s19, s16, s11
	s_mul_hi_u32 s20, s16, s12
	s_mul_hi_u32 s18, s16, s11
	;; [unrolled: 1-line block ×3, first 2 shown]
	s_mul_i32 s12, s17, s12
	s_add_u32 s19, s20, s19
	s_addc_u32 s18, 0, s18
	s_mul_hi_u32 s21, s17, s11
	s_add_u32 s12, s19, s12
	s_mul_i32 s11, s17, s11
	s_addc_u32 s12, s18, s22
	s_addc_u32 s18, s21, 0
	s_add_u32 s11, s12, s11
	s_addc_u32 s12, 0, s18
	s_mul_i32 s21, s4, s11
	s_mul_hi_u32 s18, s4, s11
	s_mul_i32 s20, s4, s12
	v_sub_co_u32 v1, s16, s16, s21
	s_mul_i32 s19, s5, s11
	s_add_i32 s18, s18, s20
	s_delay_alu instid0(SALU_CYCLE_1) | instskip(NEXT) | instid1(VALU_DEP_1)
	s_add_i32 s18, s18, s19
	v_sub_co_u32 v2, s20, v1, s4
	s_sub_i32 s19, s17, s18
	s_cmp_lg_u32 s16, 0
	s_subb_u32 s19, s19, s5
	s_cmp_lg_u32 s20, 0
	v_readfirstlane_b32 s20, v2
	s_subb_u32 s19, s19, 0
	s_delay_alu instid0(SALU_CYCLE_1) | instskip(SKIP_1) | instid1(VALU_DEP_1)
	s_cmp_ge_u32 s19, s5
	s_cselect_b32 s21, -1, 0
	s_cmp_ge_u32 s20, s4
	s_cselect_b32 s20, -1, 0
	s_cmp_eq_u32 s19, s5
	s_cselect_b32 s19, s20, s21
	s_add_u32 s20, s11, 1
	s_addc_u32 s21, s12, 0
	s_add_u32 s22, s11, 2
	s_addc_u32 s23, s12, 0
	s_cmp_lg_u32 s19, 0
	s_cselect_b32 s19, s22, s20
	s_cselect_b32 s20, s23, s21
	s_cmp_lg_u32 s16, 0
	v_readfirstlane_b32 s16, v1
	s_subb_u32 s17, s17, s18
	s_delay_alu instid0(SALU_CYCLE_1) | instskip(SKIP_1) | instid1(VALU_DEP_1)
	s_cmp_ge_u32 s17, s5
	s_cselect_b32 s18, -1, 0
	s_cmp_ge_u32 s16, s4
	s_cselect_b32 s4, -1, 0
	s_cmp_eq_u32 s17, s5
	s_cselect_b32 s4, s4, s18
	s_delay_alu instid0(SALU_CYCLE_1) | instskip(SKIP_3) | instid1(SALU_CYCLE_1)
	s_cmp_lg_u32 s4, 0
	s_cselect_b32 s5, s20, s12
	s_cselect_b32 s4, s19, s11
	s_xor_b64 s[6:7], s[6:7], s[2:3]
	s_xor_b64 s[4:5], s[4:5], s[6:7]
	s_delay_alu instid0(SALU_CYCLE_1)
	s_sub_u32 s16, s4, s6
	s_subb_u32 s17, s5, s7
	s_cbranch_execnz .LBB13_4
.LBB13_3:
	v_cvt_f32_u32_e32 v1, s14
	s_sub_i32 s3, 0, s14
	s_mov_b32 s17, 0
	s_delay_alu instid0(VALU_DEP_1) | instskip(SKIP_2) | instid1(VALU_DEP_1)
	v_rcp_iflag_f32_e32 v1, v1
	s_waitcnt_depctr 0xfff
	v_mul_f32_e32 v1, 0x4f7ffffe, v1
	v_cvt_u32_f32_e32 v1, v1
	s_delay_alu instid0(VALU_DEP_1) | instskip(NEXT) | instid1(VALU_DEP_1)
	v_readfirstlane_b32 s2, v1
	s_mul_i32 s3, s3, s2
	s_delay_alu instid0(SALU_CYCLE_1) | instskip(NEXT) | instid1(SALU_CYCLE_1)
	s_mul_hi_u32 s3, s2, s3
	s_add_i32 s2, s2, s3
	s_delay_alu instid0(SALU_CYCLE_1) | instskip(NEXT) | instid1(SALU_CYCLE_1)
	s_mul_hi_u32 s2, s34, s2
	s_mul_i32 s3, s2, s14
	s_add_i32 s4, s2, 1
	s_sub_i32 s3, s34, s3
	s_delay_alu instid0(SALU_CYCLE_1)
	s_sub_i32 s5, s3, s14
	s_cmp_ge_u32 s3, s14
	s_cselect_b32 s2, s4, s2
	s_cselect_b32 s3, s5, s3
	s_add_i32 s4, s2, 1
	s_cmp_ge_u32 s3, s14
	s_cselect_b32 s16, s4, s2
.LBB13_4:
	s_load_b64 s[44:45], s[0:1], 0x370
	s_mov_b32 s2, 0
	s_mov_b32 s3, s29
	s_delay_alu instid0(SALU_CYCLE_1)
	s_cmp_lg_u64 s[2:3], 0
	s_cbranch_scc0 .LBB13_297
; %bb.5:
	s_ashr_i32 s4, s29, 31
	s_delay_alu instid0(SALU_CYCLE_1) | instskip(SKIP_2) | instid1(SALU_CYCLE_1)
	s_add_u32 s6, s28, s4
	s_mov_b32 s5, s4
	s_addc_u32 s7, s29, s4
	s_xor_b64 s[6:7], s[6:7], s[4:5]
	s_delay_alu instid0(SALU_CYCLE_1) | instskip(SKIP_3) | instid1(VALU_DEP_1)
	v_cvt_f32_u32_e32 v1, s6
	v_cvt_f32_u32_e32 v2, s7
	s_sub_u32 s12, 0, s6
	s_subb_u32 s18, 0, s7
	v_fmamk_f32 v1, v2, 0x4f800000, v1
	s_delay_alu instid0(VALU_DEP_1) | instskip(SKIP_2) | instid1(VALU_DEP_1)
	v_rcp_f32_e32 v1, v1
	s_waitcnt_depctr 0xfff
	v_mul_f32_e32 v1, 0x5f7ffffc, v1
	v_mul_f32_e32 v2, 0x2f800000, v1
	s_delay_alu instid0(VALU_DEP_1) | instskip(NEXT) | instid1(VALU_DEP_1)
	v_trunc_f32_e32 v2, v2
	v_fmamk_f32 v1, v2, 0xcf800000, v1
	v_cvt_u32_f32_e32 v2, v2
	s_delay_alu instid0(VALU_DEP_2) | instskip(NEXT) | instid1(VALU_DEP_2)
	v_cvt_u32_f32_e32 v1, v1
	v_readfirstlane_b32 s3, v2
	s_delay_alu instid0(VALU_DEP_2) | instskip(NEXT) | instid1(VALU_DEP_2)
	v_readfirstlane_b32 s11, v1
	s_mul_i32 s19, s12, s3
	s_delay_alu instid0(VALU_DEP_1)
	s_mul_hi_u32 s21, s12, s11
	s_mul_i32 s20, s18, s11
	s_add_i32 s19, s21, s19
	s_mul_i32 s22, s12, s11
	s_add_i32 s19, s19, s20
	s_mul_hi_u32 s21, s11, s22
	s_mul_hi_u32 s23, s3, s22
	s_mul_i32 s20, s3, s22
	s_mul_hi_u32 s22, s11, s19
	s_mul_i32 s11, s11, s19
	s_mul_hi_u32 s33, s3, s19
	s_add_u32 s11, s21, s11
	s_addc_u32 s21, 0, s22
	s_add_u32 s11, s11, s20
	s_mul_i32 s19, s3, s19
	s_addc_u32 s11, s21, s23
	s_addc_u32 s20, s33, 0
	s_add_u32 s11, s11, s19
	s_addc_u32 s19, 0, s20
	v_add_co_u32 v1, s11, v1, s11
	s_delay_alu instid0(VALU_DEP_1) | instskip(SKIP_1) | instid1(VALU_DEP_1)
	s_cmp_lg_u32 s11, 0
	s_addc_u32 s3, s3, s19
	v_readfirstlane_b32 s11, v1
	s_mul_i32 s19, s12, s3
	s_delay_alu instid0(VALU_DEP_1)
	s_mul_hi_u32 s20, s12, s11
	s_mul_i32 s18, s18, s11
	s_add_i32 s19, s20, s19
	s_mul_i32 s12, s12, s11
	s_add_i32 s19, s19, s18
	s_mul_hi_u32 s20, s3, s12
	s_mul_i32 s21, s3, s12
	s_mul_hi_u32 s12, s11, s12
	s_mul_hi_u32 s22, s11, s19
	s_mul_i32 s11, s11, s19
	s_mul_hi_u32 s18, s3, s19
	s_add_u32 s11, s12, s11
	s_addc_u32 s12, 0, s22
	s_add_u32 s11, s11, s21
	s_mul_i32 s19, s3, s19
	s_addc_u32 s11, s12, s20
	s_addc_u32 s12, s18, 0
	s_add_u32 s11, s11, s19
	s_addc_u32 s12, 0, s12
	v_add_co_u32 v1, s11, v1, s11
	s_delay_alu instid0(VALU_DEP_1) | instskip(SKIP_2) | instid1(VALU_DEP_1)
	s_cmp_lg_u32 s11, 0
	s_addc_u32 s3, s3, s12
	s_ashr_i32 s18, 0, 31
	v_readfirstlane_b32 s11, v1
	s_add_u32 s20, s34, s18
	s_mov_b32 s19, s18
	s_addc_u32 s21, 0, s18
	s_delay_alu instid0(SALU_CYCLE_1) | instskip(NEXT) | instid1(SALU_CYCLE_1)
	s_xor_b64 s[20:21], s[20:21], s[18:19]
	s_mul_i32 s22, s20, s3
	s_mul_hi_u32 s23, s20, s11
	s_mul_hi_u32 s12, s20, s3
	;; [unrolled: 1-line block ×3, first 2 shown]
	s_mul_i32 s11, s21, s11
	s_add_u32 s22, s23, s22
	s_addc_u32 s12, 0, s12
	s_mul_hi_u32 s33, s21, s3
	s_add_u32 s11, s22, s11
	s_mul_i32 s3, s21, s3
	s_addc_u32 s11, s12, s35
	s_addc_u32 s12, s33, 0
	s_add_u32 s3, s11, s3
	s_addc_u32 s11, 0, s12
	s_mul_i32 s33, s6, s3
	s_mul_hi_u32 s12, s6, s3
	s_mul_i32 s23, s6, s11
	v_sub_co_u32 v1, s20, s20, s33
	s_mul_i32 s22, s7, s3
	s_add_i32 s12, s12, s23
	s_delay_alu instid0(SALU_CYCLE_1) | instskip(NEXT) | instid1(VALU_DEP_1)
	s_add_i32 s12, s12, s22
	v_sub_co_u32 v2, s23, v1, s6
	s_sub_i32 s22, s21, s12
	s_cmp_lg_u32 s20, 0
	s_subb_u32 s22, s22, s7
	s_cmp_lg_u32 s23, 0
	v_readfirstlane_b32 s23, v2
	s_subb_u32 s22, s22, 0
	s_delay_alu instid0(SALU_CYCLE_1) | instskip(SKIP_1) | instid1(VALU_DEP_1)
	s_cmp_ge_u32 s22, s7
	s_cselect_b32 s33, -1, 0
	s_cmp_ge_u32 s23, s6
	s_cselect_b32 s23, -1, 0
	s_cmp_eq_u32 s22, s7
	s_cselect_b32 s22, s23, s33
	s_add_u32 s23, s3, 1
	s_addc_u32 s33, s11, 0
	s_add_u32 s35, s3, 2
	s_addc_u32 s36, s11, 0
	s_cmp_lg_u32 s22, 0
	s_cselect_b32 s22, s35, s23
	s_cselect_b32 s23, s36, s33
	s_cmp_lg_u32 s20, 0
	v_readfirstlane_b32 s20, v1
	s_subb_u32 s12, s21, s12
	s_delay_alu instid0(SALU_CYCLE_1) | instskip(SKIP_1) | instid1(VALU_DEP_1)
	s_cmp_ge_u32 s12, s7
	s_cselect_b32 s21, -1, 0
	s_cmp_ge_u32 s20, s6
	s_cselect_b32 s6, -1, 0
	s_cmp_eq_u32 s12, s7
	s_cselect_b32 s6, s6, s21
	s_delay_alu instid0(SALU_CYCLE_1) | instskip(SKIP_3) | instid1(SALU_CYCLE_1)
	s_cmp_lg_u32 s6, 0
	s_cselect_b32 s7, s23, s11
	s_cselect_b32 s6, s22, s3
	s_xor_b64 s[4:5], s[18:19], s[4:5]
	s_xor_b64 s[6:7], s[6:7], s[4:5]
	s_delay_alu instid0(SALU_CYCLE_1)
	s_sub_u32 s46, s6, s4
	s_subb_u32 s47, s7, s5
	s_and_not1_b32 vcc_lo, exec_lo, s2
	s_cbranch_vccnz .LBB13_7
.LBB13_6:
	v_cvt_f32_u32_e32 v1, s28
	s_sub_i32 s3, 0, s28
	s_mov_b32 s47, 0
	s_delay_alu instid0(VALU_DEP_1) | instskip(SKIP_2) | instid1(VALU_DEP_1)
	v_rcp_iflag_f32_e32 v1, v1
	s_waitcnt_depctr 0xfff
	v_mul_f32_e32 v1, 0x4f7ffffe, v1
	v_cvt_u32_f32_e32 v1, v1
	s_delay_alu instid0(VALU_DEP_1) | instskip(NEXT) | instid1(VALU_DEP_1)
	v_readfirstlane_b32 s2, v1
	s_mul_i32 s3, s3, s2
	s_delay_alu instid0(SALU_CYCLE_1) | instskip(NEXT) | instid1(SALU_CYCLE_1)
	s_mul_hi_u32 s3, s2, s3
	s_add_i32 s2, s2, s3
	s_delay_alu instid0(SALU_CYCLE_1) | instskip(NEXT) | instid1(SALU_CYCLE_1)
	s_mul_hi_u32 s2, s34, s2
	s_mul_i32 s3, s2, s28
	s_add_i32 s4, s2, 1
	s_sub_i32 s3, s34, s3
	s_delay_alu instid0(SALU_CYCLE_1)
	s_sub_i32 s5, s3, s28
	s_cmp_ge_u32 s3, s28
	s_cselect_b32 s2, s4, s2
	s_cselect_b32 s3, s5, s3
	s_add_i32 s4, s2, 1
	s_cmp_ge_u32 s3, s28
	s_cselect_b32 s46, s4, s2
.LBB13_7:
	s_mov_b32 s2, 0
	s_waitcnt lgkmcnt(0)
	s_mov_b32 s3, s45
	s_delay_alu instid0(SALU_CYCLE_1)
	s_cmp_lg_u64 s[2:3], 0
	s_cbranch_scc0 .LBB13_298
; %bb.8:
	s_ashr_i32 s4, s45, 31
	s_delay_alu instid0(SALU_CYCLE_1) | instskip(SKIP_2) | instid1(SALU_CYCLE_1)
	s_add_u32 s6, s44, s4
	s_mov_b32 s5, s4
	s_addc_u32 s7, s45, s4
	s_xor_b64 s[6:7], s[6:7], s[4:5]
	s_delay_alu instid0(SALU_CYCLE_1) | instskip(SKIP_3) | instid1(VALU_DEP_1)
	v_cvt_f32_u32_e32 v1, s6
	v_cvt_f32_u32_e32 v2, s7
	s_sub_u32 s12, 0, s6
	s_subb_u32 s18, 0, s7
	v_fmamk_f32 v1, v2, 0x4f800000, v1
	s_delay_alu instid0(VALU_DEP_1) | instskip(SKIP_2) | instid1(VALU_DEP_1)
	v_rcp_f32_e32 v1, v1
	s_waitcnt_depctr 0xfff
	v_mul_f32_e32 v1, 0x5f7ffffc, v1
	v_mul_f32_e32 v2, 0x2f800000, v1
	s_delay_alu instid0(VALU_DEP_1) | instskip(NEXT) | instid1(VALU_DEP_1)
	v_trunc_f32_e32 v2, v2
	v_fmamk_f32 v1, v2, 0xcf800000, v1
	v_cvt_u32_f32_e32 v2, v2
	s_delay_alu instid0(VALU_DEP_2) | instskip(NEXT) | instid1(VALU_DEP_2)
	v_cvt_u32_f32_e32 v1, v1
	v_readfirstlane_b32 s3, v2
	s_delay_alu instid0(VALU_DEP_2) | instskip(NEXT) | instid1(VALU_DEP_2)
	v_readfirstlane_b32 s11, v1
	s_mul_i32 s19, s12, s3
	s_delay_alu instid0(VALU_DEP_1)
	s_mul_hi_u32 s21, s12, s11
	s_mul_i32 s20, s18, s11
	s_add_i32 s19, s21, s19
	s_mul_i32 s22, s12, s11
	s_add_i32 s19, s19, s20
	s_mul_hi_u32 s21, s11, s22
	s_mul_hi_u32 s23, s3, s22
	s_mul_i32 s20, s3, s22
	s_mul_hi_u32 s22, s11, s19
	s_mul_i32 s11, s11, s19
	s_mul_hi_u32 s33, s3, s19
	s_add_u32 s11, s21, s11
	s_addc_u32 s21, 0, s22
	s_add_u32 s11, s11, s20
	s_mul_i32 s19, s3, s19
	s_addc_u32 s11, s21, s23
	s_addc_u32 s20, s33, 0
	s_add_u32 s11, s11, s19
	s_addc_u32 s19, 0, s20
	v_add_co_u32 v1, s11, v1, s11
	s_delay_alu instid0(VALU_DEP_1) | instskip(SKIP_1) | instid1(VALU_DEP_1)
	s_cmp_lg_u32 s11, 0
	s_addc_u32 s3, s3, s19
	v_readfirstlane_b32 s11, v1
	s_mul_i32 s19, s12, s3
	s_delay_alu instid0(VALU_DEP_1)
	s_mul_hi_u32 s20, s12, s11
	s_mul_i32 s18, s18, s11
	s_add_i32 s19, s20, s19
	s_mul_i32 s12, s12, s11
	s_add_i32 s19, s19, s18
	s_mul_hi_u32 s20, s3, s12
	s_mul_i32 s21, s3, s12
	s_mul_hi_u32 s12, s11, s12
	s_mul_hi_u32 s22, s11, s19
	s_mul_i32 s11, s11, s19
	s_mul_hi_u32 s18, s3, s19
	s_add_u32 s11, s12, s11
	s_addc_u32 s12, 0, s22
	s_add_u32 s11, s11, s21
	s_mul_i32 s19, s3, s19
	s_addc_u32 s11, s12, s20
	s_addc_u32 s12, s18, 0
	s_add_u32 s11, s11, s19
	s_addc_u32 s12, 0, s12
	v_add_co_u32 v1, s11, v1, s11
	s_delay_alu instid0(VALU_DEP_1) | instskip(SKIP_2) | instid1(VALU_DEP_1)
	s_cmp_lg_u32 s11, 0
	s_addc_u32 s3, s3, s12
	s_ashr_i32 s18, 0, 31
	v_readfirstlane_b32 s11, v1
	s_add_u32 s20, s34, s18
	s_mov_b32 s19, s18
	s_addc_u32 s21, 0, s18
	s_delay_alu instid0(SALU_CYCLE_1) | instskip(NEXT) | instid1(SALU_CYCLE_1)
	s_xor_b64 s[20:21], s[20:21], s[18:19]
	s_mul_i32 s22, s20, s3
	s_mul_hi_u32 s23, s20, s11
	s_mul_hi_u32 s12, s20, s3
	;; [unrolled: 1-line block ×3, first 2 shown]
	s_mul_i32 s11, s21, s11
	s_add_u32 s22, s23, s22
	s_addc_u32 s12, 0, s12
	s_mul_hi_u32 s33, s21, s3
	s_add_u32 s11, s22, s11
	s_mul_i32 s3, s21, s3
	s_addc_u32 s11, s12, s35
	s_addc_u32 s12, s33, 0
	s_add_u32 s3, s11, s3
	s_addc_u32 s11, 0, s12
	s_mul_i32 s33, s6, s3
	s_mul_hi_u32 s12, s6, s3
	s_mul_i32 s23, s6, s11
	v_sub_co_u32 v1, s20, s20, s33
	s_mul_i32 s22, s7, s3
	s_add_i32 s12, s12, s23
	s_delay_alu instid0(SALU_CYCLE_1) | instskip(NEXT) | instid1(VALU_DEP_1)
	s_add_i32 s12, s12, s22
	v_sub_co_u32 v2, s23, v1, s6
	s_sub_i32 s22, s21, s12
	s_cmp_lg_u32 s20, 0
	s_subb_u32 s22, s22, s7
	s_cmp_lg_u32 s23, 0
	v_readfirstlane_b32 s23, v2
	s_subb_u32 s22, s22, 0
	s_delay_alu instid0(SALU_CYCLE_1) | instskip(SKIP_1) | instid1(VALU_DEP_1)
	s_cmp_ge_u32 s22, s7
	s_cselect_b32 s33, -1, 0
	s_cmp_ge_u32 s23, s6
	s_cselect_b32 s23, -1, 0
	s_cmp_eq_u32 s22, s7
	s_cselect_b32 s22, s23, s33
	s_add_u32 s23, s3, 1
	s_addc_u32 s33, s11, 0
	s_add_u32 s35, s3, 2
	s_addc_u32 s36, s11, 0
	s_cmp_lg_u32 s22, 0
	s_cselect_b32 s22, s35, s23
	s_cselect_b32 s23, s36, s33
	s_cmp_lg_u32 s20, 0
	v_readfirstlane_b32 s20, v1
	s_subb_u32 s12, s21, s12
	s_delay_alu instid0(SALU_CYCLE_1) | instskip(SKIP_1) | instid1(VALU_DEP_1)
	s_cmp_ge_u32 s12, s7
	s_cselect_b32 s21, -1, 0
	s_cmp_ge_u32 s20, s6
	s_cselect_b32 s6, -1, 0
	s_cmp_eq_u32 s12, s7
	s_cselect_b32 s6, s6, s21
	s_delay_alu instid0(SALU_CYCLE_1) | instskip(SKIP_3) | instid1(SALU_CYCLE_1)
	s_cmp_lg_u32 s6, 0
	s_cselect_b32 s7, s23, s11
	s_cselect_b32 s6, s22, s3
	s_xor_b64 s[4:5], s[18:19], s[4:5]
	s_xor_b64 s[6:7], s[6:7], s[4:5]
	s_delay_alu instid0(SALU_CYCLE_1)
	s_sub_u32 s48, s6, s4
	s_subb_u32 s49, s7, s5
	s_load_b64 s[18:19], s[0:1], 0x0
	s_and_not1_b32 vcc_lo, exec_lo, s2
	s_cbranch_vccnz .LBB13_10
.LBB13_9:
	v_cvt_f32_u32_e32 v1, s44
	s_sub_i32 s3, 0, s44
	s_mov_b32 s49, 0
	s_delay_alu instid0(VALU_DEP_1) | instskip(SKIP_2) | instid1(VALU_DEP_1)
	v_rcp_iflag_f32_e32 v1, v1
	s_waitcnt_depctr 0xfff
	v_mul_f32_e32 v1, 0x4f7ffffe, v1
	v_cvt_u32_f32_e32 v1, v1
	s_delay_alu instid0(VALU_DEP_1) | instskip(NEXT) | instid1(VALU_DEP_1)
	v_readfirstlane_b32 s2, v1
	s_mul_i32 s3, s3, s2
	s_delay_alu instid0(SALU_CYCLE_1) | instskip(NEXT) | instid1(SALU_CYCLE_1)
	s_mul_hi_u32 s3, s2, s3
	s_add_i32 s2, s2, s3
	s_delay_alu instid0(SALU_CYCLE_1) | instskip(NEXT) | instid1(SALU_CYCLE_1)
	s_mul_hi_u32 s2, s34, s2
	s_mul_i32 s3, s2, s44
	s_add_i32 s4, s2, 1
	s_sub_i32 s3, s34, s3
	s_delay_alu instid0(SALU_CYCLE_1)
	s_sub_i32 s5, s3, s44
	s_cmp_ge_u32 s3, s44
	s_cselect_b32 s2, s4, s2
	s_cselect_b32 s3, s5, s3
	s_add_i32 s4, s2, 1
	s_cmp_ge_u32 s3, s44
	s_cselect_b32 s48, s4, s2
.LBB13_10:
	s_clause 0x2
	s_load_b64 s[50:51], s[0:1], 0x360
	s_load_b64 s[52:53], s[0:1], 0x1c0
	s_load_b128 s[4:7], s[0:1], 0xd0
	v_cmp_eq_u32_e64 s2, 0, v0
	s_mov_b32 s55, 0
	s_delay_alu instid0(VALU_DEP_1)
	s_and_saveexec_b32 s3, s2
	s_cbranch_execz .LBB13_12
; %bb.11:
	v_dual_mov_b32 v1, 0 :: v_dual_mov_b32 v4, s25
	s_delay_alu instid0(VALU_DEP_1)
	v_dual_mov_b32 v3, s24 :: v_dual_mov_b32 v2, v1
	ds_store_b32 v1, v1 offset:5136
	ds_store_b128 v1, v[1:4] offset:5120
.LBB13_12:
	s_or_b32 exec_lo, exec_lo, s3
	v_mad_u64_u32 v[2:3], null, v0, s30, 0
	s_mul_i32 s3, s16, s15
	s_mul_hi_u32 s11, s16, s14
	s_mul_i32 s12, s16, s14
	s_add_i32 s3, s11, s3
	s_mul_i32 s11, s17, s14
	s_clause 0x1
	s_load_b128 s[36:39], s[0:1], 0x430
	s_load_b128 s[40:43], s[0:1], 0x290
	s_add_i32 s3, s3, s11
	s_sub_u32 s11, s34, s12
	v_dual_mov_b32 v1, v3 :: v_dual_lshlrev_b32 v14, 2, v0
	s_waitcnt lgkmcnt(0)
	s_mul_i32 s7, s11, s7
	s_mul_hi_u32 s12, s11, s6
	s_subb_u32 s3, 0, s3
	s_add_i32 s7, s12, s7
	s_mul_i32 s3, s3, s6
	s_mul_i32 s0, s16, s5
	s_mul_hi_u32 s1, s16, s4
	s_add_i32 s7, s7, s3
	s_add_i32 s0, s1, s0
	s_mul_i32 s1, s17, s4
	s_mul_i32 s3, s16, s4
	s_barrier
	buffer_gl0_inv
	s_load_b32 s4, s[8:9], 0xc
	v_or_b32_e32 v9, 3, v14
	v_or_b32_e32 v12, 2, v14
	v_mbcnt_lo_u32_b32 v31, -1, 0
	v_mad_u64_u32 v[3:4], null, v0, s31, v[1:2]
	s_delay_alu instid0(VALU_DEP_4) | instskip(NEXT) | instid1(VALU_DEP_4)
	v_mad_u64_u32 v[16:17], null, s30, v9, 0
	v_mad_u64_u32 v[18:19], null, s30, v12, 0
	s_delay_alu instid0(VALU_DEP_4) | instskip(SKIP_4) | instid1(VALU_DEP_2)
	v_lshlrev_b64 v[4:5], v31, -1
	s_mul_i32 s11, s11, s6
	v_mad_u64_u32 v[20:21], null, s30, v14, s[30:31]
	s_add_i32 s0, s0, s1
	s_add_u32 s1, s3, s11
	v_not_b32_e32 v33, v4
	s_delay_alu instid0(VALU_DEP_4)
	v_dual_mov_b32 v4, v17 :: v_dual_mov_b32 v5, v19
	s_addc_u32 s3, s0, s7
	v_cmp_gt_u32_e32 vcc_lo, 32, v0
	v_cmp_gt_i32_e64 s0, 4, v31
	v_lshrrev_b32_e32 v6, 3, v0
	v_mad_u64_u32 v[7:8], null, s31, v9, v[4:5]
	s_add_u32 s56, s18, s1
	s_addc_u32 s57, s19, s3
	s_waitcnt lgkmcnt(0)
	s_and_b32 s33, s4, 0xffff
	v_dual_mov_b32 v13, 0 :: v_dual_and_b32 v32, 0x7c, v6
	s_and_b32 s75, vcc_lo, s0
	s_bfe_u32 s5, s4, 0xb0005
	v_dual_mov_b32 v6, v21 :: v_dual_mov_b32 v17, v7
	s_add_u32 s78, s33, -1
	s_addc_u32 s79, 0, -1
	s_add_u32 s80, s78, s24
	s_addc_u32 s59, s79, s25
	s_cmp_lt_u32 s13, s10
	v_mad_u64_u32 v[8:9], null, s31, v12, v[5:6]
	v_mad_u64_u32 v[4:5], null, s31, v14, v[6:7]
	v_cmp_gt_u16_e64 s77, s4, 31
	s_cselect_b32 s4, 12, 18
	v_mov_b32_e32 v1, v13
	s_add_u32 s60, s8, s4
	s_addc_u32 s61, s9, 0
	s_add_i32 s4, s5, -1
	s_delay_alu instid0(VALU_DEP_3)
	v_mov_b32_e32 v34, v4
	s_bfe_u32 s81, s33, 0x30005
	v_add_co_u32 v10, vcc_lo, s56, v2
	s_cmp_gt_u32 s4, 6
	v_add_co_u32 v35, s4, s24, v0
	v_cmp_lt_i64_e64 s76, 0xc00, s[24:25]
	v_cmp_gt_i64_e64 s0, s[24:25], v[0:1]
	v_lshlrev_b64 v[21:22], 2, v[2:3]
	v_cmp_eq_u32_e64 s1, 0, v31
	v_cmp_gt_u32_e64 s3, 2, v0
	v_add_co_ci_u32_e32 v11, vcc_lo, s57, v3, vcc_lo
	v_mov_b32_e32 v15, v13
	s_cselect_b32 s82, -1, 0
	s_and_b32 s83, s5, 0x7f8
	v_mov_b32_e32 v19, v8
	v_add_co_ci_u32_e64 v36, null, s25, 0, s4
	v_lshl_or_b32 v37, v31, 3, 0xc00
	v_cvt_f32_ubyte0_e32 v38, 0
	v_mov_b32_e32 v39, 0
	s_cmp_lg_u32 s81, 0
	s_mul_i32 s4, s31, s33
	s_mul_hi_u32 s5, s30, s33
	s_mov_b32 s85, 6
	s_cselect_b32 s84, -1, 0
	s_lshl_b64 s[62:63], s[30:31], 2
	s_add_i32 s35, s5, s4
	s_mul_i32 s74, s30, s33
	s_mov_b32 s86, 0
	s_mov_b32 s90, 0
	;; [unrolled: 1-line block ×4, first 2 shown]
                                        ; implicit-def: $sgpr87
                                        ; implicit-def: $sgpr89
                                        ; implicit-def: $sgpr88
                                        ; implicit-def: $sgpr92
                                        ; implicit-def: $sgpr93
                                        ; implicit-def: $sgpr91
	s_branch .LBB13_17
.LBB13_13:                              ;   in Loop: Header=BB13_17 Depth=1
	s_xor_b32 s90, s90, 1
	s_add_i32 s7, s85, -2
	s_cmp_eq_u32 s85, 0
	s_mov_b32 s5, 0
	s_cselect_b32 s6, -1, 0
	s_mov_b32 s85, s7
.LBB13_14:                              ;   in Loop: Header=BB13_17 Depth=1
	s_and_not1_b32 s7, s20, exec_lo
	s_and_b32 s5, s5, exec_lo
	s_and_not1_b32 s21, s21, exec_lo
	s_or_b32 s20, s7, s5
	s_and_not1_b32 s19, s19, exec_lo
	s_or_not1_b32 s15, s6, exec_lo
.LBB13_15:                              ;   in Loop: Header=BB13_17 Depth=1
	s_or_b32 exec_lo, exec_lo, s4
	s_delay_alu instid0(SALU_CYCLE_1)
	s_and_not1_b32 s4, s91, exec_lo
	s_and_b32 s5, s20, exec_lo
	s_and_not1_b32 s6, s92, exec_lo
	s_or_b32 s91, s4, s5
	s_and_not1_b32 s4, s93, exec_lo
	s_and_b32 s5, s21, exec_lo
	s_and_b32 s7, s19, exec_lo
	s_or_b32 s93, s4, s5
	s_or_b32 s92, s6, s7
	s_or_not1_b32 s19, s15, exec_lo
.LBB13_16:                              ;   in Loop: Header=BB13_17 Depth=1
	s_or_b32 exec_lo, exec_lo, s14
	s_delay_alu instid0(SALU_CYCLE_1)
	s_and_b32 s4, exec_lo, s19
	v_mov_b32_e32 v2, s95
	s_or_b32 s86, s4, s86
	s_and_not1_b32 s4, s88, exec_lo
	s_and_b32 s5, s91, exec_lo
	s_and_not1_b32 s6, s87, exec_lo
	s_or_b32 s88, s4, s5
	s_and_not1_b32 s4, s89, exec_lo
	s_and_b32 s5, s93, exec_lo
	s_and_b32 s7, s92, exec_lo
	s_or_b32 s89, s4, s5
	s_or_b32 s87, s6, s7
	s_and_not1_b32 exec_lo, exec_lo, s86
	s_cbranch_execz .LBB13_283
.LBB13_17:                              ; =>This Loop Header: Depth=1
                                        ;     Child Loop BB13_22 Depth 2
                                        ;     Child Loop BB13_41 Depth 2
	;; [unrolled: 1-line block ×16, first 2 shown]
	ds_load_b128 v[2:5], v13 offset:5120
	s_waitcnt lgkmcnt(0)
	v_readfirstlane_b32 s65, v3
	v_readfirstlane_b32 s64, v2
	s_delay_alu instid0(VALU_DEP_1) | instskip(NEXT) | instid1(VALU_DEP_1)
	v_cmp_gt_i64_e64 s4, s[64:65], 0
	s_and_b32 vcc_lo, exec_lo, s4
	s_cbranch_vccnz .LBB13_48
; %bb.18:                               ;   in Loop: Header=BB13_17 Depth=1
	s_and_b32 vcc_lo, exec_lo, s76
	s_cbranch_vccz .LBB13_30
; %bb.19:                               ;   in Loop: Header=BB13_17 Depth=1
	v_cmp_gt_i64_e32 vcc_lo, 0xc01, v[4:5]
	s_mov_b32 s6, 0
	s_mov_b32 s4, 0
	s_cbranch_vccz .LBB13_35
; %bb.20:                               ;   in Loop: Header=BB13_17 Depth=1
	global_load_u16 v6, v13, s[60:61]
	global_load_u8 v7, v[10:11], off
	s_mov_b32 s8, 0
	s_waitcnt vmcnt(1)
	v_readfirstlane_b32 s4, v6
	v_and_b32_e32 v6, 0xffff, v6
	s_delay_alu instid0(VALU_DEP_2) | instskip(NEXT) | instid1(SALU_CYCLE_1)
	s_and_b32 s4, 0xffff, s4
	v_add_nc_u32_e32 v8, s4, v0
	s_mul_i32 s5, s31, s4
	s_mul_hi_u32 s7, s30, s4
	s_mul_i32 s9, s30, s4
	s_add_i32 s7, s7, s5
	v_mad_u64_u32 v[2:3], null, s30, v8, s[56:57]
	s_delay_alu instid0(VALU_DEP_1) | instskip(NEXT) | instid1(VALU_DEP_1)
	v_mad_u64_u32 v[4:5], null, s31, v8, v[3:4]
	v_mov_b32_e32 v3, v4
	v_dual_mov_b32 v5, v1 :: v_dual_mov_b32 v4, v0
	s_branch .LBB13_22
.LBB13_21:                              ;   in Loop: Header=BB13_22 Depth=2
	s_or_b32 exec_lo, exec_lo, s5
	v_add_co_u32 v2, vcc_lo, v2, s9
	v_add_co_ci_u32_e32 v3, vcc_lo, s7, v3, vcc_lo
	v_mov_b32_e32 v7, v8
	s_and_not1_b32 exec_lo, exec_lo, s8
	s_cbranch_execz .LBB13_31
.LBB13_22:                              ;   Parent Loop BB13_17 Depth=1
                                        ; =>  This Inner Loop Header: Depth=2
	s_delay_alu instid0(VALU_DEP_1) | instskip(NEXT) | instid1(VALU_DEP_2)
	v_add_co_u32 v4, vcc_lo, v4, v6
	v_add_co_ci_u32_e32 v5, vcc_lo, 0, v5, vcc_lo
	s_waitcnt lgkmcnt(0)
	v_dual_mov_b32 v9, 0 :: v_dual_mov_b32 v8, 0
	s_mov_b32 s5, exec_lo
	s_delay_alu instid0(VALU_DEP_2)
	v_cmp_le_i64_e32 vcc_lo, s[24:25], v[4:5]
	v_cmpx_gt_i64_e64 s[24:25], v[4:5]
	s_cbranch_execz .LBB13_24
; %bb.23:                               ;   in Loop: Header=BB13_22 Depth=2
	global_load_u8 v8, v[2:3], off
.LBB13_24:                              ;   in Loop: Header=BB13_22 Depth=2
	s_or_b32 exec_lo, exec_lo, s5
	s_waitcnt vmcnt(0)
	v_bfe_i32 v12, v7, 0, 8
	s_delay_alu instid0(VALU_DEP_1) | instskip(NEXT) | instid1(VALU_DEP_1)
	v_add_nc_u32_e32 v12, 0x80, v12
	v_and_b32_e32 v12, s94, v12
	s_delay_alu instid0(VALU_DEP_1) | instskip(NEXT) | instid1(VALU_DEP_1)
	v_cmp_eq_u32_e64 s4, s95, v12
	s_cmp_lg_u32 s4, 0
	s_cselect_b32 s5, -1, 0
	s_delay_alu instid0(SALU_CYCLE_1) | instskip(NEXT) | instid1(SALU_CYCLE_1)
	s_and_b32 s5, s1, s5
	s_and_saveexec_b32 s10, s5
	s_cbranch_execz .LBB13_28
; %bb.25:                               ;   in Loop: Header=BB13_22 Depth=2
	s_mov_b32 s13, exec_lo
	s_bcnt1_i32_b32 s11, s4
	v_mbcnt_lo_u32_b32 v9, s13, 0
	s_mov_b32 s12, exec_lo
                                        ; implicit-def: $vgpr12
	s_delay_alu instid0(VALU_DEP_1)
	v_cmpx_eq_u32_e32 0, v9
	s_cbranch_execz .LBB13_27
; %bb.26:                               ;   in Loop: Header=BB13_22 Depth=2
	s_bcnt1_i32_b32 s5, s13
	s_delay_alu instid0(SALU_CYCLE_1) | instskip(NEXT) | instid1(SALU_CYCLE_1)
	s_mul_i32 s5, s11, s5
	v_mov_b32_e32 v12, s5
	ds_add_rtn_u32 v12, v13, v12 offset:5136
.LBB13_27:                              ;   in Loop: Header=BB13_22 Depth=2
	s_or_b32 exec_lo, exec_lo, s12
	s_waitcnt lgkmcnt(0)
	v_readfirstlane_b32 s5, v12
	s_delay_alu instid0(VALU_DEP_1)
	v_mad_u32_u24 v9, s11, v9, s5
.LBB13_28:                              ;   in Loop: Header=BB13_22 Depth=2
	s_or_b32 exec_lo, exec_lo, s10
	ds_bpermute_b32 v9, v13, v9
	s_and_b32 s5, exec_lo, vcc_lo
	s_delay_alu instid0(SALU_CYCLE_1)
	s_or_b32 s8, s5, s8
	s_and_saveexec_b32 s5, s4
	s_cbranch_execz .LBB13_21
; %bb.29:                               ;   in Loop: Header=BB13_22 Depth=2
	v_and_b32_e32 v12, s4, v33
	s_waitcnt lgkmcnt(0)
	s_delay_alu instid0(VALU_DEP_1)
	v_bcnt_u32_b32 v9, v12, v9
	ds_store_b8 v9, v7
	s_branch .LBB13_21
.LBB13_30:                              ;   in Loop: Header=BB13_17 Depth=1
	s_mov_b32 s6, -1
	s_mov_b32 s4, 0
	s_branch .LBB13_34
.LBB13_31:                              ;   in Loop: Header=BB13_17 Depth=1
	s_or_b32 exec_lo, exec_lo, s8
	s_waitcnt lgkmcnt(0)
	s_barrier
	buffer_gl0_inv
	s_and_saveexec_b32 s4, s2
	s_cbranch_execz .LBB13_33
; %bb.32:                               ;   in Loop: Header=BB13_17 Depth=1
	ds_load_b32 v2, v13 offset:5136
	s_waitcnt lgkmcnt(0)
	v_ashrrev_i32_e32 v3, 31, v2
	ds_store_b64 v13, v[2:3] offset:5120
.LBB13_33:                              ;   in Loop: Header=BB13_17 Depth=1
	s_or_b32 exec_lo, exec_lo, s4
	s_waitcnt lgkmcnt(0)
	s_mov_b32 s4, -1
	s_barrier
.LBB13_34:                              ;   in Loop: Header=BB13_17 Depth=1
                                        ; implicit-def: $sgpr64_sgpr65
.LBB13_35:                              ;   in Loop: Header=BB13_17 Depth=1
	s_and_b32 vcc_lo, exec_lo, s6
	s_cbranch_vccz .LBB13_46
; %bb.36:                               ;   in Loop: Header=BB13_17 Depth=1
	v_mov_b32_e32 v6, 0
	s_and_saveexec_b32 s4, s0
	s_cbranch_execz .LBB13_38
; %bb.37:                               ;   in Loop: Header=BB13_17 Depth=1
	global_load_u8 v6, v[10:11], off
.LBB13_38:                              ;   in Loop: Header=BB13_17 Depth=1
	s_or_b32 exec_lo, exec_lo, s4
	s_and_saveexec_b32 s5, s0
	s_cbranch_execz .LBB13_43
; %bb.39:                               ;   in Loop: Header=BB13_17 Depth=1
	global_load_u16 v8, v13, s[60:61]
	s_mov_b32 s9, 0
	s_waitcnt vmcnt(0)
	v_readfirstlane_b32 s4, v8
	v_and_b32_e32 v8, 0xffff, v8
	s_delay_alu instid0(VALU_DEP_2) | instskip(NEXT) | instid1(SALU_CYCLE_1)
	s_and_b32 s6, 0xffff, s4
	v_add_nc_u32_e32 v7, s6, v0
	s_mul_i32 s4, s31, s6
	s_mul_hi_u32 s7, s30, s6
	s_mul_i32 s8, s30, s6
	s_add_i32 s7, s7, s4
	v_mad_u64_u32 v[2:3], null, s30, v7, s[56:57]
	s_delay_alu instid0(VALU_DEP_1) | instskip(SKIP_1) | instid1(VALU_DEP_2)
	v_mad_u64_u32 v[4:5], null, s31, v7, v[3:4]
	v_mov_b32_e32 v7, v0
	v_mov_b32_e32 v3, v4
	v_dual_mov_b32 v5, v1 :: v_dual_mov_b32 v4, v0
	s_branch .LBB13_41
	.p2align	6
.LBB13_40:                              ;   in Loop: Header=BB13_41 Depth=2
	s_or_b32 exec_lo, exec_lo, s10
	s_delay_alu instid0(SALU_CYCLE_1)
	s_and_b32 s4, exec_lo, vcc_lo
	v_add_co_u32 v2, vcc_lo, v2, s8
	ds_store_b8 v7, v6
	s_waitcnt vmcnt(0)
	v_dual_mov_b32 v6, v9 :: v_dual_add_nc_u32 v7, s6, v7
	v_add_co_ci_u32_e32 v3, vcc_lo, s7, v3, vcc_lo
	s_or_b32 s9, s4, s9
	s_delay_alu instid0(SALU_CYCLE_1)
	s_and_not1_b32 exec_lo, exec_lo, s9
	s_cbranch_execz .LBB13_43
.LBB13_41:                              ;   Parent Loop BB13_17 Depth=1
                                        ; =>  This Inner Loop Header: Depth=2
	s_delay_alu instid0(VALU_DEP_1) | instskip(NEXT) | instid1(VALU_DEP_2)
	v_add_co_u32 v4, vcc_lo, v4, v8
	v_add_co_ci_u32_e32 v5, vcc_lo, 0, v5, vcc_lo
	v_mov_b32_e32 v9, 0
	s_mov_b32 s10, exec_lo
	s_delay_alu instid0(VALU_DEP_2)
	v_cmp_le_i64_e32 vcc_lo, s[24:25], v[4:5]
	v_cmpx_gt_i64_e64 s[24:25], v[4:5]
	s_cbranch_execz .LBB13_40
; %bb.42:                               ;   in Loop: Header=BB13_41 Depth=2
	global_load_u8 v9, v[2:3], off
	s_branch .LBB13_40
.LBB13_43:                              ;   in Loop: Header=BB13_17 Depth=1
	s_or_b32 exec_lo, exec_lo, s5
	s_waitcnt vmcnt(0) lgkmcnt(0)
	s_barrier
	buffer_gl0_inv
	s_and_saveexec_b32 s4, s2
	s_cbranch_execz .LBB13_45
; %bb.44:                               ;   in Loop: Header=BB13_17 Depth=1
	v_dual_mov_b32 v2, s24 :: v_dual_mov_b32 v3, s25
	ds_store_b64 v13, v[2:3] offset:5120
.LBB13_45:                              ;   in Loop: Header=BB13_17 Depth=1
	s_or_b32 exec_lo, exec_lo, s4
	s_mov_b32 s4, -1
	s_waitcnt lgkmcnt(0)
	s_barrier
                                        ; implicit-def: $sgpr64_sgpr65
.LBB13_46:                              ;   in Loop: Header=BB13_17 Depth=1
	s_and_b32 vcc_lo, exec_lo, s4
	s_cbranch_vccz .LBB13_48
; %bb.47:                               ;   in Loop: Header=BB13_17 Depth=1
	buffer_gl0_inv
	ds_load_b64 v[2:3], v13 offset:5120
	s_waitcnt lgkmcnt(0)
	v_readfirstlane_b32 s64, v2
.LBB13_48:                              ;   in Loop: Header=BB13_17 Depth=1
	s_delay_alu instid0(VALU_DEP_1)
	s_cmp_lt_i32 s64, 1
	s_cbranch_scc0 .LBB13_63
; %bb.49:                               ;   in Loop: Header=BB13_17 Depth=1
	global_load_u16 v4, v13, s[60:61]
	s_mov_b32 s5, s25
	s_waitcnt vmcnt(0)
	v_readfirstlane_b32 s4, v4
	s_delay_alu instid0(VALU_DEP_1)
	s_and_b32 s6, 0xffff, s4
	s_mov_b32 s4, s55
	s_lshl_b32 s54, s6, 2
	s_cmp_lg_u64 s[4:5], 0
	s_cbranch_scc0 .LBB13_83
; %bb.50:                               ;   in Loop: Header=BB13_17 Depth=1
	v_cvt_f32_u32_e32 v2, s54
	s_sub_u32 s6, 0, s54
	s_subb_u32 s7, 0, 0
	s_delay_alu instid0(VALU_DEP_1) | instskip(NEXT) | instid1(VALU_DEP_1)
	v_fmac_f32_e32 v2, 0x4f800000, v38
	v_rcp_f32_e32 v2, v2
	s_waitcnt_depctr 0xfff
	v_mul_f32_e32 v2, 0x5f7ffffc, v2
	s_delay_alu instid0(VALU_DEP_1) | instskip(NEXT) | instid1(VALU_DEP_1)
	v_mul_f32_e32 v3, 0x2f800000, v2
	v_trunc_f32_e32 v3, v3
	s_delay_alu instid0(VALU_DEP_1) | instskip(SKIP_1) | instid1(VALU_DEP_2)
	v_fmac_f32_e32 v2, 0xcf800000, v3
	v_cvt_u32_f32_e32 v3, v3
	v_cvt_u32_f32_e32 v2, v2
	s_delay_alu instid0(VALU_DEP_2) | instskip(NEXT) | instid1(VALU_DEP_2)
	v_readfirstlane_b32 s4, v3
	v_readfirstlane_b32 s5, v2
	s_delay_alu instid0(VALU_DEP_2) | instskip(NEXT) | instid1(VALU_DEP_1)
	s_mul_i32 s8, s6, s4
	s_mul_hi_u32 s10, s6, s5
	s_mul_i32 s9, s7, s5
	s_add_i32 s8, s10, s8
	s_mul_i32 s11, s6, s5
	s_add_i32 s8, s8, s9
	s_mul_hi_u32 s10, s5, s11
	s_mul_hi_u32 s12, s4, s11
	s_mul_i32 s9, s4, s11
	s_mul_hi_u32 s11, s5, s8
	s_mul_i32 s5, s5, s8
	s_mul_hi_u32 s13, s4, s8
	s_add_u32 s5, s10, s5
	s_addc_u32 s10, 0, s11
	s_add_u32 s5, s5, s9
	s_mul_i32 s8, s4, s8
	s_addc_u32 s5, s10, s12
	s_addc_u32 s9, s13, 0
	s_add_u32 s5, s5, s8
	s_addc_u32 s8, 0, s9
	v_add_co_u32 v2, s5, v2, s5
	s_delay_alu instid0(VALU_DEP_1) | instskip(SKIP_1) | instid1(VALU_DEP_1)
	s_cmp_lg_u32 s5, 0
	s_addc_u32 s4, s4, s8
	v_readfirstlane_b32 s5, v2
	s_mul_i32 s8, s6, s4
	s_delay_alu instid0(VALU_DEP_1)
	s_mul_hi_u32 s9, s6, s5
	s_mul_i32 s7, s7, s5
	s_add_i32 s8, s9, s8
	s_mul_i32 s6, s6, s5
	s_add_i32 s8, s8, s7
	s_mul_hi_u32 s9, s4, s6
	s_mul_i32 s10, s4, s6
	s_mul_hi_u32 s6, s5, s6
	s_mul_hi_u32 s11, s5, s8
	s_mul_i32 s5, s5, s8
	s_mul_hi_u32 s7, s4, s8
	s_add_u32 s5, s6, s5
	s_addc_u32 s6, 0, s11
	s_add_u32 s5, s5, s10
	s_mul_i32 s8, s4, s8
	s_addc_u32 s5, s6, s9
	s_addc_u32 s6, s7, 0
	s_add_u32 s5, s5, s8
	s_addc_u32 s6, 0, s6
	v_add_co_u32 v2, s5, v2, s5
	s_delay_alu instid0(VALU_DEP_1) | instskip(SKIP_2) | instid1(VALU_DEP_1)
	s_cmp_lg_u32 s5, 0
	s_addc_u32 s8, s4, s6
	s_ashr_i32 s6, s25, 31
	v_readfirstlane_b32 s9, v2
	s_add_u32 s4, s24, s6
	s_mov_b32 s7, s6
	s_addc_u32 s5, s25, s6
	s_delay_alu instid0(SALU_CYCLE_1) | instskip(NEXT) | instid1(SALU_CYCLE_1)
	s_xor_b64 s[4:5], s[4:5], s[6:7]
	s_mul_i32 s10, s4, s8
	s_mul_hi_u32 s11, s4, s9
	s_mul_hi_u32 s7, s4, s8
	;; [unrolled: 1-line block ×3, first 2 shown]
	s_mul_i32 s9, s5, s9
	s_add_u32 s10, s11, s10
	s_addc_u32 s7, 0, s7
	s_mul_hi_u32 s12, s5, s8
	s_add_u32 s9, s10, s9
	s_mul_i32 s8, s5, s8
	s_addc_u32 s7, s7, s13
	s_addc_u32 s9, s12, 0
	s_add_u32 s7, s7, s8
	s_addc_u32 s8, 0, s9
	s_mul_hi_u32 s9, s54, s7
	s_mul_i32 s7, s54, s7
	s_mul_i32 s8, s54, s8
	v_sub_co_u32 v2, s4, s4, s7
	s_add_i32 s9, s9, s8
	s_cmp_lg_u32 s4, 0
	s_delay_alu instid0(VALU_DEP_1) | instskip(SKIP_2) | instid1(VALU_DEP_1)
	v_sub_co_u32 v3, s4, v2, s54
	s_subb_u32 s5, s5, s9
	s_cmp_lg_u32 s4, 0
	v_cmp_le_u32_e32 vcc_lo, s54, v3
	v_sub_co_u32 v5, s4, v3, s54
	s_subb_u32 s7, s5, 0
	s_cmp_lg_u32 s4, 0
	v_cndmask_b32_e64 v6, 0, -1, vcc_lo
	s_subb_u32 s4, s7, 0
	s_cmp_eq_u32 s7, 0
	v_mov_b32_e32 v8, s4
	s_cselect_b32 vcc_lo, -1, 0
	s_cmp_eq_u32 s5, 0
	v_cndmask_b32_e32 v6, -1, v6, vcc_lo
	v_cmp_le_u32_e32 vcc_lo, s54, v2
	s_cselect_b32 s4, -1, 0
	v_cndmask_b32_e64 v7, 0, -1, vcc_lo
	s_delay_alu instid0(VALU_DEP_3) | instskip(NEXT) | instid1(VALU_DEP_2)
	v_cmp_ne_u32_e32 vcc_lo, 0, v6
	v_cndmask_b32_e64 v6, -1, v7, s4
	v_cndmask_b32_e32 v7, s7, v8, vcc_lo
	v_cndmask_b32_e32 v3, v3, v5, vcc_lo
	s_delay_alu instid0(VALU_DEP_3) | instskip(NEXT) | instid1(VALU_DEP_2)
	v_cmp_ne_u32_e32 vcc_lo, 0, v6
	v_cndmask_b32_e32 v2, v2, v3, vcc_lo
	s_delay_alu instid0(VALU_DEP_4) | instskip(NEXT) | instid1(VALU_DEP_2)
	v_cndmask_b32_e32 v5, s5, v7, vcc_lo
	v_xor_b32_e32 v2, s6, v2
	s_delay_alu instid0(VALU_DEP_2) | instskip(NEXT) | instid1(VALU_DEP_2)
	v_xor_b32_e32 v3, s6, v5
	v_sub_co_u32 v23, vcc_lo, v2, s6
	s_delay_alu instid0(VALU_DEP_2)
	v_subrev_co_ci_u32_e32 v24, vcc_lo, s6, v3, vcc_lo
	s_cbranch_execnz .LBB13_52
.LBB13_51:                              ;   in Loop: Header=BB13_17 Depth=1
	v_cvt_f32_u32_e32 v2, s54
	s_sub_i32 s4, 0, s54
	s_delay_alu instid0(VALU_DEP_1) | instskip(SKIP_2) | instid1(VALU_DEP_1)
	v_rcp_iflag_f32_e32 v2, v2
	s_waitcnt_depctr 0xfff
	v_mul_f32_e32 v2, 0x4f7ffffe, v2
	v_cvt_u32_f32_e32 v2, v2
	s_delay_alu instid0(VALU_DEP_1) | instskip(NEXT) | instid1(VALU_DEP_1)
	v_mul_lo_u32 v3, s4, v2
	v_mul_hi_u32 v3, v2, v3
	s_delay_alu instid0(VALU_DEP_1) | instskip(NEXT) | instid1(VALU_DEP_1)
	v_add_nc_u32_e32 v2, v2, v3
	v_mul_hi_u32 v2, s24, v2
	s_delay_alu instid0(VALU_DEP_1) | instskip(NEXT) | instid1(VALU_DEP_1)
	v_mul_lo_u32 v2, v2, s54
	v_sub_nc_u32_e32 v2, s24, v2
	s_delay_alu instid0(VALU_DEP_1) | instskip(SKIP_1) | instid1(VALU_DEP_2)
	v_subrev_nc_u32_e32 v3, s54, v2
	v_cmp_le_u32_e32 vcc_lo, s54, v2
	v_cndmask_b32_e32 v2, v2, v3, vcc_lo
	s_delay_alu instid0(VALU_DEP_1) | instskip(SKIP_1) | instid1(VALU_DEP_2)
	v_subrev_nc_u32_e32 v3, s54, v2
	v_cmp_le_u32_e32 vcc_lo, s54, v2
	v_cndmask_b32_e32 v12, v2, v3, vcc_lo
	s_delay_alu instid0(VALU_DEP_1)
	v_dual_mov_b32 v24, v13 :: v_dual_mov_b32 v23, v12
.LBB13_52:                              ;   in Loop: Header=BB13_17 Depth=1
	v_mov_b32_e32 v2, 0
	v_dual_mov_b32 v3, 0 :: v_dual_and_b32 v12, 0xffff, v4
	s_delay_alu instid0(VALU_DEP_3) | instskip(NEXT) | instid1(VALU_DEP_4)
	v_sub_co_u32 v25, vcc_lo, s24, v23
	v_sub_co_ci_u32_e32 v26, vcc_lo, s25, v24, vcc_lo
	s_delay_alu instid0(VALU_DEP_3)
	v_dual_mov_b32 v5, v3 :: v_dual_mov_b32 v4, v2
	v_dual_mov_b32 v7, v3 :: v_dual_mov_b32 v6, v2
	v_dual_mov_b32 v9, v3 :: v_dual_mov_b32 v8, v2
	s_mov_b64 s[66:67], 0
	s_mov_b32 s58, exec_lo
	v_cmpx_gt_i64_e64 v[25:26], v[14:15]
	s_cbranch_execz .LBB13_56
; %bb.53:                               ;   in Loop: Header=BB13_17 Depth=1
	v_mul_lo_u32 v2, s63, v12
	v_mul_hi_u32 v3, s62, v12
	v_mul_lo_u32 v40, s62, v12
	v_dual_mov_b32 v27, s56 :: v_dual_mov_b32 v28, s57
	v_dual_mov_b32 v30, v15 :: v_dual_mov_b32 v29, v14
	s_and_b32 s65, s85, 0xfe
	s_mov_b32 s96, 0
	s_delay_alu instid0(VALU_DEP_4)
	v_add_nc_u32_e32 v41, v3, v2
	s_mov_b64 s[68:69], 0
	s_mov_b64 s[70:71], 0
	;; [unrolled: 1-line block ×3, first 2 shown]
.LBB13_54:                              ;   Parent Loop BB13_17 Depth=1
                                        ; =>  This Inner Loop Header: Depth=2
	v_add_co_u32 v2, vcc_lo, v27, v21
	v_add_co_ci_u32_e32 v3, vcc_lo, v28, v22, vcc_lo
	v_add_co_u32 v4, vcc_lo, v27, v20
	v_add_co_ci_u32_e32 v5, vcc_lo, v28, v34, vcc_lo
	;; [unrolled: 2-line block ×4, first 2 shown]
	s_clause 0x3
	global_load_i8 v2, v[2:3], off
	global_load_i8 v3, v[4:5], off
	;; [unrolled: 1-line block ×4, first 2 shown]
	v_add_co_u32 v29, vcc_lo, v29, s54
	v_add_co_ci_u32_e32 v30, vcc_lo, 0, v30, vcc_lo
	v_add_co_u32 v27, vcc_lo, v27, v40
	v_add_co_ci_u32_e32 v28, vcc_lo, v28, v41, vcc_lo
	s_delay_alu instid0(VALU_DEP_3)
	v_cmp_ge_i64_e32 vcc_lo, v[29:30], v[25:26]
	s_waitcnt vmcnt(3)
	v_add_nc_u32_e32 v2, 0x80, v2
	s_waitcnt vmcnt(2)
	v_add_nc_u32_e32 v3, 0x80, v3
	;; [unrolled: 2-line block ×4, first 2 shown]
	v_and_b32_e32 v6, s94, v2
	v_bfe_u32 v2, v2, s65, 2
	v_and_b32_e32 v7, s94, v3
	v_bfe_u32 v3, v3, s65, 2
	;; [unrolled: 2-line block ×3, first 2 shown]
	v_cmp_eq_u32_e64 s4, s95, v6
	v_cmp_eq_u32_e64 s8, 0, v2
	v_and_b32_e32 v9, s94, v5
	v_bfe_u32 v5, v5, s65, 2
	v_cmp_eq_u32_e64 s5, s95, v7
	v_cmp_eq_u32_e64 s9, 0, v3
	;; [unrolled: 1-line block ×4, first 2 shown]
	s_and_b32 s8, s4, s8
	v_cmp_eq_u32_e64 s7, s95, v9
	v_cmp_eq_u32_e64 s11, 0, v5
	;; [unrolled: 1-line block ×5, first 2 shown]
	v_cndmask_b32_e64 v2, 0, 1, s8
	s_and_b32 s8, s5, s9
	v_cmp_eq_u32_e64 s13, 1, v3
	v_cmp_eq_u32_e64 s17, 2, v3
	v_cmp_eq_u32_e64 s21, 3, v3
	v_cndmask_b32_e64 v3, 0, 1, s8
	s_and_b32 s8, s6, s10
	v_cmp_eq_u32_e64 s14, 1, v4
	v_cmp_eq_u32_e64 s18, 2, v4
	v_cmp_eq_u32_e64 s22, 3, v4
	;; [unrolled: 5-line block ×3, first 2 shown]
	v_cndmask_b32_e64 v5, 0, 1, s8
	v_cmp_ne_u32_e64 s8, 0, v2
	v_cmp_ne_u32_e64 s9, 0, v3
	;; [unrolled: 1-line block ×3, first 2 shown]
	s_delay_alu instid0(VALU_DEP_4) | instskip(NEXT) | instid1(VALU_DEP_4)
	v_cmp_ne_u32_e64 s11, 0, v5
	s_bcnt1_i32_b32 s8, s8
	s_delay_alu instid0(VALU_DEP_3) | instskip(NEXT) | instid1(VALU_DEP_2)
	s_bcnt1_i32_b32 s9, s9
	s_bcnt1_i32_b32 s10, s10
	s_add_i32 s8, s9, s8
	s_bcnt1_i32_b32 s11, s11
	s_add_i32 s8, s8, s10
	s_delay_alu instid0(SALU_CYCLE_1) | instskip(NEXT) | instid1(SALU_CYCLE_1)
	s_add_i32 s8, s8, s11
	s_add_u32 s72, s72, s8
	s_addc_u32 s73, s73, 0
	s_and_b32 s8, s4, s12
	s_delay_alu instid0(SALU_CYCLE_1) | instskip(SKIP_1) | instid1(SALU_CYCLE_1)
	v_cndmask_b32_e64 v2, 0, 1, s8
	s_and_b32 s8, s5, s13
	v_cndmask_b32_e64 v3, 0, 1, s8
	s_and_b32 s8, s6, s14
	s_delay_alu instid0(SALU_CYCLE_1) | instskip(SKIP_1) | instid1(VALU_DEP_2)
	v_cndmask_b32_e64 v4, 0, 1, s8
	s_and_b32 s8, s7, s15
	v_cmp_ne_u32_e64 s9, 0, v3
	v_cndmask_b32_e64 v5, 0, 1, s8
	v_cmp_ne_u32_e64 s8, 0, v2
	v_cmp_ne_u32_e64 s10, 0, v4
	s_delay_alu instid0(VALU_DEP_4) | instskip(NEXT) | instid1(VALU_DEP_3)
	s_bcnt1_i32_b32 s9, s9
	v_cmp_ne_u32_e64 s11, 0, v5
	s_delay_alu instid0(VALU_DEP_3) | instskip(NEXT) | instid1(VALU_DEP_2)
	s_bcnt1_i32_b32 s8, s8
	s_bcnt1_i32_b32 s10, s10
	s_add_i32 s8, s9, s8
	s_delay_alu instid0(VALU_DEP_1) | instskip(SKIP_1) | instid1(SALU_CYCLE_1)
	s_bcnt1_i32_b32 s11, s11
	s_add_i32 s8, s8, s10
	s_add_i32 s8, s8, s11
	s_delay_alu instid0(SALU_CYCLE_1) | instskip(SKIP_2) | instid1(SALU_CYCLE_1)
	s_add_u32 s70, s70, s8
	s_addc_u32 s71, s71, 0
	s_and_b32 s8, s4, s16
	v_cndmask_b32_e64 v2, 0, 1, s8
	s_and_b32 s8, s5, s17
	s_delay_alu instid0(SALU_CYCLE_1) | instskip(SKIP_1) | instid1(SALU_CYCLE_1)
	v_cndmask_b32_e64 v3, 0, 1, s8
	s_and_b32 s8, s6, s18
	v_cndmask_b32_e64 v4, 0, 1, s8
	s_and_b32 s8, s7, s19
	s_delay_alu instid0(VALU_DEP_2) | instskip(SKIP_3) | instid1(VALU_DEP_4)
	v_cmp_ne_u32_e64 s9, 0, v3
	v_cndmask_b32_e64 v5, 0, 1, s8
	v_cmp_ne_u32_e64 s8, 0, v2
	v_cmp_ne_u32_e64 s10, 0, v4
	s_bcnt1_i32_b32 s9, s9
	s_delay_alu instid0(VALU_DEP_3) | instskip(NEXT) | instid1(VALU_DEP_3)
	v_cmp_ne_u32_e64 s11, 0, v5
	s_bcnt1_i32_b32 s8, s8
	s_delay_alu instid0(VALU_DEP_2) | instskip(SKIP_1) | instid1(VALU_DEP_1)
	s_bcnt1_i32_b32 s10, s10
	s_add_i32 s8, s9, s8
	s_bcnt1_i32_b32 s11, s11
	s_add_i32 s8, s8, s10
	s_delay_alu instid0(SALU_CYCLE_1) | instskip(NEXT) | instid1(SALU_CYCLE_1)
	s_add_i32 s8, s8, s11
	s_add_u32 s68, s68, s8
	s_addc_u32 s69, s69, 0
	v_mov_b32_e32 v6, s68
	s_and_b32 s4, s4, s20
	v_mov_b32_e32 v7, s69
	v_cndmask_b32_e64 v2, 0, 1, s4
	s_and_b32 s4, s5, s21
	s_delay_alu instid0(SALU_CYCLE_1) | instskip(SKIP_1) | instid1(SALU_CYCLE_1)
	v_cndmask_b32_e64 v3, 0, 1, s4
	s_and_b32 s4, s6, s22
	v_cndmask_b32_e64 v4, 0, 1, s4
	s_and_b32 s4, s7, s23
	s_delay_alu instid0(VALU_DEP_2)
	v_cmp_ne_u32_e64 s5, 0, v3
	v_cndmask_b32_e64 v5, 0, 1, s4
	v_cmp_ne_u32_e64 s4, 0, v2
	v_cmp_ne_u32_e64 s6, 0, v4
	v_mov_b32_e32 v2, s72
	s_bcnt1_i32_b32 s5, s5
	v_cmp_ne_u32_e64 s7, 0, v5
	s_bcnt1_i32_b32 s4, s4
	s_bcnt1_i32_b32 s6, s6
	s_add_i32 s4, s5, s4
	v_mov_b32_e32 v4, s70
	s_bcnt1_i32_b32 s5, s7
	s_add_i32 s4, s4, s6
	v_mov_b32_e32 v3, s73
	s_add_i32 s4, s4, s5
	v_mov_b32_e32 v5, s71
	s_add_u32 s66, s66, s4
	s_addc_u32 s67, s67, 0
	s_delay_alu instid0(SALU_CYCLE_1) | instskip(SKIP_1) | instid1(SALU_CYCLE_1)
	v_dual_mov_b32 v8, s66 :: v_dual_mov_b32 v9, s67
	s_or_b32 s96, vcc_lo, s96
	s_and_not1_b32 exec_lo, exec_lo, s96
	s_cbranch_execnz .LBB13_54
; %bb.55:                               ;   in Loop: Header=BB13_17 Depth=1
	s_or_b32 exec_lo, exec_lo, s96
.LBB13_56:                              ;   in Loop: Header=BB13_17 Depth=1
	s_delay_alu instid0(SALU_CYCLE_1) | instskip(SKIP_3) | instid1(VALU_DEP_2)
	s_or_b32 exec_lo, exec_lo, s58
	v_add_co_u32 v25, vcc_lo, v25, v0
	v_add_co_ci_u32_e32 v26, vcc_lo, 0, v26, vcc_lo
	v_mov_b32_e32 v29, 0
	v_cmp_gt_i64_e32 vcc_lo, s[24:25], v[25:26]
	s_and_saveexec_b32 s4, vcc_lo
	s_cbranch_execz .LBB13_58
; %bb.57:                               ;   in Loop: Header=BB13_17 Depth=1
	v_mad_u64_u32 v[27:28], null, v25, s30, s[56:57]
	v_mul_lo_u32 v29, v25, s31
	v_mul_lo_u32 v30, v26, s30
	s_delay_alu instid0(VALU_DEP_1)
	v_add3_u32 v28, v30, v28, v29
	global_load_u8 v29, v[27:28], off
.LBB13_58:                              ;   in Loop: Header=BB13_17 Depth=1
	s_or_b32 exec_lo, exec_lo, s4
	s_and_saveexec_b32 s8, vcc_lo
	s_cbranch_execz .LBB13_65
; %bb.59:                               ;   in Loop: Header=BB13_17 Depth=1
	v_add_co_u32 v27, vcc_lo, v35, v12
	v_add_co_ci_u32_e32 v28, vcc_lo, 0, v36, vcc_lo
	v_mul_lo_u32 v40, s31, v12
	s_delay_alu instid0(VALU_DEP_3) | instskip(NEXT) | instid1(VALU_DEP_3)
	v_sub_co_u32 v27, vcc_lo, v27, v23
	v_sub_co_ci_u32_e32 v23, vcc_lo, v28, v24, vcc_lo
	v_mul_hi_u32 v41, s30, v12
	s_delay_alu instid0(VALU_DEP_3) | instskip(SKIP_1) | instid1(VALU_DEP_3)
	v_mul_lo_u32 v30, s31, v27
	s_and_b32 s10, s85, 0xfe
	v_mul_lo_u32 v28, s30, v23
	v_mad_u64_u32 v[23:24], null, s30, v27, s[56:57]
	v_mul_lo_u32 v27, s30, v12
	s_mov_b32 s9, 0
	s_delay_alu instid0(VALU_DEP_2)
	v_add3_u32 v24, v30, v24, v28
	v_add_nc_u32_e32 v28, v41, v40
	s_branch .LBB13_61
.LBB13_60:                              ;   in Loop: Header=BB13_61 Depth=2
	s_or_b32 exec_lo, exec_lo, s5
	s_waitcnt vmcnt(0)
	v_bfe_i32 v29, v29, 0, 8
	s_and_b32 s6, exec_lo, vcc_lo
	s_delay_alu instid0(SALU_CYCLE_1) | instskip(NEXT) | instid1(VALU_DEP_1)
	s_or_b32 s9, s6, s9
	v_add_nc_u32_e32 v29, 0x80, v29
	s_delay_alu instid0(VALU_DEP_1) | instskip(SKIP_1) | instid1(VALU_DEP_2)
	v_and_b32_e32 v40, s94, v29
	v_bfe_u32 v29, v29, s10, 2
	v_cmp_eq_u32_e64 s4, s95, v40
	s_delay_alu instid0(VALU_DEP_2) | instskip(SKIP_2) | instid1(VALU_DEP_3)
	v_cmp_eq_u32_e64 s5, 0, v29
	v_cmp_eq_u32_e32 vcc_lo, 1, v29
	v_cmp_eq_u32_e64 s6, 2, v29
	s_and_b32 s5, s4, s5
	s_delay_alu instid0(SALU_CYCLE_1) | instskip(SKIP_4) | instid1(SALU_CYCLE_1)
	v_cndmask_b32_e64 v40, 0, 1, s5
	s_and_b32 s5, s4, vcc_lo
	v_cmp_eq_u32_e32 vcc_lo, 3, v29
	v_cndmask_b32_e64 v41, 0, 1, s5
	s_and_b32 s5, s4, s6
	v_cndmask_b32_e64 v42, 0, 1, s5
	v_cmp_ne_u32_e64 s5, 0, v40
	s_delay_alu instid0(VALU_DEP_3) | instskip(SKIP_1) | instid1(SALU_CYCLE_1)
	v_cmp_ne_u32_e64 s6, 0, v41
	s_and_b32 s4, s4, vcc_lo
	v_cndmask_b32_e64 v29, 0, 1, s4
	s_delay_alu instid0(VALU_DEP_3)
	s_bcnt1_i32_b32 s4, s5
	v_cmp_ne_u32_e64 s7, 0, v42
	v_add_co_u32 v2, vcc_lo, v2, s4
	s_bcnt1_i32_b32 s5, s6
	v_add_co_ci_u32_e32 v3, vcc_lo, 0, v3, vcc_lo
	v_add_co_u32 v4, vcc_lo, v4, s5
	v_add_co_ci_u32_e32 v5, vcc_lo, 0, v5, vcc_lo
	s_bcnt1_i32_b32 s6, s7
	v_cmp_ne_u32_e32 vcc_lo, 0, v29
	v_mov_b32_e32 v29, v30
	v_add_co_u32 v6, s4, v6, s6
	s_delay_alu instid0(VALU_DEP_1) | instskip(SKIP_1) | instid1(SALU_CYCLE_1)
	v_add_co_ci_u32_e64 v7, s4, 0, v7, s4
	s_bcnt1_i32_b32 s4, vcc_lo
	v_add_co_u32 v8, vcc_lo, v8, s4
	v_add_co_ci_u32_e32 v9, vcc_lo, 0, v9, vcc_lo
	v_add_co_u32 v23, vcc_lo, v23, v27
	v_add_co_ci_u32_e32 v24, vcc_lo, v24, v28, vcc_lo
	s_and_not1_b32 exec_lo, exec_lo, s9
	s_cbranch_execz .LBB13_64
.LBB13_61:                              ;   Parent Loop BB13_17 Depth=1
                                        ; =>  This Inner Loop Header: Depth=2
	v_add_co_u32 v25, vcc_lo, v25, v12
	v_add_co_ci_u32_e32 v26, vcc_lo, 0, v26, vcc_lo
	v_mov_b32_e32 v30, 0
	s_mov_b32 s5, exec_lo
	s_delay_alu instid0(VALU_DEP_2)
	v_cmp_le_i64_e32 vcc_lo, s[24:25], v[25:26]
	v_cmpx_gt_i64_e64 s[24:25], v[25:26]
	s_cbranch_execz .LBB13_60
; %bb.62:                               ;   in Loop: Header=BB13_61 Depth=2
	global_load_u8 v30, v[23:24], off
	s_branch .LBB13_60
.LBB13_63:                              ;   in Loop: Header=BB13_17 Depth=1
                                        ; implicit-def: $vgpr8_vgpr9
                                        ; implicit-def: $vgpr4_vgpr5
	s_cbranch_execnz .LBB13_66
	s_branch .LBB13_75
.LBB13_64:                              ;   in Loop: Header=BB13_17 Depth=1
	s_or_b32 exec_lo, exec_lo, s9
.LBB13_65:                              ;   in Loop: Header=BB13_17 Depth=1
	s_delay_alu instid0(SALU_CYCLE_1)
	s_or_b32 exec_lo, exec_lo, s8
	s_branch .LBB13_75
.LBB13_66:                              ;   in Loop: Header=BB13_17 Depth=1
	global_load_u16 v12, v13, s[60:61]
	s_mov_b64 s[66:67], 0
	s_mov_b32 s65, exec_lo
	s_waitcnt vmcnt(0)
	v_readfirstlane_b32 s4, v12
	s_delay_alu instid0(VALU_DEP_1) | instskip(NEXT) | instid1(SALU_CYCLE_1)
	s_and_b32 s4, 0xffff, s4
	s_lshl_b32 s58, s4, 2
	s_delay_alu instid0(SALU_CYCLE_1) | instskip(SKIP_1) | instid1(VALU_DEP_1)
	v_cvt_f32_u32_e32 v2, s58
	s_sub_i32 s5, 0, s58
	v_rcp_iflag_f32_e32 v2, v2
	s_waitcnt_depctr 0xfff
	v_mul_f32_e32 v2, 0x4f7ffffe, v2
	s_delay_alu instid0(VALU_DEP_1) | instskip(NEXT) | instid1(VALU_DEP_1)
	v_cvt_u32_f32_e32 v2, v2
	v_readfirstlane_b32 s4, v2
	v_mov_b32_e32 v2, 0
	v_mov_b32_e32 v3, 0
	s_delay_alu instid0(VALU_DEP_3) | instskip(NEXT) | instid1(VALU_DEP_1)
	s_mul_i32 s5, s5, s4
	v_dual_mov_b32 v5, v3 :: v_dual_mov_b32 v4, v2
	s_mul_hi_u32 s5, s4, s5
	v_dual_mov_b32 v7, v3 :: v_dual_mov_b32 v6, v2
	s_add_i32 s4, s4, s5
	v_dual_mov_b32 v9, v3 :: v_dual_mov_b32 v8, v2
	s_mul_hi_u32 s4, s64, s4
	s_delay_alu instid0(SALU_CYCLE_1) | instskip(NEXT) | instid1(SALU_CYCLE_1)
	s_mul_i32 s4, s4, s58
	s_sub_i32 s4, s64, s4
	s_delay_alu instid0(SALU_CYCLE_1) | instskip(SKIP_2) | instid1(SALU_CYCLE_1)
	s_sub_i32 s5, s4, s58
	s_cmp_ge_u32 s4, s58
	s_cselect_b32 s4, s5, s4
	s_sub_i32 s5, s4, s58
	s_cmp_ge_u32 s4, s58
	s_cselect_b32 s4, s5, s4
	s_delay_alu instid0(SALU_CYCLE_1) | instskip(NEXT) | instid1(SALU_CYCLE_1)
	s_sub_i32 s54, s64, s4
	v_cmpx_gt_u32_e64 s54, v14
	s_cbranch_execz .LBB13_70
; %bb.67:                               ;   in Loop: Header=BB13_17 Depth=1
	v_dual_mov_b32 v25, v14 :: v_dual_mov_b32 v24, v15
	v_mov_b32_e32 v23, v14
	s_and_b32 s97, s85, 0xfe
	s_mov_b32 s96, 0
	s_mov_b64 s[68:69], 0
	s_mov_b64 s[70:71], 0
	;; [unrolled: 1-line block ×3, first 2 shown]
.LBB13_68:                              ;   Parent Loop BB13_17 Depth=1
                                        ; =>  This Inner Loop Header: Depth=2
	ds_load_b32 v2, v25
	v_add_co_u32 v23, vcc_lo, v23, s58
	v_add_co_ci_u32_e32 v24, vcc_lo, 0, v24, vcc_lo
	s_delay_alu instid0(VALU_DEP_1)
	v_cmp_le_u64_e32 vcc_lo, s[54:55], v[23:24]
	s_waitcnt lgkmcnt(0)
	v_bfe_i32 v3, v2, 0, 8
	v_bfe_i32 v4, v2, 8, 8
	;; [unrolled: 1-line block ×3, first 2 shown]
	v_ashrrev_i32_e32 v2, 24, v2
	s_delay_alu instid0(VALU_DEP_4) | instskip(NEXT) | instid1(VALU_DEP_4)
	v_add_nc_u32_e32 v3, 0x80, v3
	v_add_nc_u32_e32 v4, 0x80, v4
	s_delay_alu instid0(VALU_DEP_4) | instskip(NEXT) | instid1(VALU_DEP_4)
	v_add_nc_u32_e32 v5, 0x80, v5
	v_add_nc_u32_e32 v2, 0x80, v2
	s_delay_alu instid0(VALU_DEP_4)
	v_and_b32_e32 v6, s94, v3
	v_bfe_u32 v3, v3, s97, 2
	v_and_b32_e32 v7, s94, v4
	v_bfe_u32 v4, v4, s97, 2
	;; [unrolled: 2-line block ×3, first 2 shown]
	v_cmp_eq_u32_e64 s4, s95, v6
	v_cmp_eq_u32_e64 s8, 0, v3
	v_and_b32_e32 v9, s94, v2
	v_bfe_u32 v2, v2, s97, 2
	v_cmp_eq_u32_e64 s5, s95, v7
	v_cmp_eq_u32_e64 s9, 0, v4
	;; [unrolled: 1-line block ×4, first 2 shown]
	s_and_b32 s8, s4, s8
	v_cmp_eq_u32_e64 s7, s95, v9
	v_cmp_eq_u32_e64 s11, 0, v2
	;; [unrolled: 1-line block ×5, first 2 shown]
	v_cndmask_b32_e64 v2, 0, 1, s8
	s_and_b32 s8, s5, s9
	v_cmp_eq_u32_e64 s12, 1, v3
	v_cmp_eq_u32_e64 s16, 2, v3
	v_cmp_eq_u32_e64 s20, 3, v3
	v_cndmask_b32_e64 v3, 0, 1, s8
	s_and_b32 s8, s6, s10
	v_cmp_eq_u32_e64 s13, 1, v4
	v_cmp_eq_u32_e64 s17, 2, v4
	v_cmp_eq_u32_e64 s21, 3, v4
	;; [unrolled: 5-line block ×3, first 2 shown]
	v_cndmask_b32_e64 v5, 0, 1, s8
	v_cmp_ne_u32_e64 s8, 0, v2
	v_cmp_ne_u32_e64 s9, 0, v3
	;; [unrolled: 1-line block ×3, first 2 shown]
	s_delay_alu instid0(VALU_DEP_4) | instskip(NEXT) | instid1(VALU_DEP_4)
	v_cmp_ne_u32_e64 s11, 0, v5
	s_bcnt1_i32_b32 s8, s8
	s_delay_alu instid0(VALU_DEP_3) | instskip(NEXT) | instid1(VALU_DEP_2)
	s_bcnt1_i32_b32 s9, s9
	s_bcnt1_i32_b32 s10, s10
	s_add_i32 s8, s9, s8
	s_bcnt1_i32_b32 s11, s11
	s_add_i32 s8, s8, s10
	s_delay_alu instid0(SALU_CYCLE_1) | instskip(NEXT) | instid1(SALU_CYCLE_1)
	s_add_i32 s8, s8, s11
	s_add_u32 s72, s72, s8
	s_addc_u32 s73, s73, 0
	s_and_b32 s8, s4, s12
	v_add_nc_u32_e32 v25, s58, v25
	v_cndmask_b32_e64 v2, 0, 1, s8
	s_and_b32 s8, s5, s13
	s_delay_alu instid0(SALU_CYCLE_1) | instskip(SKIP_1) | instid1(SALU_CYCLE_1)
	v_cndmask_b32_e64 v3, 0, 1, s8
	s_and_b32 s8, s6, s14
	v_cndmask_b32_e64 v4, 0, 1, s8
	s_and_b32 s8, s7, s15
	s_delay_alu instid0(VALU_DEP_2) | instskip(SKIP_3) | instid1(VALU_DEP_4)
	v_cmp_ne_u32_e64 s9, 0, v3
	v_cndmask_b32_e64 v5, 0, 1, s8
	v_cmp_ne_u32_e64 s8, 0, v2
	v_cmp_ne_u32_e64 s10, 0, v4
	s_bcnt1_i32_b32 s9, s9
	s_delay_alu instid0(VALU_DEP_3) | instskip(NEXT) | instid1(VALU_DEP_3)
	v_cmp_ne_u32_e64 s11, 0, v5
	s_bcnt1_i32_b32 s8, s8
	s_delay_alu instid0(VALU_DEP_2) | instskip(SKIP_1) | instid1(VALU_DEP_1)
	s_bcnt1_i32_b32 s10, s10
	s_add_i32 s8, s9, s8
	s_bcnt1_i32_b32 s11, s11
	s_add_i32 s8, s8, s10
	s_delay_alu instid0(SALU_CYCLE_1) | instskip(NEXT) | instid1(SALU_CYCLE_1)
	s_add_i32 s8, s8, s11
	s_add_u32 s70, s70, s8
	s_addc_u32 s71, s71, 0
	s_and_b32 s8, s4, s16
	s_delay_alu instid0(SALU_CYCLE_1) | instskip(SKIP_1) | instid1(SALU_CYCLE_1)
	v_cndmask_b32_e64 v2, 0, 1, s8
	s_and_b32 s8, s5, s17
	v_cndmask_b32_e64 v3, 0, 1, s8
	s_and_b32 s8, s6, s18
	s_delay_alu instid0(SALU_CYCLE_1) | instskip(SKIP_1) | instid1(VALU_DEP_2)
	v_cndmask_b32_e64 v4, 0, 1, s8
	s_and_b32 s8, s7, s19
	v_cmp_ne_u32_e64 s9, 0, v3
	v_cndmask_b32_e64 v5, 0, 1, s8
	v_cmp_ne_u32_e64 s8, 0, v2
	v_cmp_ne_u32_e64 s10, 0, v4
	s_delay_alu instid0(VALU_DEP_4) | instskip(NEXT) | instid1(VALU_DEP_3)
	s_bcnt1_i32_b32 s9, s9
	v_cmp_ne_u32_e64 s11, 0, v5
	s_delay_alu instid0(VALU_DEP_3) | instskip(NEXT) | instid1(VALU_DEP_2)
	s_bcnt1_i32_b32 s8, s8
	s_bcnt1_i32_b32 s10, s10
	s_add_i32 s8, s9, s8
	s_delay_alu instid0(VALU_DEP_1) | instskip(SKIP_1) | instid1(SALU_CYCLE_1)
	s_bcnt1_i32_b32 s11, s11
	s_add_i32 s8, s8, s10
	s_add_i32 s8, s8, s11
	s_delay_alu instid0(SALU_CYCLE_1)
	s_add_u32 s68, s68, s8
	s_addc_u32 s69, s69, 0
	s_and_b32 s4, s4, s20
	v_mov_b32_e32 v6, s68
	v_cndmask_b32_e64 v2, 0, 1, s4
	s_and_b32 s4, s5, s21
	v_mov_b32_e32 v7, s69
	v_cndmask_b32_e64 v3, 0, 1, s4
	s_and_b32 s4, s6, s22
	s_delay_alu instid0(SALU_CYCLE_1) | instskip(SKIP_1) | instid1(VALU_DEP_2)
	v_cndmask_b32_e64 v4, 0, 1, s4
	s_and_b32 s4, s7, s23
	v_cmp_ne_u32_e64 s5, 0, v3
	v_cndmask_b32_e64 v5, 0, 1, s4
	v_cmp_ne_u32_e64 s4, 0, v2
	v_mov_b32_e32 v2, s72
	v_cmp_ne_u32_e64 s6, 0, v4
	s_bcnt1_i32_b32 s5, s5
	v_cmp_ne_u32_e64 s7, 0, v5
	s_bcnt1_i32_b32 s4, s4
	v_mov_b32_e32 v4, s70
	s_bcnt1_i32_b32 s6, s6
	s_add_i32 s4, s5, s4
	s_bcnt1_i32_b32 s5, s7
	s_add_i32 s4, s4, s6
	v_mov_b32_e32 v3, s73
	s_add_i32 s4, s4, s5
	v_mov_b32_e32 v5, s71
	s_add_u32 s66, s66, s4
	s_addc_u32 s67, s67, 0
	s_delay_alu instid0(SALU_CYCLE_1) | instskip(SKIP_1) | instid1(SALU_CYCLE_1)
	v_dual_mov_b32 v8, s66 :: v_dual_mov_b32 v9, s67
	s_or_b32 s96, vcc_lo, s96
	s_and_not1_b32 exec_lo, exec_lo, s96
	s_cbranch_execnz .LBB13_68
; %bb.69:                               ;   in Loop: Header=BB13_17 Depth=1
	s_or_b32 exec_lo, exec_lo, s96
.LBB13_70:                              ;   in Loop: Header=BB13_17 Depth=1
	s_delay_alu instid0(SALU_CYCLE_1) | instskip(SKIP_3) | instid1(VALU_DEP_1)
	s_or_b32 exec_lo, exec_lo, s65
	v_and_b32_e32 v25, 0xffff, v12
	v_add_nc_u32_e32 v12, s54, v0
	s_mov_b32 s9, exec_lo
	v_cmpx_gt_u32_e64 s64, v12
	s_cbranch_execz .LBB13_74
; %bb.71:                               ;   in Loop: Header=BB13_17 Depth=1
	v_dual_mov_b32 v24, v13 :: v_dual_mov_b32 v23, v12
	s_mov_b32 s11, 0
	s_and_b32 s10, s64, 0x7fffffff
	s_and_b32 s13, s85, 0xfe
	s_mov_b32 s12, s11
.LBB13_72:                              ;   Parent Loop BB13_17 Depth=1
                                        ; =>  This Inner Loop Header: Depth=2
	ds_load_i8 v26, v12
	v_add_co_u32 v23, vcc_lo, v23, v25
	v_add_co_ci_u32_e32 v24, vcc_lo, 0, v24, vcc_lo
	v_add_nc_u32_e32 v12, v12, v25
	s_delay_alu instid0(VALU_DEP_2) | instskip(SKIP_2) | instid1(VALU_DEP_1)
	v_cmp_le_u64_e32 vcc_lo, s[10:11], v[23:24]
	s_waitcnt lgkmcnt(0)
	v_add_nc_u32_e32 v26, 0x80, v26
	v_and_b32_e32 v27, s94, v26
	v_bfe_u32 v26, v26, s13, 2
	s_delay_alu instid0(VALU_DEP_2) | instskip(NEXT) | instid1(VALU_DEP_2)
	v_cmp_eq_u32_e64 s4, s95, v27
	v_cmp_eq_u32_e64 s5, 0, v26
	;; [unrolled: 1-line block ×5, first 2 shown]
	s_delay_alu instid0(VALU_DEP_4) | instskip(NEXT) | instid1(SALU_CYCLE_1)
	s_and_b32 s5, s4, s5
	v_cndmask_b32_e64 v26, 0, 1, s5
	s_and_b32 s5, s4, s6
	s_delay_alu instid0(SALU_CYCLE_1)
	v_cndmask_b32_e64 v27, 0, 1, s5
	s_and_b32 s5, s4, s7
	s_and_b32 s4, s4, s8
	v_cndmask_b32_e64 v28, 0, 1, s5
	v_cndmask_b32_e64 v29, 0, 1, s4
	v_cmp_ne_u32_e64 s4, 0, v26
	v_cmp_ne_u32_e64 s5, 0, v27
	s_delay_alu instid0(VALU_DEP_4) | instskip(NEXT) | instid1(VALU_DEP_4)
	v_cmp_ne_u32_e64 s6, 0, v28
	v_cmp_ne_u32_e64 s7, 0, v29
	s_delay_alu instid0(VALU_DEP_4) | instskip(NEXT) | instid1(VALU_DEP_3)
	s_bcnt1_i32_b32 s4, s4
	s_bcnt1_i32_b32 s5, s5
	v_add_co_u32 v2, s4, v2, s4
	s_delay_alu instid0(VALU_DEP_1)
	v_add_co_ci_u32_e64 v3, s4, 0, v3, s4
	v_add_co_u32 v4, s4, v4, s5
	s_bcnt1_i32_b32 s6, s6
	v_add_co_ci_u32_e64 v5, s4, 0, v5, s4
	v_add_co_u32 v6, s4, v6, s6
	s_bcnt1_i32_b32 s7, s7
	v_add_co_ci_u32_e64 v7, s4, 0, v7, s4
	v_add_co_u32 v8, s4, v8, s7
	s_delay_alu instid0(VALU_DEP_1) | instskip(SKIP_1) | instid1(SALU_CYCLE_1)
	v_add_co_ci_u32_e64 v9, s4, 0, v9, s4
	s_or_b32 s12, vcc_lo, s12
	s_and_not1_b32 exec_lo, exec_lo, s12
	s_cbranch_execnz .LBB13_72
; %bb.73:                               ;   in Loop: Header=BB13_17 Depth=1
	s_or_b32 exec_lo, exec_lo, s12
.LBB13_74:                              ;   in Loop: Header=BB13_17 Depth=1
	s_delay_alu instid0(SALU_CYCLE_1)
	s_or_b32 exec_lo, exec_lo, s9
.LBB13_75:                              ;   in Loop: Header=BB13_17 Depth=1
	s_lshl_b32 s4, s90, 7
	s_and_saveexec_b32 s5, s1
	s_cbranch_execz .LBB13_77
; %bb.76:                               ;   in Loop: Header=BB13_17 Depth=1
	v_or_b32_e32 v12, s4, v32
	s_delay_alu instid0(VALU_DEP_1)
	v_lshlrev_b32_e32 v12, 3, v12
	ds_store_b128 v12, v[2:5] offset:3072
	ds_store_b128 v12, v[6:9] offset:3088
.LBB13_77:                              ;   in Loop: Header=BB13_17 Depth=1
	s_or_b32 exec_lo, exec_lo, s5
	s_waitcnt vmcnt(0) lgkmcnt(0)
	s_barrier
	buffer_gl0_inv
	s_and_saveexec_b32 s5, s75
	s_cbranch_execz .LBB13_88
; %bb.78:                               ;   in Loop: Header=BB13_17 Depth=1
	v_mov_b32_e32 v2, 0
	v_mov_b32_e32 v3, 0
	s_and_not1_b32 vcc_lo, exec_lo, s77
	s_cbranch_vccnz .LBB13_87
; %bb.79:                               ;   in Loop: Header=BB13_17 Depth=1
	v_mov_b32_e32 v2, 0
	v_mov_b32_e32 v3, 0
	s_and_not1_b32 vcc_lo, exec_lo, s82
	s_cbranch_vccnz .LBB13_84
; %bb.80:                               ;   in Loop: Header=BB13_17 Depth=1
	v_lshl_add_u32 v4, s90, 10, v37
	s_mov_b32 s6, 0
	s_set_inst_prefetch_distance 0x1
	.p2align	6
.LBB13_81:                              ;   Parent Loop BB13_17 Depth=1
                                        ; =>  This Inner Loop Header: Depth=2
	ds_load_2addr_b64 v[5:8], v4 offset1:4
	ds_load_2addr_b64 v[23:26], v4 offset0:8 offset1:12
	ds_load_2addr_b64 v[27:30], v4 offset0:16 offset1:20
	s_add_i32 s6, s6, 8
	s_delay_alu instid0(SALU_CYCLE_1) | instskip(SKIP_3) | instid1(VALU_DEP_2)
	s_cmp_eq_u32 s83, s6
	s_waitcnt lgkmcnt(2)
	v_add_co_u32 v2, vcc_lo, v5, v2
	v_add_co_ci_u32_e32 v3, vcc_lo, v6, v3, vcc_lo
	v_add_co_u32 v2, vcc_lo, v7, v2
	s_delay_alu instid0(VALU_DEP_2)
	v_add_co_ci_u32_e32 v3, vcc_lo, v8, v3, vcc_lo
	ds_load_2addr_b64 v[5:8], v4 offset0:24 offset1:28
	s_waitcnt lgkmcnt(2)
	v_add_co_u32 v2, vcc_lo, v23, v2
	v_add_co_ci_u32_e32 v3, vcc_lo, v24, v3, vcc_lo
	v_add_nc_u32_e32 v4, 0x100, v4
	s_delay_alu instid0(VALU_DEP_3) | instskip(NEXT) | instid1(VALU_DEP_3)
	v_add_co_u32 v2, vcc_lo, v25, v2
	v_add_co_ci_u32_e32 v3, vcc_lo, v26, v3, vcc_lo
	s_waitcnt lgkmcnt(1)
	s_delay_alu instid0(VALU_DEP_2) | instskip(NEXT) | instid1(VALU_DEP_2)
	v_add_co_u32 v2, vcc_lo, v27, v2
	v_add_co_ci_u32_e32 v3, vcc_lo, v28, v3, vcc_lo
	s_delay_alu instid0(VALU_DEP_2) | instskip(NEXT) | instid1(VALU_DEP_2)
	v_add_co_u32 v2, vcc_lo, v29, v2
	v_add_co_ci_u32_e32 v3, vcc_lo, v30, v3, vcc_lo
	s_waitcnt lgkmcnt(0)
	s_delay_alu instid0(VALU_DEP_2) | instskip(NEXT) | instid1(VALU_DEP_2)
	v_add_co_u32 v2, vcc_lo, v5, v2
	v_add_co_ci_u32_e32 v3, vcc_lo, v6, v3, vcc_lo
	s_delay_alu instid0(VALU_DEP_2) | instskip(NEXT) | instid1(VALU_DEP_2)
	v_add_co_u32 v2, vcc_lo, v7, v2
	v_add_co_ci_u32_e32 v3, vcc_lo, v8, v3, vcc_lo
	s_cbranch_scc0 .LBB13_81
; %bb.82:                               ;   in Loop: Header=BB13_17 Depth=1
	s_set_inst_prefetch_distance 0x2
	s_mov_b32 s6, s83
	s_and_not1_b32 vcc_lo, exec_lo, s84
	s_cbranch_vccz .LBB13_85
	s_branch .LBB13_87
.LBB13_83:                              ;   in Loop: Header=BB13_17 Depth=1
                                        ; implicit-def: $vgpr23_vgpr24
	s_branch .LBB13_51
.LBB13_84:                              ;   in Loop: Header=BB13_17 Depth=1
	s_mov_b32 s6, 0
	s_and_not1_b32 vcc_lo, exec_lo, s84
	s_cbranch_vccnz .LBB13_87
.LBB13_85:                              ;   in Loop: Header=BB13_17 Depth=1
	s_lshl_b32 s7, s90, 10
	s_lshl_b32 s6, s6, 5
	s_delay_alu instid0(SALU_CYCLE_1)
	v_add3_u32 v4, s7, s6, v37
	s_mov_b32 s6, s81
.LBB13_86:                              ;   Parent Loop BB13_17 Depth=1
                                        ; =>  This Inner Loop Header: Depth=2
	ds_load_b64 v[5:6], v4
	v_add_nc_u32_e32 v4, 32, v4
	s_add_i32 s6, s6, -1
	s_delay_alu instid0(SALU_CYCLE_1)
	s_cmp_lg_u32 s6, 0
	s_waitcnt lgkmcnt(0)
	v_add_co_u32 v2, vcc_lo, v5, v2
	v_add_co_ci_u32_e32 v3, vcc_lo, v6, v3, vcc_lo
	s_cbranch_scc1 .LBB13_86
.LBB13_87:                              ;   in Loop: Header=BB13_17 Depth=1
	v_add_lshl_u32 v4, s4, v31, 3
	ds_store_b64 v4, v[2:3] offset:3072
.LBB13_88:                              ;   in Loop: Header=BB13_17 Depth=1
	s_or_b32 exec_lo, exec_lo, s5
	s_lshl_b32 s4, s4, 3
	s_waitcnt lgkmcnt(0)
	v_mov_b32_e32 v6, s4
	s_barrier
	buffer_gl0_inv
	s_and_b32 s17, s85, 0xfe
	s_mov_b32 s19, -1
	ds_load_b128 v[2:5], v6 offset:3072
	ds_load_b128 v[6:9], v6 offset:3088
	s_lshl_b32 s16, 3, s17
	s_delay_alu instid0(SALU_CYCLE_1)
	s_not_b32 s18, s16
	s_waitcnt lgkmcnt(1)
	v_readfirstlane_b32 s13, v3
	v_readfirstlane_b32 s12, v2
	;; [unrolled: 1-line block ×4, first 2 shown]
	s_waitcnt lgkmcnt(0)
	v_readfirstlane_b32 s8, v6
	v_readfirstlane_b32 s9, v7
	s_cmp_eq_u64 s[12:13], 1
	v_readfirstlane_b32 s6, v8
	s_cselect_b32 s4, -1, 0
	s_cmp_eq_u64 s[26:27], 1
	v_readfirstlane_b32 s7, v9
	s_cselect_b32 s5, -1, 0
	s_delay_alu instid0(SALU_CYCLE_1) | instskip(NEXT) | instid1(SALU_CYCLE_1)
	s_and_b32 s20, s4, s5
	s_and_b32 vcc_lo, exec_lo, s20
	s_cbranch_vccz .LBB13_103
; %bb.89:                               ;   in Loop: Header=BB13_17 Depth=1
	ds_load_b64 v[2:3], v13 offset:5120
	s_waitcnt lgkmcnt(0)
	s_barrier
	buffer_gl0_inv
	v_readfirstlane_b32 s14, v2
	v_readfirstlane_b32 s15, v3
	s_and_saveexec_b32 s4, s3
	s_cbranch_execz .LBB13_91
; %bb.90:                               ;   in Loop: Header=BB13_17 Depth=1
	ds_store_b8 v0, v13 offset:3072
.LBB13_91:                              ;   in Loop: Header=BB13_17 Depth=1
	s_or_b32 exec_lo, exec_lo, s4
	s_delay_alu instid0(VALU_DEP_1)
	v_cmp_lt_i64_e64 s4, s[14:15], 1
	s_and_b32 s95, s95, s18
	s_or_b32 s94, s94, s16
	s_waitcnt lgkmcnt(0)
	s_barrier
	buffer_gl0_inv
	s_and_b32 vcc_lo, exec_lo, s4
	s_cbranch_vccz .LBB13_104
; %bb.92:                               ;   in Loop: Header=BB13_17 Depth=1
	s_mov_b32 s58, s55
	s_delay_alu instid0(SALU_CYCLE_1)
	s_cmp_lg_u64 s[58:59], 0
	s_cbranch_scc0 .LBB13_149
; %bb.93:                               ;   in Loop: Header=BB13_17 Depth=1
	v_cvt_f32_u32_e32 v2, s33
	s_sub_u32 s21, 0, s33
	s_subb_u32 s22, 0, 0
	s_delay_alu instid0(VALU_DEP_1) | instskip(NEXT) | instid1(VALU_DEP_1)
	v_fmac_f32_e32 v2, 0x4f800000, v38
	v_rcp_f32_e32 v2, v2
	s_waitcnt_depctr 0xfff
	v_mul_f32_e32 v2, 0x5f7ffffc, v2
	s_delay_alu instid0(VALU_DEP_1) | instskip(NEXT) | instid1(VALU_DEP_1)
	v_mul_f32_e32 v3, 0x2f800000, v2
	v_trunc_f32_e32 v3, v3
	s_delay_alu instid0(VALU_DEP_1) | instskip(SKIP_1) | instid1(VALU_DEP_2)
	v_fmac_f32_e32 v2, 0xcf800000, v3
	v_cvt_u32_f32_e32 v3, v3
	v_cvt_u32_f32_e32 v2, v2
	s_delay_alu instid0(VALU_DEP_2) | instskip(NEXT) | instid1(VALU_DEP_2)
	v_readfirstlane_b32 s4, v3
	v_readfirstlane_b32 s5, v2
	s_delay_alu instid0(VALU_DEP_2) | instskip(NEXT) | instid1(VALU_DEP_1)
	s_mul_i32 s23, s21, s4
	s_mul_hi_u32 s58, s21, s5
	s_mul_i32 s54, s22, s5
	s_add_i32 s23, s58, s23
	s_mul_i32 s64, s21, s5
	s_add_i32 s23, s23, s54
	s_mul_hi_u32 s58, s5, s64
	s_mul_hi_u32 s65, s4, s64
	s_mul_i32 s54, s4, s64
	s_mul_hi_u32 s64, s5, s23
	s_mul_i32 s5, s5, s23
	s_mul_hi_u32 s66, s4, s23
	s_add_u32 s5, s58, s5
	s_addc_u32 s58, 0, s64
	s_add_u32 s5, s5, s54
	s_mul_i32 s23, s4, s23
	s_addc_u32 s5, s58, s65
	s_addc_u32 s54, s66, 0
	s_add_u32 s5, s5, s23
	s_addc_u32 s23, 0, s54
	v_add_co_u32 v2, s5, v2, s5
	s_delay_alu instid0(VALU_DEP_1) | instskip(SKIP_1) | instid1(VALU_DEP_1)
	s_cmp_lg_u32 s5, 0
	s_addc_u32 s4, s4, s23
	v_readfirstlane_b32 s5, v2
	s_mul_i32 s23, s21, s4
	s_delay_alu instid0(VALU_DEP_1)
	s_mul_hi_u32 s54, s21, s5
	s_mul_i32 s22, s22, s5
	s_add_i32 s23, s54, s23
	s_mul_i32 s21, s21, s5
	s_add_i32 s23, s23, s22
	s_mul_hi_u32 s54, s4, s21
	s_mul_i32 s58, s4, s21
	s_mul_hi_u32 s21, s5, s21
	s_mul_hi_u32 s64, s5, s23
	s_mul_i32 s5, s5, s23
	s_mul_hi_u32 s22, s4, s23
	s_add_u32 s5, s21, s5
	s_addc_u32 s21, 0, s64
	s_add_u32 s5, s5, s58
	s_mul_i32 s23, s4, s23
	s_addc_u32 s5, s21, s54
	s_addc_u32 s21, s22, 0
	s_add_u32 s5, s5, s23
	s_addc_u32 s21, 0, s21
	v_add_co_u32 v2, s5, v2, s5
	s_delay_alu instid0(VALU_DEP_1) | instskip(SKIP_2) | instid1(VALU_DEP_1)
	s_cmp_lg_u32 s5, 0
	s_addc_u32 s21, s4, s21
	s_ashr_i32 s22, s59, 31
	v_readfirstlane_b32 s54, v2
	s_add_u32 s4, s80, s22
	s_mov_b32 s23, s22
	s_addc_u32 s5, s59, s22
	s_delay_alu instid0(SALU_CYCLE_1) | instskip(NEXT) | instid1(SALU_CYCLE_1)
	s_xor_b64 s[4:5], s[4:5], s[22:23]
	s_mul_i32 s58, s4, s21
	s_mul_hi_u32 s64, s4, s54
	s_mul_hi_u32 s23, s4, s21
	;; [unrolled: 1-line block ×3, first 2 shown]
	s_mul_i32 s54, s5, s54
	s_add_u32 s58, s64, s58
	s_addc_u32 s23, 0, s23
	s_mul_hi_u32 s65, s5, s21
	s_add_u32 s54, s58, s54
	s_mul_i32 s21, s5, s21
	s_addc_u32 s23, s23, s66
	s_addc_u32 s54, s65, 0
	s_add_u32 s21, s23, s21
	s_addc_u32 s23, 0, s54
	s_mul_hi_u32 s54, s33, s21
	s_mul_i32 s21, s33, s21
	s_mul_i32 s23, s33, s23
	v_sub_co_u32 v2, s4, s4, s21
	s_add_i32 s54, s54, s23
	s_cmp_lg_u32 s4, 0
	s_delay_alu instid0(VALU_DEP_1) | instskip(SKIP_2) | instid1(VALU_DEP_1)
	v_sub_co_u32 v3, s4, v2, s33
	s_subb_u32 s5, s5, s54
	s_cmp_lg_u32 s4, 0
	v_cmp_le_u32_e32 vcc_lo, s33, v3
	v_sub_co_u32 v4, s4, v3, s33
	s_subb_u32 s21, s5, 0
	s_cmp_lg_u32 s4, 0
	v_cndmask_b32_e64 v5, 0, -1, vcc_lo
	s_subb_u32 s4, s21, 0
	s_cmp_eq_u32 s21, 0
	v_mov_b32_e32 v7, s4
	s_cselect_b32 vcc_lo, -1, 0
	s_cmp_eq_u32 s5, 0
	v_cndmask_b32_e32 v5, -1, v5, vcc_lo
	v_cmp_le_u32_e32 vcc_lo, s33, v2
	s_cselect_b32 s4, -1, 0
	v_cndmask_b32_e64 v6, 0, -1, vcc_lo
	s_delay_alu instid0(VALU_DEP_3) | instskip(NEXT) | instid1(VALU_DEP_2)
	v_cmp_ne_u32_e32 vcc_lo, 0, v5
	v_cndmask_b32_e64 v5, -1, v6, s4
	v_cndmask_b32_e32 v3, v3, v4, vcc_lo
	v_cndmask_b32_e32 v6, s21, v7, vcc_lo
	s_delay_alu instid0(VALU_DEP_3) | instskip(NEXT) | instid1(VALU_DEP_3)
	v_cmp_ne_u32_e32 vcc_lo, 0, v5
	v_cndmask_b32_e32 v2, v2, v3, vcc_lo
	s_delay_alu instid0(VALU_DEP_3) | instskip(NEXT) | instid1(VALU_DEP_2)
	v_cndmask_b32_e32 v4, s5, v6, vcc_lo
	v_xor_b32_e32 v2, s22, v2
	s_delay_alu instid0(VALU_DEP_2) | instskip(NEXT) | instid1(VALU_DEP_2)
	v_xor_b32_e32 v3, s22, v4
	v_sub_co_u32 v2, vcc_lo, v2, s22
	s_delay_alu instid0(VALU_DEP_2)
	v_subrev_co_ci_u32_e32 v3, vcc_lo, s22, v3, vcc_lo
	s_cbranch_execnz .LBB13_95
.LBB13_94:                              ;   in Loop: Header=BB13_17 Depth=1
	v_cvt_f32_u32_e32 v2, s33
	s_sub_i32 s4, 0, s33
	s_delay_alu instid0(VALU_DEP_1) | instskip(SKIP_2) | instid1(VALU_DEP_1)
	v_rcp_iflag_f32_e32 v2, v2
	s_waitcnt_depctr 0xfff
	v_mul_f32_e32 v2, 0x4f7ffffe, v2
	v_cvt_u32_f32_e32 v2, v2
	s_delay_alu instid0(VALU_DEP_1) | instskip(NEXT) | instid1(VALU_DEP_1)
	v_mul_lo_u32 v3, s4, v2
	v_mul_hi_u32 v3, v2, v3
	s_delay_alu instid0(VALU_DEP_1) | instskip(NEXT) | instid1(VALU_DEP_1)
	v_add_nc_u32_e32 v2, v2, v3
	v_mul_hi_u32 v2, s80, v2
	s_delay_alu instid0(VALU_DEP_1) | instskip(NEXT) | instid1(VALU_DEP_1)
	v_mul_lo_u32 v2, v2, s33
	v_sub_nc_u32_e32 v2, s80, v2
	s_delay_alu instid0(VALU_DEP_1) | instskip(SKIP_1) | instid1(VALU_DEP_2)
	v_subrev_nc_u32_e32 v3, s33, v2
	v_cmp_le_u32_e32 vcc_lo, s33, v2
	v_cndmask_b32_e32 v2, v2, v3, vcc_lo
	s_delay_alu instid0(VALU_DEP_1) | instskip(SKIP_1) | instid1(VALU_DEP_2)
	v_subrev_nc_u32_e32 v3, s33, v2
	v_cmp_le_u32_e32 vcc_lo, s33, v2
	v_cndmask_b32_e32 v12, v2, v3, vcc_lo
	s_delay_alu instid0(VALU_DEP_1)
	v_dual_mov_b32 v2, v12 :: v_dual_mov_b32 v3, v13
.LBB13_95:                              ;   in Loop: Header=BB13_17 Depth=1
	s_delay_alu instid0(VALU_DEP_1) | instskip(NEXT) | instid1(VALU_DEP_2)
	v_sub_co_u32 v2, vcc_lo, s80, v2
	v_sub_co_ci_u32_e32 v3, vcc_lo, s59, v3, vcc_lo
	s_mov_b32 s4, 0
	s_mov_b32 s5, exec_lo
                                        ; implicit-def: $vgpr39
	s_delay_alu instid0(VALU_DEP_1)
	v_cmpx_gt_i64_e64 v[2:3], v[0:1]
	s_cbranch_execz .LBB13_106
; %bb.96:                               ;   in Loop: Header=BB13_17 Depth=1
	v_dual_mov_b32 v4, v10 :: v_dual_mov_b32 v5, v11
	v_dual_mov_b32 v7, v1 :: v_dual_mov_b32 v6, v0
	s_mov_b32 s21, 0
                                        ; implicit-def: $sgpr22
	s_set_inst_prefetch_distance 0x1
	s_branch .LBB13_98
	.p2align	6
.LBB13_97:                              ;   in Loop: Header=BB13_98 Depth=2
	s_or_b32 exec_lo, exec_lo, s4
	s_waitcnt vmcnt(0) lgkmcnt(0)
	s_barrier
	buffer_gl0_inv
	ds_load_u16 v8, v13 offset:3072
	v_add_co_u32 v6, vcc_lo, v6, s33
	v_add_co_ci_u32_e32 v7, vcc_lo, 0, v7, vcc_lo
	s_waitcnt lgkmcnt(0)
	s_barrier
	buffer_gl0_inv
	v_cmp_ge_i64_e32 vcc_lo, v[6:7], v[2:3]
	v_and_b32_e32 v9, 0xff, v8
	s_delay_alu instid0(VALU_DEP_1) | instskip(NEXT) | instid1(VALU_DEP_1)
	v_cmp_ne_u16_e64 s4, 0, v9
	s_or_b32 s23, s4, vcc_lo
	v_add_co_u32 v4, vcc_lo, v4, s74
	s_and_b32 s23, exec_lo, s23
	v_add_co_ci_u32_e32 v5, vcc_lo, s35, v5, vcc_lo
	s_or_b32 s21, s23, s21
	s_and_not1_b32 s22, s22, exec_lo
	s_and_b32 s4, s4, exec_lo
	s_delay_alu instid0(SALU_CYCLE_1)
	s_or_b32 s22, s22, s4
	s_and_not1_b32 exec_lo, exec_lo, s21
	s_cbranch_execz .LBB13_105
.LBB13_98:                              ;   Parent Loop BB13_17 Depth=1
                                        ; =>  This Inner Loop Header: Depth=2
	s_delay_alu instid0(VALU_DEP_1)
	v_cmp_gt_i64_e32 vcc_lo, s[24:25], v[6:7]
	v_mov_b32_e32 v8, 0
	s_and_saveexec_b32 s4, vcc_lo
	s_cbranch_execz .LBB13_100
; %bb.99:                               ;   in Loop: Header=BB13_98 Depth=2
	global_load_u8 v8, v[4:5], off
.LBB13_100:                             ;   in Loop: Header=BB13_98 Depth=2
	s_or_b32 exec_lo, exec_lo, s4
	s_and_saveexec_b32 s4, vcc_lo
	s_cbranch_execz .LBB13_97
; %bb.101:                              ;   in Loop: Header=BB13_98 Depth=2
	s_waitcnt vmcnt(0)
	v_bfe_i32 v9, v8, 0, 8
	s_delay_alu instid0(VALU_DEP_1) | instskip(NEXT) | instid1(VALU_DEP_1)
	v_add_nc_u32_e32 v9, 0x80, v9
	v_and_b32_e32 v9, s94, v9
	s_delay_alu instid0(VALU_DEP_1)
	v_cmp_eq_u32_e32 vcc_lo, s95, v9
	s_and_b32 exec_lo, exec_lo, vcc_lo
	s_cbranch_execz .LBB13_97
; %bb.102:                              ;   in Loop: Header=BB13_98 Depth=2
	v_lshlrev_b16 v8, 8, v8
	s_delay_alu instid0(VALU_DEP_1)
	v_or_b32_e32 v8, 1, v8
	ds_store_b16 v13, v8 offset:3072
	s_branch .LBB13_97
.LBB13_103:                             ;   in Loop: Header=BB13_17 Depth=1
	s_mov_b32 s4, -1
                                        ; implicit-def: $sgpr5
                                        ; implicit-def: $sgpr22
                                        ; implicit-def: $sgpr21
	s_branch .LBB13_120
.LBB13_104:                             ;   in Loop: Header=BB13_17 Depth=1
	s_mov_b32 s5, -1
	s_mov_b32 s4, 0
                                        ; implicit-def: $sgpr21
                                        ; implicit-def: $vgpr39
	s_mov_b32 s22, s5
	s_cbranch_execnz .LBB13_107
	s_branch .LBB13_120
.LBB13_105:                             ;   in Loop: Header=BB13_17 Depth=1
	s_set_inst_prefetch_distance 0x2
	s_or_b32 exec_lo, exec_lo, s21
	v_lshrrev_b16 v39, 8, v8
	s_and_b32 s4, s22, exec_lo
.LBB13_106:                             ;   in Loop: Header=BB13_17 Depth=1
	s_or_b32 exec_lo, exec_lo, s5
	s_mov_b32 s21, -1
	s_mov_b32 s5, 0
	s_delay_alu instid0(SALU_CYCLE_1)
	s_mov_b32 s22, s5
	s_branch .LBB13_120
.LBB13_107:                             ;   in Loop: Header=BB13_17 Depth=1
	s_add_u32 s21, s78, s14
	s_addc_u32 s5, s79, s15
	s_mov_b32 s4, s55
	s_delay_alu instid0(SALU_CYCLE_1)
	s_cmp_lg_u64 s[4:5], 0
	s_cbranch_scc0 .LBB13_150
; %bb.108:                              ;   in Loop: Header=BB13_17 Depth=1
	v_cvt_f32_u32_e32 v2, s33
	s_sub_u32 s23, 0, s33
	s_subb_u32 s54, 0, 0
	s_delay_alu instid0(VALU_DEP_1) | instskip(NEXT) | instid1(VALU_DEP_1)
	v_fmac_f32_e32 v2, 0x4f800000, v38
	v_rcp_f32_e32 v2, v2
	s_waitcnt_depctr 0xfff
	v_mul_f32_e32 v2, 0x5f7ffffc, v2
	s_delay_alu instid0(VALU_DEP_1) | instskip(NEXT) | instid1(VALU_DEP_1)
	v_mul_f32_e32 v3, 0x2f800000, v2
	v_trunc_f32_e32 v3, v3
	s_delay_alu instid0(VALU_DEP_1) | instskip(SKIP_1) | instid1(VALU_DEP_2)
	v_fmac_f32_e32 v2, 0xcf800000, v3
	v_cvt_u32_f32_e32 v3, v3
	v_cvt_u32_f32_e32 v2, v2
	s_delay_alu instid0(VALU_DEP_2) | instskip(NEXT) | instid1(VALU_DEP_2)
	v_readfirstlane_b32 s4, v3
	v_readfirstlane_b32 s22, v2
	s_delay_alu instid0(VALU_DEP_2) | instskip(NEXT) | instid1(VALU_DEP_1)
	s_mul_i32 s58, s23, s4
	s_mul_hi_u32 s65, s23, s22
	s_mul_i32 s64, s54, s22
	s_add_i32 s58, s65, s58
	s_mul_i32 s66, s23, s22
	s_add_i32 s58, s58, s64
	s_mul_hi_u32 s65, s22, s66
	s_mul_hi_u32 s67, s4, s66
	s_mul_i32 s64, s4, s66
	s_mul_hi_u32 s66, s22, s58
	s_mul_i32 s22, s22, s58
	s_mul_hi_u32 s68, s4, s58
	s_add_u32 s22, s65, s22
	s_addc_u32 s65, 0, s66
	s_add_u32 s22, s22, s64
	s_mul_i32 s58, s4, s58
	s_addc_u32 s22, s65, s67
	s_addc_u32 s64, s68, 0
	s_add_u32 s22, s22, s58
	s_addc_u32 s58, 0, s64
	v_add_co_u32 v2, s22, v2, s22
	s_delay_alu instid0(VALU_DEP_1) | instskip(SKIP_1) | instid1(VALU_DEP_1)
	s_cmp_lg_u32 s22, 0
	s_addc_u32 s4, s4, s58
	v_readfirstlane_b32 s22, v2
	s_mul_i32 s58, s23, s4
	s_delay_alu instid0(VALU_DEP_1)
	s_mul_hi_u32 s64, s23, s22
	s_mul_i32 s54, s54, s22
	s_add_i32 s58, s64, s58
	s_mul_i32 s23, s23, s22
	s_add_i32 s58, s58, s54
	s_mul_hi_u32 s64, s4, s23
	s_mul_i32 s65, s4, s23
	s_mul_hi_u32 s23, s22, s23
	s_mul_hi_u32 s66, s22, s58
	s_mul_i32 s22, s22, s58
	s_mul_hi_u32 s54, s4, s58
	s_add_u32 s22, s23, s22
	s_addc_u32 s23, 0, s66
	s_add_u32 s22, s22, s65
	s_mul_i32 s58, s4, s58
	s_addc_u32 s22, s23, s64
	s_addc_u32 s23, s54, 0
	s_add_u32 s22, s22, s58
	s_addc_u32 s23, 0, s23
	v_add_co_u32 v2, s22, v2, s22
	s_delay_alu instid0(VALU_DEP_1) | instskip(SKIP_2) | instid1(VALU_DEP_1)
	s_cmp_lg_u32 s22, 0
	s_addc_u32 s4, s4, s23
	s_ashr_i32 s22, s5, 31
	v_readfirstlane_b32 s54, v2
	s_add_u32 s64, s21, s22
	s_mov_b32 s23, s22
	s_addc_u32 s65, s5, s22
	s_delay_alu instid0(SALU_CYCLE_1) | instskip(NEXT) | instid1(SALU_CYCLE_1)
	s_xor_b64 s[64:65], s[64:65], s[22:23]
	s_mul_i32 s58, s64, s4
	s_mul_hi_u32 s66, s64, s54
	s_mul_hi_u32 s23, s64, s4
	;; [unrolled: 1-line block ×3, first 2 shown]
	s_mul_i32 s54, s65, s54
	s_add_u32 s58, s66, s58
	s_addc_u32 s23, 0, s23
	s_mul_hi_u32 s67, s65, s4
	s_add_u32 s54, s58, s54
	s_mul_i32 s4, s65, s4
	s_addc_u32 s23, s23, s68
	s_addc_u32 s54, s67, 0
	s_add_u32 s4, s23, s4
	s_addc_u32 s23, 0, s54
	s_mul_hi_u32 s54, s33, s4
	s_mul_i32 s4, s33, s4
	s_mul_i32 s23, s33, s23
	v_sub_co_u32 v2, s4, s64, s4
	s_add_i32 s54, s54, s23
	s_cmp_lg_u32 s4, 0
	s_delay_alu instid0(VALU_DEP_1) | instskip(SKIP_2) | instid1(VALU_DEP_1)
	v_sub_co_u32 v3, s4, v2, s33
	s_subb_u32 s23, s65, s54
	s_cmp_lg_u32 s4, 0
	v_cmp_le_u32_e32 vcc_lo, s33, v3
	v_sub_co_u32 v4, s4, v3, s33
	s_subb_u32 s54, s23, 0
	s_cmp_lg_u32 s4, 0
	v_cndmask_b32_e64 v5, 0, -1, vcc_lo
	s_subb_u32 s4, s54, 0
	s_cmp_eq_u32 s54, 0
	v_mov_b32_e32 v7, s4
	s_cselect_b32 vcc_lo, -1, 0
	s_cmp_eq_u32 s23, 0
	v_cndmask_b32_e32 v5, -1, v5, vcc_lo
	v_cmp_le_u32_e32 vcc_lo, s33, v2
	s_cselect_b32 s4, -1, 0
	v_cndmask_b32_e64 v6, 0, -1, vcc_lo
	s_delay_alu instid0(VALU_DEP_3) | instskip(NEXT) | instid1(VALU_DEP_2)
	v_cmp_ne_u32_e32 vcc_lo, 0, v5
	v_cndmask_b32_e64 v5, -1, v6, s4
	v_cndmask_b32_e32 v3, v3, v4, vcc_lo
	v_cndmask_b32_e32 v6, s54, v7, vcc_lo
	s_delay_alu instid0(VALU_DEP_3) | instskip(NEXT) | instid1(VALU_DEP_3)
	v_cmp_ne_u32_e32 vcc_lo, 0, v5
	v_cndmask_b32_e32 v2, v2, v3, vcc_lo
	s_delay_alu instid0(VALU_DEP_3) | instskip(NEXT) | instid1(VALU_DEP_2)
	v_cndmask_b32_e32 v4, s23, v6, vcc_lo
	v_xor_b32_e32 v2, s22, v2
	s_delay_alu instid0(VALU_DEP_2) | instskip(NEXT) | instid1(VALU_DEP_2)
	v_xor_b32_e32 v3, s22, v4
	v_sub_co_u32 v2, vcc_lo, v2, s22
	s_delay_alu instid0(VALU_DEP_2)
	v_subrev_co_ci_u32_e32 v3, vcc_lo, s22, v3, vcc_lo
	s_cbranch_execnz .LBB13_110
.LBB13_109:                             ;   in Loop: Header=BB13_17 Depth=1
	v_cvt_f32_u32_e32 v2, s33
	s_sub_i32 s4, 0, s33
	s_delay_alu instid0(VALU_DEP_1) | instskip(SKIP_2) | instid1(VALU_DEP_1)
	v_rcp_iflag_f32_e32 v2, v2
	s_waitcnt_depctr 0xfff
	v_mul_f32_e32 v2, 0x4f7ffffe, v2
	v_cvt_u32_f32_e32 v2, v2
	s_delay_alu instid0(VALU_DEP_1) | instskip(NEXT) | instid1(VALU_DEP_1)
	v_mul_lo_u32 v3, s4, v2
	v_mul_hi_u32 v3, v2, v3
	s_delay_alu instid0(VALU_DEP_1) | instskip(NEXT) | instid1(VALU_DEP_1)
	v_add_nc_u32_e32 v2, v2, v3
	v_mul_hi_u32 v2, s21, v2
	s_delay_alu instid0(VALU_DEP_1) | instskip(NEXT) | instid1(VALU_DEP_1)
	v_mul_lo_u32 v2, v2, s33
	v_sub_nc_u32_e32 v2, s21, v2
	s_delay_alu instid0(VALU_DEP_1) | instskip(SKIP_1) | instid1(VALU_DEP_2)
	v_subrev_nc_u32_e32 v3, s33, v2
	v_cmp_le_u32_e32 vcc_lo, s33, v2
	v_cndmask_b32_e32 v2, v2, v3, vcc_lo
	s_delay_alu instid0(VALU_DEP_1) | instskip(SKIP_1) | instid1(VALU_DEP_2)
	v_subrev_nc_u32_e32 v3, s33, v2
	v_cmp_le_u32_e32 vcc_lo, s33, v2
	v_cndmask_b32_e32 v12, v2, v3, vcc_lo
	s_delay_alu instid0(VALU_DEP_1)
	v_dual_mov_b32 v2, v12 :: v_dual_mov_b32 v3, v13
.LBB13_110:                             ;   in Loop: Header=BB13_17 Depth=1
	s_delay_alu instid0(VALU_DEP_1) | instskip(NEXT) | instid1(VALU_DEP_2)
	v_sub_co_u32 v2, vcc_lo, s21, v2
	v_sub_co_ci_u32_e32 v3, vcc_lo, s5, v3, vcc_lo
	s_mov_b32 s4, 0
	s_mov_b32 s5, exec_lo
                                        ; implicit-def: $vgpr39
	s_delay_alu instid0(VALU_DEP_1)
	v_cmpx_gt_i64_e64 v[2:3], v[0:1]
	s_cbranch_execz .LBB13_119
; %bb.111:                              ;   in Loop: Header=BB13_17 Depth=1
	v_dual_mov_b32 v6, v0 :: v_dual_mov_b32 v5, v1
	v_mov_b32_e32 v4, v0
	s_mov_b32 s21, 0
                                        ; implicit-def: $sgpr22
	s_set_inst_prefetch_distance 0x1
	s_branch .LBB13_113
	.p2align	6
.LBB13_112:                             ;   in Loop: Header=BB13_113 Depth=2
	s_or_b32 exec_lo, exec_lo, s4
	s_waitcnt lgkmcnt(0)
	s_barrier
	buffer_gl0_inv
	ds_load_u16 v7, v13 offset:3072
	v_add_co_u32 v4, vcc_lo, v4, s33
	v_add_co_ci_u32_e32 v5, vcc_lo, 0, v5, vcc_lo
	v_add_nc_u32_e32 v6, s33, v6
	s_waitcnt lgkmcnt(0)
	s_barrier
	s_delay_alu instid0(VALU_DEP_2) | instskip(SKIP_2) | instid1(VALU_DEP_1)
	v_cmp_ge_i64_e32 vcc_lo, v[4:5], v[2:3]
	buffer_gl0_inv
	v_and_b32_e32 v8, 0xff, v7
	v_cmp_ne_u16_e64 s4, 0, v8
	s_delay_alu instid0(VALU_DEP_1) | instskip(NEXT) | instid1(SALU_CYCLE_1)
	s_or_b32 s23, s4, vcc_lo
	s_and_b32 s23, exec_lo, s23
	s_delay_alu instid0(SALU_CYCLE_1) | instskip(SKIP_2) | instid1(SALU_CYCLE_1)
	s_or_b32 s21, s23, s21
	s_and_not1_b32 s22, s22, exec_lo
	s_and_b32 s4, s4, exec_lo
	s_or_b32 s22, s22, s4
	s_and_not1_b32 exec_lo, exec_lo, s21
	s_cbranch_execz .LBB13_118
.LBB13_113:                             ;   Parent Loop BB13_17 Depth=1
                                        ; =>  This Inner Loop Header: Depth=2
	s_delay_alu instid0(VALU_DEP_1)
	v_cmp_gt_i64_e32 vcc_lo, s[14:15], v[4:5]
	v_mov_b32_e32 v7, 0
	s_and_saveexec_b32 s4, vcc_lo
	s_cbranch_execz .LBB13_115
; %bb.114:                              ;   in Loop: Header=BB13_113 Depth=2
	ds_load_u8 v7, v6
.LBB13_115:                             ;   in Loop: Header=BB13_113 Depth=2
	s_or_b32 exec_lo, exec_lo, s4
	s_and_saveexec_b32 s4, vcc_lo
	s_cbranch_execz .LBB13_112
; %bb.116:                              ;   in Loop: Header=BB13_113 Depth=2
	s_waitcnt lgkmcnt(0)
	v_bfe_i32 v8, v7, 0, 8
	s_delay_alu instid0(VALU_DEP_1) | instskip(NEXT) | instid1(VALU_DEP_1)
	v_add_nc_u32_e32 v8, 0x80, v8
	v_and_b32_e32 v8, s94, v8
	s_delay_alu instid0(VALU_DEP_1)
	v_cmp_eq_u32_e32 vcc_lo, s95, v8
	s_and_b32 exec_lo, exec_lo, vcc_lo
	s_cbranch_execz .LBB13_112
; %bb.117:                              ;   in Loop: Header=BB13_113 Depth=2
	v_lshlrev_b16 v7, 8, v7
	s_delay_alu instid0(VALU_DEP_1)
	v_or_b32_e32 v7, 1, v7
	ds_store_b16 v13, v7 offset:3072
	s_branch .LBB13_112
.LBB13_118:                             ;   in Loop: Header=BB13_17 Depth=1
	s_set_inst_prefetch_distance 0x2
	s_or_b32 exec_lo, exec_lo, s21
	v_lshrrev_b16 v39, 8, v7
	s_and_b32 s4, s22, exec_lo
.LBB13_119:                             ;   in Loop: Header=BB13_17 Depth=1
	s_or_b32 exec_lo, exec_lo, s5
	s_mov_b32 s22, -1
	s_mov_b32 s5, 0
	s_mov_b32 s21, 0
.LBB13_120:                             ;   in Loop: Header=BB13_17 Depth=1
	s_and_not1_b32 s14, s91, exec_lo
	s_and_b32 s5, s5, exec_lo
	s_and_not1_b32 s15, s92, exec_lo
	s_or_b32 s91, s14, s5
	s_and_not1_b32 s5, s93, exec_lo
	s_and_b32 s14, s22, exec_lo
	s_and_b32 s21, s21, exec_lo
	s_or_b32 s93, s5, s14
	s_or_b32 s92, s15, s21
	s_and_saveexec_b32 s14, s4
	s_cbranch_execz .LBB13_16
; %bb.121:                              ;   in Loop: Header=BB13_17 Depth=1
	s_xor_b32 s4, s20, -1
	s_mov_b32 s58, 1
	s_and_not1_b32 vcc_lo, exec_lo, s4
	s_cbranch_vccnz .LBB13_132
; %bb.122:                              ;   in Loop: Header=BB13_17 Depth=1
	v_cmp_gt_i64_e64 s4, s[26:27], s[12:13]
                                        ; implicit-def: $sgpr58
                                        ; implicit-def: $sgpr5
                                        ; implicit-def: $sgpr15
	s_delay_alu instid0(VALU_DEP_1)
	s_and_b32 vcc_lo, exec_lo, s4
	s_mov_b32 s4, -1
	s_cbranch_vccnz .LBB13_128
; %bb.123:                              ;   in Loop: Header=BB13_17 Depth=1
	ds_load_b64 v[2:3], v13 offset:5120
	s_waitcnt lgkmcnt(0)
	v_cmp_ne_u64_e32 vcc_lo, 0, v[2:3]
	s_cbranch_vccnz .LBB13_127
; %bb.124:                              ;   in Loop: Header=BB13_17 Depth=1
	s_and_saveexec_b32 s4, s2
	s_cbranch_execz .LBB13_126
; %bb.125:                              ;   in Loop: Header=BB13_17 Depth=1
	v_dual_mov_b32 v2, s12 :: v_dual_mov_b32 v3, s13
	ds_store_b64 v13, v[2:3] offset:5128
.LBB13_126:                             ;   in Loop: Header=BB13_17 Depth=1
	s_or_b32 exec_lo, exec_lo, s4
	s_waitcnt lgkmcnt(0)
	s_barrier
	buffer_gl0_inv
.LBB13_127:                             ;   in Loop: Header=BB13_17 Depth=1
	s_and_b32 s5, s95, s18
	s_or_b32 s15, s94, s16
	s_mov_b32 s4, 0
	s_mov_b32 s58, 8
.LBB13_128:                             ;   in Loop: Header=BB13_17 Depth=1
	s_and_not1_b32 vcc_lo, exec_lo, s4
	s_cbranch_vccnz .LBB13_130
; %bb.129:                              ;   in Loop: Header=BB13_17 Depth=1
	s_sub_u32 s26, s26, s12
	s_subb_u32 s27, s27, s13
	s_mov_b32 s4, -1
	s_mov_b32 s58, 0
	s_mov_b32 s5, s95
	;; [unrolled: 1-line block ×3, first 2 shown]
.LBB13_130:                             ;   in Loop: Header=BB13_17 Depth=1
	s_delay_alu instid0(SALU_CYCLE_1)
	s_mov_b32 s94, s15
	s_mov_b32 s95, s5
	s_and_b32 vcc_lo, exec_lo, s4
	s_mov_b32 s15, -1
	s_cbranch_vccnz .LBB13_133
.LBB13_131:                             ;   in Loop: Header=BB13_17 Depth=1
	s_mov_b32 s5, -1
                                        ; implicit-def: $sgpr19
                                        ; implicit-def: $sgpr21
                                        ; implicit-def: $sgpr20
	s_delay_alu instid0(SALU_CYCLE_1) | instskip(NEXT) | instid1(SALU_CYCLE_1)
	s_and_saveexec_b32 s4, s5
	s_xor_b32 s4, exec_lo, s4
	s_cbranch_execz .LBB13_15
	s_branch .LBB13_279
.LBB13_132:                             ;   in Loop: Header=BB13_17 Depth=1
	s_mov_b64 s[26:27], 1
	s_mov_b32 s15, -1
	s_branch .LBB13_131
.LBB13_133:                             ;   in Loop: Header=BB13_17 Depth=1
	s_cmp_eq_u64 s[10:11], 1
	s_cselect_b32 s4, -1, 0
	s_cmp_eq_u64 s[26:27], 1
	s_cselect_b32 s5, -1, 0
	s_delay_alu instid0(SALU_CYCLE_1)
	s_and_b32 s22, s4, s5
	s_mov_b32 s4, -1
	s_and_b32 vcc_lo, exec_lo, s22
	s_cbranch_vccz .LBB13_148
; %bb.134:                              ;   in Loop: Header=BB13_17 Depth=1
	ds_load_b64 v[2:3], v13 offset:5120
	s_waitcnt lgkmcnt(0)
	s_barrier
	buffer_gl0_inv
	v_readfirstlane_b32 s12, v2
	v_readfirstlane_b32 s13, v3
	s_and_saveexec_b32 s4, s3
	s_cbranch_execz .LBB13_136
; %bb.135:                              ;   in Loop: Header=BB13_17 Depth=1
	ds_store_b8 v0, v13 offset:3072
.LBB13_136:                             ;   in Loop: Header=BB13_17 Depth=1
	s_or_b32 exec_lo, exec_lo, s4
	s_delay_alu instid0(VALU_DEP_1)
	v_cmp_gt_i64_e64 s19, s[12:13], 0
	s_lshl_b32 s4, 1, s17
	s_and_b32 s5, s95, s18
	s_or_b32 s94, s94, s16
	s_or_b32 s95, s5, s4
	s_waitcnt lgkmcnt(0)
	s_and_b32 vcc_lo, exec_lo, s19
	s_barrier
	buffer_gl0_inv
	s_cbranch_vccnz .LBB13_151
; %bb.137:                              ;   in Loop: Header=BB13_17 Depth=1
	s_mov_b32 s58, s55
	s_delay_alu instid0(SALU_CYCLE_1)
	s_cmp_lg_u64 s[58:59], 0
	s_cbranch_scc0 .LBB13_196
; %bb.138:                              ;   in Loop: Header=BB13_17 Depth=1
	v_cvt_f32_u32_e32 v2, s33
	s_sub_u32 s19, 0, s33
	s_subb_u32 s20, 0, 0
	s_delay_alu instid0(VALU_DEP_1) | instskip(NEXT) | instid1(VALU_DEP_1)
	v_fmac_f32_e32 v2, 0x4f800000, v38
	v_rcp_f32_e32 v2, v2
	s_waitcnt_depctr 0xfff
	v_mul_f32_e32 v2, 0x5f7ffffc, v2
	s_delay_alu instid0(VALU_DEP_1) | instskip(NEXT) | instid1(VALU_DEP_1)
	v_mul_f32_e32 v3, 0x2f800000, v2
	v_trunc_f32_e32 v3, v3
	s_delay_alu instid0(VALU_DEP_1) | instskip(SKIP_1) | instid1(VALU_DEP_2)
	v_fmac_f32_e32 v2, 0xcf800000, v3
	v_cvt_u32_f32_e32 v3, v3
	v_cvt_u32_f32_e32 v2, v2
	s_delay_alu instid0(VALU_DEP_2) | instskip(NEXT) | instid1(VALU_DEP_2)
	v_readfirstlane_b32 s4, v3
	v_readfirstlane_b32 s5, v2
	s_delay_alu instid0(VALU_DEP_2) | instskip(NEXT) | instid1(VALU_DEP_1)
	s_mul_i32 s21, s19, s4
	s_mul_hi_u32 s54, s19, s5
	s_mul_i32 s23, s20, s5
	s_add_i32 s21, s54, s21
	s_mul_i32 s58, s19, s5
	s_add_i32 s21, s21, s23
	s_mul_hi_u32 s54, s5, s58
	s_mul_hi_u32 s64, s4, s58
	s_mul_i32 s23, s4, s58
	s_mul_hi_u32 s58, s5, s21
	s_mul_i32 s5, s5, s21
	s_mul_hi_u32 s65, s4, s21
	s_add_u32 s5, s54, s5
	s_addc_u32 s54, 0, s58
	s_add_u32 s5, s5, s23
	s_mul_i32 s21, s4, s21
	s_addc_u32 s5, s54, s64
	s_addc_u32 s23, s65, 0
	s_add_u32 s5, s5, s21
	s_addc_u32 s21, 0, s23
	v_add_co_u32 v2, s5, v2, s5
	s_delay_alu instid0(VALU_DEP_1) | instskip(SKIP_1) | instid1(VALU_DEP_1)
	s_cmp_lg_u32 s5, 0
	s_addc_u32 s4, s4, s21
	v_readfirstlane_b32 s5, v2
	s_mul_i32 s21, s19, s4
	s_delay_alu instid0(VALU_DEP_1)
	s_mul_hi_u32 s23, s19, s5
	s_mul_i32 s20, s20, s5
	s_add_i32 s21, s23, s21
	s_mul_i32 s19, s19, s5
	s_add_i32 s21, s21, s20
	s_mul_hi_u32 s23, s4, s19
	s_mul_i32 s54, s4, s19
	s_mul_hi_u32 s19, s5, s19
	s_mul_hi_u32 s58, s5, s21
	s_mul_i32 s5, s5, s21
	s_mul_hi_u32 s20, s4, s21
	s_add_u32 s5, s19, s5
	s_addc_u32 s19, 0, s58
	s_add_u32 s5, s5, s54
	s_mul_i32 s21, s4, s21
	s_addc_u32 s5, s19, s23
	s_addc_u32 s19, s20, 0
	s_add_u32 s5, s5, s21
	s_addc_u32 s19, 0, s19
	v_add_co_u32 v2, s5, v2, s5
	s_delay_alu instid0(VALU_DEP_1) | instskip(SKIP_2) | instid1(VALU_DEP_1)
	s_cmp_lg_u32 s5, 0
	s_addc_u32 s19, s4, s19
	s_ashr_i32 s20, s59, 31
	v_readfirstlane_b32 s23, v2
	s_add_u32 s4, s80, s20
	s_mov_b32 s21, s20
	s_addc_u32 s5, s59, s20
	s_delay_alu instid0(SALU_CYCLE_1) | instskip(NEXT) | instid1(SALU_CYCLE_1)
	s_xor_b64 s[4:5], s[4:5], s[20:21]
	s_mul_i32 s54, s4, s19
	s_mul_hi_u32 s58, s4, s23
	s_mul_hi_u32 s21, s4, s19
	;; [unrolled: 1-line block ×3, first 2 shown]
	s_mul_i32 s23, s5, s23
	s_add_u32 s54, s58, s54
	s_addc_u32 s21, 0, s21
	s_mul_hi_u32 s64, s5, s19
	s_add_u32 s23, s54, s23
	s_mul_i32 s19, s5, s19
	s_addc_u32 s21, s21, s65
	s_addc_u32 s23, s64, 0
	s_add_u32 s19, s21, s19
	s_addc_u32 s21, 0, s23
	s_mul_hi_u32 s23, s33, s19
	s_mul_i32 s19, s33, s19
	s_mul_i32 s21, s33, s21
	v_sub_co_u32 v2, s4, s4, s19
	s_add_i32 s23, s23, s21
	s_cmp_lg_u32 s4, 0
	s_delay_alu instid0(VALU_DEP_1) | instskip(SKIP_2) | instid1(VALU_DEP_1)
	v_sub_co_u32 v3, s4, v2, s33
	s_subb_u32 s5, s5, s23
	s_cmp_lg_u32 s4, 0
	v_cmp_le_u32_e32 vcc_lo, s33, v3
	v_sub_co_u32 v4, s4, v3, s33
	s_subb_u32 s19, s5, 0
	s_cmp_lg_u32 s4, 0
	v_cndmask_b32_e64 v5, 0, -1, vcc_lo
	s_subb_u32 s4, s19, 0
	s_cmp_eq_u32 s19, 0
	v_mov_b32_e32 v7, s4
	s_cselect_b32 vcc_lo, -1, 0
	s_cmp_eq_u32 s5, 0
	v_cndmask_b32_e32 v5, -1, v5, vcc_lo
	v_cmp_le_u32_e32 vcc_lo, s33, v2
	s_cselect_b32 s4, -1, 0
	v_cndmask_b32_e64 v6, 0, -1, vcc_lo
	s_delay_alu instid0(VALU_DEP_3) | instskip(NEXT) | instid1(VALU_DEP_2)
	v_cmp_ne_u32_e32 vcc_lo, 0, v5
	v_cndmask_b32_e64 v5, -1, v6, s4
	v_cndmask_b32_e32 v3, v3, v4, vcc_lo
	v_cndmask_b32_e32 v6, s19, v7, vcc_lo
	s_delay_alu instid0(VALU_DEP_3) | instskip(NEXT) | instid1(VALU_DEP_3)
	v_cmp_ne_u32_e32 vcc_lo, 0, v5
	v_cndmask_b32_e32 v2, v2, v3, vcc_lo
	s_delay_alu instid0(VALU_DEP_3) | instskip(NEXT) | instid1(VALU_DEP_2)
	v_cndmask_b32_e32 v4, s5, v6, vcc_lo
	v_xor_b32_e32 v2, s20, v2
	s_delay_alu instid0(VALU_DEP_2) | instskip(NEXT) | instid1(VALU_DEP_2)
	v_xor_b32_e32 v3, s20, v4
	v_sub_co_u32 v2, vcc_lo, v2, s20
	s_delay_alu instid0(VALU_DEP_2)
	v_subrev_co_ci_u32_e32 v3, vcc_lo, s20, v3, vcc_lo
	s_cbranch_execnz .LBB13_140
.LBB13_139:                             ;   in Loop: Header=BB13_17 Depth=1
	v_cvt_f32_u32_e32 v2, s33
	s_sub_i32 s4, 0, s33
	s_delay_alu instid0(VALU_DEP_1) | instskip(SKIP_2) | instid1(VALU_DEP_1)
	v_rcp_iflag_f32_e32 v2, v2
	s_waitcnt_depctr 0xfff
	v_mul_f32_e32 v2, 0x4f7ffffe, v2
	v_cvt_u32_f32_e32 v2, v2
	s_delay_alu instid0(VALU_DEP_1) | instskip(NEXT) | instid1(VALU_DEP_1)
	v_mul_lo_u32 v3, s4, v2
	v_mul_hi_u32 v3, v2, v3
	s_delay_alu instid0(VALU_DEP_1) | instskip(NEXT) | instid1(VALU_DEP_1)
	v_add_nc_u32_e32 v2, v2, v3
	v_mul_hi_u32 v2, s80, v2
	s_delay_alu instid0(VALU_DEP_1) | instskip(NEXT) | instid1(VALU_DEP_1)
	v_mul_lo_u32 v2, v2, s33
	v_sub_nc_u32_e32 v2, s80, v2
	s_delay_alu instid0(VALU_DEP_1) | instskip(SKIP_1) | instid1(VALU_DEP_2)
	v_subrev_nc_u32_e32 v3, s33, v2
	v_cmp_le_u32_e32 vcc_lo, s33, v2
	v_cndmask_b32_e32 v2, v2, v3, vcc_lo
	s_delay_alu instid0(VALU_DEP_1) | instskip(SKIP_1) | instid1(VALU_DEP_2)
	v_subrev_nc_u32_e32 v3, s33, v2
	v_cmp_le_u32_e32 vcc_lo, s33, v2
	v_cndmask_b32_e32 v12, v2, v3, vcc_lo
	s_delay_alu instid0(VALU_DEP_1)
	v_dual_mov_b32 v2, v12 :: v_dual_mov_b32 v3, v13
.LBB13_140:                             ;   in Loop: Header=BB13_17 Depth=1
	s_delay_alu instid0(VALU_DEP_1) | instskip(NEXT) | instid1(VALU_DEP_2)
	v_sub_co_u32 v2, vcc_lo, s80, v2
	v_sub_co_ci_u32_e32 v3, vcc_lo, s59, v3, vcc_lo
	s_mov_b32 s4, 0
	s_mov_b32 s5, exec_lo
                                        ; implicit-def: $vgpr39
	s_delay_alu instid0(VALU_DEP_1)
	v_cmpx_gt_i64_e64 v[2:3], v[0:1]
	s_cbranch_execz .LBB13_153
; %bb.141:                              ;   in Loop: Header=BB13_17 Depth=1
	v_dual_mov_b32 v4, v10 :: v_dual_mov_b32 v5, v11
	v_dual_mov_b32 v7, v1 :: v_dual_mov_b32 v6, v0
	s_mov_b32 s19, 0
                                        ; implicit-def: $sgpr20
	s_set_inst_prefetch_distance 0x1
	s_branch .LBB13_143
	.p2align	6
.LBB13_142:                             ;   in Loop: Header=BB13_143 Depth=2
	s_or_b32 exec_lo, exec_lo, s4
	s_waitcnt vmcnt(0) lgkmcnt(0)
	s_barrier
	buffer_gl0_inv
	ds_load_u16 v8, v13 offset:3072
	v_add_co_u32 v6, vcc_lo, v6, s33
	v_add_co_ci_u32_e32 v7, vcc_lo, 0, v7, vcc_lo
	s_waitcnt lgkmcnt(0)
	s_barrier
	buffer_gl0_inv
	v_cmp_ge_i64_e32 vcc_lo, v[6:7], v[2:3]
	v_and_b32_e32 v9, 0xff, v8
	s_delay_alu instid0(VALU_DEP_1) | instskip(NEXT) | instid1(VALU_DEP_1)
	v_cmp_ne_u16_e64 s4, 0, v9
	s_or_b32 s21, s4, vcc_lo
	v_add_co_u32 v4, vcc_lo, v4, s74
	s_and_b32 s21, exec_lo, s21
	v_add_co_ci_u32_e32 v5, vcc_lo, s35, v5, vcc_lo
	s_or_b32 s19, s21, s19
	s_and_not1_b32 s20, s20, exec_lo
	s_and_b32 s4, s4, exec_lo
	s_delay_alu instid0(SALU_CYCLE_1)
	s_or_b32 s20, s20, s4
	s_and_not1_b32 exec_lo, exec_lo, s19
	s_cbranch_execz .LBB13_152
.LBB13_143:                             ;   Parent Loop BB13_17 Depth=1
                                        ; =>  This Inner Loop Header: Depth=2
	s_delay_alu instid0(VALU_DEP_1)
	v_cmp_gt_i64_e32 vcc_lo, s[24:25], v[6:7]
	v_mov_b32_e32 v8, 0
	s_and_saveexec_b32 s4, vcc_lo
	s_cbranch_execz .LBB13_145
; %bb.144:                              ;   in Loop: Header=BB13_143 Depth=2
	global_load_u8 v8, v[4:5], off
.LBB13_145:                             ;   in Loop: Header=BB13_143 Depth=2
	s_or_b32 exec_lo, exec_lo, s4
	s_and_saveexec_b32 s4, vcc_lo
	s_cbranch_execz .LBB13_142
; %bb.146:                              ;   in Loop: Header=BB13_143 Depth=2
	s_waitcnt vmcnt(0)
	v_bfe_i32 v9, v8, 0, 8
	s_delay_alu instid0(VALU_DEP_1) | instskip(NEXT) | instid1(VALU_DEP_1)
	v_add_nc_u32_e32 v9, 0x80, v9
	v_and_b32_e32 v9, s94, v9
	s_delay_alu instid0(VALU_DEP_1)
	v_cmp_eq_u32_e32 vcc_lo, s95, v9
	s_and_b32 exec_lo, exec_lo, vcc_lo
	s_cbranch_execz .LBB13_142
; %bb.147:                              ;   in Loop: Header=BB13_143 Depth=2
	v_lshlrev_b16 v8, 8, v8
	s_delay_alu instid0(VALU_DEP_1)
	v_or_b32_e32 v8, 1, v8
	ds_store_b16 v13, v8 offset:3072
	s_branch .LBB13_142
.LBB13_148:                             ;   in Loop: Header=BB13_17 Depth=1
                                        ; implicit-def: $sgpr20
                                        ; implicit-def: $sgpr21
                                        ; implicit-def: $sgpr19
	s_branch .LBB13_167
.LBB13_149:                             ;   in Loop: Header=BB13_17 Depth=1
                                        ; implicit-def: $vgpr2_vgpr3
	s_branch .LBB13_94
.LBB13_150:                             ;   in Loop: Header=BB13_17 Depth=1
                                        ; implicit-def: $vgpr2_vgpr3
	s_branch .LBB13_109
.LBB13_151:                             ;   in Loop: Header=BB13_17 Depth=1
	s_mov_b32 s20, -1
	s_mov_b32 s4, 0
                                        ; implicit-def: $sgpr19
                                        ; implicit-def: $vgpr39
	s_mov_b32 s21, s20
	s_cbranch_execnz .LBB13_154
	s_branch .LBB13_167
.LBB13_152:                             ;   in Loop: Header=BB13_17 Depth=1
	s_set_inst_prefetch_distance 0x2
	s_or_b32 exec_lo, exec_lo, s19
	v_lshrrev_b16 v39, 8, v8
	s_and_b32 s4, s20, exec_lo
.LBB13_153:                             ;   in Loop: Header=BB13_17 Depth=1
	s_or_b32 exec_lo, exec_lo, s5
	s_mov_b32 s19, -1
	s_mov_b32 s20, 0
	s_delay_alu instid0(SALU_CYCLE_1)
	s_mov_b32 s21, s20
	s_branch .LBB13_167
.LBB13_154:                             ;   in Loop: Header=BB13_17 Depth=1
	s_add_u32 s19, s78, s12
	s_addc_u32 s5, s79, s13
	s_mov_b32 s4, s55
	s_delay_alu instid0(SALU_CYCLE_1)
	s_cmp_lg_u64 s[4:5], 0
	s_cbranch_scc0 .LBB13_197
; %bb.155:                              ;   in Loop: Header=BB13_17 Depth=1
	v_cvt_f32_u32_e32 v2, s33
	s_sub_u32 s21, 0, s33
	s_subb_u32 s23, 0, 0
	s_delay_alu instid0(VALU_DEP_1) | instskip(NEXT) | instid1(VALU_DEP_1)
	v_fmac_f32_e32 v2, 0x4f800000, v38
	v_rcp_f32_e32 v2, v2
	s_waitcnt_depctr 0xfff
	v_mul_f32_e32 v2, 0x5f7ffffc, v2
	s_delay_alu instid0(VALU_DEP_1) | instskip(NEXT) | instid1(VALU_DEP_1)
	v_mul_f32_e32 v3, 0x2f800000, v2
	v_trunc_f32_e32 v3, v3
	s_delay_alu instid0(VALU_DEP_1) | instskip(SKIP_1) | instid1(VALU_DEP_2)
	v_fmac_f32_e32 v2, 0xcf800000, v3
	v_cvt_u32_f32_e32 v3, v3
	v_cvt_u32_f32_e32 v2, v2
	s_delay_alu instid0(VALU_DEP_2) | instskip(NEXT) | instid1(VALU_DEP_2)
	v_readfirstlane_b32 s4, v3
	v_readfirstlane_b32 s20, v2
	s_delay_alu instid0(VALU_DEP_2) | instskip(NEXT) | instid1(VALU_DEP_1)
	s_mul_i32 s54, s21, s4
	s_mul_hi_u32 s64, s21, s20
	s_mul_i32 s58, s23, s20
	s_add_i32 s54, s64, s54
	s_mul_i32 s65, s21, s20
	s_add_i32 s54, s54, s58
	s_mul_hi_u32 s64, s20, s65
	s_mul_hi_u32 s66, s4, s65
	s_mul_i32 s58, s4, s65
	s_mul_hi_u32 s65, s20, s54
	s_mul_i32 s20, s20, s54
	s_mul_hi_u32 s67, s4, s54
	s_add_u32 s20, s64, s20
	s_addc_u32 s64, 0, s65
	s_add_u32 s20, s20, s58
	s_mul_i32 s54, s4, s54
	s_addc_u32 s20, s64, s66
	s_addc_u32 s58, s67, 0
	s_add_u32 s20, s20, s54
	s_addc_u32 s54, 0, s58
	v_add_co_u32 v2, s20, v2, s20
	s_delay_alu instid0(VALU_DEP_1) | instskip(SKIP_1) | instid1(VALU_DEP_1)
	s_cmp_lg_u32 s20, 0
	s_addc_u32 s4, s4, s54
	v_readfirstlane_b32 s20, v2
	s_mul_i32 s54, s21, s4
	s_delay_alu instid0(VALU_DEP_1)
	s_mul_hi_u32 s58, s21, s20
	s_mul_i32 s23, s23, s20
	s_add_i32 s54, s58, s54
	s_mul_i32 s21, s21, s20
	s_add_i32 s54, s54, s23
	s_mul_hi_u32 s58, s4, s21
	s_mul_i32 s64, s4, s21
	s_mul_hi_u32 s21, s20, s21
	s_mul_hi_u32 s65, s20, s54
	s_mul_i32 s20, s20, s54
	s_mul_hi_u32 s23, s4, s54
	s_add_u32 s20, s21, s20
	s_addc_u32 s21, 0, s65
	s_add_u32 s20, s20, s64
	s_mul_i32 s54, s4, s54
	s_addc_u32 s20, s21, s58
	s_addc_u32 s21, s23, 0
	s_add_u32 s20, s20, s54
	s_addc_u32 s21, 0, s21
	v_add_co_u32 v2, s20, v2, s20
	s_delay_alu instid0(VALU_DEP_1) | instskip(SKIP_2) | instid1(VALU_DEP_1)
	s_cmp_lg_u32 s20, 0
	s_addc_u32 s4, s4, s21
	s_ashr_i32 s20, s5, 31
	v_readfirstlane_b32 s23, v2
	s_add_u32 s64, s19, s20
	s_mov_b32 s21, s20
	s_addc_u32 s65, s5, s20
	s_delay_alu instid0(SALU_CYCLE_1) | instskip(NEXT) | instid1(SALU_CYCLE_1)
	s_xor_b64 s[64:65], s[64:65], s[20:21]
	s_mul_i32 s54, s64, s4
	s_mul_hi_u32 s58, s64, s23
	s_mul_hi_u32 s21, s64, s4
	;; [unrolled: 1-line block ×3, first 2 shown]
	s_mul_i32 s23, s65, s23
	s_add_u32 s54, s58, s54
	s_addc_u32 s21, 0, s21
	s_mul_hi_u32 s66, s65, s4
	s_add_u32 s23, s54, s23
	s_mul_i32 s4, s65, s4
	s_addc_u32 s21, s21, s67
	s_addc_u32 s23, s66, 0
	s_add_u32 s4, s21, s4
	s_addc_u32 s21, 0, s23
	s_mul_hi_u32 s23, s33, s4
	s_mul_i32 s4, s33, s4
	s_mul_i32 s21, s33, s21
	v_sub_co_u32 v2, s4, s64, s4
	s_add_i32 s23, s23, s21
	s_cmp_lg_u32 s4, 0
	s_delay_alu instid0(VALU_DEP_1) | instskip(SKIP_2) | instid1(VALU_DEP_1)
	v_sub_co_u32 v3, s4, v2, s33
	s_subb_u32 s21, s65, s23
	s_cmp_lg_u32 s4, 0
	v_cmp_le_u32_e32 vcc_lo, s33, v3
	v_sub_co_u32 v4, s4, v3, s33
	s_subb_u32 s23, s21, 0
	s_cmp_lg_u32 s4, 0
	v_cndmask_b32_e64 v5, 0, -1, vcc_lo
	s_subb_u32 s4, s23, 0
	s_cmp_eq_u32 s23, 0
	v_mov_b32_e32 v7, s4
	s_cselect_b32 vcc_lo, -1, 0
	s_cmp_eq_u32 s21, 0
	v_cndmask_b32_e32 v5, -1, v5, vcc_lo
	v_cmp_le_u32_e32 vcc_lo, s33, v2
	s_cselect_b32 s4, -1, 0
	v_cndmask_b32_e64 v6, 0, -1, vcc_lo
	s_delay_alu instid0(VALU_DEP_3) | instskip(NEXT) | instid1(VALU_DEP_2)
	v_cmp_ne_u32_e32 vcc_lo, 0, v5
	v_cndmask_b32_e64 v5, -1, v6, s4
	v_cndmask_b32_e32 v3, v3, v4, vcc_lo
	v_cndmask_b32_e32 v6, s23, v7, vcc_lo
	s_delay_alu instid0(VALU_DEP_3) | instskip(NEXT) | instid1(VALU_DEP_3)
	v_cmp_ne_u32_e32 vcc_lo, 0, v5
	v_cndmask_b32_e32 v2, v2, v3, vcc_lo
	s_delay_alu instid0(VALU_DEP_3) | instskip(NEXT) | instid1(VALU_DEP_2)
	v_cndmask_b32_e32 v4, s21, v6, vcc_lo
	v_xor_b32_e32 v2, s20, v2
	s_delay_alu instid0(VALU_DEP_2) | instskip(NEXT) | instid1(VALU_DEP_2)
	v_xor_b32_e32 v3, s20, v4
	v_sub_co_u32 v2, vcc_lo, v2, s20
	s_delay_alu instid0(VALU_DEP_2)
	v_subrev_co_ci_u32_e32 v3, vcc_lo, s20, v3, vcc_lo
	s_cbranch_execnz .LBB13_157
.LBB13_156:                             ;   in Loop: Header=BB13_17 Depth=1
	v_cvt_f32_u32_e32 v2, s33
	s_sub_i32 s4, 0, s33
	s_delay_alu instid0(VALU_DEP_1) | instskip(SKIP_2) | instid1(VALU_DEP_1)
	v_rcp_iflag_f32_e32 v2, v2
	s_waitcnt_depctr 0xfff
	v_mul_f32_e32 v2, 0x4f7ffffe, v2
	v_cvt_u32_f32_e32 v2, v2
	s_delay_alu instid0(VALU_DEP_1) | instskip(NEXT) | instid1(VALU_DEP_1)
	v_mul_lo_u32 v3, s4, v2
	v_mul_hi_u32 v3, v2, v3
	s_delay_alu instid0(VALU_DEP_1) | instskip(NEXT) | instid1(VALU_DEP_1)
	v_add_nc_u32_e32 v2, v2, v3
	v_mul_hi_u32 v2, s19, v2
	s_delay_alu instid0(VALU_DEP_1) | instskip(NEXT) | instid1(VALU_DEP_1)
	v_mul_lo_u32 v2, v2, s33
	v_sub_nc_u32_e32 v2, s19, v2
	s_delay_alu instid0(VALU_DEP_1) | instskip(SKIP_1) | instid1(VALU_DEP_2)
	v_subrev_nc_u32_e32 v3, s33, v2
	v_cmp_le_u32_e32 vcc_lo, s33, v2
	v_cndmask_b32_e32 v2, v2, v3, vcc_lo
	s_delay_alu instid0(VALU_DEP_1) | instskip(SKIP_1) | instid1(VALU_DEP_2)
	v_subrev_nc_u32_e32 v3, s33, v2
	v_cmp_le_u32_e32 vcc_lo, s33, v2
	v_cndmask_b32_e32 v12, v2, v3, vcc_lo
	s_delay_alu instid0(VALU_DEP_1)
	v_dual_mov_b32 v2, v12 :: v_dual_mov_b32 v3, v13
.LBB13_157:                             ;   in Loop: Header=BB13_17 Depth=1
	s_delay_alu instid0(VALU_DEP_1) | instskip(NEXT) | instid1(VALU_DEP_2)
	v_sub_co_u32 v2, vcc_lo, s19, v2
	v_sub_co_ci_u32_e32 v3, vcc_lo, s5, v3, vcc_lo
	s_mov_b32 s4, 0
	s_mov_b32 s5, exec_lo
                                        ; implicit-def: $vgpr39
	s_delay_alu instid0(VALU_DEP_1)
	v_cmpx_gt_i64_e64 v[2:3], v[0:1]
	s_cbranch_execz .LBB13_166
; %bb.158:                              ;   in Loop: Header=BB13_17 Depth=1
	v_dual_mov_b32 v6, v0 :: v_dual_mov_b32 v5, v1
	v_mov_b32_e32 v4, v0
	s_mov_b32 s19, 0
                                        ; implicit-def: $sgpr20
	s_set_inst_prefetch_distance 0x1
	s_branch .LBB13_160
	.p2align	6
.LBB13_159:                             ;   in Loop: Header=BB13_160 Depth=2
	s_or_b32 exec_lo, exec_lo, s4
	s_waitcnt lgkmcnt(0)
	s_barrier
	buffer_gl0_inv
	ds_load_u16 v7, v13 offset:3072
	v_add_co_u32 v4, vcc_lo, v4, s33
	v_add_co_ci_u32_e32 v5, vcc_lo, 0, v5, vcc_lo
	v_add_nc_u32_e32 v6, s33, v6
	s_waitcnt lgkmcnt(0)
	s_barrier
	s_delay_alu instid0(VALU_DEP_2) | instskip(SKIP_2) | instid1(VALU_DEP_1)
	v_cmp_ge_i64_e32 vcc_lo, v[4:5], v[2:3]
	buffer_gl0_inv
	v_and_b32_e32 v8, 0xff, v7
	v_cmp_ne_u16_e64 s4, 0, v8
	s_delay_alu instid0(VALU_DEP_1) | instskip(NEXT) | instid1(SALU_CYCLE_1)
	s_or_b32 s21, s4, vcc_lo
	s_and_b32 s21, exec_lo, s21
	s_delay_alu instid0(SALU_CYCLE_1) | instskip(SKIP_2) | instid1(SALU_CYCLE_1)
	s_or_b32 s19, s21, s19
	s_and_not1_b32 s20, s20, exec_lo
	s_and_b32 s4, s4, exec_lo
	s_or_b32 s20, s20, s4
	s_and_not1_b32 exec_lo, exec_lo, s19
	s_cbranch_execz .LBB13_165
.LBB13_160:                             ;   Parent Loop BB13_17 Depth=1
                                        ; =>  This Inner Loop Header: Depth=2
	s_delay_alu instid0(VALU_DEP_1)
	v_cmp_gt_i64_e32 vcc_lo, s[12:13], v[4:5]
	v_mov_b32_e32 v7, 0
	s_and_saveexec_b32 s4, vcc_lo
	s_cbranch_execz .LBB13_162
; %bb.161:                              ;   in Loop: Header=BB13_160 Depth=2
	ds_load_u8 v7, v6
.LBB13_162:                             ;   in Loop: Header=BB13_160 Depth=2
	s_or_b32 exec_lo, exec_lo, s4
	s_and_saveexec_b32 s4, vcc_lo
	s_cbranch_execz .LBB13_159
; %bb.163:                              ;   in Loop: Header=BB13_160 Depth=2
	s_waitcnt lgkmcnt(0)
	v_bfe_i32 v8, v7, 0, 8
	s_delay_alu instid0(VALU_DEP_1) | instskip(NEXT) | instid1(VALU_DEP_1)
	v_add_nc_u32_e32 v8, 0x80, v8
	v_and_b32_e32 v8, s94, v8
	s_delay_alu instid0(VALU_DEP_1)
	v_cmp_eq_u32_e32 vcc_lo, s95, v8
	s_and_b32 exec_lo, exec_lo, vcc_lo
	s_cbranch_execz .LBB13_159
; %bb.164:                              ;   in Loop: Header=BB13_160 Depth=2
	v_lshlrev_b16 v7, 8, v7
	s_delay_alu instid0(VALU_DEP_1)
	v_or_b32_e32 v7, 1, v7
	ds_store_b16 v13, v7 offset:3072
	s_branch .LBB13_159
.LBB13_165:                             ;   in Loop: Header=BB13_17 Depth=1
	s_set_inst_prefetch_distance 0x2
	s_or_b32 exec_lo, exec_lo, s19
	v_lshrrev_b16 v39, 8, v7
	s_and_b32 s4, s20, exec_lo
.LBB13_166:                             ;   in Loop: Header=BB13_17 Depth=1
	s_or_b32 exec_lo, exec_lo, s5
	s_mov_b32 s21, -1
	s_mov_b32 s20, 0
	s_mov_b32 s19, 0
.LBB13_167:                             ;   in Loop: Header=BB13_17 Depth=1
	s_mov_b32 s5, 0
                                        ; implicit-def: $sgpr58
	s_and_saveexec_b32 s12, s4
	s_cbranch_execz .LBB13_278
; %bb.168:                              ;   in Loop: Header=BB13_17 Depth=1
	s_xor_b32 s4, s22, -1
	s_mov_b32 s58, 1
	s_and_not1_b32 vcc_lo, exec_lo, s4
	s_cbranch_vccnz .LBB13_179
; %bb.169:                              ;   in Loop: Header=BB13_17 Depth=1
	v_cmp_gt_i64_e64 s4, s[26:27], s[10:11]
                                        ; implicit-def: $sgpr58
                                        ; implicit-def: $sgpr5
                                        ; implicit-def: $sgpr13
	s_delay_alu instid0(VALU_DEP_1)
	s_and_b32 vcc_lo, exec_lo, s4
	s_mov_b32 s4, -1
	s_cbranch_vccnz .LBB13_175
; %bb.170:                              ;   in Loop: Header=BB13_17 Depth=1
	ds_load_b64 v[2:3], v13 offset:5120
	s_waitcnt lgkmcnt(0)
	v_cmp_ne_u64_e32 vcc_lo, 0, v[2:3]
	s_cbranch_vccnz .LBB13_174
; %bb.171:                              ;   in Loop: Header=BB13_17 Depth=1
	s_and_saveexec_b32 s4, s2
	s_cbranch_execz .LBB13_173
; %bb.172:                              ;   in Loop: Header=BB13_17 Depth=1
	v_dual_mov_b32 v2, s10 :: v_dual_mov_b32 v3, s11
	ds_store_b64 v13, v[2:3] offset:5128
.LBB13_173:                             ;   in Loop: Header=BB13_17 Depth=1
	s_or_b32 exec_lo, exec_lo, s4
	s_waitcnt lgkmcnt(0)
	s_barrier
	buffer_gl0_inv
.LBB13_174:                             ;   in Loop: Header=BB13_17 Depth=1
	s_lshl_b32 s4, 1, s17
	s_and_b32 s5, s95, s18
	s_or_b32 s13, s94, s16
	s_or_b32 s5, s5, s4
	s_mov_b32 s4, 0
	s_mov_b32 s58, 8
.LBB13_175:                             ;   in Loop: Header=BB13_17 Depth=1
	s_and_not1_b32 vcc_lo, exec_lo, s4
	s_cbranch_vccnz .LBB13_177
; %bb.176:                              ;   in Loop: Header=BB13_17 Depth=1
	s_sub_u32 s26, s26, s10
	s_subb_u32 s27, s27, s11
	s_mov_b32 s4, -1
	s_mov_b32 s58, 0
	s_mov_b32 s5, s95
	;; [unrolled: 1-line block ×3, first 2 shown]
.LBB13_177:                             ;   in Loop: Header=BB13_17 Depth=1
	s_delay_alu instid0(SALU_CYCLE_1)
	s_mov_b32 s94, s13
	s_mov_b32 s95, s5
	s_and_not1_b32 vcc_lo, exec_lo, s4
	s_mov_b32 s5, -1
	s_cbranch_vccz .LBB13_180
.LBB13_178:                             ;   in Loop: Header=BB13_17 Depth=1
                                        ; implicit-def: $sgpr22
                                        ; implicit-def: $sgpr23
                                        ; implicit-def: $sgpr13
	s_branch .LBB13_277
.LBB13_179:                             ;   in Loop: Header=BB13_17 Depth=1
	s_mov_b64 s[26:27], 1
	s_mov_b32 s5, -1
	s_cbranch_execnz .LBB13_178
.LBB13_180:                             ;   in Loop: Header=BB13_17 Depth=1
	s_cmp_eq_u64 s[8:9], 1
	s_cselect_b32 s4, -1, 0
	s_cmp_eq_u64 s[26:27], 1
	s_cselect_b32 s5, -1, 0
	s_delay_alu instid0(SALU_CYCLE_1)
	s_and_b32 s54, s4, s5
	s_mov_b32 s4, -1
	s_and_b32 vcc_lo, exec_lo, s54
	s_cbranch_vccz .LBB13_195
; %bb.181:                              ;   in Loop: Header=BB13_17 Depth=1
	ds_load_b64 v[2:3], v13 offset:5120
	s_waitcnt lgkmcnt(0)
	s_barrier
	buffer_gl0_inv
	v_readfirstlane_b32 s10, v2
	v_readfirstlane_b32 s11, v3
	s_and_saveexec_b32 s4, s3
	s_cbranch_execz .LBB13_183
; %bb.182:                              ;   in Loop: Header=BB13_17 Depth=1
	ds_store_b8 v0, v13 offset:3072
.LBB13_183:                             ;   in Loop: Header=BB13_17 Depth=1
	s_or_b32 exec_lo, exec_lo, s4
	s_delay_alu instid0(VALU_DEP_1)
	v_cmp_gt_i64_e64 s13, s[10:11], 0
	s_lshl_b32 s4, 2, s17
	s_and_b32 s5, s95, s18
	s_or_b32 s94, s94, s16
	s_or_b32 s95, s5, s4
	s_waitcnt lgkmcnt(0)
	s_and_b32 vcc_lo, exec_lo, s13
	s_barrier
	buffer_gl0_inv
	s_cbranch_vccnz .LBB13_198
; %bb.184:                              ;   in Loop: Header=BB13_17 Depth=1
	s_mov_b32 s58, s55
	s_delay_alu instid0(SALU_CYCLE_1)
	s_cmp_lg_u64 s[58:59], 0
	s_cbranch_scc0 .LBB13_243
; %bb.185:                              ;   in Loop: Header=BB13_17 Depth=1
	v_cvt_f32_u32_e32 v2, s33
	s_sub_u32 s13, 0, s33
	s_subb_u32 s22, 0, 0
	s_delay_alu instid0(VALU_DEP_1) | instskip(NEXT) | instid1(VALU_DEP_1)
	v_fmac_f32_e32 v2, 0x4f800000, v38
	v_rcp_f32_e32 v2, v2
	s_waitcnt_depctr 0xfff
	v_mul_f32_e32 v2, 0x5f7ffffc, v2
	s_delay_alu instid0(VALU_DEP_1) | instskip(NEXT) | instid1(VALU_DEP_1)
	v_mul_f32_e32 v3, 0x2f800000, v2
	v_trunc_f32_e32 v3, v3
	s_delay_alu instid0(VALU_DEP_1) | instskip(SKIP_1) | instid1(VALU_DEP_2)
	v_fmac_f32_e32 v2, 0xcf800000, v3
	v_cvt_u32_f32_e32 v3, v3
	v_cvt_u32_f32_e32 v2, v2
	s_delay_alu instid0(VALU_DEP_2) | instskip(NEXT) | instid1(VALU_DEP_2)
	v_readfirstlane_b32 s4, v3
	v_readfirstlane_b32 s5, v2
	s_delay_alu instid0(VALU_DEP_2) | instskip(NEXT) | instid1(VALU_DEP_1)
	s_mul_i32 s23, s13, s4
	s_mul_hi_u32 s64, s13, s5
	s_mul_i32 s58, s22, s5
	s_add_i32 s23, s64, s23
	s_mul_i32 s65, s13, s5
	s_add_i32 s23, s23, s58
	s_mul_hi_u32 s64, s5, s65
	s_mul_hi_u32 s66, s4, s65
	s_mul_i32 s58, s4, s65
	s_mul_hi_u32 s65, s5, s23
	s_mul_i32 s5, s5, s23
	s_mul_hi_u32 s67, s4, s23
	s_add_u32 s5, s64, s5
	s_addc_u32 s64, 0, s65
	s_add_u32 s5, s5, s58
	s_mul_i32 s23, s4, s23
	s_addc_u32 s5, s64, s66
	s_addc_u32 s58, s67, 0
	s_add_u32 s5, s5, s23
	s_addc_u32 s23, 0, s58
	v_add_co_u32 v2, s5, v2, s5
	s_delay_alu instid0(VALU_DEP_1) | instskip(SKIP_1) | instid1(VALU_DEP_1)
	s_cmp_lg_u32 s5, 0
	s_addc_u32 s4, s4, s23
	v_readfirstlane_b32 s5, v2
	s_mul_i32 s23, s13, s4
	s_delay_alu instid0(VALU_DEP_1)
	s_mul_hi_u32 s58, s13, s5
	s_mul_i32 s22, s22, s5
	s_add_i32 s23, s58, s23
	s_mul_i32 s13, s13, s5
	s_add_i32 s23, s23, s22
	s_mul_hi_u32 s58, s4, s13
	s_mul_i32 s64, s4, s13
	s_mul_hi_u32 s13, s5, s13
	s_mul_hi_u32 s65, s5, s23
	s_mul_i32 s5, s5, s23
	s_mul_hi_u32 s22, s4, s23
	s_add_u32 s5, s13, s5
	s_addc_u32 s13, 0, s65
	s_add_u32 s5, s5, s64
	s_mul_i32 s23, s4, s23
	s_addc_u32 s5, s13, s58
	s_addc_u32 s13, s22, 0
	s_add_u32 s5, s5, s23
	s_addc_u32 s13, 0, s13
	v_add_co_u32 v2, s5, v2, s5
	s_delay_alu instid0(VALU_DEP_1) | instskip(SKIP_2) | instid1(VALU_DEP_1)
	s_cmp_lg_u32 s5, 0
	s_addc_u32 s13, s4, s13
	s_ashr_i32 s22, s59, 31
	v_readfirstlane_b32 s58, v2
	s_add_u32 s4, s80, s22
	s_mov_b32 s23, s22
	s_addc_u32 s5, s59, s22
	s_delay_alu instid0(SALU_CYCLE_1) | instskip(NEXT) | instid1(SALU_CYCLE_1)
	s_xor_b64 s[4:5], s[4:5], s[22:23]
	s_mul_i32 s64, s4, s13
	s_mul_hi_u32 s65, s4, s58
	s_mul_hi_u32 s23, s4, s13
	;; [unrolled: 1-line block ×3, first 2 shown]
	s_mul_i32 s58, s5, s58
	s_add_u32 s64, s65, s64
	s_addc_u32 s23, 0, s23
	s_mul_hi_u32 s66, s5, s13
	s_add_u32 s58, s64, s58
	s_mul_i32 s13, s5, s13
	s_addc_u32 s23, s23, s67
	s_addc_u32 s58, s66, 0
	s_add_u32 s13, s23, s13
	s_addc_u32 s23, 0, s58
	s_mul_hi_u32 s58, s33, s13
	s_mul_i32 s13, s33, s13
	s_mul_i32 s23, s33, s23
	v_sub_co_u32 v2, s4, s4, s13
	s_add_i32 s58, s58, s23
	s_cmp_lg_u32 s4, 0
	s_delay_alu instid0(VALU_DEP_1) | instskip(SKIP_2) | instid1(VALU_DEP_1)
	v_sub_co_u32 v3, s4, v2, s33
	s_subb_u32 s5, s5, s58
	s_cmp_lg_u32 s4, 0
	v_cmp_le_u32_e32 vcc_lo, s33, v3
	v_sub_co_u32 v4, s4, v3, s33
	s_subb_u32 s13, s5, 0
	s_cmp_lg_u32 s4, 0
	v_cndmask_b32_e64 v5, 0, -1, vcc_lo
	s_subb_u32 s4, s13, 0
	s_cmp_eq_u32 s13, 0
	v_mov_b32_e32 v7, s4
	s_cselect_b32 vcc_lo, -1, 0
	s_cmp_eq_u32 s5, 0
	v_cndmask_b32_e32 v5, -1, v5, vcc_lo
	v_cmp_le_u32_e32 vcc_lo, s33, v2
	s_cselect_b32 s4, -1, 0
	v_cndmask_b32_e64 v6, 0, -1, vcc_lo
	s_delay_alu instid0(VALU_DEP_3) | instskip(NEXT) | instid1(VALU_DEP_2)
	v_cmp_ne_u32_e32 vcc_lo, 0, v5
	v_cndmask_b32_e64 v5, -1, v6, s4
	v_cndmask_b32_e32 v3, v3, v4, vcc_lo
	v_cndmask_b32_e32 v6, s13, v7, vcc_lo
	s_delay_alu instid0(VALU_DEP_3) | instskip(NEXT) | instid1(VALU_DEP_3)
	v_cmp_ne_u32_e32 vcc_lo, 0, v5
	v_cndmask_b32_e32 v2, v2, v3, vcc_lo
	s_delay_alu instid0(VALU_DEP_3) | instskip(NEXT) | instid1(VALU_DEP_2)
	v_cndmask_b32_e32 v4, s5, v6, vcc_lo
	v_xor_b32_e32 v2, s22, v2
	s_delay_alu instid0(VALU_DEP_2) | instskip(NEXT) | instid1(VALU_DEP_2)
	v_xor_b32_e32 v3, s22, v4
	v_sub_co_u32 v2, vcc_lo, v2, s22
	s_delay_alu instid0(VALU_DEP_2)
	v_subrev_co_ci_u32_e32 v3, vcc_lo, s22, v3, vcc_lo
	s_cbranch_execnz .LBB13_187
.LBB13_186:                             ;   in Loop: Header=BB13_17 Depth=1
	v_cvt_f32_u32_e32 v2, s33
	s_sub_i32 s4, 0, s33
	s_delay_alu instid0(VALU_DEP_1) | instskip(SKIP_2) | instid1(VALU_DEP_1)
	v_rcp_iflag_f32_e32 v2, v2
	s_waitcnt_depctr 0xfff
	v_mul_f32_e32 v2, 0x4f7ffffe, v2
	v_cvt_u32_f32_e32 v2, v2
	s_delay_alu instid0(VALU_DEP_1) | instskip(NEXT) | instid1(VALU_DEP_1)
	v_mul_lo_u32 v3, s4, v2
	v_mul_hi_u32 v3, v2, v3
	s_delay_alu instid0(VALU_DEP_1) | instskip(NEXT) | instid1(VALU_DEP_1)
	v_add_nc_u32_e32 v2, v2, v3
	v_mul_hi_u32 v2, s80, v2
	s_delay_alu instid0(VALU_DEP_1) | instskip(NEXT) | instid1(VALU_DEP_1)
	v_mul_lo_u32 v2, v2, s33
	v_sub_nc_u32_e32 v2, s80, v2
	s_delay_alu instid0(VALU_DEP_1) | instskip(SKIP_1) | instid1(VALU_DEP_2)
	v_subrev_nc_u32_e32 v3, s33, v2
	v_cmp_le_u32_e32 vcc_lo, s33, v2
	v_cndmask_b32_e32 v2, v2, v3, vcc_lo
	s_delay_alu instid0(VALU_DEP_1) | instskip(SKIP_1) | instid1(VALU_DEP_2)
	v_subrev_nc_u32_e32 v3, s33, v2
	v_cmp_le_u32_e32 vcc_lo, s33, v2
	v_cndmask_b32_e32 v12, v2, v3, vcc_lo
	s_delay_alu instid0(VALU_DEP_1)
	v_dual_mov_b32 v2, v12 :: v_dual_mov_b32 v3, v13
.LBB13_187:                             ;   in Loop: Header=BB13_17 Depth=1
	s_delay_alu instid0(VALU_DEP_1) | instskip(NEXT) | instid1(VALU_DEP_2)
	v_sub_co_u32 v2, vcc_lo, s80, v2
	v_sub_co_ci_u32_e32 v3, vcc_lo, s59, v3, vcc_lo
	s_mov_b32 s4, 0
	s_mov_b32 s5, exec_lo
                                        ; implicit-def: $vgpr39
	s_delay_alu instid0(VALU_DEP_1)
	v_cmpx_gt_i64_e64 v[2:3], v[0:1]
	s_cbranch_execz .LBB13_200
; %bb.188:                              ;   in Loop: Header=BB13_17 Depth=1
	v_dual_mov_b32 v4, v10 :: v_dual_mov_b32 v5, v11
	v_dual_mov_b32 v7, v1 :: v_dual_mov_b32 v6, v0
	s_mov_b32 s13, 0
                                        ; implicit-def: $sgpr22
	s_set_inst_prefetch_distance 0x1
	s_branch .LBB13_190
	.p2align	6
.LBB13_189:                             ;   in Loop: Header=BB13_190 Depth=2
	s_or_b32 exec_lo, exec_lo, s4
	s_waitcnt vmcnt(0) lgkmcnt(0)
	s_barrier
	buffer_gl0_inv
	ds_load_u16 v8, v13 offset:3072
	v_add_co_u32 v6, vcc_lo, v6, s33
	v_add_co_ci_u32_e32 v7, vcc_lo, 0, v7, vcc_lo
	s_waitcnt lgkmcnt(0)
	s_barrier
	buffer_gl0_inv
	v_cmp_ge_i64_e32 vcc_lo, v[6:7], v[2:3]
	v_and_b32_e32 v9, 0xff, v8
	s_delay_alu instid0(VALU_DEP_1) | instskip(NEXT) | instid1(VALU_DEP_1)
	v_cmp_ne_u16_e64 s4, 0, v9
	s_or_b32 s23, s4, vcc_lo
	v_add_co_u32 v4, vcc_lo, v4, s74
	s_and_b32 s23, exec_lo, s23
	v_add_co_ci_u32_e32 v5, vcc_lo, s35, v5, vcc_lo
	s_or_b32 s13, s23, s13
	s_and_not1_b32 s22, s22, exec_lo
	s_and_b32 s4, s4, exec_lo
	s_delay_alu instid0(SALU_CYCLE_1)
	s_or_b32 s22, s22, s4
	s_and_not1_b32 exec_lo, exec_lo, s13
	s_cbranch_execz .LBB13_199
.LBB13_190:                             ;   Parent Loop BB13_17 Depth=1
                                        ; =>  This Inner Loop Header: Depth=2
	s_delay_alu instid0(VALU_DEP_1)
	v_cmp_gt_i64_e32 vcc_lo, s[24:25], v[6:7]
	v_mov_b32_e32 v8, 0
	s_and_saveexec_b32 s4, vcc_lo
	s_cbranch_execz .LBB13_192
; %bb.191:                              ;   in Loop: Header=BB13_190 Depth=2
	global_load_u8 v8, v[4:5], off
.LBB13_192:                             ;   in Loop: Header=BB13_190 Depth=2
	s_or_b32 exec_lo, exec_lo, s4
	s_and_saveexec_b32 s4, vcc_lo
	s_cbranch_execz .LBB13_189
; %bb.193:                              ;   in Loop: Header=BB13_190 Depth=2
	s_waitcnt vmcnt(0)
	v_bfe_i32 v9, v8, 0, 8
	s_delay_alu instid0(VALU_DEP_1) | instskip(NEXT) | instid1(VALU_DEP_1)
	v_add_nc_u32_e32 v9, 0x80, v9
	v_and_b32_e32 v9, s94, v9
	s_delay_alu instid0(VALU_DEP_1)
	v_cmp_eq_u32_e32 vcc_lo, s95, v9
	s_and_b32 exec_lo, exec_lo, vcc_lo
	s_cbranch_execz .LBB13_189
; %bb.194:                              ;   in Loop: Header=BB13_190 Depth=2
	v_lshlrev_b16 v8, 8, v8
	s_delay_alu instid0(VALU_DEP_1)
	v_or_b32_e32 v8, 1, v8
	ds_store_b16 v13, v8 offset:3072
	s_branch .LBB13_189
.LBB13_195:                             ;   in Loop: Header=BB13_17 Depth=1
                                        ; implicit-def: $sgpr13
                                        ; implicit-def: $sgpr23
                                        ; implicit-def: $sgpr22
	s_branch .LBB13_214
.LBB13_196:                             ;   in Loop: Header=BB13_17 Depth=1
                                        ; implicit-def: $vgpr2_vgpr3
	s_branch .LBB13_139
.LBB13_197:                             ;   in Loop: Header=BB13_17 Depth=1
                                        ; implicit-def: $vgpr2_vgpr3
	s_branch .LBB13_156
.LBB13_198:                             ;   in Loop: Header=BB13_17 Depth=1
	s_mov_b32 s13, -1
	s_mov_b32 s4, 0
                                        ; implicit-def: $sgpr22
                                        ; implicit-def: $vgpr39
	s_mov_b32 s23, s13
	s_cbranch_execnz .LBB13_201
	s_branch .LBB13_214
.LBB13_199:                             ;   in Loop: Header=BB13_17 Depth=1
	s_set_inst_prefetch_distance 0x2
	s_or_b32 exec_lo, exec_lo, s13
	v_lshrrev_b16 v39, 8, v8
	s_and_b32 s4, s22, exec_lo
.LBB13_200:                             ;   in Loop: Header=BB13_17 Depth=1
	s_or_b32 exec_lo, exec_lo, s5
	s_mov_b32 s22, -1
	s_mov_b32 s13, 0
	s_delay_alu instid0(SALU_CYCLE_1)
	s_mov_b32 s23, s13
	s_branch .LBB13_214
.LBB13_201:                             ;   in Loop: Header=BB13_17 Depth=1
	s_add_u32 s13, s78, s10
	s_addc_u32 s5, s79, s11
	s_mov_b32 s4, s55
	s_delay_alu instid0(SALU_CYCLE_1)
	s_cmp_lg_u64 s[4:5], 0
	s_cbranch_scc0 .LBB13_244
; %bb.202:                              ;   in Loop: Header=BB13_17 Depth=1
	v_cvt_f32_u32_e32 v2, s33
	s_sub_u32 s23, 0, s33
	s_subb_u32 s58, 0, 0
	s_delay_alu instid0(VALU_DEP_1) | instskip(NEXT) | instid1(VALU_DEP_1)
	v_fmac_f32_e32 v2, 0x4f800000, v38
	v_rcp_f32_e32 v2, v2
	s_waitcnt_depctr 0xfff
	v_mul_f32_e32 v2, 0x5f7ffffc, v2
	s_delay_alu instid0(VALU_DEP_1) | instskip(NEXT) | instid1(VALU_DEP_1)
	v_mul_f32_e32 v3, 0x2f800000, v2
	v_trunc_f32_e32 v3, v3
	s_delay_alu instid0(VALU_DEP_1) | instskip(SKIP_1) | instid1(VALU_DEP_2)
	v_fmac_f32_e32 v2, 0xcf800000, v3
	v_cvt_u32_f32_e32 v3, v3
	v_cvt_u32_f32_e32 v2, v2
	s_delay_alu instid0(VALU_DEP_2) | instskip(NEXT) | instid1(VALU_DEP_2)
	v_readfirstlane_b32 s4, v3
	v_readfirstlane_b32 s22, v2
	s_delay_alu instid0(VALU_DEP_2) | instskip(NEXT) | instid1(VALU_DEP_1)
	s_mul_i32 s64, s23, s4
	s_mul_hi_u32 s66, s23, s22
	s_mul_i32 s65, s58, s22
	s_add_i32 s64, s66, s64
	s_mul_i32 s67, s23, s22
	s_add_i32 s64, s64, s65
	s_mul_hi_u32 s66, s22, s67
	s_mul_hi_u32 s68, s4, s67
	s_mul_i32 s65, s4, s67
	s_mul_hi_u32 s67, s22, s64
	s_mul_i32 s22, s22, s64
	s_mul_hi_u32 s69, s4, s64
	s_add_u32 s22, s66, s22
	s_addc_u32 s66, 0, s67
	s_add_u32 s22, s22, s65
	s_mul_i32 s64, s4, s64
	s_addc_u32 s22, s66, s68
	s_addc_u32 s65, s69, 0
	s_add_u32 s22, s22, s64
	s_addc_u32 s64, 0, s65
	v_add_co_u32 v2, s22, v2, s22
	s_delay_alu instid0(VALU_DEP_1) | instskip(SKIP_1) | instid1(VALU_DEP_1)
	s_cmp_lg_u32 s22, 0
	s_addc_u32 s4, s4, s64
	v_readfirstlane_b32 s22, v2
	s_mul_i32 s64, s23, s4
	s_delay_alu instid0(VALU_DEP_1)
	s_mul_hi_u32 s65, s23, s22
	s_mul_i32 s58, s58, s22
	s_add_i32 s64, s65, s64
	s_mul_i32 s23, s23, s22
	s_add_i32 s64, s64, s58
	s_mul_hi_u32 s65, s4, s23
	s_mul_i32 s66, s4, s23
	s_mul_hi_u32 s23, s22, s23
	s_mul_hi_u32 s67, s22, s64
	s_mul_i32 s22, s22, s64
	s_mul_hi_u32 s58, s4, s64
	s_add_u32 s22, s23, s22
	s_addc_u32 s23, 0, s67
	s_add_u32 s22, s22, s66
	s_mul_i32 s64, s4, s64
	s_addc_u32 s22, s23, s65
	s_addc_u32 s23, s58, 0
	s_add_u32 s22, s22, s64
	s_addc_u32 s23, 0, s23
	v_add_co_u32 v2, s22, v2, s22
	s_delay_alu instid0(VALU_DEP_1) | instskip(SKIP_2) | instid1(VALU_DEP_1)
	s_cmp_lg_u32 s22, 0
	s_addc_u32 s4, s4, s23
	s_ashr_i32 s22, s5, 31
	v_readfirstlane_b32 s58, v2
	s_add_u32 s64, s13, s22
	s_mov_b32 s23, s22
	s_addc_u32 s65, s5, s22
	s_delay_alu instid0(SALU_CYCLE_1) | instskip(NEXT) | instid1(SALU_CYCLE_1)
	s_xor_b64 s[64:65], s[64:65], s[22:23]
	s_mul_i32 s66, s64, s4
	s_mul_hi_u32 s67, s64, s58
	s_mul_hi_u32 s23, s64, s4
	;; [unrolled: 1-line block ×3, first 2 shown]
	s_mul_i32 s58, s65, s58
	s_add_u32 s66, s67, s66
	s_addc_u32 s23, 0, s23
	s_mul_hi_u32 s68, s65, s4
	s_add_u32 s58, s66, s58
	s_mul_i32 s4, s65, s4
	s_addc_u32 s23, s23, s69
	s_addc_u32 s58, s68, 0
	s_add_u32 s4, s23, s4
	s_addc_u32 s23, 0, s58
	s_mul_hi_u32 s58, s33, s4
	s_mul_i32 s4, s33, s4
	s_mul_i32 s23, s33, s23
	v_sub_co_u32 v2, s4, s64, s4
	s_add_i32 s58, s58, s23
	s_cmp_lg_u32 s4, 0
	s_delay_alu instid0(VALU_DEP_1) | instskip(SKIP_2) | instid1(VALU_DEP_1)
	v_sub_co_u32 v3, s4, v2, s33
	s_subb_u32 s23, s65, s58
	s_cmp_lg_u32 s4, 0
	v_cmp_le_u32_e32 vcc_lo, s33, v3
	v_sub_co_u32 v4, s4, v3, s33
	s_subb_u32 s58, s23, 0
	s_cmp_lg_u32 s4, 0
	v_cndmask_b32_e64 v5, 0, -1, vcc_lo
	s_subb_u32 s4, s58, 0
	s_cmp_eq_u32 s58, 0
	v_mov_b32_e32 v7, s4
	s_cselect_b32 vcc_lo, -1, 0
	s_cmp_eq_u32 s23, 0
	v_cndmask_b32_e32 v5, -1, v5, vcc_lo
	v_cmp_le_u32_e32 vcc_lo, s33, v2
	s_cselect_b32 s4, -1, 0
	v_cndmask_b32_e64 v6, 0, -1, vcc_lo
	s_delay_alu instid0(VALU_DEP_3) | instskip(NEXT) | instid1(VALU_DEP_2)
	v_cmp_ne_u32_e32 vcc_lo, 0, v5
	v_cndmask_b32_e64 v5, -1, v6, s4
	v_cndmask_b32_e32 v3, v3, v4, vcc_lo
	v_cndmask_b32_e32 v6, s58, v7, vcc_lo
	s_delay_alu instid0(VALU_DEP_3) | instskip(NEXT) | instid1(VALU_DEP_3)
	v_cmp_ne_u32_e32 vcc_lo, 0, v5
	v_cndmask_b32_e32 v2, v2, v3, vcc_lo
	s_delay_alu instid0(VALU_DEP_3) | instskip(NEXT) | instid1(VALU_DEP_2)
	v_cndmask_b32_e32 v4, s23, v6, vcc_lo
	v_xor_b32_e32 v2, s22, v2
	s_delay_alu instid0(VALU_DEP_2) | instskip(NEXT) | instid1(VALU_DEP_2)
	v_xor_b32_e32 v3, s22, v4
	v_sub_co_u32 v2, vcc_lo, v2, s22
	s_delay_alu instid0(VALU_DEP_2)
	v_subrev_co_ci_u32_e32 v3, vcc_lo, s22, v3, vcc_lo
	s_cbranch_execnz .LBB13_204
.LBB13_203:                             ;   in Loop: Header=BB13_17 Depth=1
	v_cvt_f32_u32_e32 v2, s33
	s_sub_i32 s4, 0, s33
	s_delay_alu instid0(VALU_DEP_1) | instskip(SKIP_2) | instid1(VALU_DEP_1)
	v_rcp_iflag_f32_e32 v2, v2
	s_waitcnt_depctr 0xfff
	v_mul_f32_e32 v2, 0x4f7ffffe, v2
	v_cvt_u32_f32_e32 v2, v2
	s_delay_alu instid0(VALU_DEP_1) | instskip(NEXT) | instid1(VALU_DEP_1)
	v_mul_lo_u32 v3, s4, v2
	v_mul_hi_u32 v3, v2, v3
	s_delay_alu instid0(VALU_DEP_1) | instskip(NEXT) | instid1(VALU_DEP_1)
	v_add_nc_u32_e32 v2, v2, v3
	v_mul_hi_u32 v2, s13, v2
	s_delay_alu instid0(VALU_DEP_1) | instskip(NEXT) | instid1(VALU_DEP_1)
	v_mul_lo_u32 v2, v2, s33
	v_sub_nc_u32_e32 v2, s13, v2
	s_delay_alu instid0(VALU_DEP_1) | instskip(SKIP_1) | instid1(VALU_DEP_2)
	v_subrev_nc_u32_e32 v3, s33, v2
	v_cmp_le_u32_e32 vcc_lo, s33, v2
	v_cndmask_b32_e32 v2, v2, v3, vcc_lo
	s_delay_alu instid0(VALU_DEP_1) | instskip(SKIP_1) | instid1(VALU_DEP_2)
	v_subrev_nc_u32_e32 v3, s33, v2
	v_cmp_le_u32_e32 vcc_lo, s33, v2
	v_cndmask_b32_e32 v12, v2, v3, vcc_lo
	s_delay_alu instid0(VALU_DEP_1)
	v_dual_mov_b32 v2, v12 :: v_dual_mov_b32 v3, v13
.LBB13_204:                             ;   in Loop: Header=BB13_17 Depth=1
	s_delay_alu instid0(VALU_DEP_1) | instskip(NEXT) | instid1(VALU_DEP_2)
	v_sub_co_u32 v2, vcc_lo, s13, v2
	v_sub_co_ci_u32_e32 v3, vcc_lo, s5, v3, vcc_lo
	s_mov_b32 s4, 0
	s_mov_b32 s5, exec_lo
                                        ; implicit-def: $vgpr39
	s_delay_alu instid0(VALU_DEP_1)
	v_cmpx_gt_i64_e64 v[2:3], v[0:1]
	s_cbranch_execz .LBB13_213
; %bb.205:                              ;   in Loop: Header=BB13_17 Depth=1
	v_dual_mov_b32 v6, v0 :: v_dual_mov_b32 v5, v1
	v_mov_b32_e32 v4, v0
	s_mov_b32 s13, 0
                                        ; implicit-def: $sgpr22
	s_set_inst_prefetch_distance 0x1
	s_branch .LBB13_207
	.p2align	6
.LBB13_206:                             ;   in Loop: Header=BB13_207 Depth=2
	s_or_b32 exec_lo, exec_lo, s4
	s_waitcnt lgkmcnt(0)
	s_barrier
	buffer_gl0_inv
	ds_load_u16 v7, v13 offset:3072
	v_add_co_u32 v4, vcc_lo, v4, s33
	v_add_co_ci_u32_e32 v5, vcc_lo, 0, v5, vcc_lo
	v_add_nc_u32_e32 v6, s33, v6
	s_waitcnt lgkmcnt(0)
	s_barrier
	s_delay_alu instid0(VALU_DEP_2) | instskip(SKIP_2) | instid1(VALU_DEP_1)
	v_cmp_ge_i64_e32 vcc_lo, v[4:5], v[2:3]
	buffer_gl0_inv
	v_and_b32_e32 v8, 0xff, v7
	v_cmp_ne_u16_e64 s4, 0, v8
	s_delay_alu instid0(VALU_DEP_1) | instskip(NEXT) | instid1(SALU_CYCLE_1)
	s_or_b32 s23, s4, vcc_lo
	s_and_b32 s23, exec_lo, s23
	s_delay_alu instid0(SALU_CYCLE_1) | instskip(SKIP_2) | instid1(SALU_CYCLE_1)
	s_or_b32 s13, s23, s13
	s_and_not1_b32 s22, s22, exec_lo
	s_and_b32 s4, s4, exec_lo
	s_or_b32 s22, s22, s4
	s_and_not1_b32 exec_lo, exec_lo, s13
	s_cbranch_execz .LBB13_212
.LBB13_207:                             ;   Parent Loop BB13_17 Depth=1
                                        ; =>  This Inner Loop Header: Depth=2
	s_delay_alu instid0(VALU_DEP_1)
	v_cmp_gt_i64_e32 vcc_lo, s[10:11], v[4:5]
	v_mov_b32_e32 v7, 0
	s_and_saveexec_b32 s4, vcc_lo
	s_cbranch_execz .LBB13_209
; %bb.208:                              ;   in Loop: Header=BB13_207 Depth=2
	ds_load_u8 v7, v6
.LBB13_209:                             ;   in Loop: Header=BB13_207 Depth=2
	s_or_b32 exec_lo, exec_lo, s4
	s_and_saveexec_b32 s4, vcc_lo
	s_cbranch_execz .LBB13_206
; %bb.210:                              ;   in Loop: Header=BB13_207 Depth=2
	s_waitcnt lgkmcnt(0)
	v_bfe_i32 v8, v7, 0, 8
	s_delay_alu instid0(VALU_DEP_1) | instskip(NEXT) | instid1(VALU_DEP_1)
	v_add_nc_u32_e32 v8, 0x80, v8
	v_and_b32_e32 v8, s94, v8
	s_delay_alu instid0(VALU_DEP_1)
	v_cmp_eq_u32_e32 vcc_lo, s95, v8
	s_and_b32 exec_lo, exec_lo, vcc_lo
	s_cbranch_execz .LBB13_206
; %bb.211:                              ;   in Loop: Header=BB13_207 Depth=2
	v_lshlrev_b16 v7, 8, v7
	s_delay_alu instid0(VALU_DEP_1)
	v_or_b32_e32 v7, 1, v7
	ds_store_b16 v13, v7 offset:3072
	s_branch .LBB13_206
.LBB13_212:                             ;   in Loop: Header=BB13_17 Depth=1
	s_set_inst_prefetch_distance 0x2
	s_or_b32 exec_lo, exec_lo, s13
	v_lshrrev_b16 v39, 8, v7
	s_and_b32 s4, s22, exec_lo
.LBB13_213:                             ;   in Loop: Header=BB13_17 Depth=1
	s_or_b32 exec_lo, exec_lo, s5
	s_mov_b32 s23, -1
	s_mov_b32 s13, 0
	s_mov_b32 s22, 0
.LBB13_214:                             ;   in Loop: Header=BB13_17 Depth=1
	s_mov_b32 s5, 0
                                        ; implicit-def: $sgpr58
	s_and_saveexec_b32 s10, s4
	s_cbranch_execz .LBB13_276
; %bb.215:                              ;   in Loop: Header=BB13_17 Depth=1
	s_xor_b32 s4, s54, -1
	s_mov_b32 s58, 1
	s_and_not1_b32 vcc_lo, exec_lo, s4
	s_cbranch_vccnz .LBB13_226
; %bb.216:                              ;   in Loop: Header=BB13_17 Depth=1
	v_cmp_gt_i64_e64 s4, s[26:27], s[8:9]
                                        ; implicit-def: $sgpr58
                                        ; implicit-def: $sgpr5
                                        ; implicit-def: $sgpr11
	s_delay_alu instid0(VALU_DEP_1)
	s_and_b32 vcc_lo, exec_lo, s4
	s_mov_b32 s4, -1
	s_cbranch_vccnz .LBB13_222
; %bb.217:                              ;   in Loop: Header=BB13_17 Depth=1
	ds_load_b64 v[2:3], v13 offset:5120
	s_waitcnt lgkmcnt(0)
	v_cmp_ne_u64_e32 vcc_lo, 0, v[2:3]
	s_cbranch_vccnz .LBB13_221
; %bb.218:                              ;   in Loop: Header=BB13_17 Depth=1
	s_and_saveexec_b32 s4, s2
	s_cbranch_execz .LBB13_220
; %bb.219:                              ;   in Loop: Header=BB13_17 Depth=1
	v_dual_mov_b32 v2, s8 :: v_dual_mov_b32 v3, s9
	ds_store_b64 v13, v[2:3] offset:5128
.LBB13_220:                             ;   in Loop: Header=BB13_17 Depth=1
	s_or_b32 exec_lo, exec_lo, s4
	s_waitcnt lgkmcnt(0)
	s_barrier
	buffer_gl0_inv
.LBB13_221:                             ;   in Loop: Header=BB13_17 Depth=1
	s_lshl_b32 s4, 2, s17
	s_and_b32 s5, s95, s18
	s_or_b32 s11, s94, s16
	s_or_b32 s5, s5, s4
	s_mov_b32 s4, 0
	s_mov_b32 s58, 8
.LBB13_222:                             ;   in Loop: Header=BB13_17 Depth=1
	s_and_not1_b32 vcc_lo, exec_lo, s4
	s_cbranch_vccnz .LBB13_224
; %bb.223:                              ;   in Loop: Header=BB13_17 Depth=1
	s_sub_u32 s26, s26, s8
	s_subb_u32 s27, s27, s9
	s_mov_b32 s4, -1
	s_mov_b32 s58, 0
	s_mov_b32 s5, s95
	;; [unrolled: 1-line block ×3, first 2 shown]
.LBB13_224:                             ;   in Loop: Header=BB13_17 Depth=1
	s_delay_alu instid0(SALU_CYCLE_1)
	s_mov_b32 s94, s11
	s_mov_b32 s95, s5
	s_and_not1_b32 vcc_lo, exec_lo, s4
	s_mov_b32 s9, -1
	s_cbranch_vccz .LBB13_227
.LBB13_225:                             ;   in Loop: Header=BB13_17 Depth=1
                                        ; implicit-def: $sgpr17
                                        ; implicit-def: $sgpr54
                                        ; implicit-def: $sgpr18
	s_branch .LBB13_275
.LBB13_226:                             ;   in Loop: Header=BB13_17 Depth=1
	s_mov_b64 s[26:27], 1
	s_mov_b32 s9, -1
	s_cbranch_execnz .LBB13_225
.LBB13_227:                             ;   in Loop: Header=BB13_17 Depth=1
	s_cmp_eq_u64 s[6:7], 1
	s_mov_b32 s64, -1
	s_cselect_b32 s4, -1, 0
	s_cmp_eq_u64 s[26:27], 1
	s_cselect_b32 s5, -1, 0
	s_delay_alu instid0(SALU_CYCLE_1) | instskip(NEXT) | instid1(SALU_CYCLE_1)
	s_and_b32 s11, s4, s5
	s_and_b32 vcc_lo, exec_lo, s11
	s_cbranch_vccz .LBB13_242
; %bb.228:                              ;   in Loop: Header=BB13_17 Depth=1
	ds_load_b64 v[2:3], v13 offset:5120
	s_waitcnt lgkmcnt(0)
	s_barrier
	buffer_gl0_inv
	v_readfirstlane_b32 s8, v2
	v_readfirstlane_b32 s9, v3
	s_and_saveexec_b32 s4, s3
	s_cbranch_execz .LBB13_230
; %bb.229:                              ;   in Loop: Header=BB13_17 Depth=1
	ds_store_b8 v0, v13 offset:3072
.LBB13_230:                             ;   in Loop: Header=BB13_17 Depth=1
	s_or_b32 exec_lo, exec_lo, s4
	s_delay_alu instid0(VALU_DEP_1)
	v_cmp_gt_i64_e64 s4, s[8:9], 0
	s_or_b32 s95, s95, s16
	s_or_b32 s94, s94, s16
	s_waitcnt lgkmcnt(0)
	s_barrier
	buffer_gl0_inv
	s_and_b32 vcc_lo, exec_lo, s4
	s_cbranch_vccnz .LBB13_245
; %bb.231:                              ;   in Loop: Header=BB13_17 Depth=1
	s_mov_b32 s58, s55
	s_delay_alu instid0(SALU_CYCLE_1)
	s_cmp_lg_u64 s[58:59], 0
	s_cbranch_scc0 .LBB13_281
; %bb.232:                              ;   in Loop: Header=BB13_17 Depth=1
	v_cvt_f32_u32_e32 v2, s33
	s_sub_u32 s17, 0, s33
	s_subb_u32 s18, 0, 0
	s_delay_alu instid0(VALU_DEP_1) | instskip(NEXT) | instid1(VALU_DEP_1)
	v_fmac_f32_e32 v2, 0x4f800000, v38
	v_rcp_f32_e32 v2, v2
	s_waitcnt_depctr 0xfff
	v_mul_f32_e32 v2, 0x5f7ffffc, v2
	s_delay_alu instid0(VALU_DEP_1) | instskip(NEXT) | instid1(VALU_DEP_1)
	v_mul_f32_e32 v3, 0x2f800000, v2
	v_trunc_f32_e32 v3, v3
	s_delay_alu instid0(VALU_DEP_1) | instskip(SKIP_1) | instid1(VALU_DEP_2)
	v_fmac_f32_e32 v2, 0xcf800000, v3
	v_cvt_u32_f32_e32 v3, v3
	v_cvt_u32_f32_e32 v2, v2
	s_delay_alu instid0(VALU_DEP_2) | instskip(NEXT) | instid1(VALU_DEP_2)
	v_readfirstlane_b32 s4, v3
	v_readfirstlane_b32 s5, v2
	s_delay_alu instid0(VALU_DEP_2) | instskip(NEXT) | instid1(VALU_DEP_1)
	s_mul_i32 s54, s17, s4
	s_mul_hi_u32 s64, s17, s5
	s_mul_i32 s58, s18, s5
	s_add_i32 s54, s64, s54
	s_mul_i32 s65, s17, s5
	s_add_i32 s54, s54, s58
	s_mul_hi_u32 s64, s5, s65
	s_mul_hi_u32 s66, s4, s65
	s_mul_i32 s58, s4, s65
	s_mul_hi_u32 s65, s5, s54
	s_mul_i32 s5, s5, s54
	s_mul_hi_u32 s67, s4, s54
	s_add_u32 s5, s64, s5
	s_addc_u32 s64, 0, s65
	s_add_u32 s5, s5, s58
	s_mul_i32 s54, s4, s54
	s_addc_u32 s5, s64, s66
	s_addc_u32 s58, s67, 0
	s_add_u32 s5, s5, s54
	s_addc_u32 s54, 0, s58
	v_add_co_u32 v2, s5, v2, s5
	s_delay_alu instid0(VALU_DEP_1) | instskip(SKIP_1) | instid1(VALU_DEP_1)
	s_cmp_lg_u32 s5, 0
	s_addc_u32 s4, s4, s54
	v_readfirstlane_b32 s5, v2
	s_mul_i32 s54, s17, s4
	s_delay_alu instid0(VALU_DEP_1)
	s_mul_hi_u32 s58, s17, s5
	s_mul_i32 s18, s18, s5
	s_add_i32 s54, s58, s54
	s_mul_i32 s17, s17, s5
	s_add_i32 s54, s54, s18
	s_mul_hi_u32 s58, s4, s17
	s_mul_i32 s64, s4, s17
	s_mul_hi_u32 s17, s5, s17
	s_mul_hi_u32 s65, s5, s54
	s_mul_i32 s5, s5, s54
	s_mul_hi_u32 s18, s4, s54
	s_add_u32 s5, s17, s5
	s_addc_u32 s17, 0, s65
	s_add_u32 s5, s5, s64
	s_mul_i32 s54, s4, s54
	s_addc_u32 s5, s17, s58
	s_addc_u32 s17, s18, 0
	s_add_u32 s5, s5, s54
	s_addc_u32 s17, 0, s17
	v_add_co_u32 v2, s5, v2, s5
	s_delay_alu instid0(VALU_DEP_1) | instskip(SKIP_2) | instid1(VALU_DEP_1)
	s_cmp_lg_u32 s5, 0
	s_addc_u32 s17, s4, s17
	s_ashr_i32 s64, s59, 31
	v_readfirstlane_b32 s18, v2
	s_add_u32 s4, s80, s64
	s_mov_b32 s65, s64
	s_addc_u32 s5, s59, s64
	s_delay_alu instid0(SALU_CYCLE_1) | instskip(NEXT) | instid1(SALU_CYCLE_1)
	s_xor_b64 s[4:5], s[4:5], s[64:65]
	s_mul_i32 s58, s4, s17
	s_mul_hi_u32 s65, s4, s18
	s_mul_hi_u32 s54, s4, s17
	;; [unrolled: 1-line block ×3, first 2 shown]
	s_mul_i32 s18, s5, s18
	s_add_u32 s58, s65, s58
	s_addc_u32 s54, 0, s54
	s_mul_hi_u32 s66, s5, s17
	s_add_u32 s18, s58, s18
	s_mul_i32 s17, s5, s17
	s_addc_u32 s18, s54, s67
	s_addc_u32 s54, s66, 0
	s_add_u32 s17, s18, s17
	s_addc_u32 s18, 0, s54
	s_mul_hi_u32 s54, s33, s17
	s_mul_i32 s17, s33, s17
	s_mul_i32 s18, s33, s18
	v_sub_co_u32 v2, s4, s4, s17
	s_add_i32 s54, s54, s18
	s_cmp_lg_u32 s4, 0
	s_delay_alu instid0(VALU_DEP_1) | instskip(SKIP_2) | instid1(VALU_DEP_1)
	v_sub_co_u32 v3, s4, v2, s33
	s_subb_u32 s5, s5, s54
	s_cmp_lg_u32 s4, 0
	v_cmp_le_u32_e32 vcc_lo, s33, v3
	v_sub_co_u32 v4, s4, v3, s33
	s_subb_u32 s17, s5, 0
	s_cmp_lg_u32 s4, 0
	v_cndmask_b32_e64 v5, 0, -1, vcc_lo
	s_subb_u32 s4, s17, 0
	s_cmp_eq_u32 s17, 0
	v_mov_b32_e32 v7, s4
	s_cselect_b32 vcc_lo, -1, 0
	s_cmp_eq_u32 s5, 0
	v_cndmask_b32_e32 v5, -1, v5, vcc_lo
	v_cmp_le_u32_e32 vcc_lo, s33, v2
	s_cselect_b32 s4, -1, 0
	v_cndmask_b32_e64 v6, 0, -1, vcc_lo
	s_delay_alu instid0(VALU_DEP_3) | instskip(NEXT) | instid1(VALU_DEP_2)
	v_cmp_ne_u32_e32 vcc_lo, 0, v5
	v_cndmask_b32_e64 v5, -1, v6, s4
	v_cndmask_b32_e32 v3, v3, v4, vcc_lo
	v_cndmask_b32_e32 v6, s17, v7, vcc_lo
	s_delay_alu instid0(VALU_DEP_3) | instskip(NEXT) | instid1(VALU_DEP_3)
	v_cmp_ne_u32_e32 vcc_lo, 0, v5
	v_cndmask_b32_e32 v2, v2, v3, vcc_lo
	s_delay_alu instid0(VALU_DEP_3) | instskip(NEXT) | instid1(VALU_DEP_2)
	v_cndmask_b32_e32 v4, s5, v6, vcc_lo
	v_xor_b32_e32 v2, s64, v2
	s_delay_alu instid0(VALU_DEP_2) | instskip(NEXT) | instid1(VALU_DEP_2)
	v_xor_b32_e32 v3, s64, v4
	v_sub_co_u32 v2, vcc_lo, v2, s64
	s_delay_alu instid0(VALU_DEP_2)
	v_subrev_co_ci_u32_e32 v3, vcc_lo, s64, v3, vcc_lo
	s_cbranch_execnz .LBB13_234
.LBB13_233:                             ;   in Loop: Header=BB13_17 Depth=1
	v_cvt_f32_u32_e32 v2, s33
	s_sub_i32 s4, 0, s33
	s_delay_alu instid0(VALU_DEP_1) | instskip(SKIP_2) | instid1(VALU_DEP_1)
	v_rcp_iflag_f32_e32 v2, v2
	s_waitcnt_depctr 0xfff
	v_mul_f32_e32 v2, 0x4f7ffffe, v2
	v_cvt_u32_f32_e32 v2, v2
	s_delay_alu instid0(VALU_DEP_1) | instskip(NEXT) | instid1(VALU_DEP_1)
	v_mul_lo_u32 v3, s4, v2
	v_mul_hi_u32 v3, v2, v3
	s_delay_alu instid0(VALU_DEP_1) | instskip(NEXT) | instid1(VALU_DEP_1)
	v_add_nc_u32_e32 v2, v2, v3
	v_mul_hi_u32 v2, s80, v2
	s_delay_alu instid0(VALU_DEP_1) | instskip(NEXT) | instid1(VALU_DEP_1)
	v_mul_lo_u32 v2, v2, s33
	v_sub_nc_u32_e32 v2, s80, v2
	s_delay_alu instid0(VALU_DEP_1) | instskip(SKIP_1) | instid1(VALU_DEP_2)
	v_subrev_nc_u32_e32 v3, s33, v2
	v_cmp_le_u32_e32 vcc_lo, s33, v2
	v_cndmask_b32_e32 v2, v2, v3, vcc_lo
	s_delay_alu instid0(VALU_DEP_1) | instskip(SKIP_1) | instid1(VALU_DEP_2)
	v_subrev_nc_u32_e32 v3, s33, v2
	v_cmp_le_u32_e32 vcc_lo, s33, v2
	v_cndmask_b32_e32 v12, v2, v3, vcc_lo
	s_delay_alu instid0(VALU_DEP_1)
	v_dual_mov_b32 v2, v12 :: v_dual_mov_b32 v3, v13
.LBB13_234:                             ;   in Loop: Header=BB13_17 Depth=1
	s_delay_alu instid0(VALU_DEP_1) | instskip(NEXT) | instid1(VALU_DEP_2)
	v_sub_co_u32 v2, vcc_lo, s80, v2
	v_sub_co_ci_u32_e32 v3, vcc_lo, s59, v3, vcc_lo
	s_mov_b32 s64, 0
	s_mov_b32 s5, exec_lo
                                        ; implicit-def: $vgpr39
	s_delay_alu instid0(VALU_DEP_1)
	v_cmpx_gt_i64_e64 v[2:3], v[0:1]
	s_cbranch_execz .LBB13_247
; %bb.235:                              ;   in Loop: Header=BB13_17 Depth=1
	v_dual_mov_b32 v4, v10 :: v_dual_mov_b32 v5, v11
	v_dual_mov_b32 v7, v1 :: v_dual_mov_b32 v6, v0
	s_mov_b32 s17, 0
                                        ; implicit-def: $sgpr18
	s_set_inst_prefetch_distance 0x1
	s_branch .LBB13_237
	.p2align	6
.LBB13_236:                             ;   in Loop: Header=BB13_237 Depth=2
	s_or_b32 exec_lo, exec_lo, s4
	s_waitcnt vmcnt(0) lgkmcnt(0)
	s_barrier
	buffer_gl0_inv
	ds_load_u16 v8, v13 offset:3072
	v_add_co_u32 v6, vcc_lo, v6, s33
	v_add_co_ci_u32_e32 v7, vcc_lo, 0, v7, vcc_lo
	s_waitcnt lgkmcnt(0)
	s_barrier
	buffer_gl0_inv
	v_cmp_ge_i64_e32 vcc_lo, v[6:7], v[2:3]
	v_and_b32_e32 v9, 0xff, v8
	s_delay_alu instid0(VALU_DEP_1) | instskip(NEXT) | instid1(VALU_DEP_1)
	v_cmp_ne_u16_e64 s4, 0, v9
	s_or_b32 s54, s4, vcc_lo
	v_add_co_u32 v4, vcc_lo, v4, s74
	s_and_b32 s54, exec_lo, s54
	v_add_co_ci_u32_e32 v5, vcc_lo, s35, v5, vcc_lo
	s_or_b32 s17, s54, s17
	s_and_not1_b32 s18, s18, exec_lo
	s_and_b32 s4, s4, exec_lo
	s_delay_alu instid0(SALU_CYCLE_1)
	s_or_b32 s18, s18, s4
	s_and_not1_b32 exec_lo, exec_lo, s17
	s_cbranch_execz .LBB13_246
.LBB13_237:                             ;   Parent Loop BB13_17 Depth=1
                                        ; =>  This Inner Loop Header: Depth=2
	s_delay_alu instid0(VALU_DEP_1)
	v_cmp_gt_i64_e32 vcc_lo, s[24:25], v[6:7]
	v_mov_b32_e32 v8, 0
	s_and_saveexec_b32 s4, vcc_lo
	s_cbranch_execz .LBB13_239
; %bb.238:                              ;   in Loop: Header=BB13_237 Depth=2
	global_load_u8 v8, v[4:5], off
.LBB13_239:                             ;   in Loop: Header=BB13_237 Depth=2
	s_or_b32 exec_lo, exec_lo, s4
	s_and_saveexec_b32 s4, vcc_lo
	s_cbranch_execz .LBB13_236
; %bb.240:                              ;   in Loop: Header=BB13_237 Depth=2
	s_waitcnt vmcnt(0)
	v_bfe_i32 v9, v8, 0, 8
	s_delay_alu instid0(VALU_DEP_1) | instskip(NEXT) | instid1(VALU_DEP_1)
	v_add_nc_u32_e32 v9, 0x80, v9
	v_and_b32_e32 v9, s94, v9
	s_delay_alu instid0(VALU_DEP_1)
	v_cmp_eq_u32_e32 vcc_lo, s95, v9
	s_and_b32 exec_lo, exec_lo, vcc_lo
	s_cbranch_execz .LBB13_236
; %bb.241:                              ;   in Loop: Header=BB13_237 Depth=2
	v_lshlrev_b16 v8, 8, v8
	s_delay_alu instid0(VALU_DEP_1)
	v_or_b32_e32 v8, 1, v8
	ds_store_b16 v13, v8 offset:3072
	s_branch .LBB13_236
.LBB13_242:                             ;   in Loop: Header=BB13_17 Depth=1
                                        ; implicit-def: $sgpr17
                                        ; implicit-def: $sgpr54
                                        ; implicit-def: $sgpr18
	s_branch .LBB13_261
.LBB13_243:                             ;   in Loop: Header=BB13_17 Depth=1
                                        ; implicit-def: $vgpr2_vgpr3
	s_branch .LBB13_186
.LBB13_244:                             ;   in Loop: Header=BB13_17 Depth=1
                                        ; implicit-def: $vgpr2_vgpr3
	s_branch .LBB13_203
.LBB13_245:                             ;   in Loop: Header=BB13_17 Depth=1
	s_mov_b32 s17, -1
	s_mov_b32 s64, 0
                                        ; implicit-def: $sgpr18
                                        ; implicit-def: $vgpr39
	s_mov_b32 s54, s17
	s_cbranch_execnz .LBB13_248
	s_branch .LBB13_261
.LBB13_246:                             ;   in Loop: Header=BB13_17 Depth=1
	s_set_inst_prefetch_distance 0x2
	s_or_b32 exec_lo, exec_lo, s17
	v_lshrrev_b16 v39, 8, v8
	s_and_b32 s64, s18, exec_lo
.LBB13_247:                             ;   in Loop: Header=BB13_17 Depth=1
	s_or_b32 exec_lo, exec_lo, s5
	s_mov_b32 s18, -1
	s_mov_b32 s17, 0
	s_delay_alu instid0(SALU_CYCLE_1)
	s_mov_b32 s54, s17
	s_branch .LBB13_261
.LBB13_248:                             ;   in Loop: Header=BB13_17 Depth=1
	s_add_u32 s17, s78, s8
	s_addc_u32 s5, s79, s9
	s_mov_b32 s4, s55
	s_delay_alu instid0(SALU_CYCLE_1)
	s_cmp_lg_u64 s[4:5], 0
	s_cbranch_scc0 .LBB13_282
; %bb.249:                              ;   in Loop: Header=BB13_17 Depth=1
	v_cvt_f32_u32_e32 v2, s33
	s_sub_u32 s54, 0, s33
	s_subb_u32 s58, 0, 0
	s_delay_alu instid0(VALU_DEP_1) | instskip(NEXT) | instid1(VALU_DEP_1)
	v_fmac_f32_e32 v2, 0x4f800000, v38
	v_rcp_f32_e32 v2, v2
	s_waitcnt_depctr 0xfff
	v_mul_f32_e32 v2, 0x5f7ffffc, v2
	s_delay_alu instid0(VALU_DEP_1) | instskip(NEXT) | instid1(VALU_DEP_1)
	v_mul_f32_e32 v3, 0x2f800000, v2
	v_trunc_f32_e32 v3, v3
	s_delay_alu instid0(VALU_DEP_1) | instskip(SKIP_1) | instid1(VALU_DEP_2)
	v_fmac_f32_e32 v2, 0xcf800000, v3
	v_cvt_u32_f32_e32 v3, v3
	v_cvt_u32_f32_e32 v2, v2
	s_delay_alu instid0(VALU_DEP_2) | instskip(NEXT) | instid1(VALU_DEP_2)
	v_readfirstlane_b32 s4, v3
	v_readfirstlane_b32 s18, v2
	s_delay_alu instid0(VALU_DEP_2) | instskip(NEXT) | instid1(VALU_DEP_1)
	s_mul_i32 s64, s54, s4
	s_mul_hi_u32 s66, s54, s18
	s_mul_i32 s65, s58, s18
	s_add_i32 s64, s66, s64
	s_mul_i32 s67, s54, s18
	s_add_i32 s64, s64, s65
	s_mul_hi_u32 s66, s18, s67
	s_mul_hi_u32 s68, s4, s67
	s_mul_i32 s65, s4, s67
	s_mul_hi_u32 s67, s18, s64
	s_mul_i32 s18, s18, s64
	s_mul_hi_u32 s69, s4, s64
	s_add_u32 s18, s66, s18
	s_addc_u32 s66, 0, s67
	s_add_u32 s18, s18, s65
	s_mul_i32 s64, s4, s64
	s_addc_u32 s18, s66, s68
	s_addc_u32 s65, s69, 0
	s_add_u32 s18, s18, s64
	s_addc_u32 s64, 0, s65
	v_add_co_u32 v2, s18, v2, s18
	s_delay_alu instid0(VALU_DEP_1) | instskip(SKIP_1) | instid1(VALU_DEP_1)
	s_cmp_lg_u32 s18, 0
	s_addc_u32 s4, s4, s64
	v_readfirstlane_b32 s18, v2
	s_mul_i32 s64, s54, s4
	s_delay_alu instid0(VALU_DEP_1)
	s_mul_hi_u32 s65, s54, s18
	s_mul_i32 s58, s58, s18
	s_add_i32 s64, s65, s64
	s_mul_i32 s54, s54, s18
	s_add_i32 s64, s64, s58
	s_mul_hi_u32 s65, s4, s54
	s_mul_i32 s66, s4, s54
	s_mul_hi_u32 s54, s18, s54
	s_mul_hi_u32 s67, s18, s64
	s_mul_i32 s18, s18, s64
	s_mul_hi_u32 s58, s4, s64
	s_add_u32 s18, s54, s18
	s_addc_u32 s54, 0, s67
	s_add_u32 s18, s18, s66
	s_mul_i32 s64, s4, s64
	s_addc_u32 s18, s54, s65
	s_addc_u32 s54, s58, 0
	s_add_u32 s18, s18, s64
	s_addc_u32 s54, 0, s54
	v_add_co_u32 v2, s18, v2, s18
	s_delay_alu instid0(VALU_DEP_1) | instskip(SKIP_2) | instid1(VALU_DEP_1)
	s_cmp_lg_u32 s18, 0
	s_addc_u32 s4, s4, s54
	s_ashr_i32 s64, s5, 31
	v_readfirstlane_b32 s18, v2
	s_add_u32 s66, s17, s64
	s_mov_b32 s65, s64
	s_addc_u32 s67, s5, s64
	s_delay_alu instid0(SALU_CYCLE_1) | instskip(NEXT) | instid1(SALU_CYCLE_1)
	s_xor_b64 s[66:67], s[66:67], s[64:65]
	s_mul_i32 s58, s66, s4
	s_mul_hi_u32 s65, s66, s18
	s_mul_hi_u32 s54, s66, s4
	;; [unrolled: 1-line block ×3, first 2 shown]
	s_mul_i32 s18, s67, s18
	s_add_u32 s58, s65, s58
	s_addc_u32 s54, 0, s54
	s_mul_hi_u32 s68, s67, s4
	s_add_u32 s18, s58, s18
	s_mul_i32 s4, s67, s4
	s_addc_u32 s18, s54, s69
	s_addc_u32 s54, s68, 0
	s_add_u32 s4, s18, s4
	s_addc_u32 s18, 0, s54
	s_mul_hi_u32 s54, s33, s4
	s_mul_i32 s4, s33, s4
	s_mul_i32 s18, s33, s18
	v_sub_co_u32 v2, s4, s66, s4
	s_add_i32 s54, s54, s18
	s_cmp_lg_u32 s4, 0
	s_delay_alu instid0(VALU_DEP_1) | instskip(SKIP_2) | instid1(VALU_DEP_1)
	v_sub_co_u32 v3, s4, v2, s33
	s_subb_u32 s18, s67, s54
	s_cmp_lg_u32 s4, 0
	v_cmp_le_u32_e32 vcc_lo, s33, v3
	v_sub_co_u32 v4, s4, v3, s33
	s_subb_u32 s54, s18, 0
	s_cmp_lg_u32 s4, 0
	v_cndmask_b32_e64 v5, 0, -1, vcc_lo
	s_subb_u32 s4, s54, 0
	s_cmp_eq_u32 s54, 0
	v_mov_b32_e32 v7, s4
	s_cselect_b32 vcc_lo, -1, 0
	s_cmp_eq_u32 s18, 0
	v_cndmask_b32_e32 v5, -1, v5, vcc_lo
	v_cmp_le_u32_e32 vcc_lo, s33, v2
	s_cselect_b32 s4, -1, 0
	v_cndmask_b32_e64 v6, 0, -1, vcc_lo
	s_delay_alu instid0(VALU_DEP_3) | instskip(NEXT) | instid1(VALU_DEP_2)
	v_cmp_ne_u32_e32 vcc_lo, 0, v5
	v_cndmask_b32_e64 v5, -1, v6, s4
	v_cndmask_b32_e32 v3, v3, v4, vcc_lo
	v_cndmask_b32_e32 v6, s54, v7, vcc_lo
	s_delay_alu instid0(VALU_DEP_3) | instskip(NEXT) | instid1(VALU_DEP_3)
	v_cmp_ne_u32_e32 vcc_lo, 0, v5
	v_cndmask_b32_e32 v2, v2, v3, vcc_lo
	s_delay_alu instid0(VALU_DEP_3) | instskip(NEXT) | instid1(VALU_DEP_2)
	v_cndmask_b32_e32 v4, s18, v6, vcc_lo
	v_xor_b32_e32 v2, s64, v2
	s_delay_alu instid0(VALU_DEP_2) | instskip(NEXT) | instid1(VALU_DEP_2)
	v_xor_b32_e32 v3, s64, v4
	v_sub_co_u32 v2, vcc_lo, v2, s64
	s_delay_alu instid0(VALU_DEP_2)
	v_subrev_co_ci_u32_e32 v3, vcc_lo, s64, v3, vcc_lo
	s_cbranch_execnz .LBB13_251
.LBB13_250:                             ;   in Loop: Header=BB13_17 Depth=1
	v_cvt_f32_u32_e32 v2, s33
	s_sub_i32 s4, 0, s33
	s_delay_alu instid0(VALU_DEP_1) | instskip(SKIP_2) | instid1(VALU_DEP_1)
	v_rcp_iflag_f32_e32 v2, v2
	s_waitcnt_depctr 0xfff
	v_mul_f32_e32 v2, 0x4f7ffffe, v2
	v_cvt_u32_f32_e32 v2, v2
	s_delay_alu instid0(VALU_DEP_1) | instskip(NEXT) | instid1(VALU_DEP_1)
	v_mul_lo_u32 v3, s4, v2
	v_mul_hi_u32 v3, v2, v3
	s_delay_alu instid0(VALU_DEP_1) | instskip(NEXT) | instid1(VALU_DEP_1)
	v_add_nc_u32_e32 v2, v2, v3
	v_mul_hi_u32 v2, s17, v2
	s_delay_alu instid0(VALU_DEP_1) | instskip(NEXT) | instid1(VALU_DEP_1)
	v_mul_lo_u32 v2, v2, s33
	v_sub_nc_u32_e32 v2, s17, v2
	s_delay_alu instid0(VALU_DEP_1) | instskip(SKIP_1) | instid1(VALU_DEP_2)
	v_subrev_nc_u32_e32 v3, s33, v2
	v_cmp_le_u32_e32 vcc_lo, s33, v2
	v_cndmask_b32_e32 v2, v2, v3, vcc_lo
	s_delay_alu instid0(VALU_DEP_1) | instskip(SKIP_1) | instid1(VALU_DEP_2)
	v_subrev_nc_u32_e32 v3, s33, v2
	v_cmp_le_u32_e32 vcc_lo, s33, v2
	v_cndmask_b32_e32 v12, v2, v3, vcc_lo
	s_delay_alu instid0(VALU_DEP_1)
	v_dual_mov_b32 v2, v12 :: v_dual_mov_b32 v3, v13
.LBB13_251:                             ;   in Loop: Header=BB13_17 Depth=1
	s_delay_alu instid0(VALU_DEP_1) | instskip(NEXT) | instid1(VALU_DEP_2)
	v_sub_co_u32 v2, vcc_lo, s17, v2
	v_sub_co_ci_u32_e32 v3, vcc_lo, s5, v3, vcc_lo
	s_mov_b32 s64, 0
	s_mov_b32 s5, exec_lo
                                        ; implicit-def: $vgpr39
	s_delay_alu instid0(VALU_DEP_1)
	v_cmpx_gt_i64_e64 v[2:3], v[0:1]
	s_cbranch_execz .LBB13_260
; %bb.252:                              ;   in Loop: Header=BB13_17 Depth=1
	v_dual_mov_b32 v6, v0 :: v_dual_mov_b32 v5, v1
	v_mov_b32_e32 v4, v0
	s_mov_b32 s17, 0
                                        ; implicit-def: $sgpr18
	s_set_inst_prefetch_distance 0x1
	s_branch .LBB13_254
	.p2align	6
.LBB13_253:                             ;   in Loop: Header=BB13_254 Depth=2
	s_or_b32 exec_lo, exec_lo, s4
	s_waitcnt lgkmcnt(0)
	s_barrier
	buffer_gl0_inv
	ds_load_u16 v7, v13 offset:3072
	v_add_co_u32 v4, vcc_lo, v4, s33
	v_add_co_ci_u32_e32 v5, vcc_lo, 0, v5, vcc_lo
	v_add_nc_u32_e32 v6, s33, v6
	s_waitcnt lgkmcnt(0)
	s_barrier
	s_delay_alu instid0(VALU_DEP_2) | instskip(SKIP_2) | instid1(VALU_DEP_1)
	v_cmp_ge_i64_e32 vcc_lo, v[4:5], v[2:3]
	buffer_gl0_inv
	v_and_b32_e32 v8, 0xff, v7
	v_cmp_ne_u16_e64 s4, 0, v8
	s_delay_alu instid0(VALU_DEP_1) | instskip(NEXT) | instid1(SALU_CYCLE_1)
	s_or_b32 s54, s4, vcc_lo
	s_and_b32 s54, exec_lo, s54
	s_delay_alu instid0(SALU_CYCLE_1) | instskip(SKIP_2) | instid1(SALU_CYCLE_1)
	s_or_b32 s17, s54, s17
	s_and_not1_b32 s18, s18, exec_lo
	s_and_b32 s4, s4, exec_lo
	s_or_b32 s18, s18, s4
	s_and_not1_b32 exec_lo, exec_lo, s17
	s_cbranch_execz .LBB13_259
.LBB13_254:                             ;   Parent Loop BB13_17 Depth=1
                                        ; =>  This Inner Loop Header: Depth=2
	s_delay_alu instid0(VALU_DEP_1)
	v_cmp_gt_i64_e32 vcc_lo, s[8:9], v[4:5]
	v_mov_b32_e32 v7, 0
	s_and_saveexec_b32 s4, vcc_lo
	s_cbranch_execz .LBB13_256
; %bb.255:                              ;   in Loop: Header=BB13_254 Depth=2
	ds_load_u8 v7, v6
.LBB13_256:                             ;   in Loop: Header=BB13_254 Depth=2
	s_or_b32 exec_lo, exec_lo, s4
	s_and_saveexec_b32 s4, vcc_lo
	s_cbranch_execz .LBB13_253
; %bb.257:                              ;   in Loop: Header=BB13_254 Depth=2
	s_waitcnt lgkmcnt(0)
	v_bfe_i32 v8, v7, 0, 8
	s_delay_alu instid0(VALU_DEP_1) | instskip(NEXT) | instid1(VALU_DEP_1)
	v_add_nc_u32_e32 v8, 0x80, v8
	v_and_b32_e32 v8, s94, v8
	s_delay_alu instid0(VALU_DEP_1)
	v_cmp_eq_u32_e32 vcc_lo, s95, v8
	s_and_b32 exec_lo, exec_lo, vcc_lo
	s_cbranch_execz .LBB13_253
; %bb.258:                              ;   in Loop: Header=BB13_254 Depth=2
	v_lshlrev_b16 v7, 8, v7
	s_delay_alu instid0(VALU_DEP_1)
	v_or_b32_e32 v7, 1, v7
	ds_store_b16 v13, v7 offset:3072
	s_branch .LBB13_253
.LBB13_259:                             ;   in Loop: Header=BB13_17 Depth=1
	s_set_inst_prefetch_distance 0x2
	s_or_b32 exec_lo, exec_lo, s17
	v_lshrrev_b16 v39, 8, v7
	s_and_b32 s64, s18, exec_lo
.LBB13_260:                             ;   in Loop: Header=BB13_17 Depth=1
	s_or_b32 exec_lo, exec_lo, s5
	s_mov_b32 s54, -1
	s_mov_b32 s17, 0
	s_mov_b32 s18, 0
.LBB13_261:                             ;   in Loop: Header=BB13_17 Depth=1
	s_mov_b32 s9, 0
                                        ; implicit-def: $sgpr58
                                        ; implicit-def: $sgpr4_sgpr5
	s_and_saveexec_b32 s8, s64
	s_cbranch_execz .LBB13_274
; %bb.262:                              ;   in Loop: Header=BB13_17 Depth=1
	s_xor_b32 s9, s11, -1
	s_mov_b64 s[4:5], 1
	s_and_not1_b32 vcc_lo, exec_lo, s9
	s_mov_b32 s58, 1
	s_cbranch_vccnz .LBB13_273
; %bb.263:                              ;   in Loop: Header=BB13_17 Depth=1
	v_cmp_gt_i64_e64 s4, s[26:27], s[6:7]
	s_delay_alu instid0(VALU_DEP_1)
	s_and_b32 vcc_lo, exec_lo, s4
	s_cbranch_vccnz .LBB13_269
; %bb.264:                              ;   in Loop: Header=BB13_17 Depth=1
	ds_load_b64 v[2:3], v13 offset:5120
	s_waitcnt lgkmcnt(0)
	v_cmp_ne_u64_e32 vcc_lo, 0, v[2:3]
	s_cbranch_vccnz .LBB13_268
; %bb.265:                              ;   in Loop: Header=BB13_17 Depth=1
	s_and_saveexec_b32 s4, s2
	s_cbranch_execz .LBB13_267
; %bb.266:                              ;   in Loop: Header=BB13_17 Depth=1
	v_dual_mov_b32 v2, s6 :: v_dual_mov_b32 v3, s7
	ds_store_b64 v13, v[2:3] offset:5128
.LBB13_267:                             ;   in Loop: Header=BB13_17 Depth=1
	s_or_b32 exec_lo, exec_lo, s4
	s_waitcnt lgkmcnt(0)
	s_barrier
	buffer_gl0_inv
.LBB13_268:                             ;   in Loop: Header=BB13_17 Depth=1
	s_or_b32 s9, s95, s16
	s_or_b32 s11, s94, s16
	s_mov_b32 s4, 0
	s_mov_b32 s58, 8
	s_branch .LBB13_270
.LBB13_269:                             ;   in Loop: Header=BB13_17 Depth=1
	s_mov_b32 s4, -1
                                        ; implicit-def: $sgpr58
                                        ; implicit-def: $sgpr9
                                        ; implicit-def: $sgpr11
.LBB13_270:                             ;   in Loop: Header=BB13_17 Depth=1
	s_delay_alu instid0(SALU_CYCLE_1)
	s_and_not1_b32 vcc_lo, exec_lo, s4
	s_cbranch_vccnz .LBB13_272
; %bb.271:                              ;   in Loop: Header=BB13_17 Depth=1
	s_sub_u32 s26, s26, s6
	s_subb_u32 s27, s27, s7
	s_mov_b32 s58, 8
	s_mov_b32 s9, s95
	;; [unrolled: 1-line block ×3, first 2 shown]
.LBB13_272:                             ;   in Loop: Header=BB13_17 Depth=1
	s_mov_b64 s[4:5], s[26:27]
	s_mov_b32 s95, s9
	s_mov_b32 s94, s11
.LBB13_273:                             ;   in Loop: Header=BB13_17 Depth=1
	s_mov_b32 s9, exec_lo
.LBB13_274:                             ;   in Loop: Header=BB13_17 Depth=1
	s_or_b32 exec_lo, exec_lo, s8
	s_mov_b64 s[26:27], s[4:5]
.LBB13_275:                             ;   in Loop: Header=BB13_17 Depth=1
	s_and_not1_b32 s4, s13, exec_lo
	s_and_b32 s5, s17, exec_lo
	s_and_not1_b32 s6, s22, exec_lo
	s_or_b32 s13, s4, s5
	s_and_not1_b32 s4, s23, exec_lo
	s_and_b32 s5, s54, exec_lo
	s_and_b32 s7, s18, exec_lo
	s_or_b32 s23, s4, s5
	s_or_b32 s22, s6, s7
	s_and_b32 s5, s9, exec_lo
.LBB13_276:                             ;   in Loop: Header=BB13_17 Depth=1
	s_or_b32 exec_lo, exec_lo, s10
.LBB13_277:                             ;   in Loop: Header=BB13_17 Depth=1
	s_delay_alu instid0(SALU_CYCLE_1)
	s_and_not1_b32 s4, s20, exec_lo
	s_and_b32 s6, s13, exec_lo
	s_and_not1_b32 s7, s19, exec_lo
	s_or_b32 s20, s4, s6
	s_and_not1_b32 s4, s21, exec_lo
	s_and_b32 s6, s23, exec_lo
	s_and_b32 s8, s22, exec_lo
	s_or_b32 s21, s4, s6
	s_or_b32 s19, s7, s8
	s_and_b32 s5, s5, exec_lo
.LBB13_278:                             ;   in Loop: Header=BB13_17 Depth=1
	s_or_b32 exec_lo, exec_lo, s12
	s_and_saveexec_b32 s4, s5
	s_delay_alu instid0(SALU_CYCLE_1)
	s_xor_b32 s4, exec_lo, s4
	s_cbranch_execz .LBB13_15
.LBB13_279:                             ;   in Loop: Header=BB13_17 Depth=1
	s_and_b32 s5, s58, -9
	s_delay_alu instid0(SALU_CYCLE_1)
	s_cmp_eq_u32 s5, 0
	s_cbranch_scc1 .LBB13_13
; %bb.280:                              ;   in Loop: Header=BB13_17 Depth=1
	s_mov_b32 s5, -1
	s_mov_b32 s6, -1
                                        ; implicit-def: $sgpr94
                                        ; implicit-def: $sgpr85
                                        ; implicit-def: $sgpr90
	s_branch .LBB13_14
.LBB13_281:                             ;   in Loop: Header=BB13_17 Depth=1
                                        ; implicit-def: $vgpr2_vgpr3
	s_branch .LBB13_233
.LBB13_282:                             ;   in Loop: Header=BB13_17 Depth=1
                                        ; implicit-def: $vgpr2_vgpr3
	s_branch .LBB13_250
.LBB13_283:
	s_or_b32 exec_lo, exec_lo, s86
	s_xor_b32 s5, s89, -1
	s_xor_b32 s1, s87, -1
	;; [unrolled: 1-line block ×3, first 2 shown]
	s_mov_b32 s3, 0
	s_and_saveexec_b32 s6, s1
	s_delay_alu instid0(SALU_CYCLE_1)
	s_xor_b32 s1, exec_lo, s6
	s_cbranch_execz .LBB13_309
; %bb.284:
	s_and_saveexec_b32 s3, s5
	s_delay_alu instid0(SALU_CYCLE_1)
	s_xor_b32 s3, exec_lo, s3
	s_cbranch_execz .LBB13_307
; %bb.285:
	s_and_saveexec_b32 s5, s4
	s_delay_alu instid0(SALU_CYCLE_1)
	s_xor_b32 s4, exec_lo, s5
; %bb.286:
	v_xor_b32_e32 v39, 0xffffff80, v2
; %bb.287:
	s_or_b32 exec_lo, exec_lo, s4
	s_and_saveexec_b32 s4, s2
	s_cbranch_execz .LBB13_289
; %bb.288:
	v_dual_mov_b32 v2, 0 :: v_dual_mov_b32 v3, s24
	ds_store_b32 v2, v3 offset:5140
.LBB13_289:
	s_or_b32 exec_lo, exec_lo, s4
	s_waitcnt lgkmcnt(0)
	s_barrier
	buffer_gl0_inv
	s_and_saveexec_b32 s4, s0
	s_cbranch_execz .LBB13_304
; %bb.290:
	v_mov_b32_e32 v2, 0
	v_and_b32_e32 v6, 0xff, v39
	s_mov_b32 s5, 0
                                        ; implicit-def: $sgpr6
                                        ; implicit-def: $sgpr7
                                        ; implicit-def: $sgpr8
	ds_load_b32 v4, v2 offset:5140
	s_waitcnt lgkmcnt(0)
	v_ashrrev_i32_e32 v5, 31, v4
	s_set_inst_prefetch_distance 0x1
	s_branch .LBB13_293
	.p2align	6
.LBB13_291:                             ;   in Loop: Header=BB13_293 Depth=1
	s_or_b32 exec_lo, exec_lo, s11
	s_delay_alu instid0(SALU_CYCLE_1)
	s_and_not1_b32 s8, s8, exec_lo
	s_and_b32 s10, s10, exec_lo
	s_and_not1_b32 s7, s7, exec_lo
	s_and_b32 s0, s0, exec_lo
	s_or_b32 s8, s8, s10
	s_or_b32 s7, s7, s0
.LBB13_292:                             ;   in Loop: Header=BB13_293 Depth=1
	s_or_b32 exec_lo, exec_lo, s9
	s_delay_alu instid0(SALU_CYCLE_1) | instskip(NEXT) | instid1(SALU_CYCLE_1)
	s_and_b32 s0, exec_lo, s7
	s_or_b32 s5, s0, s5
	s_and_not1_b32 s0, s6, exec_lo
	s_and_b32 s6, s8, exec_lo
	s_delay_alu instid0(SALU_CYCLE_1)
	s_or_b32 s6, s0, s6
	s_and_not1_b32 exec_lo, exec_lo, s5
	s_cbranch_execz .LBB13_299
.LBB13_293:                             ; =>This Inner Loop Header: Depth=1
	v_dual_mov_b32 v3, v1 :: v_dual_mov_b32 v2, v0
	s_or_b32 s8, s8, exec_lo
	s_or_b32 s7, s7, exec_lo
	s_mov_b32 s9, exec_lo
                                        ; implicit-def: $vgpr0_vgpr1
	s_delay_alu instid0(VALU_DEP_1)
	v_cmpx_lt_i64_e64 v[2:3], v[4:5]
	s_cbranch_execz .LBB13_292
; %bb.294:                              ;   in Loop: Header=BB13_293 Depth=1
	global_load_u8 v0, v[10:11], off
	s_mov_b32 s0, -1
	s_mov_b32 s10, 0
	s_waitcnt vmcnt(0)
	v_cmp_ne_u16_e32 vcc_lo, v0, v6
                                        ; implicit-def: $vgpr0_vgpr1
	s_and_saveexec_b32 s11, vcc_lo
	s_cbranch_execz .LBB13_291
; %bb.295:                              ;   in Loop: Header=BB13_293 Depth=1
	v_add_co_u32 v0, vcc_lo, v2, s33
	v_add_co_ci_u32_e32 v1, vcc_lo, 0, v3, vcc_lo
	v_add_co_u32 v10, s0, v10, s74
	s_delay_alu instid0(VALU_DEP_1) | instskip(NEXT) | instid1(VALU_DEP_3)
	v_add_co_ci_u32_e64 v11, s0, s35, v11, s0
	v_cmp_le_i64_e32 vcc_lo, s[24:25], v[0:1]
	s_mov_b32 s10, exec_lo
	s_or_not1_b32 s0, vcc_lo, exec_lo
	s_branch .LBB13_291
.LBB13_296:
                                        ; implicit-def: $sgpr16_sgpr17
	s_branch .LBB13_3
.LBB13_297:
                                        ; implicit-def: $sgpr46_sgpr47
	s_branch .LBB13_6
.LBB13_298:
                                        ; implicit-def: $sgpr48_sgpr49
	s_load_b64 s[18:19], s[0:1], 0x0
	s_branch .LBB13_9
.LBB13_299:
	s_set_inst_prefetch_distance 0x2
	s_or_b32 exec_lo, exec_lo, s5
	s_xor_b32 s0, s6, -1
	s_delay_alu instid0(SALU_CYCLE_1) | instskip(NEXT) | instid1(SALU_CYCLE_1)
	s_and_saveexec_b32 s5, s0
	s_xor_b32 s5, exec_lo, s5
	s_cbranch_execz .LBB13_304
; %bb.300:
	s_mov_b32 s5, exec_lo
	s_brev_b32 s0, -2
.LBB13_301:                             ; =>This Inner Loop Header: Depth=1
	s_ctz_i32_b32 s6, s5
	s_delay_alu instid0(SALU_CYCLE_1) | instskip(SKIP_1) | instid1(SALU_CYCLE_1)
	v_readlane_b32 s7, v2, s6
	s_lshl_b32 s6, 1, s6
	s_and_not1_b32 s5, s5, s6
	s_delay_alu instid0(VALU_DEP_1)
	s_min_i32 s0, s0, s7
	s_cmp_lg_u32 s5, 0
	s_cbranch_scc1 .LBB13_301
; %bb.302:
	v_mbcnt_lo_u32_b32 v0, exec_lo, 0
	s_mov_b32 s5, exec_lo
	s_delay_alu instid0(VALU_DEP_1)
	v_cmpx_eq_u32_e32 0, v0
	s_xor_b32 s5, exec_lo, s5
	s_cbranch_execz .LBB13_304
; %bb.303:
	v_dual_mov_b32 v0, 0 :: v_dual_mov_b32 v1, s0
	ds_min_i32 v0, v1 offset:5140
.LBB13_304:
	s_or_b32 exec_lo, exec_lo, s4
	s_waitcnt lgkmcnt(0)
	s_barrier
	buffer_gl0_inv
	s_and_saveexec_b32 s0, s2
	s_cbranch_execz .LBB13_306
; %bb.305:
	s_mul_i32 s2, s46, s29
	s_mul_hi_u32 s4, s46, s28
	s_mul_i32 s5, s46, s28
	s_add_i32 s2, s4, s2
	s_mul_i32 s4, s47, s28
	v_mov_b32_e32 v2, 0
	s_add_i32 s2, s2, s4
	s_sub_u32 s4, s34, s5
	s_subb_u32 s2, 0, s2
	s_mul_i32 s5, s4, s43
	s_mul_hi_u32 s6, s4, s42
	s_mul_i32 s2, s2, s42
	s_add_i32 s5, s6, s5
	s_mul_hi_u32 s6, s46, s40
	s_add_i32 s2, s5, s2
	s_mul_i32 s5, s46, s41
	s_mul_hi_u32 s7, s48, s44
	s_add_i32 s5, s6, s5
	s_mul_i32 s6, s48, s45
	ds_load_b32 v0, v2 offset:5140
	s_mul_i32 s8, s47, s40
	s_add_i32 s6, s7, s6
	s_mul_i32 s7, s49, s44
	s_add_i32 s8, s5, s8
	;; [unrolled: 2-line block ×3, first 2 shown]
	s_sub_u32 s10, s34, s5
	s_subb_u32 s6, 0, s6
	s_mul_i32 s5, s10, s39
	s_mul_hi_u32 s7, s10, s38
	s_mul_hi_u32 s11, s48, s36
	s_add_i32 s5, s7, s5
	s_mul_i32 s7, s48, s37
	s_mul_i32 s6, s6, s38
	s_add_i32 s7, s11, s7
	s_mul_i32 s11, s49, s36
	s_mul_i32 s9, s46, s40
	s_add_i32 s5, s5, s6
	s_add_i32 s7, s7, s11
	s_mul_i32 s4, s4, s42
	s_add_u32 s9, s52, s9
	s_mul_i32 s6, s48, s36
	s_addc_u32 s11, s53, s8
	s_add_u32 s8, s9, s4
	s_addc_u32 s9, s11, s2
	s_lshl_b64 s[6:7], s[6:7], 3
	s_mul_i32 s4, s10, s38
	s_add_u32 s2, s50, s6
	s_addc_u32 s6, s51, s7
	s_lshl_b64 s[4:5], s[4:5], 3
	s_waitcnt lgkmcnt(0)
	v_ashrrev_i32_e32 v1, 31, v0
	s_add_u32 s4, s2, s4
	s_addc_u32 s5, s6, s5
	s_clause 0x1
	global_store_b64 v2, v[0:1], s[4:5]
	global_store_b8 v2, v39, s[8:9]
.LBB13_306:
	s_or_b32 exec_lo, exec_lo, s0
.LBB13_307:
	s_or_saveexec_b32 s0, s3
	s_mov_b32 s2, 0
	s_xor_b32 exec_lo, exec_lo, s0
	s_cbranch_execnz .LBB13_315
.LBB13_308:
	s_or_b32 exec_lo, exec_lo, s0
	s_delay_alu instid0(SALU_CYCLE_1)
	s_and_b32 s3, s2, exec_lo
.LBB13_309:
	s_and_not1_saveexec_b32 s0, s1
	s_cbranch_execnz .LBB13_313
; %bb.310:
	s_or_b32 exec_lo, exec_lo, s0
	s_and_saveexec_b32 s0, s3
.LBB13_311:
	; divergent unreachable
.LBB13_312:
	s_nop 0
	s_sendmsg sendmsg(MSG_DEALLOC_VGPRS)
	s_endpgm
.LBB13_313:
	s_cbranch_execnz .LBB13_317
; %bb.314:
	s_or_b32 s3, s3, exec_lo
	s_or_b32 exec_lo, exec_lo, s0
	s_and_saveexec_b32 s0, s3
	s_cbranch_execnz .LBB13_311
	s_branch .LBB13_312
.LBB13_315:
	s_cbranch_execnz .LBB13_319
; %bb.316:
	s_mov_b32 s2, exec_lo
	s_branch .LBB13_308
.LBB13_317:
	s_trap 2
	s_sendmsg_rtn_b32 s0, sendmsg(MSG_RTN_GET_DOORBELL)
	s_mov_b32 ttmp2, m0
	s_waitcnt lgkmcnt(0)
	s_and_b32 s0, s0, 0x3ff
	s_delay_alu instid0(SALU_CYCLE_1) | instskip(NEXT) | instid1(SALU_CYCLE_1)
	s_bitset1_b32 s0, 10
	s_mov_b32 m0, s0
	s_sendmsg sendmsg(MSG_INTERRUPT)
	s_mov_b32 m0, ttmp2
.LBB13_318:                             ; =>This Inner Loop Header: Depth=1
	s_sethalt 5
	s_branch .LBB13_318
.LBB13_319:
	s_trap 2
	s_sendmsg_rtn_b32 s0, sendmsg(MSG_RTN_GET_DOORBELL)
	s_mov_b32 ttmp2, m0
	s_waitcnt lgkmcnt(0)
	s_and_b32 s0, s0, 0x3ff
	s_delay_alu instid0(SALU_CYCLE_1) | instskip(NEXT) | instid1(SALU_CYCLE_1)
	s_bitset1_b32 s0, 10
	s_mov_b32 m0, s0
	s_sendmsg sendmsg(MSG_INTERRUPT)
	s_mov_b32 m0, ttmp2
.LBB13_320:                             ; =>This Inner Loop Header: Depth=1
	s_sethalt 5
	s_branch .LBB13_320
	.section	.rodata,"a",@progbits
	.p2align	6, 0x0
	.amdhsa_kernel _ZN2at6native12_GLOBAL__N_114gatherKthValueIalLi2EEEvNS_4cuda6detail10TensorInfoIKT_T0_EES8_S8_S8_S8_NS5_IS6_S8_EENS5_IlS8_EE
		.amdhsa_group_segment_fixed_size 5144
		.amdhsa_private_segment_fixed_size 0
		.amdhsa_kernarg_size 1536
		.amdhsa_user_sgpr_count 13
		.amdhsa_user_sgpr_dispatch_ptr 0
		.amdhsa_user_sgpr_queue_ptr 0
		.amdhsa_user_sgpr_kernarg_segment_ptr 1
		.amdhsa_user_sgpr_dispatch_id 0
		.amdhsa_user_sgpr_private_segment_size 0
		.amdhsa_wavefront_size32 1
		.amdhsa_uses_dynamic_stack 0
		.amdhsa_enable_private_segment 0
		.amdhsa_system_sgpr_workgroup_id_x 1
		.amdhsa_system_sgpr_workgroup_id_y 1
		.amdhsa_system_sgpr_workgroup_id_z 1
		.amdhsa_system_sgpr_workgroup_info 0
		.amdhsa_system_vgpr_workitem_id 0
		.amdhsa_next_free_vgpr 43
		.amdhsa_next_free_sgpr 98
		.amdhsa_reserve_vcc 1
		.amdhsa_float_round_mode_32 0
		.amdhsa_float_round_mode_16_64 0
		.amdhsa_float_denorm_mode_32 3
		.amdhsa_float_denorm_mode_16_64 3
		.amdhsa_dx10_clamp 1
		.amdhsa_ieee_mode 1
		.amdhsa_fp16_overflow 0
		.amdhsa_workgroup_processor_mode 1
		.amdhsa_memory_ordered 1
		.amdhsa_forward_progress 0
		.amdhsa_shared_vgpr_count 0
		.amdhsa_exception_fp_ieee_invalid_op 0
		.amdhsa_exception_fp_denorm_src 0
		.amdhsa_exception_fp_ieee_div_zero 0
		.amdhsa_exception_fp_ieee_overflow 0
		.amdhsa_exception_fp_ieee_underflow 0
		.amdhsa_exception_fp_ieee_inexact 0
		.amdhsa_exception_int_div_zero 0
	.end_amdhsa_kernel
	.section	.text._ZN2at6native12_GLOBAL__N_114gatherKthValueIalLi2EEEvNS_4cuda6detail10TensorInfoIKT_T0_EES8_S8_S8_S8_NS5_IS6_S8_EENS5_IlS8_EE,"axG",@progbits,_ZN2at6native12_GLOBAL__N_114gatherKthValueIalLi2EEEvNS_4cuda6detail10TensorInfoIKT_T0_EES8_S8_S8_S8_NS5_IS6_S8_EENS5_IlS8_EE,comdat
.Lfunc_end13:
	.size	_ZN2at6native12_GLOBAL__N_114gatherKthValueIalLi2EEEvNS_4cuda6detail10TensorInfoIKT_T0_EES8_S8_S8_S8_NS5_IS6_S8_EENS5_IlS8_EE, .Lfunc_end13-_ZN2at6native12_GLOBAL__N_114gatherKthValueIalLi2EEEvNS_4cuda6detail10TensorInfoIKT_T0_EES8_S8_S8_S8_NS5_IS6_S8_EENS5_IlS8_EE
                                        ; -- End function
	.section	.AMDGPU.csdata,"",@progbits
; Kernel info:
; codeLenInByte = 19740
; NumSgprs: 100
; NumVgprs: 43
; ScratchSize: 0
; MemoryBound: 0
; FloatMode: 240
; IeeeMode: 1
; LDSByteSize: 5144 bytes/workgroup (compile time only)
; SGPRBlocks: 12
; VGPRBlocks: 5
; NumSGPRsForWavesPerEU: 100
; NumVGPRsForWavesPerEU: 43
; Occupancy: 16
; WaveLimiterHint : 1
; COMPUTE_PGM_RSRC2:SCRATCH_EN: 0
; COMPUTE_PGM_RSRC2:USER_SGPR: 13
; COMPUTE_PGM_RSRC2:TRAP_HANDLER: 0
; COMPUTE_PGM_RSRC2:TGID_X_EN: 1
; COMPUTE_PGM_RSRC2:TGID_Y_EN: 1
; COMPUTE_PGM_RSRC2:TGID_Z_EN: 1
; COMPUTE_PGM_RSRC2:TIDIG_COMP_CNT: 0
	.section	.text._ZN2at6native12_GLOBAL__N_114gatherKthValueIalLi3EEEvNS_4cuda6detail10TensorInfoIKT_T0_EES8_S8_S8_S8_NS5_IS6_S8_EENS5_IlS8_EE,"axG",@progbits,_ZN2at6native12_GLOBAL__N_114gatherKthValueIalLi3EEEvNS_4cuda6detail10TensorInfoIKT_T0_EES8_S8_S8_S8_NS5_IS6_S8_EENS5_IlS8_EE,comdat
	.globl	_ZN2at6native12_GLOBAL__N_114gatherKthValueIalLi3EEEvNS_4cuda6detail10TensorInfoIKT_T0_EES8_S8_S8_S8_NS5_IS6_S8_EENS5_IlS8_EE ; -- Begin function _ZN2at6native12_GLOBAL__N_114gatherKthValueIalLi3EEEvNS_4cuda6detail10TensorInfoIKT_T0_EES8_S8_S8_S8_NS5_IS6_S8_EENS5_IlS8_EE
	.p2align	8
	.type	_ZN2at6native12_GLOBAL__N_114gatherKthValueIalLi3EEEvNS_4cuda6detail10TensorInfoIKT_T0_EES8_S8_S8_S8_NS5_IS6_S8_EENS5_IlS8_EE,@function
_ZN2at6native12_GLOBAL__N_114gatherKthValueIalLi3EEEvNS_4cuda6detail10TensorInfoIKT_T0_EES8_S8_S8_S8_NS5_IS6_S8_EENS5_IlS8_EE: ; @_ZN2at6native12_GLOBAL__N_114gatherKthValueIalLi3EEEvNS_4cuda6detail10TensorInfoIKT_T0_EES8_S8_S8_S8_NS5_IS6_S8_EENS5_IlS8_EE
; %bb.0:
	s_clause 0x1
	s_load_b64 s[18:19], s[0:1], 0x500
	s_load_b256 s[24:31], s[0:1], 0x1a0
	s_add_u32 s16, s0, 0x500
	s_addc_u32 s17, s1, 0
	s_mov_b32 s35, 0
	s_waitcnt lgkmcnt(0)
	s_mul_i32 s2, s19, s15
	s_delay_alu instid0(SALU_CYCLE_1) | instskip(NEXT) | instid1(SALU_CYCLE_1)
	s_add_i32 s2, s2, s14
	s_mul_i32 s2, s2, s18
	s_delay_alu instid0(SALU_CYCLE_1) | instskip(NEXT) | instid1(SALU_CYCLE_1)
	s_add_i32 s34, s2, s13
	v_cmp_ge_i64_e64 s2, s[34:35], s[28:29]
	s_delay_alu instid0(VALU_DEP_1)
	s_and_b32 vcc_lo, exec_lo, s2
	s_cbranch_vccnz .LBB14_325
; %bb.1:
	s_load_b128 s[4:7], s[0:1], 0x10
	s_mov_b32 s2, s35
	s_waitcnt lgkmcnt(0)
	s_mov_b32 s3, s7
	s_delay_alu instid0(SALU_CYCLE_1)
	s_cmp_lg_u64 s[2:3], 0
	s_cbranch_scc0 .LBB14_18
; %bb.2:
	s_ashr_i32 s2, s7, 31
	s_delay_alu instid0(SALU_CYCLE_1) | instskip(SKIP_2) | instid1(SALU_CYCLE_1)
	s_add_u32 s8, s6, s2
	s_mov_b32 s3, s2
	s_addc_u32 s9, s7, s2
	s_xor_b64 s[8:9], s[8:9], s[2:3]
	s_delay_alu instid0(SALU_CYCLE_1) | instskip(SKIP_3) | instid1(VALU_DEP_1)
	v_cvt_f32_u32_e32 v1, s8
	v_cvt_f32_u32_e32 v2, s9
	s_sub_u32 s12, 0, s8
	s_subb_u32 s14, 0, s9
	v_fmamk_f32 v1, v2, 0x4f800000, v1
	s_delay_alu instid0(VALU_DEP_1) | instskip(SKIP_2) | instid1(VALU_DEP_1)
	v_rcp_f32_e32 v1, v1
	s_waitcnt_depctr 0xfff
	v_mul_f32_e32 v1, 0x5f7ffffc, v1
	v_mul_f32_e32 v2, 0x2f800000, v1
	s_delay_alu instid0(VALU_DEP_1) | instskip(NEXT) | instid1(VALU_DEP_1)
	v_trunc_f32_e32 v2, v2
	v_fmamk_f32 v1, v2, 0xcf800000, v1
	v_cvt_u32_f32_e32 v2, v2
	s_delay_alu instid0(VALU_DEP_2) | instskip(NEXT) | instid1(VALU_DEP_2)
	v_cvt_u32_f32_e32 v1, v1
	v_readfirstlane_b32 s10, v2
	s_delay_alu instid0(VALU_DEP_2) | instskip(NEXT) | instid1(VALU_DEP_2)
	v_readfirstlane_b32 s11, v1
	s_mul_i32 s15, s12, s10
	s_delay_alu instid0(VALU_DEP_1)
	s_mul_hi_u32 s20, s12, s11
	s_mul_i32 s19, s14, s11
	s_add_i32 s15, s20, s15
	s_mul_i32 s21, s12, s11
	s_add_i32 s15, s15, s19
	s_mul_hi_u32 s20, s11, s21
	s_mul_hi_u32 s22, s10, s21
	s_mul_i32 s19, s10, s21
	s_mul_hi_u32 s21, s11, s15
	s_mul_i32 s11, s11, s15
	s_mul_hi_u32 s23, s10, s15
	s_add_u32 s11, s20, s11
	s_addc_u32 s20, 0, s21
	s_add_u32 s11, s11, s19
	s_mul_i32 s15, s10, s15
	s_addc_u32 s11, s20, s22
	s_addc_u32 s19, s23, 0
	s_add_u32 s11, s11, s15
	s_addc_u32 s15, 0, s19
	v_add_co_u32 v1, s11, v1, s11
	s_delay_alu instid0(VALU_DEP_1) | instskip(SKIP_1) | instid1(VALU_DEP_1)
	s_cmp_lg_u32 s11, 0
	s_addc_u32 s10, s10, s15
	v_readfirstlane_b32 s11, v1
	s_mul_i32 s15, s12, s10
	s_delay_alu instid0(VALU_DEP_1)
	s_mul_hi_u32 s19, s12, s11
	s_mul_i32 s14, s14, s11
	s_add_i32 s15, s19, s15
	s_mul_i32 s12, s12, s11
	s_add_i32 s15, s15, s14
	s_mul_hi_u32 s19, s10, s12
	s_mul_i32 s20, s10, s12
	s_mul_hi_u32 s12, s11, s12
	s_mul_hi_u32 s21, s11, s15
	s_mul_i32 s11, s11, s15
	s_mul_hi_u32 s14, s10, s15
	s_add_u32 s11, s12, s11
	s_addc_u32 s12, 0, s21
	s_add_u32 s11, s11, s20
	s_mul_i32 s15, s10, s15
	s_addc_u32 s11, s12, s19
	s_addc_u32 s12, s14, 0
	s_add_u32 s11, s11, s15
	s_addc_u32 s12, 0, s12
	v_add_co_u32 v1, s11, v1, s11
	s_delay_alu instid0(VALU_DEP_1) | instskip(SKIP_2) | instid1(VALU_DEP_1)
	s_cmp_lg_u32 s11, 0
	s_addc_u32 s12, s10, s12
	s_ashr_i32 s10, 0, 31
	v_readfirstlane_b32 s19, v1
	s_add_u32 s14, s34, s10
	s_mov_b32 s11, s10
	s_addc_u32 s15, 0, s10
	s_delay_alu instid0(SALU_CYCLE_1) | instskip(NEXT) | instid1(SALU_CYCLE_1)
	s_xor_b64 s[14:15], s[14:15], s[10:11]
	s_mul_i32 s21, s14, s12
	s_mul_hi_u32 s22, s14, s19
	s_mul_hi_u32 s20, s14, s12
	;; [unrolled: 1-line block ×3, first 2 shown]
	s_mul_i32 s19, s15, s19
	s_add_u32 s21, s22, s21
	s_addc_u32 s20, 0, s20
	s_mul_hi_u32 s23, s15, s12
	s_add_u32 s19, s21, s19
	s_mul_i32 s12, s15, s12
	s_addc_u32 s19, s20, s28
	s_addc_u32 s20, s23, 0
	s_add_u32 s12, s19, s12
	s_addc_u32 s19, 0, s20
	s_mul_i32 s23, s8, s12
	s_mul_hi_u32 s20, s8, s12
	s_mul_i32 s22, s8, s19
	v_sub_co_u32 v1, s14, s14, s23
	s_mul_i32 s21, s9, s12
	s_add_i32 s20, s20, s22
	s_delay_alu instid0(SALU_CYCLE_1) | instskip(NEXT) | instid1(VALU_DEP_1)
	s_add_i32 s20, s20, s21
	v_sub_co_u32 v2, s22, v1, s8
	s_sub_i32 s21, s15, s20
	s_cmp_lg_u32 s14, 0
	s_subb_u32 s21, s21, s9
	s_cmp_lg_u32 s22, 0
	v_readfirstlane_b32 s22, v2
	s_subb_u32 s21, s21, 0
	s_delay_alu instid0(SALU_CYCLE_1) | instskip(SKIP_1) | instid1(VALU_DEP_1)
	s_cmp_ge_u32 s21, s9
	s_cselect_b32 s23, -1, 0
	s_cmp_ge_u32 s22, s8
	s_cselect_b32 s22, -1, 0
	s_cmp_eq_u32 s21, s9
	s_cselect_b32 s21, s22, s23
	s_add_u32 s22, s12, 1
	s_addc_u32 s23, s19, 0
	s_add_u32 s28, s12, 2
	s_addc_u32 s29, s19, 0
	s_cmp_lg_u32 s21, 0
	s_cselect_b32 s21, s28, s22
	s_cselect_b32 s22, s29, s23
	s_cmp_lg_u32 s14, 0
	v_readfirstlane_b32 s14, v1
	s_subb_u32 s15, s15, s20
	s_delay_alu instid0(SALU_CYCLE_1) | instskip(SKIP_1) | instid1(VALU_DEP_1)
	s_cmp_ge_u32 s15, s9
	s_cselect_b32 s20, -1, 0
	s_cmp_ge_u32 s14, s8
	s_cselect_b32 s8, -1, 0
	s_cmp_eq_u32 s15, s9
	s_cselect_b32 s8, s8, s20
	s_delay_alu instid0(SALU_CYCLE_1) | instskip(SKIP_3) | instid1(SALU_CYCLE_1)
	s_cmp_lg_u32 s8, 0
	s_cselect_b32 s9, s22, s19
	s_cselect_b32 s8, s21, s12
	s_xor_b64 s[2:3], s[10:11], s[2:3]
	s_xor_b64 s[10:11], s[8:9], s[2:3]
	s_delay_alu instid0(SALU_CYCLE_1)
	s_sub_u32 s2, s10, s2
	s_subb_u32 s3, s11, s3
	s_cbranch_execnz .LBB14_4
.LBB14_3:
	v_cvt_f32_u32_e32 v1, s6
	s_sub_i32 s3, 0, s6
	s_delay_alu instid0(VALU_DEP_1) | instskip(SKIP_2) | instid1(VALU_DEP_1)
	v_rcp_iflag_f32_e32 v1, v1
	s_waitcnt_depctr 0xfff
	v_mul_f32_e32 v1, 0x4f7ffffe, v1
	v_cvt_u32_f32_e32 v1, v1
	s_delay_alu instid0(VALU_DEP_1) | instskip(NEXT) | instid1(VALU_DEP_1)
	v_readfirstlane_b32 s2, v1
	s_mul_i32 s3, s3, s2
	s_delay_alu instid0(SALU_CYCLE_1) | instskip(NEXT) | instid1(SALU_CYCLE_1)
	s_mul_hi_u32 s3, s2, s3
	s_add_i32 s2, s2, s3
	s_delay_alu instid0(SALU_CYCLE_1) | instskip(NEXT) | instid1(SALU_CYCLE_1)
	s_mul_hi_u32 s2, s34, s2
	s_mul_i32 s3, s2, s6
	s_add_i32 s8, s2, 1
	s_sub_i32 s3, s34, s3
	s_delay_alu instid0(SALU_CYCLE_1)
	s_sub_i32 s9, s3, s6
	s_cmp_ge_u32 s3, s6
	s_cselect_b32 s2, s8, s2
	s_cselect_b32 s3, s9, s3
	s_add_i32 s8, s2, 1
	s_cmp_ge_u32 s3, s6
	s_mov_b32 s3, 0
	s_cselect_b32 s2, s8, s2
.LBB14_4:
	s_delay_alu instid0(SALU_CYCLE_1) | instskip(SKIP_1) | instid1(SALU_CYCLE_1)
	s_or_b64 s[8:9], s[2:3], s[4:5]
	s_mov_b32 s8, 0
	s_cmp_lg_u64 s[8:9], 0
	s_cbranch_scc0 .LBB14_19
; %bb.5:
	s_ashr_i32 s10, s5, 31
	s_delay_alu instid0(SALU_CYCLE_1) | instskip(SKIP_2) | instid1(SALU_CYCLE_1)
	s_add_u32 s14, s4, s10
	s_mov_b32 s11, s10
	s_addc_u32 s15, s5, s10
	s_xor_b64 s[14:15], s[14:15], s[10:11]
	s_delay_alu instid0(SALU_CYCLE_1) | instskip(SKIP_3) | instid1(VALU_DEP_1)
	v_cvt_f32_u32_e32 v1, s14
	v_cvt_f32_u32_e32 v2, s15
	s_sub_u32 s19, 0, s14
	s_subb_u32 s20, 0, s15
	v_fmamk_f32 v1, v2, 0x4f800000, v1
	s_delay_alu instid0(VALU_DEP_1) | instskip(SKIP_2) | instid1(VALU_DEP_1)
	v_rcp_f32_e32 v1, v1
	s_waitcnt_depctr 0xfff
	v_mul_f32_e32 v1, 0x5f7ffffc, v1
	v_mul_f32_e32 v2, 0x2f800000, v1
	s_delay_alu instid0(VALU_DEP_1) | instskip(NEXT) | instid1(VALU_DEP_1)
	v_trunc_f32_e32 v2, v2
	v_fmamk_f32 v1, v2, 0xcf800000, v1
	v_cvt_u32_f32_e32 v2, v2
	s_delay_alu instid0(VALU_DEP_2) | instskip(NEXT) | instid1(VALU_DEP_2)
	v_cvt_u32_f32_e32 v1, v1
	v_readfirstlane_b32 s9, v2
	s_delay_alu instid0(VALU_DEP_2) | instskip(NEXT) | instid1(VALU_DEP_2)
	v_readfirstlane_b32 s12, v1
	s_mul_i32 s21, s19, s9
	s_delay_alu instid0(VALU_DEP_1)
	s_mul_hi_u32 s23, s19, s12
	s_mul_i32 s22, s20, s12
	s_add_i32 s21, s23, s21
	s_mul_i32 s28, s19, s12
	s_add_i32 s21, s21, s22
	s_mul_hi_u32 s23, s12, s28
	s_mul_hi_u32 s29, s9, s28
	s_mul_i32 s22, s9, s28
	s_mul_hi_u32 s28, s12, s21
	s_mul_i32 s12, s12, s21
	s_mul_hi_u32 s33, s9, s21
	s_add_u32 s12, s23, s12
	s_addc_u32 s23, 0, s28
	s_add_u32 s12, s12, s22
	s_mul_i32 s21, s9, s21
	s_addc_u32 s12, s23, s29
	s_addc_u32 s22, s33, 0
	s_add_u32 s12, s12, s21
	s_addc_u32 s21, 0, s22
	v_add_co_u32 v1, s12, v1, s12
	s_delay_alu instid0(VALU_DEP_1) | instskip(SKIP_1) | instid1(VALU_DEP_1)
	s_cmp_lg_u32 s12, 0
	s_addc_u32 s9, s9, s21
	v_readfirstlane_b32 s12, v1
	s_mul_i32 s21, s19, s9
	s_delay_alu instid0(VALU_DEP_1)
	s_mul_hi_u32 s22, s19, s12
	s_mul_i32 s20, s20, s12
	s_add_i32 s21, s22, s21
	s_mul_i32 s19, s19, s12
	s_add_i32 s21, s21, s20
	s_mul_hi_u32 s22, s9, s19
	s_mul_i32 s23, s9, s19
	s_mul_hi_u32 s19, s12, s19
	s_mul_hi_u32 s28, s12, s21
	s_mul_i32 s12, s12, s21
	s_mul_hi_u32 s20, s9, s21
	s_add_u32 s12, s19, s12
	s_addc_u32 s19, 0, s28
	s_add_u32 s12, s12, s23
	s_mul_i32 s21, s9, s21
	s_addc_u32 s12, s19, s22
	s_addc_u32 s19, s20, 0
	s_add_u32 s12, s12, s21
	s_addc_u32 s19, 0, s19
	v_add_co_u32 v1, s12, v1, s12
	s_delay_alu instid0(VALU_DEP_1) | instskip(SKIP_2) | instid1(VALU_DEP_1)
	s_cmp_lg_u32 s12, 0
	s_addc_u32 s9, s9, s19
	s_ashr_i32 s20, s3, 31
	v_readfirstlane_b32 s12, v1
	s_add_u32 s22, s2, s20
	s_mov_b32 s21, s20
	s_addc_u32 s23, s3, s20
	s_delay_alu instid0(SALU_CYCLE_1) | instskip(NEXT) | instid1(SALU_CYCLE_1)
	s_xor_b64 s[22:23], s[22:23], s[20:21]
	s_mul_i32 s28, s22, s9
	s_mul_hi_u32 s29, s22, s12
	s_mul_hi_u32 s19, s22, s9
	;; [unrolled: 1-line block ×3, first 2 shown]
	s_mul_i32 s12, s23, s12
	s_add_u32 s28, s29, s28
	s_addc_u32 s19, 0, s19
	s_mul_hi_u32 s33, s23, s9
	s_add_u32 s12, s28, s12
	s_mul_i32 s9, s23, s9
	s_addc_u32 s12, s19, s35
	s_addc_u32 s19, s33, 0
	s_add_u32 s9, s12, s9
	s_addc_u32 s12, 0, s19
	s_mul_i32 s33, s14, s9
	s_mul_hi_u32 s19, s14, s9
	s_mul_i32 s29, s14, s12
	v_sub_co_u32 v1, s22, s22, s33
	s_mul_i32 s28, s15, s9
	s_add_i32 s19, s19, s29
	s_delay_alu instid0(SALU_CYCLE_1) | instskip(NEXT) | instid1(VALU_DEP_1)
	s_add_i32 s19, s19, s28
	v_sub_co_u32 v2, s29, v1, s14
	s_sub_i32 s28, s23, s19
	s_cmp_lg_u32 s22, 0
	s_subb_u32 s28, s28, s15
	s_cmp_lg_u32 s29, 0
	v_readfirstlane_b32 s29, v2
	s_subb_u32 s28, s28, 0
	s_delay_alu instid0(SALU_CYCLE_1) | instskip(SKIP_1) | instid1(VALU_DEP_1)
	s_cmp_ge_u32 s28, s15
	s_cselect_b32 s33, -1, 0
	s_cmp_ge_u32 s29, s14
	s_cselect_b32 s29, -1, 0
	s_cmp_eq_u32 s28, s15
	s_cselect_b32 s28, s29, s33
	s_add_u32 s29, s9, 1
	s_addc_u32 s33, s12, 0
	s_add_u32 s35, s9, 2
	s_addc_u32 s36, s12, 0
	s_cmp_lg_u32 s28, 0
	s_cselect_b32 s28, s35, s29
	s_cselect_b32 s29, s36, s33
	s_cmp_lg_u32 s22, 0
	v_readfirstlane_b32 s22, v1
	s_subb_u32 s19, s23, s19
	s_delay_alu instid0(SALU_CYCLE_1) | instskip(SKIP_1) | instid1(VALU_DEP_1)
	s_cmp_ge_u32 s19, s15
	s_cselect_b32 s23, -1, 0
	s_cmp_ge_u32 s22, s14
	s_cselect_b32 s14, -1, 0
	s_cmp_eq_u32 s19, s15
	s_cselect_b32 s14, s14, s23
	s_delay_alu instid0(SALU_CYCLE_1) | instskip(SKIP_3) | instid1(SALU_CYCLE_1)
	s_cmp_lg_u32 s14, 0
	s_cselect_b32 s15, s29, s12
	s_cselect_b32 s14, s28, s9
	s_xor_b64 s[10:11], s[20:21], s[10:11]
	s_xor_b64 s[14:15], s[14:15], s[10:11]
	s_delay_alu instid0(SALU_CYCLE_1)
	s_sub_u32 s14, s14, s10
	s_subb_u32 s15, s15, s11
	s_load_b128 s[36:39], s[0:1], 0x1d0
	s_and_not1_b32 vcc_lo, exec_lo, s8
	s_cbranch_vccnz .LBB14_7
.LBB14_6:
	v_cvt_f32_u32_e32 v1, s4
	s_sub_i32 s9, 0, s4
	s_mov_b32 s15, 0
	s_delay_alu instid0(VALU_DEP_1) | instskip(SKIP_2) | instid1(VALU_DEP_1)
	v_rcp_iflag_f32_e32 v1, v1
	s_waitcnt_depctr 0xfff
	v_mul_f32_e32 v1, 0x4f7ffffe, v1
	v_cvt_u32_f32_e32 v1, v1
	s_delay_alu instid0(VALU_DEP_1) | instskip(NEXT) | instid1(VALU_DEP_1)
	v_readfirstlane_b32 s8, v1
	s_mul_i32 s9, s9, s8
	s_delay_alu instid0(SALU_CYCLE_1) | instskip(NEXT) | instid1(SALU_CYCLE_1)
	s_mul_hi_u32 s9, s8, s9
	s_add_i32 s8, s8, s9
	s_delay_alu instid0(SALU_CYCLE_1) | instskip(NEXT) | instid1(SALU_CYCLE_1)
	s_mul_hi_u32 s8, s2, s8
	s_mul_i32 s9, s8, s4
	s_add_i32 s10, s8, 1
	s_sub_i32 s9, s2, s9
	s_delay_alu instid0(SALU_CYCLE_1)
	s_sub_i32 s11, s9, s4
	s_cmp_ge_u32 s9, s4
	s_cselect_b32 s8, s10, s8
	s_cselect_b32 s9, s11, s9
	s_add_i32 s10, s8, 1
	s_cmp_ge_u32 s9, s4
	s_cselect_b32 s14, s10, s8
.LBB14_7:
	s_mov_b32 s8, 0
	s_waitcnt lgkmcnt(0)
	s_mov_b32 s9, s39
	s_delay_alu instid0(SALU_CYCLE_1)
	s_cmp_lg_u64 s[8:9], 0
	s_cbranch_scc0 .LBB14_20
; %bb.8:
	s_ashr_i32 s10, s39, 31
	s_delay_alu instid0(SALU_CYCLE_1) | instskip(SKIP_2) | instid1(SALU_CYCLE_1)
	s_add_u32 s20, s38, s10
	s_mov_b32 s11, s10
	s_addc_u32 s21, s39, s10
	s_xor_b64 s[20:21], s[20:21], s[10:11]
	s_delay_alu instid0(SALU_CYCLE_1) | instskip(SKIP_3) | instid1(VALU_DEP_1)
	v_cvt_f32_u32_e32 v1, s20
	v_cvt_f32_u32_e32 v2, s21
	s_sub_u32 s19, 0, s20
	s_subb_u32 s22, 0, s21
	v_fmamk_f32 v1, v2, 0x4f800000, v1
	s_delay_alu instid0(VALU_DEP_1) | instskip(SKIP_2) | instid1(VALU_DEP_1)
	v_rcp_f32_e32 v1, v1
	s_waitcnt_depctr 0xfff
	v_mul_f32_e32 v1, 0x5f7ffffc, v1
	v_mul_f32_e32 v2, 0x2f800000, v1
	s_delay_alu instid0(VALU_DEP_1) | instskip(NEXT) | instid1(VALU_DEP_1)
	v_trunc_f32_e32 v2, v2
	v_fmamk_f32 v1, v2, 0xcf800000, v1
	v_cvt_u32_f32_e32 v2, v2
	s_delay_alu instid0(VALU_DEP_2) | instskip(NEXT) | instid1(VALU_DEP_2)
	v_cvt_u32_f32_e32 v1, v1
	v_readfirstlane_b32 s9, v2
	s_delay_alu instid0(VALU_DEP_2) | instskip(NEXT) | instid1(VALU_DEP_2)
	v_readfirstlane_b32 s12, v1
	s_mul_i32 s23, s19, s9
	s_delay_alu instid0(VALU_DEP_1)
	s_mul_hi_u32 s29, s19, s12
	s_mul_i32 s28, s22, s12
	s_add_i32 s23, s29, s23
	s_mul_i32 s33, s19, s12
	s_add_i32 s23, s23, s28
	s_mul_hi_u32 s29, s12, s33
	s_mul_hi_u32 s35, s9, s33
	s_mul_i32 s28, s9, s33
	s_mul_hi_u32 s33, s12, s23
	s_mul_i32 s12, s12, s23
	s_mul_hi_u32 s40, s9, s23
	s_add_u32 s12, s29, s12
	s_addc_u32 s29, 0, s33
	s_add_u32 s12, s12, s28
	s_mul_i32 s23, s9, s23
	s_addc_u32 s12, s29, s35
	s_addc_u32 s28, s40, 0
	s_add_u32 s12, s12, s23
	s_addc_u32 s23, 0, s28
	v_add_co_u32 v1, s12, v1, s12
	s_delay_alu instid0(VALU_DEP_1) | instskip(SKIP_1) | instid1(VALU_DEP_1)
	s_cmp_lg_u32 s12, 0
	s_addc_u32 s9, s9, s23
	v_readfirstlane_b32 s12, v1
	s_mul_i32 s23, s19, s9
	s_delay_alu instid0(VALU_DEP_1)
	s_mul_hi_u32 s28, s19, s12
	s_mul_i32 s22, s22, s12
	s_add_i32 s23, s28, s23
	s_mul_i32 s19, s19, s12
	s_add_i32 s23, s23, s22
	s_mul_hi_u32 s28, s9, s19
	s_mul_i32 s29, s9, s19
	s_mul_hi_u32 s19, s12, s19
	s_mul_hi_u32 s33, s12, s23
	s_mul_i32 s12, s12, s23
	s_mul_hi_u32 s22, s9, s23
	s_add_u32 s12, s19, s12
	s_addc_u32 s19, 0, s33
	s_add_u32 s12, s12, s29
	s_mul_i32 s23, s9, s23
	s_addc_u32 s12, s19, s28
	s_addc_u32 s19, s22, 0
	s_add_u32 s12, s12, s23
	s_addc_u32 s19, 0, s19
	v_add_co_u32 v1, s12, v1, s12
	s_delay_alu instid0(VALU_DEP_1) | instskip(SKIP_2) | instid1(VALU_DEP_1)
	s_cmp_lg_u32 s12, 0
	s_addc_u32 s9, s9, s19
	s_ashr_i32 s22, 0, 31
	v_readfirstlane_b32 s12, v1
	s_add_u32 s28, s34, s22
	s_mov_b32 s23, s22
	s_addc_u32 s29, 0, s22
	s_delay_alu instid0(SALU_CYCLE_1) | instskip(NEXT) | instid1(SALU_CYCLE_1)
	s_xor_b64 s[28:29], s[28:29], s[22:23]
	s_mul_i32 s33, s28, s9
	s_mul_hi_u32 s35, s28, s12
	s_mul_hi_u32 s19, s28, s9
	;; [unrolled: 1-line block ×3, first 2 shown]
	s_mul_i32 s12, s29, s12
	s_add_u32 s33, s35, s33
	s_addc_u32 s19, 0, s19
	s_mul_hi_u32 s40, s29, s9
	s_add_u32 s12, s33, s12
	s_mul_i32 s9, s29, s9
	s_addc_u32 s12, s19, s41
	s_addc_u32 s19, s40, 0
	s_add_u32 s9, s12, s9
	s_addc_u32 s12, 0, s19
	s_mul_i32 s40, s20, s9
	s_mul_hi_u32 s19, s20, s9
	s_mul_i32 s35, s20, s12
	v_sub_co_u32 v1, s28, s28, s40
	s_mul_i32 s33, s21, s9
	s_add_i32 s19, s19, s35
	s_delay_alu instid0(SALU_CYCLE_1) | instskip(NEXT) | instid1(VALU_DEP_1)
	s_add_i32 s19, s19, s33
	v_sub_co_u32 v2, s35, v1, s20
	s_sub_i32 s33, s29, s19
	s_cmp_lg_u32 s28, 0
	s_subb_u32 s33, s33, s21
	s_cmp_lg_u32 s35, 0
	v_readfirstlane_b32 s35, v2
	s_subb_u32 s33, s33, 0
	s_delay_alu instid0(SALU_CYCLE_1) | instskip(SKIP_1) | instid1(VALU_DEP_1)
	s_cmp_ge_u32 s33, s21
	s_cselect_b32 s40, -1, 0
	s_cmp_ge_u32 s35, s20
	s_cselect_b32 s35, -1, 0
	s_cmp_eq_u32 s33, s21
	s_cselect_b32 s33, s35, s40
	s_add_u32 s35, s9, 1
	s_addc_u32 s40, s12, 0
	s_add_u32 s41, s9, 2
	s_addc_u32 s42, s12, 0
	s_cmp_lg_u32 s33, 0
	s_cselect_b32 s33, s41, s35
	s_cselect_b32 s35, s42, s40
	s_cmp_lg_u32 s28, 0
	v_readfirstlane_b32 s28, v1
	s_subb_u32 s19, s29, s19
	s_delay_alu instid0(SALU_CYCLE_1) | instskip(SKIP_1) | instid1(VALU_DEP_1)
	s_cmp_ge_u32 s19, s21
	s_cselect_b32 s29, -1, 0
	s_cmp_ge_u32 s28, s20
	s_cselect_b32 s20, -1, 0
	s_cmp_eq_u32 s19, s21
	s_cselect_b32 s19, s20, s29
	s_delay_alu instid0(SALU_CYCLE_1) | instskip(SKIP_3) | instid1(SALU_CYCLE_1)
	s_cmp_lg_u32 s19, 0
	s_cselect_b32 s21, s35, s12
	s_cselect_b32 s20, s33, s9
	s_xor_b64 s[10:11], s[22:23], s[10:11]
	s_xor_b64 s[20:21], s[20:21], s[10:11]
	s_delay_alu instid0(SALU_CYCLE_1)
	s_sub_u32 s28, s20, s10
	s_subb_u32 s29, s21, s11
	s_and_not1_b32 vcc_lo, exec_lo, s8
	s_cbranch_vccnz .LBB14_10
.LBB14_9:
	v_cvt_f32_u32_e32 v1, s38
	s_sub_i32 s9, 0, s38
	s_mov_b32 s29, 0
	s_delay_alu instid0(VALU_DEP_1) | instskip(SKIP_2) | instid1(VALU_DEP_1)
	v_rcp_iflag_f32_e32 v1, v1
	s_waitcnt_depctr 0xfff
	v_mul_f32_e32 v1, 0x4f7ffffe, v1
	v_cvt_u32_f32_e32 v1, v1
	s_delay_alu instid0(VALU_DEP_1) | instskip(NEXT) | instid1(VALU_DEP_1)
	v_readfirstlane_b32 s8, v1
	s_mul_i32 s9, s9, s8
	s_delay_alu instid0(SALU_CYCLE_1) | instskip(NEXT) | instid1(SALU_CYCLE_1)
	s_mul_hi_u32 s9, s8, s9
	s_add_i32 s8, s8, s9
	s_delay_alu instid0(SALU_CYCLE_1) | instskip(NEXT) | instid1(SALU_CYCLE_1)
	s_mul_hi_u32 s8, s34, s8
	s_mul_i32 s9, s8, s38
	s_add_i32 s10, s8, 1
	s_sub_i32 s9, s34, s9
	s_delay_alu instid0(SALU_CYCLE_1)
	s_sub_i32 s11, s9, s38
	s_cmp_ge_u32 s9, s38
	s_cselect_b32 s8, s10, s8
	s_cselect_b32 s9, s11, s9
	s_add_i32 s10, s8, 1
	s_cmp_ge_u32 s9, s38
	s_cselect_b32 s28, s10, s8
.LBB14_10:
	s_delay_alu instid0(SALU_CYCLE_1) | instskip(SKIP_1) | instid1(SALU_CYCLE_1)
	s_or_b64 s[8:9], s[28:29], s[36:37]
	s_mov_b32 s8, 0
	s_cmp_lg_u64 s[8:9], 0
	s_cbranch_scc0 .LBB14_21
; %bb.11:
	s_ashr_i32 s10, s37, 31
	s_delay_alu instid0(SALU_CYCLE_1) | instskip(SKIP_2) | instid1(SALU_CYCLE_1)
	s_add_u32 s20, s36, s10
	s_mov_b32 s11, s10
	s_addc_u32 s21, s37, s10
	s_xor_b64 s[20:21], s[20:21], s[10:11]
	s_delay_alu instid0(SALU_CYCLE_1) | instskip(SKIP_3) | instid1(VALU_DEP_1)
	v_cvt_f32_u32_e32 v1, s20
	v_cvt_f32_u32_e32 v2, s21
	s_sub_u32 s19, 0, s20
	s_subb_u32 s22, 0, s21
	v_fmamk_f32 v1, v2, 0x4f800000, v1
	s_delay_alu instid0(VALU_DEP_1) | instskip(SKIP_2) | instid1(VALU_DEP_1)
	v_rcp_f32_e32 v1, v1
	s_waitcnt_depctr 0xfff
	v_mul_f32_e32 v1, 0x5f7ffffc, v1
	v_mul_f32_e32 v2, 0x2f800000, v1
	s_delay_alu instid0(VALU_DEP_1) | instskip(NEXT) | instid1(VALU_DEP_1)
	v_trunc_f32_e32 v2, v2
	v_fmamk_f32 v1, v2, 0xcf800000, v1
	v_cvt_u32_f32_e32 v2, v2
	s_delay_alu instid0(VALU_DEP_2) | instskip(NEXT) | instid1(VALU_DEP_2)
	v_cvt_u32_f32_e32 v1, v1
	v_readfirstlane_b32 s9, v2
	s_delay_alu instid0(VALU_DEP_2) | instskip(NEXT) | instid1(VALU_DEP_2)
	v_readfirstlane_b32 s12, v1
	s_mul_i32 s23, s19, s9
	s_delay_alu instid0(VALU_DEP_1)
	s_mul_hi_u32 s35, s19, s12
	s_mul_i32 s33, s22, s12
	s_add_i32 s23, s35, s23
	s_mul_i32 s40, s19, s12
	s_add_i32 s23, s23, s33
	s_mul_hi_u32 s35, s12, s40
	s_mul_hi_u32 s41, s9, s40
	s_mul_i32 s33, s9, s40
	s_mul_hi_u32 s40, s12, s23
	s_mul_i32 s12, s12, s23
	s_mul_hi_u32 s42, s9, s23
	s_add_u32 s12, s35, s12
	s_addc_u32 s35, 0, s40
	s_add_u32 s12, s12, s33
	s_mul_i32 s23, s9, s23
	s_addc_u32 s12, s35, s41
	s_addc_u32 s33, s42, 0
	s_add_u32 s12, s12, s23
	s_addc_u32 s23, 0, s33
	v_add_co_u32 v1, s12, v1, s12
	s_delay_alu instid0(VALU_DEP_1) | instskip(SKIP_1) | instid1(VALU_DEP_1)
	s_cmp_lg_u32 s12, 0
	s_addc_u32 s9, s9, s23
	v_readfirstlane_b32 s12, v1
	s_mul_i32 s23, s19, s9
	s_delay_alu instid0(VALU_DEP_1)
	s_mul_hi_u32 s33, s19, s12
	s_mul_i32 s22, s22, s12
	s_add_i32 s23, s33, s23
	s_mul_i32 s19, s19, s12
	s_add_i32 s23, s23, s22
	s_mul_hi_u32 s33, s9, s19
	s_mul_i32 s35, s9, s19
	s_mul_hi_u32 s19, s12, s19
	s_mul_hi_u32 s40, s12, s23
	s_mul_i32 s12, s12, s23
	s_mul_hi_u32 s22, s9, s23
	s_add_u32 s12, s19, s12
	s_addc_u32 s19, 0, s40
	s_add_u32 s12, s12, s35
	s_mul_i32 s23, s9, s23
	s_addc_u32 s12, s19, s33
	s_addc_u32 s19, s22, 0
	s_add_u32 s12, s12, s23
	s_addc_u32 s19, 0, s19
	v_add_co_u32 v1, s12, v1, s12
	s_delay_alu instid0(VALU_DEP_1) | instskip(SKIP_2) | instid1(VALU_DEP_1)
	s_cmp_lg_u32 s12, 0
	s_addc_u32 s9, s9, s19
	s_ashr_i32 s22, s29, 31
	v_readfirstlane_b32 s12, v1
	s_add_u32 s40, s28, s22
	s_mov_b32 s23, s22
	s_addc_u32 s41, s29, s22
	s_delay_alu instid0(SALU_CYCLE_1) | instskip(NEXT) | instid1(SALU_CYCLE_1)
	s_xor_b64 s[40:41], s[40:41], s[22:23]
	s_mul_i32 s33, s40, s9
	s_mul_hi_u32 s35, s40, s12
	s_mul_hi_u32 s19, s40, s9
	;; [unrolled: 1-line block ×3, first 2 shown]
	s_mul_i32 s12, s41, s12
	s_add_u32 s33, s35, s33
	s_addc_u32 s19, 0, s19
	s_mul_hi_u32 s42, s41, s9
	s_add_u32 s12, s33, s12
	s_mul_i32 s9, s41, s9
	s_addc_u32 s12, s19, s43
	s_addc_u32 s19, s42, 0
	s_add_u32 s9, s12, s9
	s_addc_u32 s12, 0, s19
	s_mul_hi_u32 s19, s20, s9
	s_mul_i32 s35, s20, s12
	s_mul_i32 s42, s20, s9
	s_add_i32 s19, s19, s35
	v_sub_co_u32 v1, s35, s40, s42
	s_mul_i32 s33, s21, s9
	s_delay_alu instid0(SALU_CYCLE_1) | instskip(NEXT) | instid1(VALU_DEP_1)
	s_add_i32 s19, s19, s33
	v_sub_co_u32 v2, s40, v1, s20
	s_sub_i32 s33, s41, s19
	s_cmp_lg_u32 s35, 0
	s_subb_u32 s33, s33, s21
	s_cmp_lg_u32 s40, 0
	v_readfirstlane_b32 s40, v2
	s_subb_u32 s33, s33, 0
	s_delay_alu instid0(SALU_CYCLE_1) | instskip(SKIP_1) | instid1(VALU_DEP_1)
	s_cmp_ge_u32 s33, s21
	s_cselect_b32 s42, -1, 0
	s_cmp_ge_u32 s40, s20
	s_cselect_b32 s40, -1, 0
	s_cmp_eq_u32 s33, s21
	s_cselect_b32 s33, s40, s42
	s_add_u32 s40, s9, 1
	s_addc_u32 s42, s12, 0
	s_add_u32 s43, s9, 2
	s_addc_u32 s44, s12, 0
	s_cmp_lg_u32 s33, 0
	s_cselect_b32 s33, s43, s40
	s_cselect_b32 s40, s44, s42
	s_cmp_lg_u32 s35, 0
	v_readfirstlane_b32 s35, v1
	s_subb_u32 s19, s41, s19
	s_delay_alu instid0(SALU_CYCLE_1) | instskip(SKIP_1) | instid1(VALU_DEP_1)
	s_cmp_ge_u32 s19, s21
	s_cselect_b32 s41, -1, 0
	s_cmp_ge_u32 s35, s20
	s_cselect_b32 s20, -1, 0
	s_cmp_eq_u32 s19, s21
	s_cselect_b32 s19, s20, s41
	s_delay_alu instid0(SALU_CYCLE_1) | instskip(SKIP_3) | instid1(SALU_CYCLE_1)
	s_cmp_lg_u32 s19, 0
	s_cselect_b32 s21, s40, s12
	s_cselect_b32 s20, s33, s9
	s_xor_b64 s[10:11], s[22:23], s[10:11]
	s_xor_b64 s[20:21], s[20:21], s[10:11]
	s_delay_alu instid0(SALU_CYCLE_1)
	s_sub_u32 s52, s20, s10
	s_subb_u32 s53, s21, s11
	s_load_b128 s[40:43], s[0:1], 0x370
	s_and_not1_b32 vcc_lo, exec_lo, s8
	s_cbranch_vccnz .LBB14_13
.LBB14_12:
	v_cvt_f32_u32_e32 v1, s36
	s_sub_i32 s9, 0, s36
	s_mov_b32 s53, 0
	s_delay_alu instid0(VALU_DEP_1) | instskip(SKIP_2) | instid1(VALU_DEP_1)
	v_rcp_iflag_f32_e32 v1, v1
	s_waitcnt_depctr 0xfff
	v_mul_f32_e32 v1, 0x4f7ffffe, v1
	v_cvt_u32_f32_e32 v1, v1
	s_delay_alu instid0(VALU_DEP_1) | instskip(NEXT) | instid1(VALU_DEP_1)
	v_readfirstlane_b32 s8, v1
	s_mul_i32 s9, s9, s8
	s_delay_alu instid0(SALU_CYCLE_1) | instskip(NEXT) | instid1(SALU_CYCLE_1)
	s_mul_hi_u32 s9, s8, s9
	s_add_i32 s8, s8, s9
	s_delay_alu instid0(SALU_CYCLE_1) | instskip(NEXT) | instid1(SALU_CYCLE_1)
	s_mul_hi_u32 s8, s28, s8
	s_mul_i32 s9, s8, s36
	s_add_i32 s10, s8, 1
	s_sub_i32 s9, s28, s9
	s_delay_alu instid0(SALU_CYCLE_1)
	s_sub_i32 s11, s9, s36
	s_cmp_ge_u32 s9, s36
	s_cselect_b32 s8, s10, s8
	s_cselect_b32 s9, s11, s9
	s_add_i32 s10, s8, 1
	s_cmp_ge_u32 s9, s36
	s_cselect_b32 s52, s10, s8
.LBB14_13:
	s_mov_b32 s8, 0
	s_waitcnt lgkmcnt(0)
	s_mov_b32 s9, s43
	s_delay_alu instid0(SALU_CYCLE_1)
	s_cmp_lg_u64 s[8:9], 0
	s_cbranch_scc0 .LBB14_22
; %bb.14:
	s_ashr_i32 s10, s43, 31
	s_delay_alu instid0(SALU_CYCLE_1) | instskip(SKIP_2) | instid1(SALU_CYCLE_1)
	s_add_u32 s20, s42, s10
	s_mov_b32 s11, s10
	s_addc_u32 s21, s43, s10
	s_xor_b64 s[20:21], s[20:21], s[10:11]
	s_delay_alu instid0(SALU_CYCLE_1) | instskip(SKIP_3) | instid1(VALU_DEP_1)
	v_cvt_f32_u32_e32 v1, s20
	v_cvt_f32_u32_e32 v2, s21
	s_sub_u32 s19, 0, s20
	s_subb_u32 s22, 0, s21
	v_fmamk_f32 v1, v2, 0x4f800000, v1
	s_delay_alu instid0(VALU_DEP_1) | instskip(SKIP_2) | instid1(VALU_DEP_1)
	v_rcp_f32_e32 v1, v1
	s_waitcnt_depctr 0xfff
	v_mul_f32_e32 v1, 0x5f7ffffc, v1
	v_mul_f32_e32 v2, 0x2f800000, v1
	s_delay_alu instid0(VALU_DEP_1) | instskip(NEXT) | instid1(VALU_DEP_1)
	v_trunc_f32_e32 v2, v2
	v_fmamk_f32 v1, v2, 0xcf800000, v1
	v_cvt_u32_f32_e32 v2, v2
	s_delay_alu instid0(VALU_DEP_2) | instskip(NEXT) | instid1(VALU_DEP_2)
	v_cvt_u32_f32_e32 v1, v1
	v_readfirstlane_b32 s9, v2
	s_delay_alu instid0(VALU_DEP_2) | instskip(NEXT) | instid1(VALU_DEP_2)
	v_readfirstlane_b32 s12, v1
	s_mul_i32 s23, s19, s9
	s_delay_alu instid0(VALU_DEP_1)
	s_mul_hi_u32 s35, s19, s12
	s_mul_i32 s33, s22, s12
	s_add_i32 s23, s35, s23
	s_mul_i32 s44, s19, s12
	s_add_i32 s23, s23, s33
	s_mul_hi_u32 s35, s12, s44
	s_mul_hi_u32 s45, s9, s44
	s_mul_i32 s33, s9, s44
	s_mul_hi_u32 s44, s12, s23
	s_mul_i32 s12, s12, s23
	s_mul_hi_u32 s46, s9, s23
	s_add_u32 s12, s35, s12
	s_addc_u32 s35, 0, s44
	s_add_u32 s12, s12, s33
	s_mul_i32 s23, s9, s23
	s_addc_u32 s12, s35, s45
	s_addc_u32 s33, s46, 0
	s_add_u32 s12, s12, s23
	s_addc_u32 s23, 0, s33
	v_add_co_u32 v1, s12, v1, s12
	s_delay_alu instid0(VALU_DEP_1) | instskip(SKIP_1) | instid1(VALU_DEP_1)
	s_cmp_lg_u32 s12, 0
	s_addc_u32 s9, s9, s23
	v_readfirstlane_b32 s12, v1
	s_mul_i32 s23, s19, s9
	s_delay_alu instid0(VALU_DEP_1)
	s_mul_hi_u32 s33, s19, s12
	s_mul_i32 s22, s22, s12
	s_add_i32 s23, s33, s23
	s_mul_i32 s19, s19, s12
	s_add_i32 s23, s23, s22
	s_mul_hi_u32 s33, s9, s19
	s_mul_i32 s35, s9, s19
	s_mul_hi_u32 s19, s12, s19
	s_mul_hi_u32 s44, s12, s23
	s_mul_i32 s12, s12, s23
	s_mul_hi_u32 s22, s9, s23
	s_add_u32 s12, s19, s12
	s_addc_u32 s19, 0, s44
	s_add_u32 s12, s12, s35
	s_mul_i32 s23, s9, s23
	s_addc_u32 s12, s19, s33
	s_addc_u32 s19, s22, 0
	s_add_u32 s12, s12, s23
	s_addc_u32 s19, 0, s19
	v_add_co_u32 v1, s12, v1, s12
	s_delay_alu instid0(VALU_DEP_1) | instskip(SKIP_2) | instid1(VALU_DEP_1)
	s_cmp_lg_u32 s12, 0
	s_addc_u32 s9, s9, s19
	s_ashr_i32 s22, 0, 31
	v_readfirstlane_b32 s12, v1
	s_add_u32 s44, s34, s22
	s_mov_b32 s23, s22
	s_addc_u32 s45, 0, s22
	s_delay_alu instid0(SALU_CYCLE_1) | instskip(NEXT) | instid1(SALU_CYCLE_1)
	s_xor_b64 s[44:45], s[44:45], s[22:23]
	s_mul_i32 s33, s44, s9
	s_mul_hi_u32 s35, s44, s12
	s_mul_hi_u32 s19, s44, s9
	;; [unrolled: 1-line block ×3, first 2 shown]
	s_mul_i32 s12, s45, s12
	s_add_u32 s33, s35, s33
	s_addc_u32 s19, 0, s19
	s_mul_hi_u32 s46, s45, s9
	s_add_u32 s12, s33, s12
	s_mul_i32 s9, s45, s9
	s_addc_u32 s12, s19, s47
	s_addc_u32 s19, s46, 0
	s_add_u32 s9, s12, s9
	s_addc_u32 s12, 0, s19
	s_mul_hi_u32 s19, s20, s9
	s_mul_i32 s35, s20, s12
	s_mul_i32 s46, s20, s9
	s_add_i32 s19, s19, s35
	v_sub_co_u32 v1, s35, s44, s46
	s_mul_i32 s33, s21, s9
	s_delay_alu instid0(SALU_CYCLE_1) | instskip(NEXT) | instid1(VALU_DEP_1)
	s_add_i32 s19, s19, s33
	v_sub_co_u32 v2, s44, v1, s20
	s_sub_i32 s33, s45, s19
	s_cmp_lg_u32 s35, 0
	s_subb_u32 s33, s33, s21
	s_cmp_lg_u32 s44, 0
	v_readfirstlane_b32 s44, v2
	s_subb_u32 s33, s33, 0
	s_delay_alu instid0(SALU_CYCLE_1) | instskip(SKIP_1) | instid1(VALU_DEP_1)
	s_cmp_ge_u32 s33, s21
	s_cselect_b32 s46, -1, 0
	s_cmp_ge_u32 s44, s20
	s_cselect_b32 s44, -1, 0
	s_cmp_eq_u32 s33, s21
	s_cselect_b32 s33, s44, s46
	s_add_u32 s44, s9, 1
	s_addc_u32 s46, s12, 0
	s_add_u32 s47, s9, 2
	s_addc_u32 s48, s12, 0
	s_cmp_lg_u32 s33, 0
	s_cselect_b32 s33, s47, s44
	s_cselect_b32 s44, s48, s46
	s_cmp_lg_u32 s35, 0
	v_readfirstlane_b32 s35, v1
	s_subb_u32 s19, s45, s19
	s_delay_alu instid0(SALU_CYCLE_1) | instskip(SKIP_1) | instid1(VALU_DEP_1)
	s_cmp_ge_u32 s19, s21
	s_cselect_b32 s45, -1, 0
	s_cmp_ge_u32 s35, s20
	s_cselect_b32 s20, -1, 0
	s_cmp_eq_u32 s19, s21
	s_cselect_b32 s19, s20, s45
	s_delay_alu instid0(SALU_CYCLE_1) | instskip(SKIP_3) | instid1(SALU_CYCLE_1)
	s_cmp_lg_u32 s19, 0
	s_cselect_b32 s21, s44, s12
	s_cselect_b32 s20, s33, s9
	s_xor_b64 s[10:11], s[22:23], s[10:11]
	s_xor_b64 s[20:21], s[20:21], s[10:11]
	s_delay_alu instid0(SALU_CYCLE_1)
	s_sub_u32 s54, s20, s10
	s_subb_u32 s55, s21, s11
	s_and_not1_b32 vcc_lo, exec_lo, s8
	s_cbranch_vccnz .LBB14_16
.LBB14_15:
	v_cvt_f32_u32_e32 v1, s42
	s_sub_i32 s9, 0, s42
	s_mov_b32 s55, 0
	s_delay_alu instid0(VALU_DEP_1) | instskip(SKIP_2) | instid1(VALU_DEP_1)
	v_rcp_iflag_f32_e32 v1, v1
	s_waitcnt_depctr 0xfff
	v_mul_f32_e32 v1, 0x4f7ffffe, v1
	v_cvt_u32_f32_e32 v1, v1
	s_delay_alu instid0(VALU_DEP_1) | instskip(NEXT) | instid1(VALU_DEP_1)
	v_readfirstlane_b32 s8, v1
	s_mul_i32 s9, s9, s8
	s_delay_alu instid0(SALU_CYCLE_1) | instskip(NEXT) | instid1(SALU_CYCLE_1)
	s_mul_hi_u32 s9, s8, s9
	s_add_i32 s8, s8, s9
	s_delay_alu instid0(SALU_CYCLE_1) | instskip(NEXT) | instid1(SALU_CYCLE_1)
	s_mul_hi_u32 s8, s34, s8
	s_mul_i32 s9, s8, s42
	s_add_i32 s10, s8, 1
	s_sub_i32 s9, s34, s9
	s_delay_alu instid0(SALU_CYCLE_1)
	s_sub_i32 s11, s9, s42
	s_cmp_ge_u32 s9, s42
	s_cselect_b32 s8, s10, s8
	s_cselect_b32 s9, s11, s9
	s_add_i32 s10, s8, 1
	s_cmp_ge_u32 s9, s42
	s_cselect_b32 s54, s10, s8
.LBB14_16:
	s_clause 0x1
	s_load_b64 s[20:21], s[0:1], 0xe0
	s_load_b128 s[8:11], s[0:1], 0xd0
	s_or_b64 s[60:61], s[54:55], s[40:41]
	s_mov_b32 s60, 0
	s_delay_alu instid0(SALU_CYCLE_1)
	s_cmp_lg_u64 s[60:61], 0
	s_cbranch_scc0 .LBB14_23
; %bb.17:
	s_ashr_i32 s22, s41, 31
	s_delay_alu instid0(SALU_CYCLE_1) | instskip(SKIP_2) | instid1(SALU_CYCLE_1)
	s_add_u32 s44, s40, s22
	s_mov_b32 s23, s22
	s_addc_u32 s45, s41, s22
	s_xor_b64 s[44:45], s[44:45], s[22:23]
	s_delay_alu instid0(SALU_CYCLE_1) | instskip(SKIP_3) | instid1(VALU_DEP_1)
	v_cvt_f32_u32_e32 v1, s44
	v_cvt_f32_u32_e32 v2, s45
	s_sub_u32 s33, 0, s44
	s_subb_u32 s35, 0, s45
	v_fmamk_f32 v1, v2, 0x4f800000, v1
	s_delay_alu instid0(VALU_DEP_1) | instskip(SKIP_2) | instid1(VALU_DEP_1)
	v_rcp_f32_e32 v1, v1
	s_waitcnt_depctr 0xfff
	v_mul_f32_e32 v1, 0x5f7ffffc, v1
	v_mul_f32_e32 v2, 0x2f800000, v1
	s_delay_alu instid0(VALU_DEP_1) | instskip(NEXT) | instid1(VALU_DEP_1)
	v_trunc_f32_e32 v2, v2
	v_fmamk_f32 v1, v2, 0xcf800000, v1
	v_cvt_u32_f32_e32 v2, v2
	s_delay_alu instid0(VALU_DEP_2) | instskip(NEXT) | instid1(VALU_DEP_2)
	v_cvt_u32_f32_e32 v1, v1
	v_readfirstlane_b32 s12, v2
	s_delay_alu instid0(VALU_DEP_2) | instskip(NEXT) | instid1(VALU_DEP_2)
	v_readfirstlane_b32 s19, v1
	s_mul_i32 s46, s33, s12
	s_delay_alu instid0(VALU_DEP_1)
	s_mul_hi_u32 s48, s33, s19
	s_mul_i32 s47, s35, s19
	s_add_i32 s46, s48, s46
	s_mul_i32 s49, s33, s19
	s_add_i32 s46, s46, s47
	s_mul_hi_u32 s48, s19, s49
	s_mul_hi_u32 s50, s12, s49
	s_mul_i32 s47, s12, s49
	s_mul_hi_u32 s49, s19, s46
	s_mul_i32 s19, s19, s46
	s_mul_hi_u32 s51, s12, s46
	s_add_u32 s19, s48, s19
	s_addc_u32 s48, 0, s49
	s_add_u32 s19, s19, s47
	s_mul_i32 s46, s12, s46
	s_addc_u32 s19, s48, s50
	s_addc_u32 s47, s51, 0
	s_add_u32 s19, s19, s46
	s_addc_u32 s46, 0, s47
	v_add_co_u32 v1, s19, v1, s19
	s_delay_alu instid0(VALU_DEP_1) | instskip(SKIP_1) | instid1(VALU_DEP_1)
	s_cmp_lg_u32 s19, 0
	s_addc_u32 s12, s12, s46
	v_readfirstlane_b32 s19, v1
	s_mul_i32 s46, s33, s12
	s_delay_alu instid0(VALU_DEP_1)
	s_mul_hi_u32 s47, s33, s19
	s_mul_i32 s35, s35, s19
	s_add_i32 s46, s47, s46
	s_mul_i32 s33, s33, s19
	s_add_i32 s46, s46, s35
	s_mul_hi_u32 s47, s12, s33
	s_mul_i32 s48, s12, s33
	s_mul_hi_u32 s33, s19, s33
	s_mul_hi_u32 s49, s19, s46
	s_mul_i32 s19, s19, s46
	s_mul_hi_u32 s35, s12, s46
	s_add_u32 s19, s33, s19
	s_addc_u32 s33, 0, s49
	s_add_u32 s19, s19, s48
	s_mul_i32 s46, s12, s46
	s_addc_u32 s19, s33, s47
	s_addc_u32 s33, s35, 0
	s_add_u32 s19, s19, s46
	s_addc_u32 s33, 0, s33
	v_add_co_u32 v1, s19, v1, s19
	s_delay_alu instid0(VALU_DEP_1) | instskip(SKIP_2) | instid1(VALU_DEP_1)
	s_cmp_lg_u32 s19, 0
	s_addc_u32 s12, s12, s33
	s_ashr_i32 s46, s55, 31
	v_readfirstlane_b32 s19, v1
	s_add_u32 s48, s54, s46
	s_mov_b32 s47, s46
	s_addc_u32 s49, s55, s46
	s_delay_alu instid0(SALU_CYCLE_1) | instskip(NEXT) | instid1(SALU_CYCLE_1)
	s_xor_b64 s[48:49], s[48:49], s[46:47]
	s_mul_i32 s35, s48, s12
	s_mul_hi_u32 s50, s48, s19
	s_mul_hi_u32 s33, s48, s12
	;; [unrolled: 1-line block ×3, first 2 shown]
	s_mul_i32 s19, s49, s19
	s_add_u32 s35, s50, s35
	s_addc_u32 s33, 0, s33
	s_mul_hi_u32 s51, s49, s12
	s_add_u32 s19, s35, s19
	s_mul_i32 s12, s49, s12
	s_addc_u32 s19, s33, s56
	s_addc_u32 s33, s51, 0
	s_add_u32 s12, s19, s12
	s_addc_u32 s19, 0, s33
	s_mul_i32 s51, s44, s12
	s_mul_hi_u32 s33, s44, s12
	s_mul_i32 s50, s44, s19
	v_sub_co_u32 v1, s48, s48, s51
	s_mul_i32 s35, s45, s12
	s_add_i32 s33, s33, s50
	s_delay_alu instid0(SALU_CYCLE_1) | instskip(NEXT) | instid1(VALU_DEP_1)
	s_add_i32 s33, s33, s35
	v_sub_co_u32 v2, s50, v1, s44
	s_sub_i32 s35, s49, s33
	s_cmp_lg_u32 s48, 0
	s_subb_u32 s35, s35, s45
	s_cmp_lg_u32 s50, 0
	v_readfirstlane_b32 s50, v2
	s_subb_u32 s35, s35, 0
	s_delay_alu instid0(SALU_CYCLE_1) | instskip(SKIP_1) | instid1(VALU_DEP_1)
	s_cmp_ge_u32 s35, s45
	s_cselect_b32 s51, -1, 0
	s_cmp_ge_u32 s50, s44
	s_cselect_b32 s50, -1, 0
	s_cmp_eq_u32 s35, s45
	s_cselect_b32 s35, s50, s51
	s_add_u32 s50, s12, 1
	s_addc_u32 s51, s19, 0
	s_add_u32 s56, s12, 2
	s_addc_u32 s57, s19, 0
	s_cmp_lg_u32 s35, 0
	s_cselect_b32 s35, s56, s50
	s_cselect_b32 s50, s57, s51
	s_cmp_lg_u32 s48, 0
	v_readfirstlane_b32 s48, v1
	s_subb_u32 s33, s49, s33
	s_delay_alu instid0(SALU_CYCLE_1) | instskip(SKIP_1) | instid1(VALU_DEP_1)
	s_cmp_ge_u32 s33, s45
	s_cselect_b32 s49, -1, 0
	s_cmp_ge_u32 s48, s44
	s_cselect_b32 s44, -1, 0
	s_cmp_eq_u32 s33, s45
	s_cselect_b32 s33, s44, s49
	s_delay_alu instid0(SALU_CYCLE_1) | instskip(SKIP_3) | instid1(SALU_CYCLE_1)
	s_cmp_lg_u32 s33, 0
	s_cselect_b32 s45, s50, s19
	s_cselect_b32 s44, s35, s12
	s_xor_b64 s[22:23], s[46:47], s[22:23]
	s_xor_b64 s[44:45], s[44:45], s[22:23]
	s_delay_alu instid0(SALU_CYCLE_1)
	s_sub_u32 s58, s44, s22
	s_subb_u32 s59, s45, s23
	s_branch .LBB14_24
.LBB14_18:
                                        ; implicit-def: $sgpr2_sgpr3
	s_branch .LBB14_3
.LBB14_19:
                                        ; implicit-def: $sgpr14_sgpr15
	s_load_b128 s[36:39], s[0:1], 0x1d0
	s_branch .LBB14_6
.LBB14_20:
                                        ; implicit-def: $sgpr28_sgpr29
	s_branch .LBB14_9
.LBB14_21:
                                        ; implicit-def: $sgpr52_sgpr53
	s_load_b128 s[40:43], s[0:1], 0x370
	s_branch .LBB14_12
.LBB14_22:
                                        ; implicit-def: $sgpr54_sgpr55
	s_branch .LBB14_15
.LBB14_23:
	s_mov_b32 s60, -1
                                        ; implicit-def: $sgpr58_sgpr59
.LBB14_24:
	s_load_b64 s[22:23], s[0:1], 0x440
                                        ; implicit-def: $vgpr45 : SGPR spill to VGPR lane
	s_and_not1_b32 vcc_lo, exec_lo, s60
	s_waitcnt lgkmcnt(0)
	v_writelane_b32 v45, s22, 0
	v_writelane_b32 v45, s23, 1
	s_clause 0x3
	s_load_b128 s[44:47], s[0:1], 0x430
	s_load_b64 s[64:65], s[0:1], 0x2a0
	s_load_b128 s[48:51], s[0:1], 0x290
	s_load_b64 s[22:23], s[0:1], 0x0
	s_cbranch_vccnz .LBB14_26
; %bb.25:
	v_cvt_f32_u32_e32 v1, s40
	s_sub_i32 s19, 0, s40
	s_mov_b32 s59, 0
	s_delay_alu instid0(VALU_DEP_1) | instskip(SKIP_2) | instid1(VALU_DEP_1)
	v_rcp_iflag_f32_e32 v1, v1
	s_waitcnt_depctr 0xfff
	v_mul_f32_e32 v1, 0x4f7ffffe, v1
	v_cvt_u32_f32_e32 v1, v1
	s_delay_alu instid0(VALU_DEP_1) | instskip(NEXT) | instid1(VALU_DEP_1)
	v_readfirstlane_b32 s12, v1
	s_mul_i32 s19, s19, s12
	s_delay_alu instid0(SALU_CYCLE_1) | instskip(NEXT) | instid1(SALU_CYCLE_1)
	s_mul_hi_u32 s19, s12, s19
	s_add_i32 s12, s12, s19
	s_delay_alu instid0(SALU_CYCLE_1) | instskip(NEXT) | instid1(SALU_CYCLE_1)
	s_mul_hi_u32 s12, s54, s12
	s_mul_i32 s19, s12, s40
	s_add_i32 s33, s12, 1
	s_sub_i32 s19, s54, s19
	s_delay_alu instid0(SALU_CYCLE_1)
	s_sub_i32 s35, s19, s40
	s_cmp_ge_u32 s19, s40
	s_cselect_b32 s12, s33, s12
	s_cselect_b32 s19, s35, s19
	s_add_i32 s33, s12, 1
	s_cmp_ge_u32 s19, s40
	s_cselect_b32 s58, s33, s12
.LBB14_26:
	s_clause 0x1
	s_load_b64 s[56:57], s[0:1], 0x360
	s_load_b64 s[0:1], s[0:1], 0x1c0
	s_mov_b32 s67, 0
	s_waitcnt lgkmcnt(0)
	v_writelane_b32 v45, s56, 2
	v_writelane_b32 v45, s57, 3
	;; [unrolled: 1-line block ×4, first 2 shown]
	v_cmp_eq_u32_e64 s0, 0, v0
	s_delay_alu instid0(VALU_DEP_1)
	s_and_saveexec_b32 s1, s0
	s_cbranch_execz .LBB14_28
; %bb.27:
	v_dual_mov_b32 v1, 0 :: v_dual_mov_b32 v4, s25
	s_delay_alu instid0(VALU_DEP_1)
	v_dual_mov_b32 v3, s24 :: v_dual_mov_b32 v2, v1
	ds_store_b32 v1, v1 offset:5136
	ds_store_b128 v1, v[1:4] offset:5120
.LBB14_28:
	s_or_b32 exec_lo, exec_lo, s1
	s_mul_i32 s1, s14, s5
	s_mul_hi_u32 s5, s14, s4
	s_mul_i32 s9, s14, s9
	s_add_i32 s1, s5, s1
	s_mul_i32 s5, s15, s4
	s_mul_i32 s4, s14, s4
	s_add_i32 s1, s1, s5
	s_sub_u32 s4, s2, s4
	s_subb_u32 s1, s3, s1
	s_mul_i32 s5, s4, s11
	s_mul_hi_u32 s11, s4, s10
	s_mul_i32 s1, s1, s10
	s_add_i32 s5, s11, s5
	s_mul_hi_u32 s11, s14, s8
	v_mad_u64_u32 v[2:3], null, v0, s30, 0
	s_add_i32 s5, s5, s1
	s_add_i32 s1, s11, s9
	s_mul_i32 s9, s15, s8
	s_mul_i32 s7, s2, s7
	s_mul_hi_u32 s11, s2, s6
	s_mul_i32 s4, s4, s10
	s_waitcnt lgkmcnt(0)
	s_barrier
	buffer_gl0_inv
	s_load_b32 s10, s[16:17], 0xc
	s_add_i32 s9, s1, s9
	s_add_i32 s1, s11, s7
	s_mul_i32 s3, s3, s6
	s_mul_i32 s2, s2, s6
	s_add_i32 s1, s1, s3
	s_sub_u32 s2, s34, s2
	s_subb_u32 s1, 0, s1
	s_mul_i32 s3, s2, s21
	s_mul_hi_u32 s6, s2, s20
	v_dual_mov_b32 v1, v3 :: v_dual_lshlrev_b32 v16, 2, v0
	s_add_i32 s3, s6, s3
	s_mul_i32 s1, s1, s20
	s_mul_i32 s6, s14, s8
	s_add_i32 s7, s3, s1
	v_mbcnt_lo_u32_b32 v33, -1, 0
	s_add_u32 s1, s22, s6
	v_or_b32_e32 v9, 3, v16
	v_or_b32_e32 v10, 2, v16
	s_mul_i32 s8, s2, s20
	s_addc_u32 s2, s23, s9
	v_mad_u64_u32 v[3:4], null, v0, s31, v[1:2]
	s_add_u32 s1, s1, s4
	v_lshrrev_b32_e32 v4, 3, v0
	s_addc_u32 s2, s2, s5
	s_add_u32 s68, s1, s8
	v_cmp_gt_u32_e32 vcc_lo, 32, v0
	v_cmp_gt_i32_e64 s1, 4, v33
	v_mad_u64_u32 v[18:19], null, s30, v9, 0
	v_mad_u64_u32 v[20:21], null, s30, v10, 0
	v_dual_mov_b32 v13, 0 :: v_dual_and_b32 v34, 0x7c, v4
	v_lshlrev_b64 v[4:5], v33, -1
	s_addc_u32 s69, s2, s7
	s_waitcnt lgkmcnt(0)
	s_and_b32 s33, s10, 0xffff
	s_and_b32 s89, vcc_lo, s1
	s_bfe_u32 s11, s10, 0xb0005
	s_add_u32 s91, s33, -1
	s_addc_u32 s92, 0, -1
	s_add_u32 s93, s91, s24
	v_mov_b32_e32 v1, v13
	s_addc_u32 s71, s92, s25
	v_not_b32_e32 v35, v4
	v_mov_b32_e32 v4, v19
	v_mad_u64_u32 v[22:23], null, s30, v16, s[30:31]
	v_mov_b32_e32 v5, v21
	s_cmp_lt_u32 s13, s18
	v_cmp_gt_u16_e64 s94, s10, 31
	s_cselect_b32 s12, 12, 18
	v_mov_b32_e32 v17, v13
	s_add_u32 s72, s16, s12
	s_delay_alu instid0(VALU_DEP_4)
	v_mov_b32_e32 v6, v23
	v_mad_u64_u32 v[7:8], null, s31, v9, v[4:5]
	s_addc_u32 s73, s17, 0
	s_add_i32 s10, s11, -1
	s_bfe_u32 s95, s33, 0x30005
	s_cmp_gt_u32 s10, 6
	v_mad_u64_u32 v[8:9], null, s31, v10, v[5:6]
	s_cselect_b32 s96, -1, 0
	s_and_b32 s97, s11, 0x7f8
	s_cmp_lg_u32 s95, 0
	v_mad_u64_u32 v[4:5], null, s31, v16, v[6:7]
	s_cselect_b32 s98, -1, 0
	s_add_u32 s6, s6, s8
	s_addc_u32 s7, s9, s7
	s_add_u32 s4, s6, s4
	v_add_co_u32 v14, vcc_lo, s68, v2
	s_addc_u32 s5, s7, s5
	s_add_u32 s74, s22, s4
	v_add_co_ci_u32_e32 v15, vcc_lo, s69, v3, vcc_lo
	s_addc_u32 s75, s23, s5
	v_add_co_u32 v37, s4, s24, v0
	v_add_co_u32 v10, vcc_lo, s74, v2
	v_cmp_lt_i64_e64 s90, 0xc00, s[24:25]
	v_cmp_gt_i64_e64 s1, s[24:25], v[0:1]
	v_lshlrev_b64 v[23:24], 2, v[2:3]
	v_cmp_eq_u32_e64 s2, 0, v33
	v_cmp_gt_u32_e64 s3, 2, v0
	v_mov_b32_e32 v19, v7
	v_mov_b32_e32 v21, v8
	;; [unrolled: 1-line block ×3, first 2 shown]
	v_add_co_ci_u32_e64 v38, null, s25, 0, s4
	v_lshl_or_b32 v39, v33, 3, 0xc00
	v_add_co_ci_u32_e32 v11, vcc_lo, s75, v3, vcc_lo
	v_cvt_f32_ubyte0_e32 v40, 0
	v_mov_b32_e32 v41, 0
	s_mul_i32 s4, s31, s33
	s_mul_hi_u32 s5, s30, s33
	s_mov_b32 s99, 6
	s_lshl_b64 s[76:77], s[30:31], 2
	s_add_i32 s35, s5, s4
	s_mul_i32 s88, s30, s33
	s_mov_b32 s100, 0
	s_mov_b32 s104, 0
	;; [unrolled: 1-line block ×4, first 2 shown]
                                        ; implicit-def: $sgpr101
                                        ; implicit-def: $sgpr103
                                        ; implicit-def: $sgpr102
                                        ; implicit-def: $sgpr60
                                        ; implicit-def: $sgpr61
                                        ; implicit-def: $vcc_hi
	s_branch .LBB14_33
.LBB14_29:                              ;   in Loop: Header=BB14_33 Depth=1
	s_xor_b32 s104, s104, 1
	s_add_i32 s7, s99, -2
	s_cmp_eq_u32 s99, 0
	s_mov_b32 s5, 0
	s_cselect_b32 s6, -1, 0
	s_mov_b32 s99, s7
.LBB14_30:                              ;   in Loop: Header=BB14_33 Depth=1
	s_and_not1_b32 s7, s20, exec_lo
	s_and_b32 s5, s5, exec_lo
	s_and_not1_b32 s21, s21, exec_lo
	s_or_b32 s20, s7, s5
	s_and_not1_b32 s19, s19, exec_lo
	s_or_not1_b32 s15, s6, exec_lo
.LBB14_31:                              ;   in Loop: Header=BB14_33 Depth=1
	s_or_b32 exec_lo, exec_lo, s4
	s_delay_alu instid0(SALU_CYCLE_1)
	s_and_not1_b32 s4, vcc_hi, exec_lo
	s_and_b32 s5, s20, exec_lo
	s_and_not1_b32 s6, s60, exec_lo
	s_or_b32 vcc_hi, s4, s5
	s_and_not1_b32 s4, s61, exec_lo
	s_and_b32 s5, s21, exec_lo
	s_and_b32 s7, s19, exec_lo
	s_or_b32 s61, s4, s5
	s_or_b32 s60, s6, s7
	s_or_not1_b32 s19, s15, exec_lo
.LBB14_32:                              ;   in Loop: Header=BB14_33 Depth=1
	s_or_b32 exec_lo, exec_lo, s14
	s_delay_alu instid0(SALU_CYCLE_1)
	s_and_b32 s4, exec_lo, s19
	v_mov_b32_e32 v2, s63
	s_or_b32 s100, s4, s100
	s_and_not1_b32 s4, s102, exec_lo
	s_and_b32 s5, vcc_hi, exec_lo
	s_and_not1_b32 s6, s101, exec_lo
	s_or_b32 s102, s4, s5
	s_and_not1_b32 s4, s103, exec_lo
	s_and_b32 s5, s61, exec_lo
	s_and_b32 s7, s60, exec_lo
	s_or_b32 s103, s4, s5
	s_or_b32 s101, s6, s7
	s_and_not1_b32 exec_lo, exec_lo, s100
	s_cbranch_execz .LBB14_299
.LBB14_33:                              ; =>This Loop Header: Depth=1
                                        ;     Child Loop BB14_38 Depth 2
                                        ;     Child Loop BB14_57 Depth 2
                                        ;     Child Loop BB14_84 Depth 2
                                        ;     Child Loop BB14_88 Depth 2
                                        ;     Child Loop BB14_70 Depth 2
                                        ;     Child Loop BB14_77 Depth 2
                                        ;     Child Loop BB14_97 Depth 2
                                        ;     Child Loop BB14_102 Depth 2
                                        ;     Child Loop BB14_129 Depth 2
                                        ;     Child Loop BB14_114 Depth 2
                                        ;     Child Loop BB14_176 Depth 2
                                        ;     Child Loop BB14_159 Depth 2
                                        ;     Child Loop BB14_223 Depth 2
                                        ;     Child Loop BB14_206 Depth 2
                                        ;     Child Loop BB14_270 Depth 2
                                        ;     Child Loop BB14_253 Depth 2
	ds_load_b128 v[2:5], v13 offset:5120
	s_waitcnt lgkmcnt(0)
	v_readfirstlane_b32 s79, v3
	v_readfirstlane_b32 s78, v2
	s_delay_alu instid0(VALU_DEP_1) | instskip(NEXT) | instid1(VALU_DEP_1)
	v_cmp_gt_i64_e64 s4, s[78:79], 0
	s_and_b32 vcc_lo, exec_lo, s4
	s_cbranch_vccnz .LBB14_64
; %bb.34:                               ;   in Loop: Header=BB14_33 Depth=1
	s_and_b32 vcc_lo, exec_lo, s90
	s_cbranch_vccz .LBB14_46
; %bb.35:                               ;   in Loop: Header=BB14_33 Depth=1
	v_cmp_gt_i64_e32 vcc_lo, 0xc01, v[4:5]
	s_mov_b32 s6, 0
	s_mov_b32 s4, 0
	s_cbranch_vccz .LBB14_51
; %bb.36:                               ;   in Loop: Header=BB14_33 Depth=1
	global_load_u16 v6, v13, s[72:73]
	global_load_u8 v7, v[14:15], off
	s_mov_b32 s8, 0
	s_waitcnt vmcnt(1)
	v_readfirstlane_b32 s4, v6
	v_and_b32_e32 v6, 0xffff, v6
	s_delay_alu instid0(VALU_DEP_2) | instskip(NEXT) | instid1(SALU_CYCLE_1)
	s_and_b32 s4, 0xffff, s4
	v_add_nc_u32_e32 v8, s4, v0
	s_mul_i32 s5, s31, s4
	s_mul_hi_u32 s7, s30, s4
	s_mul_i32 s9, s30, s4
	s_add_i32 s7, s7, s5
	v_mad_u64_u32 v[2:3], null, s30, v8, s[74:75]
	s_delay_alu instid0(VALU_DEP_1) | instskip(NEXT) | instid1(VALU_DEP_1)
	v_mad_u64_u32 v[4:5], null, s31, v8, v[3:4]
	v_mov_b32_e32 v3, v4
	v_dual_mov_b32 v5, v1 :: v_dual_mov_b32 v4, v0
	s_branch .LBB14_38
.LBB14_37:                              ;   in Loop: Header=BB14_38 Depth=2
	s_or_b32 exec_lo, exec_lo, s5
	v_add_co_u32 v2, vcc_lo, v2, s9
	v_add_co_ci_u32_e32 v3, vcc_lo, s7, v3, vcc_lo
	v_mov_b32_e32 v7, v8
	s_and_not1_b32 exec_lo, exec_lo, s8
	s_cbranch_execz .LBB14_47
.LBB14_38:                              ;   Parent Loop BB14_33 Depth=1
                                        ; =>  This Inner Loop Header: Depth=2
	s_delay_alu instid0(VALU_DEP_1) | instskip(NEXT) | instid1(VALU_DEP_2)
	v_add_co_u32 v4, vcc_lo, v4, v6
	v_add_co_ci_u32_e32 v5, vcc_lo, 0, v5, vcc_lo
	s_waitcnt lgkmcnt(0)
	v_dual_mov_b32 v9, 0 :: v_dual_mov_b32 v8, 0
	s_mov_b32 s5, exec_lo
	s_delay_alu instid0(VALU_DEP_2)
	v_cmp_le_i64_e32 vcc_lo, s[24:25], v[4:5]
	v_cmpx_gt_i64_e64 s[24:25], v[4:5]
	s_cbranch_execz .LBB14_40
; %bb.39:                               ;   in Loop: Header=BB14_38 Depth=2
	global_load_u8 v8, v[2:3], off
.LBB14_40:                              ;   in Loop: Header=BB14_38 Depth=2
	s_or_b32 exec_lo, exec_lo, s5
	s_waitcnt vmcnt(0)
	v_bfe_i32 v12, v7, 0, 8
	s_delay_alu instid0(VALU_DEP_1) | instskip(NEXT) | instid1(VALU_DEP_1)
	v_add_nc_u32_e32 v12, 0x80, v12
	v_and_b32_e32 v12, s62, v12
	s_delay_alu instid0(VALU_DEP_1) | instskip(NEXT) | instid1(VALU_DEP_1)
	v_cmp_eq_u32_e64 s4, s63, v12
	s_cmp_lg_u32 s4, 0
	s_cselect_b32 s5, -1, 0
	s_delay_alu instid0(SALU_CYCLE_1) | instskip(NEXT) | instid1(SALU_CYCLE_1)
	s_and_b32 s5, s2, s5
	s_and_saveexec_b32 s10, s5
	s_cbranch_execz .LBB14_44
; %bb.41:                               ;   in Loop: Header=BB14_38 Depth=2
	s_mov_b32 s13, exec_lo
	s_bcnt1_i32_b32 s11, s4
	v_mbcnt_lo_u32_b32 v9, s13, 0
	s_mov_b32 s12, exec_lo
                                        ; implicit-def: $vgpr12
	s_delay_alu instid0(VALU_DEP_1)
	v_cmpx_eq_u32_e32 0, v9
	s_cbranch_execz .LBB14_43
; %bb.42:                               ;   in Loop: Header=BB14_38 Depth=2
	s_bcnt1_i32_b32 s5, s13
	s_delay_alu instid0(SALU_CYCLE_1) | instskip(NEXT) | instid1(SALU_CYCLE_1)
	s_mul_i32 s5, s11, s5
	v_mov_b32_e32 v12, s5
	ds_add_rtn_u32 v12, v13, v12 offset:5136
.LBB14_43:                              ;   in Loop: Header=BB14_38 Depth=2
	s_or_b32 exec_lo, exec_lo, s12
	s_waitcnt lgkmcnt(0)
	v_readfirstlane_b32 s5, v12
	s_delay_alu instid0(VALU_DEP_1)
	v_mad_u32_u24 v9, s11, v9, s5
.LBB14_44:                              ;   in Loop: Header=BB14_38 Depth=2
	s_or_b32 exec_lo, exec_lo, s10
	ds_bpermute_b32 v9, v13, v9
	s_and_b32 s5, exec_lo, vcc_lo
	s_delay_alu instid0(SALU_CYCLE_1)
	s_or_b32 s8, s5, s8
	s_and_saveexec_b32 s5, s4
	s_cbranch_execz .LBB14_37
; %bb.45:                               ;   in Loop: Header=BB14_38 Depth=2
	v_and_b32_e32 v12, s4, v35
	s_waitcnt lgkmcnt(0)
	s_delay_alu instid0(VALU_DEP_1)
	v_bcnt_u32_b32 v9, v12, v9
	ds_store_b8 v9, v7
	s_branch .LBB14_37
.LBB14_46:                              ;   in Loop: Header=BB14_33 Depth=1
	s_mov_b32 s6, -1
	s_mov_b32 s4, 0
	s_branch .LBB14_50
.LBB14_47:                              ;   in Loop: Header=BB14_33 Depth=1
	s_or_b32 exec_lo, exec_lo, s8
	s_waitcnt lgkmcnt(0)
	s_barrier
	buffer_gl0_inv
	s_and_saveexec_b32 s4, s0
	s_cbranch_execz .LBB14_49
; %bb.48:                               ;   in Loop: Header=BB14_33 Depth=1
	ds_load_b32 v2, v13 offset:5136
	s_waitcnt lgkmcnt(0)
	v_ashrrev_i32_e32 v3, 31, v2
	ds_store_b64 v13, v[2:3] offset:5120
.LBB14_49:                              ;   in Loop: Header=BB14_33 Depth=1
	s_or_b32 exec_lo, exec_lo, s4
	s_waitcnt lgkmcnt(0)
	s_mov_b32 s4, -1
	s_barrier
.LBB14_50:                              ;   in Loop: Header=BB14_33 Depth=1
                                        ; implicit-def: $sgpr78_sgpr79
.LBB14_51:                              ;   in Loop: Header=BB14_33 Depth=1
	s_and_b32 vcc_lo, exec_lo, s6
	s_cbranch_vccz .LBB14_62
; %bb.52:                               ;   in Loop: Header=BB14_33 Depth=1
	v_mov_b32_e32 v6, 0
	s_and_saveexec_b32 s4, s1
	s_cbranch_execz .LBB14_54
; %bb.53:                               ;   in Loop: Header=BB14_33 Depth=1
	global_load_u8 v6, v[14:15], off
.LBB14_54:                              ;   in Loop: Header=BB14_33 Depth=1
	s_or_b32 exec_lo, exec_lo, s4
	s_and_saveexec_b32 s5, s1
	s_cbranch_execz .LBB14_59
; %bb.55:                               ;   in Loop: Header=BB14_33 Depth=1
	global_load_u16 v8, v13, s[72:73]
	s_mov_b32 s9, 0
	s_waitcnt vmcnt(0)
	v_readfirstlane_b32 s4, v8
	v_and_b32_e32 v8, 0xffff, v8
	s_delay_alu instid0(VALU_DEP_2) | instskip(NEXT) | instid1(SALU_CYCLE_1)
	s_and_b32 s6, 0xffff, s4
	v_add_nc_u32_e32 v7, s6, v0
	s_mul_i32 s4, s31, s6
	s_mul_hi_u32 s7, s30, s6
	s_mul_i32 s8, s30, s6
	s_add_i32 s7, s7, s4
	v_mad_u64_u32 v[2:3], null, s30, v7, s[74:75]
	s_delay_alu instid0(VALU_DEP_1) | instskip(SKIP_1) | instid1(VALU_DEP_2)
	v_mad_u64_u32 v[4:5], null, s31, v7, v[3:4]
	v_mov_b32_e32 v7, v0
	v_mov_b32_e32 v3, v4
	v_dual_mov_b32 v5, v1 :: v_dual_mov_b32 v4, v0
	s_branch .LBB14_57
	.p2align	6
.LBB14_56:                              ;   in Loop: Header=BB14_57 Depth=2
	s_or_b32 exec_lo, exec_lo, s10
	s_delay_alu instid0(SALU_CYCLE_1)
	s_and_b32 s4, exec_lo, vcc_lo
	v_add_co_u32 v2, vcc_lo, v2, s8
	ds_store_b8 v7, v6
	s_waitcnt vmcnt(0)
	v_dual_mov_b32 v6, v9 :: v_dual_add_nc_u32 v7, s6, v7
	v_add_co_ci_u32_e32 v3, vcc_lo, s7, v3, vcc_lo
	s_or_b32 s9, s4, s9
	s_delay_alu instid0(SALU_CYCLE_1)
	s_and_not1_b32 exec_lo, exec_lo, s9
	s_cbranch_execz .LBB14_59
.LBB14_57:                              ;   Parent Loop BB14_33 Depth=1
                                        ; =>  This Inner Loop Header: Depth=2
	s_delay_alu instid0(VALU_DEP_1) | instskip(NEXT) | instid1(VALU_DEP_2)
	v_add_co_u32 v4, vcc_lo, v4, v8
	v_add_co_ci_u32_e32 v5, vcc_lo, 0, v5, vcc_lo
	v_mov_b32_e32 v9, 0
	s_mov_b32 s10, exec_lo
	s_delay_alu instid0(VALU_DEP_2)
	v_cmp_le_i64_e32 vcc_lo, s[24:25], v[4:5]
	v_cmpx_gt_i64_e64 s[24:25], v[4:5]
	s_cbranch_execz .LBB14_56
; %bb.58:                               ;   in Loop: Header=BB14_57 Depth=2
	global_load_u8 v9, v[2:3], off
	s_branch .LBB14_56
.LBB14_59:                              ;   in Loop: Header=BB14_33 Depth=1
	s_or_b32 exec_lo, exec_lo, s5
	s_waitcnt vmcnt(0) lgkmcnt(0)
	s_barrier
	buffer_gl0_inv
	s_and_saveexec_b32 s4, s0
	s_cbranch_execz .LBB14_61
; %bb.60:                               ;   in Loop: Header=BB14_33 Depth=1
	v_dual_mov_b32 v2, s24 :: v_dual_mov_b32 v3, s25
	ds_store_b64 v13, v[2:3] offset:5120
.LBB14_61:                              ;   in Loop: Header=BB14_33 Depth=1
	s_or_b32 exec_lo, exec_lo, s4
	s_mov_b32 s4, -1
	s_waitcnt lgkmcnt(0)
	s_barrier
                                        ; implicit-def: $sgpr78_sgpr79
.LBB14_62:                              ;   in Loop: Header=BB14_33 Depth=1
	s_and_b32 vcc_lo, exec_lo, s4
	s_cbranch_vccz .LBB14_64
; %bb.63:                               ;   in Loop: Header=BB14_33 Depth=1
	buffer_gl0_inv
	ds_load_b64 v[2:3], v13 offset:5120
	s_waitcnt lgkmcnt(0)
	v_readfirstlane_b32 s78, v2
.LBB14_64:                              ;   in Loop: Header=BB14_33 Depth=1
	s_delay_alu instid0(VALU_DEP_1)
	s_cmp_lt_i32 s78, 1
	s_cbranch_scc0 .LBB14_79
; %bb.65:                               ;   in Loop: Header=BB14_33 Depth=1
	global_load_u16 v4, v13, s[72:73]
	s_mov_b32 s5, s25
	s_waitcnt vmcnt(0)
	v_readfirstlane_b32 s4, v4
	s_delay_alu instid0(VALU_DEP_1)
	s_and_b32 s6, 0xffff, s4
	s_mov_b32 s4, s67
	s_lshl_b32 s23, s6, 2
	s_cmp_lg_u64 s[4:5], 0
	s_cbranch_scc0 .LBB14_99
; %bb.66:                               ;   in Loop: Header=BB14_33 Depth=1
	v_cvt_f32_u32_e32 v2, s23
	s_sub_u32 s6, 0, s23
	s_subb_u32 s7, 0, 0
	s_delay_alu instid0(VALU_DEP_1) | instskip(NEXT) | instid1(VALU_DEP_1)
	v_fmac_f32_e32 v2, 0x4f800000, v40
	v_rcp_f32_e32 v2, v2
	s_waitcnt_depctr 0xfff
	v_mul_f32_e32 v2, 0x5f7ffffc, v2
	s_delay_alu instid0(VALU_DEP_1) | instskip(NEXT) | instid1(VALU_DEP_1)
	v_mul_f32_e32 v3, 0x2f800000, v2
	v_trunc_f32_e32 v3, v3
	s_delay_alu instid0(VALU_DEP_1) | instskip(SKIP_1) | instid1(VALU_DEP_2)
	v_fmac_f32_e32 v2, 0xcf800000, v3
	v_cvt_u32_f32_e32 v3, v3
	v_cvt_u32_f32_e32 v2, v2
	s_delay_alu instid0(VALU_DEP_2) | instskip(NEXT) | instid1(VALU_DEP_2)
	v_readfirstlane_b32 s4, v3
	v_readfirstlane_b32 s5, v2
	s_delay_alu instid0(VALU_DEP_2) | instskip(NEXT) | instid1(VALU_DEP_1)
	s_mul_i32 s8, s6, s4
	s_mul_hi_u32 s10, s6, s5
	s_mul_i32 s9, s7, s5
	s_add_i32 s8, s10, s8
	s_mul_i32 s11, s6, s5
	s_add_i32 s8, s8, s9
	s_mul_hi_u32 s10, s5, s11
	s_mul_hi_u32 s12, s4, s11
	s_mul_i32 s9, s4, s11
	s_mul_hi_u32 s11, s5, s8
	s_mul_i32 s5, s5, s8
	s_mul_hi_u32 s13, s4, s8
	s_add_u32 s5, s10, s5
	s_addc_u32 s10, 0, s11
	s_add_u32 s5, s5, s9
	s_mul_i32 s8, s4, s8
	s_addc_u32 s5, s10, s12
	s_addc_u32 s9, s13, 0
	s_add_u32 s5, s5, s8
	s_addc_u32 s8, 0, s9
	v_add_co_u32 v2, s5, v2, s5
	s_delay_alu instid0(VALU_DEP_1) | instskip(SKIP_1) | instid1(VALU_DEP_1)
	s_cmp_lg_u32 s5, 0
	s_addc_u32 s4, s4, s8
	v_readfirstlane_b32 s5, v2
	s_mul_i32 s8, s6, s4
	s_delay_alu instid0(VALU_DEP_1)
	s_mul_hi_u32 s9, s6, s5
	s_mul_i32 s7, s7, s5
	s_add_i32 s8, s9, s8
	s_mul_i32 s6, s6, s5
	s_add_i32 s8, s8, s7
	s_mul_hi_u32 s9, s4, s6
	s_mul_i32 s10, s4, s6
	s_mul_hi_u32 s6, s5, s6
	s_mul_hi_u32 s11, s5, s8
	s_mul_i32 s5, s5, s8
	s_mul_hi_u32 s7, s4, s8
	s_add_u32 s5, s6, s5
	s_addc_u32 s6, 0, s11
	s_add_u32 s5, s5, s10
	s_mul_i32 s8, s4, s8
	s_addc_u32 s5, s6, s9
	s_addc_u32 s6, s7, 0
	s_add_u32 s5, s5, s8
	s_addc_u32 s6, 0, s6
	v_add_co_u32 v2, s5, v2, s5
	s_delay_alu instid0(VALU_DEP_1) | instskip(SKIP_2) | instid1(VALU_DEP_1)
	s_cmp_lg_u32 s5, 0
	s_addc_u32 s8, s4, s6
	s_ashr_i32 s6, s25, 31
	v_readfirstlane_b32 s9, v2
	s_add_u32 s4, s24, s6
	s_mov_b32 s7, s6
	s_addc_u32 s5, s25, s6
	s_delay_alu instid0(SALU_CYCLE_1) | instskip(NEXT) | instid1(SALU_CYCLE_1)
	s_xor_b64 s[4:5], s[4:5], s[6:7]
	s_mul_i32 s10, s4, s8
	s_mul_hi_u32 s11, s4, s9
	s_mul_hi_u32 s7, s4, s8
	;; [unrolled: 1-line block ×3, first 2 shown]
	s_mul_i32 s9, s5, s9
	s_add_u32 s10, s11, s10
	s_addc_u32 s7, 0, s7
	s_mul_hi_u32 s12, s5, s8
	s_add_u32 s9, s10, s9
	s_mul_i32 s8, s5, s8
	s_addc_u32 s7, s7, s13
	s_addc_u32 s9, s12, 0
	s_add_u32 s7, s7, s8
	s_addc_u32 s8, 0, s9
	s_mul_hi_u32 s9, s23, s7
	s_mul_i32 s7, s23, s7
	s_mul_i32 s8, s23, s8
	v_sub_co_u32 v2, s4, s4, s7
	s_add_i32 s9, s9, s8
	s_cmp_lg_u32 s4, 0
	s_delay_alu instid0(VALU_DEP_1) | instskip(SKIP_2) | instid1(VALU_DEP_1)
	v_sub_co_u32 v3, s4, v2, s23
	s_subb_u32 s5, s5, s9
	s_cmp_lg_u32 s4, 0
	v_cmp_le_u32_e32 vcc_lo, s23, v3
	v_sub_co_u32 v5, s4, v3, s23
	s_subb_u32 s7, s5, 0
	s_cmp_lg_u32 s4, 0
	v_cndmask_b32_e64 v6, 0, -1, vcc_lo
	s_subb_u32 s4, s7, 0
	s_cmp_eq_u32 s7, 0
	v_mov_b32_e32 v8, s4
	s_cselect_b32 vcc_lo, -1, 0
	s_cmp_eq_u32 s5, 0
	v_cndmask_b32_e32 v6, -1, v6, vcc_lo
	v_cmp_le_u32_e32 vcc_lo, s23, v2
	s_cselect_b32 s4, -1, 0
	v_cndmask_b32_e64 v7, 0, -1, vcc_lo
	s_delay_alu instid0(VALU_DEP_3) | instskip(NEXT) | instid1(VALU_DEP_2)
	v_cmp_ne_u32_e32 vcc_lo, 0, v6
	v_cndmask_b32_e64 v6, -1, v7, s4
	v_cndmask_b32_e32 v7, s7, v8, vcc_lo
	v_cndmask_b32_e32 v3, v3, v5, vcc_lo
	s_delay_alu instid0(VALU_DEP_3) | instskip(NEXT) | instid1(VALU_DEP_2)
	v_cmp_ne_u32_e32 vcc_lo, 0, v6
	v_cndmask_b32_e32 v2, v2, v3, vcc_lo
	s_delay_alu instid0(VALU_DEP_4) | instskip(NEXT) | instid1(VALU_DEP_2)
	v_cndmask_b32_e32 v5, s5, v7, vcc_lo
	v_xor_b32_e32 v2, s6, v2
	s_delay_alu instid0(VALU_DEP_2) | instskip(NEXT) | instid1(VALU_DEP_2)
	v_xor_b32_e32 v3, s6, v5
	v_sub_co_u32 v25, vcc_lo, v2, s6
	s_delay_alu instid0(VALU_DEP_2)
	v_subrev_co_ci_u32_e32 v26, vcc_lo, s6, v3, vcc_lo
	s_cbranch_execnz .LBB14_68
.LBB14_67:                              ;   in Loop: Header=BB14_33 Depth=1
	v_cvt_f32_u32_e32 v2, s23
	s_sub_i32 s4, 0, s23
	s_delay_alu instid0(VALU_DEP_1) | instskip(SKIP_2) | instid1(VALU_DEP_1)
	v_rcp_iflag_f32_e32 v2, v2
	s_waitcnt_depctr 0xfff
	v_mul_f32_e32 v2, 0x4f7ffffe, v2
	v_cvt_u32_f32_e32 v2, v2
	s_delay_alu instid0(VALU_DEP_1) | instskip(NEXT) | instid1(VALU_DEP_1)
	v_mul_lo_u32 v3, s4, v2
	v_mul_hi_u32 v3, v2, v3
	s_delay_alu instid0(VALU_DEP_1) | instskip(NEXT) | instid1(VALU_DEP_1)
	v_add_nc_u32_e32 v2, v2, v3
	v_mul_hi_u32 v2, s24, v2
	s_delay_alu instid0(VALU_DEP_1) | instskip(NEXT) | instid1(VALU_DEP_1)
	v_mul_lo_u32 v2, v2, s23
	v_sub_nc_u32_e32 v2, s24, v2
	s_delay_alu instid0(VALU_DEP_1) | instskip(SKIP_1) | instid1(VALU_DEP_2)
	v_subrev_nc_u32_e32 v3, s23, v2
	v_cmp_le_u32_e32 vcc_lo, s23, v2
	v_cndmask_b32_e32 v2, v2, v3, vcc_lo
	s_delay_alu instid0(VALU_DEP_1) | instskip(SKIP_1) | instid1(VALU_DEP_2)
	v_subrev_nc_u32_e32 v3, s23, v2
	v_cmp_le_u32_e32 vcc_lo, s23, v2
	v_cndmask_b32_e32 v12, v2, v3, vcc_lo
	s_delay_alu instid0(VALU_DEP_1)
	v_dual_mov_b32 v26, v13 :: v_dual_mov_b32 v25, v12
.LBB14_68:                              ;   in Loop: Header=BB14_33 Depth=1
	v_mov_b32_e32 v2, 0
	v_dual_mov_b32 v3, 0 :: v_dual_and_b32 v12, 0xffff, v4
	s_delay_alu instid0(VALU_DEP_3) | instskip(NEXT) | instid1(VALU_DEP_4)
	v_sub_co_u32 v27, vcc_lo, s24, v25
	v_sub_co_ci_u32_e32 v28, vcc_lo, s25, v26, vcc_lo
	s_delay_alu instid0(VALU_DEP_3)
	v_dual_mov_b32 v5, v3 :: v_dual_mov_b32 v4, v2
	v_dual_mov_b32 v7, v3 :: v_dual_mov_b32 v6, v2
	v_dual_mov_b32 v9, v3 :: v_dual_mov_b32 v8, v2
	s_mov_b64 s[80:81], 0
	s_mov_b32 s66, exec_lo
	v_cmpx_gt_i64_e64 v[27:28], v[16:17]
	s_cbranch_execz .LBB14_72
; %bb.69:                               ;   in Loop: Header=BB14_33 Depth=1
	v_mul_lo_u32 v2, s77, v12
	v_mul_hi_u32 v3, s76, v12
	v_mul_lo_u32 v42, s76, v12
	v_dual_mov_b32 v29, s68 :: v_dual_mov_b32 v30, s69
	s_and_b32 s70, s99, 0xfe
	s_mov_b32 s79, 0
	s_mov_b64 s[82:83], 0
	s_delay_alu instid0(VALU_DEP_3)
	v_dual_mov_b32 v32, v17 :: v_dual_add_nc_u32 v43, v3, v2
	v_mov_b32_e32 v31, v16
	s_mov_b64 s[84:85], 0
	s_mov_b64 s[86:87], 0
.LBB14_70:                              ;   Parent Loop BB14_33 Depth=1
                                        ; =>  This Inner Loop Header: Depth=2
	v_add_co_u32 v2, vcc_lo, v29, v23
	v_add_co_ci_u32_e32 v3, vcc_lo, v30, v24, vcc_lo
	global_load_i8 v4, v[2:3], off
	v_add_co_u32 v2, vcc_lo, v29, v22
	v_add_co_ci_u32_e32 v3, vcc_lo, v30, v36, vcc_lo
	global_load_i8 v5, v[2:3], off
	;; [unrolled: 3-line block ×4, first 2 shown]
	s_waitcnt vmcnt(3)
	v_add_nc_u32_e32 v3, 0x80, v4
	s_delay_alu instid0(VALU_DEP_1) | instskip(SKIP_1) | instid1(VALU_DEP_2)
	v_and_b32_e32 v4, s62, v3
	v_bfe_u32 v3, v3, s70, 2
	v_cmp_eq_u32_e32 vcc_lo, s63, v4
	s_waitcnt vmcnt(2)
	v_add_nc_u32_e32 v4, 0x80, v5
	s_delay_alu instid0(VALU_DEP_3)
	v_cmp_eq_u32_e64 s7, 0, v3
	v_cmp_eq_u32_e64 s8, 1, v3
	;; [unrolled: 1-line block ×4, first 2 shown]
	v_and_b32_e32 v5, s62, v4
	v_bfe_u32 v3, v4, s70, 2
	s_and_b32 s7, vcc_lo, s7
	s_delay_alu instid0(VALU_DEP_2)
	v_cmp_eq_u32_e64 s4, s63, v5
	s_waitcnt vmcnt(1)
	v_add_nc_u32_e32 v5, 0x80, v6
	v_cmp_eq_u32_e64 s11, 0, v3
	s_waitcnt vmcnt(0)
	v_add_nc_u32_e32 v2, 0x80, v2
	v_cmp_eq_u32_e64 s12, 1, v3
	v_cmp_eq_u32_e64 s13, 2, v3
	v_and_b32_e32 v6, s62, v5
	v_cmp_eq_u32_e64 s14, 3, v3
	v_bfe_u32 v3, v5, s70, 2
	s_and_b32 s11, s4, s11
	s_delay_alu instid0(VALU_DEP_3)
	v_cmp_eq_u32_e64 s5, s63, v6
	v_and_b32_e32 v6, s62, v2
	v_bfe_u32 v2, v2, s70, 2
	v_cmp_eq_u32_e64 s15, 0, v3
	v_cmp_eq_u32_e64 s16, 1, v3
	;; [unrolled: 1-line block ×8, first 2 shown]
	v_cndmask_b32_e64 v2, 0, 1, s7
	s_and_b32 s15, s5, s15
	s_and_b32 s19, s6, s19
	v_cmp_eq_u32_e64 s18, 3, v3
	s_delay_alu instid0(VALU_DEP_2) | instskip(SKIP_1) | instid1(VALU_DEP_2)
	v_cmp_ne_u32_e64 s7, 0, v2
	v_cndmask_b32_e64 v2, 0, 1, s11
	s_bcnt1_i32_b32 s7, s7
	s_delay_alu instid0(VALU_DEP_1) | instskip(SKIP_1) | instid1(VALU_DEP_2)
	v_cmp_ne_u32_e64 s11, 0, v2
	v_cndmask_b32_e64 v2, 0, 1, s15
	s_bcnt1_i32_b32 s11, s11
	s_delay_alu instid0(VALU_DEP_1) | instskip(SKIP_2) | instid1(VALU_DEP_2)
	v_cmp_ne_u32_e64 s15, 0, v2
	v_cndmask_b32_e64 v2, 0, 1, s19
	s_add_i32 s7, s11, s7
	s_bcnt1_i32_b32 s15, s15
	s_delay_alu instid0(VALU_DEP_1) | instskip(SKIP_1) | instid1(VALU_DEP_1)
	v_cmp_ne_u32_e64 s19, 0, v2
	s_add_i32 s7, s7, s15
	s_bcnt1_i32_b32 s19, s19
	s_delay_alu instid0(SALU_CYCLE_1) | instskip(NEXT) | instid1(SALU_CYCLE_1)
	s_add_i32 s7, s7, s19
	s_add_u32 s86, s86, s7
	s_addc_u32 s87, s87, 0
	s_and_b32 s7, vcc_lo, s8
	s_and_b32 s8, s4, s12
	v_cndmask_b32_e64 v2, 0, 1, s7
	s_and_b32 s11, s5, s16
	s_and_b32 s12, s6, s20
	s_delay_alu instid0(VALU_DEP_1) | instskip(SKIP_1) | instid1(VALU_DEP_2)
	v_cmp_ne_u32_e64 s7, 0, v2
	v_cndmask_b32_e64 v2, 0, 1, s8
	s_bcnt1_i32_b32 s7, s7
	s_delay_alu instid0(VALU_DEP_1) | instskip(SKIP_1) | instid1(VALU_DEP_2)
	v_cmp_ne_u32_e64 s8, 0, v2
	v_cndmask_b32_e64 v2, 0, 1, s11
	s_bcnt1_i32_b32 s8, s8
	s_delay_alu instid0(VALU_DEP_1) | instskip(SKIP_2) | instid1(VALU_DEP_2)
	v_cmp_ne_u32_e64 s11, 0, v2
	v_cndmask_b32_e64 v2, 0, 1, s12
	s_add_i32 s7, s8, s7
	s_bcnt1_i32_b32 s11, s11
	s_delay_alu instid0(VALU_DEP_1) | instskip(SKIP_1) | instid1(VALU_DEP_1)
	v_cmp_ne_u32_e64 s12, 0, v2
	s_add_i32 s7, s7, s11
	s_bcnt1_i32_b32 s12, s12
	s_delay_alu instid0(SALU_CYCLE_1) | instskip(NEXT) | instid1(SALU_CYCLE_1)
	s_add_i32 s7, s7, s12
	s_add_u32 s84, s84, s7
	s_addc_u32 s85, s85, 0
	s_and_b32 s7, vcc_lo, s9
	s_and_b32 s8, s4, s13
	v_cndmask_b32_e64 v2, 0, 1, s7
	s_and_b32 s9, s5, s17
	s_and_b32 s11, s6, s21
	v_dual_mov_b32 v4, s84 :: v_dual_mov_b32 v5, s85
	s_delay_alu instid0(VALU_DEP_2) | instskip(SKIP_1) | instid1(VALU_DEP_2)
	v_cmp_ne_u32_e64 s7, 0, v2
	v_cndmask_b32_e64 v2, 0, 1, s8
	s_bcnt1_i32_b32 s7, s7
	s_delay_alu instid0(VALU_DEP_1) | instskip(SKIP_1) | instid1(VALU_DEP_2)
	v_cmp_ne_u32_e64 s8, 0, v2
	v_cndmask_b32_e64 v2, 0, 1, s9
	s_bcnt1_i32_b32 s8, s8
	s_delay_alu instid0(VALU_DEP_1) | instskip(SKIP_3) | instid1(VALU_DEP_3)
	v_cmp_ne_u32_e64 s9, 0, v2
	v_cndmask_b32_e64 v2, 0, 1, s11
	s_add_i32 s7, s8, s7
	v_add_co_u32 v29, s8, v29, v42
	s_bcnt1_i32_b32 s9, s9
	s_delay_alu instid0(VALU_DEP_2) | instskip(SKIP_1) | instid1(VALU_DEP_1)
	v_cmp_ne_u32_e64 s11, 0, v2
	s_add_i32 s7, s7, s9
	s_bcnt1_i32_b32 s11, s11
	s_delay_alu instid0(SALU_CYCLE_1) | instskip(NEXT) | instid1(SALU_CYCLE_1)
	s_add_i32 s7, s7, s11
	s_add_u32 s82, s82, s7
	s_addc_u32 s83, s83, 0
	s_and_b32 s7, vcc_lo, s10
	s_and_b32 s4, s4, s14
	v_cndmask_b32_e64 v2, 0, 1, s7
	s_and_b32 s5, s5, s18
	s_and_b32 s6, s6, s22
	v_add_co_u32 v31, s7, v31, s23
	s_delay_alu instid0(VALU_DEP_2) | instskip(SKIP_3) | instid1(VALU_DEP_3)
	v_cmp_ne_u32_e32 vcc_lo, 0, v2
	v_cndmask_b32_e64 v2, 0, 1, s4
	v_add_co_ci_u32_e64 v32, s7, 0, v32, s7
	v_add_co_ci_u32_e64 v30, s7, v30, v43, s8
	v_cmp_ne_u32_e64 s4, 0, v2
	v_cndmask_b32_e64 v2, 0, 1, s5
	s_bcnt1_i32_b32 s8, vcc_lo
	v_cmp_ge_i64_e64 s7, v[31:32], v[27:28]
	v_dual_mov_b32 v6, s82 :: v_dual_mov_b32 v7, s83
	s_delay_alu instid0(VALU_DEP_3) | instskip(SKIP_2) | instid1(SALU_CYCLE_1)
	v_cmp_ne_u32_e64 s5, 0, v2
	v_cndmask_b32_e64 v2, 0, 1, s6
	s_bcnt1_i32_b32 s4, s4
	s_add_i32 s4, s4, s8
	s_delay_alu instid0(VALU_DEP_2) | instskip(NEXT) | instid1(VALU_DEP_1)
	s_bcnt1_i32_b32 s5, s5
	v_cmp_ne_u32_e64 s6, 0, v2
	s_add_i32 s4, s4, s5
	v_dual_mov_b32 v2, s86 :: v_dual_mov_b32 v3, s87
	s_delay_alu instid0(VALU_DEP_2) | instskip(NEXT) | instid1(SALU_CYCLE_1)
	s_bcnt1_i32_b32 s6, s6
	s_add_i32 s4, s4, s6
	s_delay_alu instid0(SALU_CYCLE_1) | instskip(SKIP_1) | instid1(SALU_CYCLE_1)
	s_add_u32 s80, s80, s4
	s_addc_u32 s81, s81, 0
	v_dual_mov_b32 v8, s80 :: v_dual_mov_b32 v9, s81
	s_or_b32 s79, s7, s79
	s_delay_alu instid0(SALU_CYCLE_1)
	s_and_not1_b32 exec_lo, exec_lo, s79
	s_cbranch_execnz .LBB14_70
; %bb.71:                               ;   in Loop: Header=BB14_33 Depth=1
	s_or_b32 exec_lo, exec_lo, s79
.LBB14_72:                              ;   in Loop: Header=BB14_33 Depth=1
	s_delay_alu instid0(SALU_CYCLE_1) | instskip(SKIP_3) | instid1(VALU_DEP_2)
	s_or_b32 exec_lo, exec_lo, s66
	v_add_co_u32 v27, vcc_lo, v27, v0
	v_add_co_ci_u32_e32 v28, vcc_lo, 0, v28, vcc_lo
	v_mov_b32_e32 v31, 0
	v_cmp_gt_i64_e32 vcc_lo, s[24:25], v[27:28]
	s_and_saveexec_b32 s4, vcc_lo
	s_cbranch_execz .LBB14_74
; %bb.73:                               ;   in Loop: Header=BB14_33 Depth=1
	v_mad_u64_u32 v[29:30], null, v27, s30, s[68:69]
	v_mul_lo_u32 v31, v27, s31
	v_mul_lo_u32 v32, v28, s30
	s_delay_alu instid0(VALU_DEP_1)
	v_add3_u32 v30, v32, v30, v31
	global_load_u8 v31, v[29:30], off
.LBB14_74:                              ;   in Loop: Header=BB14_33 Depth=1
	s_or_b32 exec_lo, exec_lo, s4
	s_and_saveexec_b32 s8, vcc_lo
	s_cbranch_execz .LBB14_81
; %bb.75:                               ;   in Loop: Header=BB14_33 Depth=1
	v_add_co_u32 v29, vcc_lo, v37, v12
	v_add_co_ci_u32_e32 v30, vcc_lo, 0, v38, vcc_lo
	v_mul_lo_u32 v42, s31, v12
	s_delay_alu instid0(VALU_DEP_3) | instskip(NEXT) | instid1(VALU_DEP_3)
	v_sub_co_u32 v29, vcc_lo, v29, v25
	v_sub_co_ci_u32_e32 v25, vcc_lo, v30, v26, vcc_lo
	v_mul_hi_u32 v43, s30, v12
	s_delay_alu instid0(VALU_DEP_3) | instskip(SKIP_1) | instid1(VALU_DEP_3)
	v_mul_lo_u32 v32, s31, v29
	s_and_b32 s10, s99, 0xfe
	v_mul_lo_u32 v30, s30, v25
	v_mad_u64_u32 v[25:26], null, s30, v29, s[74:75]
	v_mul_lo_u32 v29, s30, v12
	s_mov_b32 s9, 0
	s_delay_alu instid0(VALU_DEP_2)
	v_add3_u32 v26, v32, v26, v30
	v_add_nc_u32_e32 v30, v43, v42
	s_branch .LBB14_77
.LBB14_76:                              ;   in Loop: Header=BB14_77 Depth=2
	s_or_b32 exec_lo, exec_lo, s5
	s_waitcnt vmcnt(0)
	v_bfe_i32 v31, v31, 0, 8
	s_and_b32 s6, exec_lo, vcc_lo
	s_delay_alu instid0(SALU_CYCLE_1) | instskip(NEXT) | instid1(VALU_DEP_1)
	s_or_b32 s9, s6, s9
	v_add_nc_u32_e32 v31, 0x80, v31
	s_delay_alu instid0(VALU_DEP_1) | instskip(SKIP_1) | instid1(VALU_DEP_2)
	v_and_b32_e32 v42, s62, v31
	v_bfe_u32 v31, v31, s10, 2
	v_cmp_eq_u32_e64 s4, s63, v42
	s_delay_alu instid0(VALU_DEP_2) | instskip(SKIP_2) | instid1(VALU_DEP_3)
	v_cmp_eq_u32_e64 s5, 0, v31
	v_cmp_eq_u32_e32 vcc_lo, 1, v31
	v_cmp_eq_u32_e64 s6, 2, v31
	s_and_b32 s5, s4, s5
	s_delay_alu instid0(SALU_CYCLE_1) | instskip(SKIP_4) | instid1(SALU_CYCLE_1)
	v_cndmask_b32_e64 v42, 0, 1, s5
	s_and_b32 s5, s4, vcc_lo
	v_cmp_eq_u32_e32 vcc_lo, 3, v31
	v_cndmask_b32_e64 v43, 0, 1, s5
	s_and_b32 s5, s4, s6
	v_cndmask_b32_e64 v44, 0, 1, s5
	v_cmp_ne_u32_e64 s5, 0, v42
	s_delay_alu instid0(VALU_DEP_3) | instskip(SKIP_1) | instid1(SALU_CYCLE_1)
	v_cmp_ne_u32_e64 s6, 0, v43
	s_and_b32 s4, s4, vcc_lo
	v_cndmask_b32_e64 v31, 0, 1, s4
	s_delay_alu instid0(VALU_DEP_3)
	s_bcnt1_i32_b32 s4, s5
	v_cmp_ne_u32_e64 s7, 0, v44
	v_add_co_u32 v2, vcc_lo, v2, s4
	s_bcnt1_i32_b32 s5, s6
	v_add_co_ci_u32_e32 v3, vcc_lo, 0, v3, vcc_lo
	v_add_co_u32 v4, vcc_lo, v4, s5
	v_add_co_ci_u32_e32 v5, vcc_lo, 0, v5, vcc_lo
	s_bcnt1_i32_b32 s6, s7
	v_cmp_ne_u32_e32 vcc_lo, 0, v31
	v_mov_b32_e32 v31, v32
	v_add_co_u32 v6, s4, v6, s6
	s_delay_alu instid0(VALU_DEP_1) | instskip(SKIP_1) | instid1(SALU_CYCLE_1)
	v_add_co_ci_u32_e64 v7, s4, 0, v7, s4
	s_bcnt1_i32_b32 s4, vcc_lo
	v_add_co_u32 v8, vcc_lo, v8, s4
	v_add_co_ci_u32_e32 v9, vcc_lo, 0, v9, vcc_lo
	v_add_co_u32 v25, vcc_lo, v25, v29
	v_add_co_ci_u32_e32 v26, vcc_lo, v26, v30, vcc_lo
	s_and_not1_b32 exec_lo, exec_lo, s9
	s_cbranch_execz .LBB14_80
.LBB14_77:                              ;   Parent Loop BB14_33 Depth=1
                                        ; =>  This Inner Loop Header: Depth=2
	v_add_co_u32 v27, vcc_lo, v27, v12
	v_add_co_ci_u32_e32 v28, vcc_lo, 0, v28, vcc_lo
	v_mov_b32_e32 v32, 0
	s_mov_b32 s5, exec_lo
	s_delay_alu instid0(VALU_DEP_2)
	v_cmp_le_i64_e32 vcc_lo, s[24:25], v[27:28]
	v_cmpx_gt_i64_e64 s[24:25], v[27:28]
	s_cbranch_execz .LBB14_76
; %bb.78:                               ;   in Loop: Header=BB14_77 Depth=2
	global_load_u8 v32, v[25:26], off
	s_branch .LBB14_76
.LBB14_79:                              ;   in Loop: Header=BB14_33 Depth=1
                                        ; implicit-def: $vgpr8_vgpr9
                                        ; implicit-def: $vgpr4_vgpr5
	s_cbranch_execnz .LBB14_82
	s_branch .LBB14_91
.LBB14_80:                              ;   in Loop: Header=BB14_33 Depth=1
	s_or_b32 exec_lo, exec_lo, s9
.LBB14_81:                              ;   in Loop: Header=BB14_33 Depth=1
	s_delay_alu instid0(SALU_CYCLE_1)
	s_or_b32 exec_lo, exec_lo, s8
	s_branch .LBB14_91
.LBB14_82:                              ;   in Loop: Header=BB14_33 Depth=1
	global_load_u16 v12, v13, s[72:73]
	s_mov_b64 s[80:81], 0
	s_mov_b32 s79, exec_lo
	s_waitcnt vmcnt(0)
	v_readfirstlane_b32 s4, v12
	s_delay_alu instid0(VALU_DEP_1) | instskip(NEXT) | instid1(SALU_CYCLE_1)
	s_and_b32 s4, 0xffff, s4
	s_lshl_b32 s70, s4, 2
	s_delay_alu instid0(SALU_CYCLE_1) | instskip(SKIP_1) | instid1(VALU_DEP_1)
	v_cvt_f32_u32_e32 v2, s70
	s_sub_i32 s5, 0, s70
	v_rcp_iflag_f32_e32 v2, v2
	s_waitcnt_depctr 0xfff
	v_mul_f32_e32 v2, 0x4f7ffffe, v2
	s_delay_alu instid0(VALU_DEP_1) | instskip(NEXT) | instid1(VALU_DEP_1)
	v_cvt_u32_f32_e32 v2, v2
	v_readfirstlane_b32 s4, v2
	v_mov_b32_e32 v2, 0
	v_mov_b32_e32 v3, 0
	s_delay_alu instid0(VALU_DEP_3) | instskip(NEXT) | instid1(VALU_DEP_1)
	s_mul_i32 s5, s5, s4
	v_dual_mov_b32 v5, v3 :: v_dual_mov_b32 v4, v2
	s_mul_hi_u32 s5, s4, s5
	v_dual_mov_b32 v7, v3 :: v_dual_mov_b32 v6, v2
	s_add_i32 s4, s4, s5
	v_dual_mov_b32 v9, v3 :: v_dual_mov_b32 v8, v2
	s_mul_hi_u32 s4, s78, s4
	s_delay_alu instid0(SALU_CYCLE_1) | instskip(NEXT) | instid1(SALU_CYCLE_1)
	s_mul_i32 s4, s4, s70
	s_sub_i32 s4, s78, s4
	s_delay_alu instid0(SALU_CYCLE_1) | instskip(SKIP_2) | instid1(SALU_CYCLE_1)
	s_sub_i32 s5, s4, s70
	s_cmp_ge_u32 s4, s70
	s_cselect_b32 s4, s5, s4
	s_sub_i32 s5, s4, s70
	s_cmp_ge_u32 s4, s70
	s_cselect_b32 s4, s5, s4
	s_delay_alu instid0(SALU_CYCLE_1) | instskip(NEXT) | instid1(SALU_CYCLE_1)
	s_sub_i32 s66, s78, s4
	v_cmpx_gt_u32_e64 s66, v16
	s_cbranch_execz .LBB14_86
; %bb.83:                               ;   in Loop: Header=BB14_33 Depth=1
	v_dual_mov_b32 v27, v16 :: v_dual_mov_b32 v26, v17
	v_mov_b32_e32 v25, v16
	s_and_b32 s57, s99, 0xfe
	s_mov_b32 s56, 0
	s_mov_b64 s[82:83], 0
	s_mov_b64 s[84:85], 0
	;; [unrolled: 1-line block ×3, first 2 shown]
.LBB14_84:                              ;   Parent Loop BB14_33 Depth=1
                                        ; =>  This Inner Loop Header: Depth=2
	ds_load_b32 v2, v27
	v_add_co_u32 v25, vcc_lo, v25, s70
	v_add_co_ci_u32_e32 v26, vcc_lo, 0, v26, vcc_lo
	s_delay_alu instid0(VALU_DEP_1)
	v_cmp_le_u64_e32 vcc_lo, s[66:67], v[25:26]
	s_waitcnt lgkmcnt(0)
	v_bfe_i32 v3, v2, 0, 8
	v_bfe_i32 v4, v2, 8, 8
	;; [unrolled: 1-line block ×3, first 2 shown]
	v_ashrrev_i32_e32 v2, 24, v2
	s_delay_alu instid0(VALU_DEP_4) | instskip(NEXT) | instid1(VALU_DEP_4)
	v_add_nc_u32_e32 v3, 0x80, v3
	v_add_nc_u32_e32 v4, 0x80, v4
	s_delay_alu instid0(VALU_DEP_4) | instskip(NEXT) | instid1(VALU_DEP_4)
	v_add_nc_u32_e32 v5, 0x80, v5
	v_add_nc_u32_e32 v2, 0x80, v2
	s_delay_alu instid0(VALU_DEP_4) | instskip(NEXT) | instid1(VALU_DEP_4)
	v_and_b32_e32 v6, s62, v3
	v_and_b32_e32 v7, s62, v4
	v_bfe_u32 v3, v3, s57, 2
	v_bfe_u32 v4, v4, s57, 2
	v_and_b32_e32 v8, s62, v5
	v_bfe_u32 v5, v5, s57, 2
	v_and_b32_e32 v9, s62, v2
	v_bfe_u32 v2, v2, s57, 2
	v_cmp_eq_u32_e64 s4, s63, v6
	v_cmp_eq_u32_e64 s5, s63, v7
	;; [unrolled: 1-line block ×8, first 2 shown]
	s_and_b32 s8, s4, s8
	s_and_b32 s9, s5, s9
	v_cmp_eq_u32_e64 s12, 1, v3
	v_cmp_eq_u32_e64 s15, 1, v2
	;; [unrolled: 1-line block ×6, first 2 shown]
	s_and_b32 s10, s6, s10
	v_cndmask_b32_e64 v2, 0, 1, s8
	v_cndmask_b32_e64 v3, 0, 1, s9
	v_cmp_eq_u32_e64 s13, 1, v4
	v_cmp_eq_u32_e64 s17, 2, v4
	;; [unrolled: 1-line block ×3, first 2 shown]
	s_and_b32 s11, s7, s11
	v_cndmask_b32_e64 v4, 0, 1, s10
	v_cmp_eq_u32_e64 s14, 1, v5
	v_cmp_eq_u32_e64 s18, 2, v5
	;; [unrolled: 1-line block ×3, first 2 shown]
	v_cndmask_b32_e64 v5, 0, 1, s11
	v_cmp_ne_u32_e64 s8, 0, v2
	v_cmp_ne_u32_e64 s9, 0, v3
	;; [unrolled: 1-line block ×3, first 2 shown]
	s_delay_alu instid0(VALU_DEP_4) | instskip(NEXT) | instid1(VALU_DEP_4)
	v_cmp_ne_u32_e64 s11, 0, v5
	s_bcnt1_i32_b32 s8, s8
	s_delay_alu instid0(VALU_DEP_3) | instskip(NEXT) | instid1(VALU_DEP_2)
	s_bcnt1_i32_b32 s9, s9
	s_bcnt1_i32_b32 s10, s10
	s_add_i32 s8, s9, s8
	s_bcnt1_i32_b32 s11, s11
	s_add_i32 s8, s8, s10
	s_delay_alu instid0(SALU_CYCLE_1) | instskip(NEXT) | instid1(SALU_CYCLE_1)
	s_add_i32 s8, s8, s11
	s_add_u32 s86, s86, s8
	s_addc_u32 s87, s87, 0
	s_and_b32 s8, s4, s12
	s_and_b32 s9, s5, s13
	;; [unrolled: 1-line block ×3, first 2 shown]
	v_cndmask_b32_e64 v2, 0, 1, s8
	v_cndmask_b32_e64 v3, 0, 1, s9
	s_and_b32 s11, s7, s15
	v_cndmask_b32_e64 v4, 0, 1, s10
	v_cndmask_b32_e64 v5, 0, 1, s11
	v_cmp_ne_u32_e64 s8, 0, v2
	v_cmp_ne_u32_e64 s9, 0, v3
	v_add_nc_u32_e32 v27, s70, v27
	v_cmp_ne_u32_e64 s10, 0, v4
	v_cmp_ne_u32_e64 s11, 0, v5
	s_bcnt1_i32_b32 s8, s8
	s_bcnt1_i32_b32 s9, s9
	s_delay_alu instid0(VALU_DEP_2) | instskip(SKIP_3) | instid1(SALU_CYCLE_1)
	s_bcnt1_i32_b32 s10, s10
	s_add_i32 s8, s9, s8
	s_bcnt1_i32_b32 s11, s11
	s_add_i32 s8, s8, s10
	s_add_i32 s8, s8, s11
	s_delay_alu instid0(SALU_CYCLE_1)
	s_add_u32 s84, s84, s8
	s_addc_u32 s85, s85, 0
	s_and_b32 s8, s4, s16
	s_and_b32 s9, s5, s17
	;; [unrolled: 1-line block ×3, first 2 shown]
	v_cndmask_b32_e64 v2, 0, 1, s8
	v_cndmask_b32_e64 v3, 0, 1, s9
	s_and_b32 s11, s7, s19
	v_cndmask_b32_e64 v4, 0, 1, s10
	v_cndmask_b32_e64 v5, 0, 1, s11
	v_cmp_ne_u32_e64 s8, 0, v2
	v_cmp_ne_u32_e64 s9, 0, v3
	s_delay_alu instid0(VALU_DEP_4) | instskip(NEXT) | instid1(VALU_DEP_4)
	v_cmp_ne_u32_e64 s10, 0, v4
	v_cmp_ne_u32_e64 s11, 0, v5
	s_delay_alu instid0(VALU_DEP_4) | instskip(NEXT) | instid1(VALU_DEP_3)
	s_bcnt1_i32_b32 s8, s8
	s_bcnt1_i32_b32 s9, s9
	s_delay_alu instid0(VALU_DEP_2) | instskip(SKIP_3) | instid1(SALU_CYCLE_1)
	s_bcnt1_i32_b32 s10, s10
	s_add_i32 s8, s9, s8
	s_bcnt1_i32_b32 s11, s11
	s_add_i32 s8, s8, s10
	s_add_i32 s8, s8, s11
	s_delay_alu instid0(SALU_CYCLE_1)
	s_add_u32 s82, s82, s8
	s_addc_u32 s83, s83, 0
	s_and_b32 s4, s4, s20
	s_and_b32 s5, s5, s21
	;; [unrolled: 1-line block ×3, first 2 shown]
	v_cndmask_b32_e64 v2, 0, 1, s4
	v_cndmask_b32_e64 v3, 0, 1, s5
	s_and_b32 s7, s7, s23
	v_cndmask_b32_e64 v4, 0, 1, s6
	v_cndmask_b32_e64 v5, 0, 1, s7
	v_cmp_ne_u32_e64 s4, 0, v2
	v_cmp_ne_u32_e64 s5, 0, v3
	v_mov_b32_e32 v2, s86
	v_cmp_ne_u32_e64 s6, 0, v4
	v_cmp_ne_u32_e64 s7, 0, v5
	s_bcnt1_i32_b32 s4, s4
	s_bcnt1_i32_b32 s5, s5
	v_mov_b32_e32 v4, s84
	s_bcnt1_i32_b32 s6, s6
	s_add_i32 s4, s5, s4
	s_bcnt1_i32_b32 s5, s7
	s_add_i32 s4, s4, s6
	v_mov_b32_e32 v6, s82
	s_add_i32 s4, s4, s5
	v_mov_b32_e32 v3, s87
	s_add_u32 s80, s80, s4
	s_addc_u32 s81, s81, 0
	v_dual_mov_b32 v8, s80 :: v_dual_mov_b32 v5, s85
	v_mov_b32_e32 v7, s83
	v_mov_b32_e32 v9, s81
	s_or_b32 s56, vcc_lo, s56
	s_delay_alu instid0(SALU_CYCLE_1)
	s_and_not1_b32 exec_lo, exec_lo, s56
	s_cbranch_execnz .LBB14_84
; %bb.85:                               ;   in Loop: Header=BB14_33 Depth=1
	s_or_b32 exec_lo, exec_lo, s56
.LBB14_86:                              ;   in Loop: Header=BB14_33 Depth=1
	s_delay_alu instid0(SALU_CYCLE_1) | instskip(SKIP_3) | instid1(VALU_DEP_1)
	s_or_b32 exec_lo, exec_lo, s79
	v_and_b32_e32 v27, 0xffff, v12
	v_add_nc_u32_e32 v12, s66, v0
	s_mov_b32 s9, exec_lo
	v_cmpx_gt_u32_e64 s78, v12
	s_cbranch_execz .LBB14_90
; %bb.87:                               ;   in Loop: Header=BB14_33 Depth=1
	v_dual_mov_b32 v26, v13 :: v_dual_mov_b32 v25, v12
	s_mov_b32 s11, 0
	s_and_b32 s10, s78, 0x7fffffff
	s_and_b32 s13, s99, 0xfe
	s_mov_b32 s12, s11
.LBB14_88:                              ;   Parent Loop BB14_33 Depth=1
                                        ; =>  This Inner Loop Header: Depth=2
	ds_load_i8 v28, v12
	v_add_co_u32 v25, vcc_lo, v25, v27
	v_add_co_ci_u32_e32 v26, vcc_lo, 0, v26, vcc_lo
	v_add_nc_u32_e32 v12, v12, v27
	s_delay_alu instid0(VALU_DEP_2) | instskip(SKIP_2) | instid1(VALU_DEP_1)
	v_cmp_le_u64_e32 vcc_lo, s[10:11], v[25:26]
	s_waitcnt lgkmcnt(0)
	v_add_nc_u32_e32 v28, 0x80, v28
	v_and_b32_e32 v29, s62, v28
	v_bfe_u32 v28, v28, s13, 2
	s_delay_alu instid0(VALU_DEP_2) | instskip(NEXT) | instid1(VALU_DEP_2)
	v_cmp_eq_u32_e64 s4, s63, v29
	v_cmp_eq_u32_e64 s5, 0, v28
	;; [unrolled: 1-line block ×5, first 2 shown]
	s_delay_alu instid0(VALU_DEP_4) | instskip(NEXT) | instid1(SALU_CYCLE_1)
	s_and_b32 s5, s4, s5
	v_cndmask_b32_e64 v28, 0, 1, s5
	s_and_b32 s5, s4, s6
	s_delay_alu instid0(SALU_CYCLE_1)
	v_cndmask_b32_e64 v29, 0, 1, s5
	s_and_b32 s5, s4, s7
	s_and_b32 s4, s4, s8
	v_cndmask_b32_e64 v30, 0, 1, s5
	v_cndmask_b32_e64 v31, 0, 1, s4
	v_cmp_ne_u32_e64 s4, 0, v28
	v_cmp_ne_u32_e64 s5, 0, v29
	s_delay_alu instid0(VALU_DEP_4) | instskip(NEXT) | instid1(VALU_DEP_4)
	v_cmp_ne_u32_e64 s6, 0, v30
	v_cmp_ne_u32_e64 s7, 0, v31
	s_delay_alu instid0(VALU_DEP_4) | instskip(NEXT) | instid1(VALU_DEP_3)
	s_bcnt1_i32_b32 s4, s4
	s_bcnt1_i32_b32 s5, s5
	v_add_co_u32 v2, s4, v2, s4
	s_delay_alu instid0(VALU_DEP_1)
	v_add_co_ci_u32_e64 v3, s4, 0, v3, s4
	v_add_co_u32 v4, s4, v4, s5
	s_bcnt1_i32_b32 s6, s6
	v_add_co_ci_u32_e64 v5, s4, 0, v5, s4
	v_add_co_u32 v6, s4, v6, s6
	s_bcnt1_i32_b32 s7, s7
	v_add_co_ci_u32_e64 v7, s4, 0, v7, s4
	v_add_co_u32 v8, s4, v8, s7
	s_delay_alu instid0(VALU_DEP_1) | instskip(SKIP_1) | instid1(SALU_CYCLE_1)
	v_add_co_ci_u32_e64 v9, s4, 0, v9, s4
	s_or_b32 s12, vcc_lo, s12
	s_and_not1_b32 exec_lo, exec_lo, s12
	s_cbranch_execnz .LBB14_88
; %bb.89:                               ;   in Loop: Header=BB14_33 Depth=1
	s_or_b32 exec_lo, exec_lo, s12
.LBB14_90:                              ;   in Loop: Header=BB14_33 Depth=1
	s_delay_alu instid0(SALU_CYCLE_1)
	s_or_b32 exec_lo, exec_lo, s9
.LBB14_91:                              ;   in Loop: Header=BB14_33 Depth=1
	s_lshl_b32 s4, s104, 7
	s_and_saveexec_b32 s5, s2
	s_cbranch_execz .LBB14_93
; %bb.92:                               ;   in Loop: Header=BB14_33 Depth=1
	v_or_b32_e32 v12, s4, v34
	s_delay_alu instid0(VALU_DEP_1)
	v_lshlrev_b32_e32 v12, 3, v12
	ds_store_b128 v12, v[2:5] offset:3072
	ds_store_b128 v12, v[6:9] offset:3088
.LBB14_93:                              ;   in Loop: Header=BB14_33 Depth=1
	s_or_b32 exec_lo, exec_lo, s5
	s_waitcnt vmcnt(0) lgkmcnt(0)
	s_barrier
	buffer_gl0_inv
	s_and_saveexec_b32 s5, s89
	s_cbranch_execz .LBB14_104
; %bb.94:                               ;   in Loop: Header=BB14_33 Depth=1
	v_mov_b32_e32 v2, 0
	v_mov_b32_e32 v3, 0
	s_and_not1_b32 vcc_lo, exec_lo, s94
	s_cbranch_vccnz .LBB14_103
; %bb.95:                               ;   in Loop: Header=BB14_33 Depth=1
	v_mov_b32_e32 v2, 0
	v_mov_b32_e32 v3, 0
	s_and_not1_b32 vcc_lo, exec_lo, s96
	s_cbranch_vccnz .LBB14_100
; %bb.96:                               ;   in Loop: Header=BB14_33 Depth=1
	v_lshl_add_u32 v4, s104, 10, v39
	s_mov_b32 s6, 0
	s_set_inst_prefetch_distance 0x1
	.p2align	6
.LBB14_97:                              ;   Parent Loop BB14_33 Depth=1
                                        ; =>  This Inner Loop Header: Depth=2
	ds_load_2addr_b64 v[5:8], v4 offset1:4
	ds_load_2addr_b64 v[25:28], v4 offset0:8 offset1:12
	ds_load_2addr_b64 v[29:32], v4 offset0:16 offset1:20
	s_add_i32 s6, s6, 8
	s_delay_alu instid0(SALU_CYCLE_1) | instskip(SKIP_3) | instid1(VALU_DEP_2)
	s_cmp_eq_u32 s97, s6
	s_waitcnt lgkmcnt(2)
	v_add_co_u32 v2, vcc_lo, v5, v2
	v_add_co_ci_u32_e32 v3, vcc_lo, v6, v3, vcc_lo
	v_add_co_u32 v2, vcc_lo, v7, v2
	s_delay_alu instid0(VALU_DEP_2)
	v_add_co_ci_u32_e32 v3, vcc_lo, v8, v3, vcc_lo
	ds_load_2addr_b64 v[5:8], v4 offset0:24 offset1:28
	s_waitcnt lgkmcnt(2)
	v_add_co_u32 v2, vcc_lo, v25, v2
	v_add_co_ci_u32_e32 v3, vcc_lo, v26, v3, vcc_lo
	v_add_nc_u32_e32 v4, 0x100, v4
	s_delay_alu instid0(VALU_DEP_3) | instskip(NEXT) | instid1(VALU_DEP_3)
	v_add_co_u32 v2, vcc_lo, v27, v2
	v_add_co_ci_u32_e32 v3, vcc_lo, v28, v3, vcc_lo
	s_waitcnt lgkmcnt(1)
	s_delay_alu instid0(VALU_DEP_2) | instskip(NEXT) | instid1(VALU_DEP_2)
	v_add_co_u32 v2, vcc_lo, v29, v2
	v_add_co_ci_u32_e32 v3, vcc_lo, v30, v3, vcc_lo
	s_delay_alu instid0(VALU_DEP_2) | instskip(NEXT) | instid1(VALU_DEP_2)
	v_add_co_u32 v2, vcc_lo, v31, v2
	v_add_co_ci_u32_e32 v3, vcc_lo, v32, v3, vcc_lo
	s_waitcnt lgkmcnt(0)
	s_delay_alu instid0(VALU_DEP_2) | instskip(NEXT) | instid1(VALU_DEP_2)
	v_add_co_u32 v2, vcc_lo, v5, v2
	v_add_co_ci_u32_e32 v3, vcc_lo, v6, v3, vcc_lo
	s_delay_alu instid0(VALU_DEP_2) | instskip(NEXT) | instid1(VALU_DEP_2)
	v_add_co_u32 v2, vcc_lo, v7, v2
	v_add_co_ci_u32_e32 v3, vcc_lo, v8, v3, vcc_lo
	s_cbranch_scc0 .LBB14_97
; %bb.98:                               ;   in Loop: Header=BB14_33 Depth=1
	s_set_inst_prefetch_distance 0x2
	s_mov_b32 s6, s97
	s_and_not1_b32 vcc_lo, exec_lo, s98
	s_cbranch_vccz .LBB14_101
	s_branch .LBB14_103
.LBB14_99:                              ;   in Loop: Header=BB14_33 Depth=1
                                        ; implicit-def: $vgpr25_vgpr26
	s_branch .LBB14_67
.LBB14_100:                             ;   in Loop: Header=BB14_33 Depth=1
	s_mov_b32 s6, 0
	s_and_not1_b32 vcc_lo, exec_lo, s98
	s_cbranch_vccnz .LBB14_103
.LBB14_101:                             ;   in Loop: Header=BB14_33 Depth=1
	s_lshl_b32 s7, s104, 10
	s_lshl_b32 s6, s6, 5
	s_delay_alu instid0(SALU_CYCLE_1)
	v_add3_u32 v4, s7, s6, v39
	s_mov_b32 s6, s95
.LBB14_102:                             ;   Parent Loop BB14_33 Depth=1
                                        ; =>  This Inner Loop Header: Depth=2
	ds_load_b64 v[5:6], v4
	v_add_nc_u32_e32 v4, 32, v4
	s_add_i32 s6, s6, -1
	s_delay_alu instid0(SALU_CYCLE_1)
	s_cmp_lg_u32 s6, 0
	s_waitcnt lgkmcnt(0)
	v_add_co_u32 v2, vcc_lo, v5, v2
	v_add_co_ci_u32_e32 v3, vcc_lo, v6, v3, vcc_lo
	s_cbranch_scc1 .LBB14_102
.LBB14_103:                             ;   in Loop: Header=BB14_33 Depth=1
	v_add_lshl_u32 v4, s4, v33, 3
	ds_store_b64 v4, v[2:3] offset:3072
.LBB14_104:                             ;   in Loop: Header=BB14_33 Depth=1
	s_or_b32 exec_lo, exec_lo, s5
	s_lshl_b32 s4, s4, 3
	s_waitcnt lgkmcnt(0)
	v_mov_b32_e32 v6, s4
	s_barrier
	buffer_gl0_inv
	s_and_b32 s17, s99, 0xfe
	s_mov_b32 s19, -1
	ds_load_b128 v[2:5], v6 offset:3072
	ds_load_b128 v[6:9], v6 offset:3088
	s_lshl_b32 s16, 3, s17
	s_delay_alu instid0(SALU_CYCLE_1)
	s_not_b32 s18, s16
	s_waitcnt lgkmcnt(1)
	v_readfirstlane_b32 s13, v3
	v_readfirstlane_b32 s12, v2
	;; [unrolled: 1-line block ×4, first 2 shown]
	s_waitcnt lgkmcnt(0)
	v_readfirstlane_b32 s8, v6
	v_readfirstlane_b32 s9, v7
	s_cmp_eq_u64 s[12:13], 1
	v_readfirstlane_b32 s6, v8
	s_cselect_b32 s4, -1, 0
	s_cmp_eq_u64 s[26:27], 1
	v_readfirstlane_b32 s7, v9
	s_cselect_b32 s5, -1, 0
	s_delay_alu instid0(SALU_CYCLE_1) | instskip(NEXT) | instid1(SALU_CYCLE_1)
	s_and_b32 s20, s4, s5
	s_and_b32 vcc_lo, exec_lo, s20
	s_cbranch_vccz .LBB14_119
; %bb.105:                              ;   in Loop: Header=BB14_33 Depth=1
	ds_load_b64 v[2:3], v13 offset:5120
	s_waitcnt lgkmcnt(0)
	s_barrier
	buffer_gl0_inv
	v_readfirstlane_b32 s14, v2
	v_readfirstlane_b32 s15, v3
	s_and_saveexec_b32 s4, s3
	s_cbranch_execz .LBB14_107
; %bb.106:                              ;   in Loop: Header=BB14_33 Depth=1
	ds_store_b8 v0, v13 offset:3072
.LBB14_107:                             ;   in Loop: Header=BB14_33 Depth=1
	s_or_b32 exec_lo, exec_lo, s4
	s_delay_alu instid0(VALU_DEP_1)
	v_cmp_lt_i64_e64 s4, s[14:15], 1
	s_and_b32 s63, s63, s18
	s_or_b32 s62, s62, s16
	s_waitcnt lgkmcnt(0)
	s_barrier
	buffer_gl0_inv
	s_and_b32 vcc_lo, exec_lo, s4
	s_cbranch_vccz .LBB14_120
; %bb.108:                              ;   in Loop: Header=BB14_33 Depth=1
	s_mov_b32 s70, s67
	s_delay_alu instid0(SALU_CYCLE_1)
	s_cmp_lg_u64 s[70:71], 0
	s_cbranch_scc0 .LBB14_165
; %bb.109:                              ;   in Loop: Header=BB14_33 Depth=1
	v_cvt_f32_u32_e32 v2, s33
	s_sub_u32 s21, 0, s33
	s_subb_u32 s22, 0, 0
	s_delay_alu instid0(VALU_DEP_1) | instskip(NEXT) | instid1(VALU_DEP_1)
	v_fmac_f32_e32 v2, 0x4f800000, v40
	v_rcp_f32_e32 v2, v2
	s_waitcnt_depctr 0xfff
	v_mul_f32_e32 v2, 0x5f7ffffc, v2
	s_delay_alu instid0(VALU_DEP_1) | instskip(NEXT) | instid1(VALU_DEP_1)
	v_mul_f32_e32 v3, 0x2f800000, v2
	v_trunc_f32_e32 v3, v3
	s_delay_alu instid0(VALU_DEP_1) | instskip(SKIP_1) | instid1(VALU_DEP_2)
	v_fmac_f32_e32 v2, 0xcf800000, v3
	v_cvt_u32_f32_e32 v3, v3
	v_cvt_u32_f32_e32 v2, v2
	s_delay_alu instid0(VALU_DEP_2) | instskip(NEXT) | instid1(VALU_DEP_2)
	v_readfirstlane_b32 s4, v3
	v_readfirstlane_b32 s5, v2
	s_delay_alu instid0(VALU_DEP_2) | instskip(NEXT) | instid1(VALU_DEP_1)
	s_mul_i32 s23, s21, s4
	s_mul_hi_u32 s57, s21, s5
	s_mul_i32 s56, s22, s5
	s_add_i32 s23, s57, s23
	s_mul_i32 s66, s21, s5
	s_add_i32 s23, s23, s56
	s_mul_hi_u32 s57, s5, s66
	s_mul_hi_u32 s70, s4, s66
	s_mul_i32 s56, s4, s66
	s_mul_hi_u32 s66, s5, s23
	s_mul_i32 s5, s5, s23
	s_mul_hi_u32 s78, s4, s23
	s_add_u32 s5, s57, s5
	s_addc_u32 s57, 0, s66
	s_add_u32 s5, s5, s56
	s_mul_i32 s23, s4, s23
	s_addc_u32 s5, s57, s70
	s_addc_u32 s56, s78, 0
	s_add_u32 s5, s5, s23
	s_addc_u32 s23, 0, s56
	v_add_co_u32 v2, s5, v2, s5
	s_delay_alu instid0(VALU_DEP_1) | instskip(SKIP_1) | instid1(VALU_DEP_1)
	s_cmp_lg_u32 s5, 0
	s_addc_u32 s4, s4, s23
	v_readfirstlane_b32 s5, v2
	s_mul_i32 s23, s21, s4
	s_delay_alu instid0(VALU_DEP_1)
	s_mul_hi_u32 s56, s21, s5
	s_mul_i32 s22, s22, s5
	s_add_i32 s23, s56, s23
	s_mul_i32 s21, s21, s5
	s_add_i32 s23, s23, s22
	s_mul_hi_u32 s56, s4, s21
	s_mul_i32 s57, s4, s21
	s_mul_hi_u32 s21, s5, s21
	s_mul_hi_u32 s66, s5, s23
	s_mul_i32 s5, s5, s23
	s_mul_hi_u32 s22, s4, s23
	s_add_u32 s5, s21, s5
	s_addc_u32 s21, 0, s66
	s_add_u32 s5, s5, s57
	s_mul_i32 s23, s4, s23
	s_addc_u32 s5, s21, s56
	s_addc_u32 s21, s22, 0
	s_add_u32 s5, s5, s23
	s_addc_u32 s21, 0, s21
	v_add_co_u32 v2, s5, v2, s5
	s_delay_alu instid0(VALU_DEP_1) | instskip(SKIP_2) | instid1(VALU_DEP_1)
	s_cmp_lg_u32 s5, 0
	s_addc_u32 s21, s4, s21
	s_ashr_i32 s22, s71, 31
	v_readfirstlane_b32 s56, v2
	s_add_u32 s4, s93, s22
	s_mov_b32 s23, s22
	s_addc_u32 s5, s71, s22
	s_delay_alu instid0(SALU_CYCLE_1) | instskip(NEXT) | instid1(SALU_CYCLE_1)
	s_xor_b64 s[4:5], s[4:5], s[22:23]
	s_mul_i32 s57, s4, s21
	s_mul_hi_u32 s66, s4, s56
	s_mul_hi_u32 s23, s4, s21
	;; [unrolled: 1-line block ×3, first 2 shown]
	s_mul_i32 s56, s5, s56
	s_add_u32 s57, s66, s57
	s_addc_u32 s23, 0, s23
	s_mul_hi_u32 s70, s5, s21
	s_add_u32 s56, s57, s56
	s_mul_i32 s21, s5, s21
	s_addc_u32 s23, s23, s78
	s_addc_u32 s56, s70, 0
	s_add_u32 s21, s23, s21
	s_addc_u32 s23, 0, s56
	s_mul_hi_u32 s56, s33, s21
	s_mul_i32 s21, s33, s21
	s_mul_i32 s23, s33, s23
	v_sub_co_u32 v2, s4, s4, s21
	s_add_i32 s56, s56, s23
	s_cmp_lg_u32 s4, 0
	s_delay_alu instid0(VALU_DEP_1) | instskip(SKIP_2) | instid1(VALU_DEP_1)
	v_sub_co_u32 v3, s4, v2, s33
	s_subb_u32 s5, s5, s56
	s_cmp_lg_u32 s4, 0
	v_cmp_le_u32_e32 vcc_lo, s33, v3
	v_sub_co_u32 v4, s4, v3, s33
	s_subb_u32 s21, s5, 0
	s_cmp_lg_u32 s4, 0
	v_cndmask_b32_e64 v5, 0, -1, vcc_lo
	s_subb_u32 s4, s21, 0
	s_cmp_eq_u32 s21, 0
	v_mov_b32_e32 v7, s4
	s_cselect_b32 vcc_lo, -1, 0
	s_cmp_eq_u32 s5, 0
	v_cndmask_b32_e32 v5, -1, v5, vcc_lo
	v_cmp_le_u32_e32 vcc_lo, s33, v2
	s_cselect_b32 s4, -1, 0
	v_cndmask_b32_e64 v6, 0, -1, vcc_lo
	s_delay_alu instid0(VALU_DEP_3) | instskip(NEXT) | instid1(VALU_DEP_2)
	v_cmp_ne_u32_e32 vcc_lo, 0, v5
	v_cndmask_b32_e64 v5, -1, v6, s4
	v_cndmask_b32_e32 v3, v3, v4, vcc_lo
	v_cndmask_b32_e32 v6, s21, v7, vcc_lo
	s_delay_alu instid0(VALU_DEP_3) | instskip(NEXT) | instid1(VALU_DEP_3)
	v_cmp_ne_u32_e32 vcc_lo, 0, v5
	v_cndmask_b32_e32 v2, v2, v3, vcc_lo
	s_delay_alu instid0(VALU_DEP_3) | instskip(NEXT) | instid1(VALU_DEP_2)
	v_cndmask_b32_e32 v4, s5, v6, vcc_lo
	v_xor_b32_e32 v2, s22, v2
	s_delay_alu instid0(VALU_DEP_2) | instskip(NEXT) | instid1(VALU_DEP_2)
	v_xor_b32_e32 v3, s22, v4
	v_sub_co_u32 v2, vcc_lo, v2, s22
	s_delay_alu instid0(VALU_DEP_2)
	v_subrev_co_ci_u32_e32 v3, vcc_lo, s22, v3, vcc_lo
	s_cbranch_execnz .LBB14_111
.LBB14_110:                             ;   in Loop: Header=BB14_33 Depth=1
	v_cvt_f32_u32_e32 v2, s33
	s_sub_i32 s4, 0, s33
	s_delay_alu instid0(VALU_DEP_1) | instskip(SKIP_2) | instid1(VALU_DEP_1)
	v_rcp_iflag_f32_e32 v2, v2
	s_waitcnt_depctr 0xfff
	v_mul_f32_e32 v2, 0x4f7ffffe, v2
	v_cvt_u32_f32_e32 v2, v2
	s_delay_alu instid0(VALU_DEP_1) | instskip(NEXT) | instid1(VALU_DEP_1)
	v_mul_lo_u32 v3, s4, v2
	v_mul_hi_u32 v3, v2, v3
	s_delay_alu instid0(VALU_DEP_1) | instskip(NEXT) | instid1(VALU_DEP_1)
	v_add_nc_u32_e32 v2, v2, v3
	v_mul_hi_u32 v2, s93, v2
	s_delay_alu instid0(VALU_DEP_1) | instskip(NEXT) | instid1(VALU_DEP_1)
	v_mul_lo_u32 v2, v2, s33
	v_sub_nc_u32_e32 v2, s93, v2
	s_delay_alu instid0(VALU_DEP_1) | instskip(SKIP_1) | instid1(VALU_DEP_2)
	v_subrev_nc_u32_e32 v3, s33, v2
	v_cmp_le_u32_e32 vcc_lo, s33, v2
	v_cndmask_b32_e32 v2, v2, v3, vcc_lo
	s_delay_alu instid0(VALU_DEP_1) | instskip(SKIP_1) | instid1(VALU_DEP_2)
	v_subrev_nc_u32_e32 v3, s33, v2
	v_cmp_le_u32_e32 vcc_lo, s33, v2
	v_cndmask_b32_e32 v12, v2, v3, vcc_lo
	s_delay_alu instid0(VALU_DEP_1)
	v_dual_mov_b32 v2, v12 :: v_dual_mov_b32 v3, v13
.LBB14_111:                             ;   in Loop: Header=BB14_33 Depth=1
	s_delay_alu instid0(VALU_DEP_1) | instskip(NEXT) | instid1(VALU_DEP_2)
	v_sub_co_u32 v2, vcc_lo, s93, v2
	v_sub_co_ci_u32_e32 v3, vcc_lo, s71, v3, vcc_lo
	s_mov_b32 s4, 0
	s_mov_b32 s5, exec_lo
                                        ; implicit-def: $vgpr41
	s_delay_alu instid0(VALU_DEP_1)
	v_cmpx_gt_i64_e64 v[2:3], v[0:1]
	s_cbranch_execz .LBB14_122
; %bb.112:                              ;   in Loop: Header=BB14_33 Depth=1
	v_dual_mov_b32 v4, v10 :: v_dual_mov_b32 v5, v11
	v_dual_mov_b32 v7, v1 :: v_dual_mov_b32 v6, v0
	s_mov_b32 s21, 0
                                        ; implicit-def: $sgpr22
	s_set_inst_prefetch_distance 0x1
	s_branch .LBB14_114
	.p2align	6
.LBB14_113:                             ;   in Loop: Header=BB14_114 Depth=2
	s_or_b32 exec_lo, exec_lo, s4
	s_waitcnt vmcnt(0) lgkmcnt(0)
	s_barrier
	buffer_gl0_inv
	ds_load_u16 v8, v13 offset:3072
	v_add_co_u32 v6, vcc_lo, v6, s33
	v_add_co_ci_u32_e32 v7, vcc_lo, 0, v7, vcc_lo
	s_waitcnt lgkmcnt(0)
	s_barrier
	buffer_gl0_inv
	v_cmp_ge_i64_e32 vcc_lo, v[6:7], v[2:3]
	v_and_b32_e32 v9, 0xff, v8
	s_delay_alu instid0(VALU_DEP_1) | instskip(NEXT) | instid1(VALU_DEP_1)
	v_cmp_ne_u16_e64 s4, 0, v9
	s_or_b32 s23, s4, vcc_lo
	v_add_co_u32 v4, vcc_lo, v4, s88
	s_and_b32 s23, exec_lo, s23
	v_add_co_ci_u32_e32 v5, vcc_lo, s35, v5, vcc_lo
	s_or_b32 s21, s23, s21
	s_and_not1_b32 s22, s22, exec_lo
	s_and_b32 s4, s4, exec_lo
	s_delay_alu instid0(SALU_CYCLE_1)
	s_or_b32 s22, s22, s4
	s_and_not1_b32 exec_lo, exec_lo, s21
	s_cbranch_execz .LBB14_121
.LBB14_114:                             ;   Parent Loop BB14_33 Depth=1
                                        ; =>  This Inner Loop Header: Depth=2
	s_delay_alu instid0(VALU_DEP_1)
	v_cmp_gt_i64_e32 vcc_lo, s[24:25], v[6:7]
	v_mov_b32_e32 v8, 0
	s_and_saveexec_b32 s4, vcc_lo
	s_cbranch_execz .LBB14_116
; %bb.115:                              ;   in Loop: Header=BB14_114 Depth=2
	global_load_u8 v8, v[4:5], off
.LBB14_116:                             ;   in Loop: Header=BB14_114 Depth=2
	s_or_b32 exec_lo, exec_lo, s4
	s_and_saveexec_b32 s4, vcc_lo
	s_cbranch_execz .LBB14_113
; %bb.117:                              ;   in Loop: Header=BB14_114 Depth=2
	s_waitcnt vmcnt(0)
	v_bfe_i32 v9, v8, 0, 8
	s_delay_alu instid0(VALU_DEP_1) | instskip(NEXT) | instid1(VALU_DEP_1)
	v_add_nc_u32_e32 v9, 0x80, v9
	v_and_b32_e32 v9, s62, v9
	s_delay_alu instid0(VALU_DEP_1)
	v_cmp_eq_u32_e32 vcc_lo, s63, v9
	s_and_b32 exec_lo, exec_lo, vcc_lo
	s_cbranch_execz .LBB14_113
; %bb.118:                              ;   in Loop: Header=BB14_114 Depth=2
	v_lshlrev_b16 v8, 8, v8
	s_delay_alu instid0(VALU_DEP_1)
	v_or_b32_e32 v8, 1, v8
	ds_store_b16 v13, v8 offset:3072
	s_branch .LBB14_113
.LBB14_119:                             ;   in Loop: Header=BB14_33 Depth=1
	s_mov_b32 s4, -1
                                        ; implicit-def: $sgpr5
                                        ; implicit-def: $sgpr22
                                        ; implicit-def: $sgpr21
	s_branch .LBB14_136
.LBB14_120:                             ;   in Loop: Header=BB14_33 Depth=1
	s_mov_b32 s5, -1
	s_mov_b32 s4, 0
                                        ; implicit-def: $sgpr21
                                        ; implicit-def: $vgpr41
	s_mov_b32 s22, s5
	s_cbranch_execnz .LBB14_123
	s_branch .LBB14_136
.LBB14_121:                             ;   in Loop: Header=BB14_33 Depth=1
	s_set_inst_prefetch_distance 0x2
	s_or_b32 exec_lo, exec_lo, s21
	v_lshrrev_b16 v41, 8, v8
	s_and_b32 s4, s22, exec_lo
.LBB14_122:                             ;   in Loop: Header=BB14_33 Depth=1
	s_or_b32 exec_lo, exec_lo, s5
	s_mov_b32 s21, -1
	s_mov_b32 s5, 0
	s_delay_alu instid0(SALU_CYCLE_1)
	s_mov_b32 s22, s5
	s_branch .LBB14_136
.LBB14_123:                             ;   in Loop: Header=BB14_33 Depth=1
	s_add_u32 s21, s91, s14
	s_addc_u32 s5, s92, s15
	s_mov_b32 s4, s67
	s_delay_alu instid0(SALU_CYCLE_1)
	s_cmp_lg_u64 s[4:5], 0
	s_cbranch_scc0 .LBB14_166
; %bb.124:                              ;   in Loop: Header=BB14_33 Depth=1
	v_cvt_f32_u32_e32 v2, s33
	s_sub_u32 s23, 0, s33
	s_subb_u32 s56, 0, 0
	s_delay_alu instid0(VALU_DEP_1) | instskip(NEXT) | instid1(VALU_DEP_1)
	v_fmac_f32_e32 v2, 0x4f800000, v40
	v_rcp_f32_e32 v2, v2
	s_waitcnt_depctr 0xfff
	v_mul_f32_e32 v2, 0x5f7ffffc, v2
	s_delay_alu instid0(VALU_DEP_1) | instskip(NEXT) | instid1(VALU_DEP_1)
	v_mul_f32_e32 v3, 0x2f800000, v2
	v_trunc_f32_e32 v3, v3
	s_delay_alu instid0(VALU_DEP_1) | instskip(SKIP_1) | instid1(VALU_DEP_2)
	v_fmac_f32_e32 v2, 0xcf800000, v3
	v_cvt_u32_f32_e32 v3, v3
	v_cvt_u32_f32_e32 v2, v2
	s_delay_alu instid0(VALU_DEP_2) | instskip(NEXT) | instid1(VALU_DEP_2)
	v_readfirstlane_b32 s4, v3
	v_readfirstlane_b32 s22, v2
	s_delay_alu instid0(VALU_DEP_2) | instskip(NEXT) | instid1(VALU_DEP_1)
	s_mul_i32 s57, s23, s4
	s_mul_hi_u32 s70, s23, s22
	s_mul_i32 s66, s56, s22
	s_add_i32 s57, s70, s57
	s_mul_i32 s78, s23, s22
	s_add_i32 s57, s57, s66
	s_mul_hi_u32 s70, s22, s78
	s_mul_hi_u32 s79, s4, s78
	s_mul_i32 s66, s4, s78
	s_mul_hi_u32 s78, s22, s57
	s_mul_i32 s22, s22, s57
	s_mul_hi_u32 s80, s4, s57
	s_add_u32 s22, s70, s22
	s_addc_u32 s70, 0, s78
	s_add_u32 s22, s22, s66
	s_mul_i32 s57, s4, s57
	s_addc_u32 s22, s70, s79
	s_addc_u32 s66, s80, 0
	s_add_u32 s22, s22, s57
	s_addc_u32 s57, 0, s66
	v_add_co_u32 v2, s22, v2, s22
	s_delay_alu instid0(VALU_DEP_1) | instskip(SKIP_1) | instid1(VALU_DEP_1)
	s_cmp_lg_u32 s22, 0
	s_addc_u32 s4, s4, s57
	v_readfirstlane_b32 s22, v2
	s_mul_i32 s57, s23, s4
	s_delay_alu instid0(VALU_DEP_1)
	s_mul_hi_u32 s66, s23, s22
	s_mul_i32 s56, s56, s22
	s_add_i32 s57, s66, s57
	s_mul_i32 s23, s23, s22
	s_add_i32 s57, s57, s56
	s_mul_hi_u32 s66, s4, s23
	s_mul_i32 s70, s4, s23
	s_mul_hi_u32 s23, s22, s23
	s_mul_hi_u32 s78, s22, s57
	s_mul_i32 s22, s22, s57
	s_mul_hi_u32 s56, s4, s57
	s_add_u32 s22, s23, s22
	s_addc_u32 s23, 0, s78
	s_add_u32 s22, s22, s70
	s_mul_i32 s57, s4, s57
	s_addc_u32 s22, s23, s66
	s_addc_u32 s23, s56, 0
	s_add_u32 s22, s22, s57
	s_addc_u32 s23, 0, s23
	v_add_co_u32 v2, s22, v2, s22
	s_delay_alu instid0(VALU_DEP_1) | instskip(SKIP_2) | instid1(VALU_DEP_1)
	s_cmp_lg_u32 s22, 0
	s_addc_u32 s4, s4, s23
	s_ashr_i32 s22, s5, 31
	v_readfirstlane_b32 s66, v2
	s_add_u32 s56, s21, s22
	s_mov_b32 s23, s22
	s_addc_u32 s57, s5, s22
	s_delay_alu instid0(SALU_CYCLE_1) | instskip(NEXT) | instid1(SALU_CYCLE_1)
	s_xor_b64 s[56:57], s[56:57], s[22:23]
	s_mul_i32 s70, s56, s4
	s_mul_hi_u32 s78, s56, s66
	s_mul_hi_u32 s23, s56, s4
	;; [unrolled: 1-line block ×3, first 2 shown]
	s_mul_i32 s66, s57, s66
	s_add_u32 s70, s78, s70
	s_addc_u32 s23, 0, s23
	s_mul_hi_u32 s79, s57, s4
	s_add_u32 s66, s70, s66
	s_mul_i32 s4, s57, s4
	s_addc_u32 s23, s23, s80
	s_addc_u32 s66, s79, 0
	s_add_u32 s4, s23, s4
	s_addc_u32 s23, 0, s66
	s_mul_hi_u32 s66, s33, s4
	s_mul_i32 s4, s33, s4
	s_mul_i32 s23, s33, s23
	v_sub_co_u32 v2, s4, s56, s4
	s_add_i32 s66, s66, s23
	s_cmp_lg_u32 s4, 0
	s_delay_alu instid0(VALU_DEP_1) | instskip(SKIP_2) | instid1(VALU_DEP_1)
	v_sub_co_u32 v3, s4, v2, s33
	s_subb_u32 s23, s57, s66
	s_cmp_lg_u32 s4, 0
	v_cmp_le_u32_e32 vcc_lo, s33, v3
	v_sub_co_u32 v4, s4, v3, s33
	s_subb_u32 s56, s23, 0
	s_cmp_lg_u32 s4, 0
	v_cndmask_b32_e64 v5, 0, -1, vcc_lo
	s_subb_u32 s4, s56, 0
	s_cmp_eq_u32 s56, 0
	v_mov_b32_e32 v7, s4
	s_cselect_b32 vcc_lo, -1, 0
	s_cmp_eq_u32 s23, 0
	v_cndmask_b32_e32 v5, -1, v5, vcc_lo
	v_cmp_le_u32_e32 vcc_lo, s33, v2
	s_cselect_b32 s4, -1, 0
	v_cndmask_b32_e64 v6, 0, -1, vcc_lo
	s_delay_alu instid0(VALU_DEP_3) | instskip(NEXT) | instid1(VALU_DEP_2)
	v_cmp_ne_u32_e32 vcc_lo, 0, v5
	v_cndmask_b32_e64 v5, -1, v6, s4
	v_cndmask_b32_e32 v3, v3, v4, vcc_lo
	v_cndmask_b32_e32 v6, s56, v7, vcc_lo
	s_delay_alu instid0(VALU_DEP_3) | instskip(NEXT) | instid1(VALU_DEP_3)
	v_cmp_ne_u32_e32 vcc_lo, 0, v5
	v_cndmask_b32_e32 v2, v2, v3, vcc_lo
	s_delay_alu instid0(VALU_DEP_3) | instskip(NEXT) | instid1(VALU_DEP_2)
	v_cndmask_b32_e32 v4, s23, v6, vcc_lo
	v_xor_b32_e32 v2, s22, v2
	s_delay_alu instid0(VALU_DEP_2) | instskip(NEXT) | instid1(VALU_DEP_2)
	v_xor_b32_e32 v3, s22, v4
	v_sub_co_u32 v2, vcc_lo, v2, s22
	s_delay_alu instid0(VALU_DEP_2)
	v_subrev_co_ci_u32_e32 v3, vcc_lo, s22, v3, vcc_lo
	s_cbranch_execnz .LBB14_126
.LBB14_125:                             ;   in Loop: Header=BB14_33 Depth=1
	v_cvt_f32_u32_e32 v2, s33
	s_sub_i32 s4, 0, s33
	s_delay_alu instid0(VALU_DEP_1) | instskip(SKIP_2) | instid1(VALU_DEP_1)
	v_rcp_iflag_f32_e32 v2, v2
	s_waitcnt_depctr 0xfff
	v_mul_f32_e32 v2, 0x4f7ffffe, v2
	v_cvt_u32_f32_e32 v2, v2
	s_delay_alu instid0(VALU_DEP_1) | instskip(NEXT) | instid1(VALU_DEP_1)
	v_mul_lo_u32 v3, s4, v2
	v_mul_hi_u32 v3, v2, v3
	s_delay_alu instid0(VALU_DEP_1) | instskip(NEXT) | instid1(VALU_DEP_1)
	v_add_nc_u32_e32 v2, v2, v3
	v_mul_hi_u32 v2, s21, v2
	s_delay_alu instid0(VALU_DEP_1) | instskip(NEXT) | instid1(VALU_DEP_1)
	v_mul_lo_u32 v2, v2, s33
	v_sub_nc_u32_e32 v2, s21, v2
	s_delay_alu instid0(VALU_DEP_1) | instskip(SKIP_1) | instid1(VALU_DEP_2)
	v_subrev_nc_u32_e32 v3, s33, v2
	v_cmp_le_u32_e32 vcc_lo, s33, v2
	v_cndmask_b32_e32 v2, v2, v3, vcc_lo
	s_delay_alu instid0(VALU_DEP_1) | instskip(SKIP_1) | instid1(VALU_DEP_2)
	v_subrev_nc_u32_e32 v3, s33, v2
	v_cmp_le_u32_e32 vcc_lo, s33, v2
	v_cndmask_b32_e32 v12, v2, v3, vcc_lo
	s_delay_alu instid0(VALU_DEP_1)
	v_dual_mov_b32 v2, v12 :: v_dual_mov_b32 v3, v13
.LBB14_126:                             ;   in Loop: Header=BB14_33 Depth=1
	s_delay_alu instid0(VALU_DEP_1) | instskip(NEXT) | instid1(VALU_DEP_2)
	v_sub_co_u32 v2, vcc_lo, s21, v2
	v_sub_co_ci_u32_e32 v3, vcc_lo, s5, v3, vcc_lo
	s_mov_b32 s4, 0
	s_mov_b32 s5, exec_lo
                                        ; implicit-def: $vgpr41
	s_delay_alu instid0(VALU_DEP_1)
	v_cmpx_gt_i64_e64 v[2:3], v[0:1]
	s_cbranch_execz .LBB14_135
; %bb.127:                              ;   in Loop: Header=BB14_33 Depth=1
	v_dual_mov_b32 v6, v0 :: v_dual_mov_b32 v5, v1
	v_mov_b32_e32 v4, v0
	s_mov_b32 s21, 0
                                        ; implicit-def: $sgpr22
	s_set_inst_prefetch_distance 0x1
	s_branch .LBB14_129
	.p2align	6
.LBB14_128:                             ;   in Loop: Header=BB14_129 Depth=2
	s_or_b32 exec_lo, exec_lo, s4
	s_waitcnt lgkmcnt(0)
	s_barrier
	buffer_gl0_inv
	ds_load_u16 v7, v13 offset:3072
	v_add_co_u32 v4, vcc_lo, v4, s33
	v_add_co_ci_u32_e32 v5, vcc_lo, 0, v5, vcc_lo
	v_add_nc_u32_e32 v6, s33, v6
	s_waitcnt lgkmcnt(0)
	s_barrier
	s_delay_alu instid0(VALU_DEP_2) | instskip(SKIP_2) | instid1(VALU_DEP_1)
	v_cmp_ge_i64_e32 vcc_lo, v[4:5], v[2:3]
	buffer_gl0_inv
	v_and_b32_e32 v8, 0xff, v7
	v_cmp_ne_u16_e64 s4, 0, v8
	s_delay_alu instid0(VALU_DEP_1) | instskip(NEXT) | instid1(SALU_CYCLE_1)
	s_or_b32 s23, s4, vcc_lo
	s_and_b32 s23, exec_lo, s23
	s_delay_alu instid0(SALU_CYCLE_1) | instskip(SKIP_2) | instid1(SALU_CYCLE_1)
	s_or_b32 s21, s23, s21
	s_and_not1_b32 s22, s22, exec_lo
	s_and_b32 s4, s4, exec_lo
	s_or_b32 s22, s22, s4
	s_and_not1_b32 exec_lo, exec_lo, s21
	s_cbranch_execz .LBB14_134
.LBB14_129:                             ;   Parent Loop BB14_33 Depth=1
                                        ; =>  This Inner Loop Header: Depth=2
	s_delay_alu instid0(VALU_DEP_1)
	v_cmp_gt_i64_e32 vcc_lo, s[14:15], v[4:5]
	v_mov_b32_e32 v7, 0
	s_and_saveexec_b32 s4, vcc_lo
	s_cbranch_execz .LBB14_131
; %bb.130:                              ;   in Loop: Header=BB14_129 Depth=2
	ds_load_u8 v7, v6
.LBB14_131:                             ;   in Loop: Header=BB14_129 Depth=2
	s_or_b32 exec_lo, exec_lo, s4
	s_and_saveexec_b32 s4, vcc_lo
	s_cbranch_execz .LBB14_128
; %bb.132:                              ;   in Loop: Header=BB14_129 Depth=2
	s_waitcnt lgkmcnt(0)
	v_bfe_i32 v8, v7, 0, 8
	s_delay_alu instid0(VALU_DEP_1) | instskip(NEXT) | instid1(VALU_DEP_1)
	v_add_nc_u32_e32 v8, 0x80, v8
	v_and_b32_e32 v8, s62, v8
	s_delay_alu instid0(VALU_DEP_1)
	v_cmp_eq_u32_e32 vcc_lo, s63, v8
	s_and_b32 exec_lo, exec_lo, vcc_lo
	s_cbranch_execz .LBB14_128
; %bb.133:                              ;   in Loop: Header=BB14_129 Depth=2
	v_lshlrev_b16 v7, 8, v7
	s_delay_alu instid0(VALU_DEP_1)
	v_or_b32_e32 v7, 1, v7
	ds_store_b16 v13, v7 offset:3072
	s_branch .LBB14_128
.LBB14_134:                             ;   in Loop: Header=BB14_33 Depth=1
	s_set_inst_prefetch_distance 0x2
	s_or_b32 exec_lo, exec_lo, s21
	v_lshrrev_b16 v41, 8, v7
	s_and_b32 s4, s22, exec_lo
.LBB14_135:                             ;   in Loop: Header=BB14_33 Depth=1
	s_or_b32 exec_lo, exec_lo, s5
	s_mov_b32 s22, -1
	s_mov_b32 s5, 0
	s_mov_b32 s21, 0
.LBB14_136:                             ;   in Loop: Header=BB14_33 Depth=1
	s_and_not1_b32 s14, vcc_hi, exec_lo
	s_and_b32 s5, s5, exec_lo
	s_and_not1_b32 s15, s60, exec_lo
	s_or_b32 vcc_hi, s14, s5
	s_and_not1_b32 s5, s61, exec_lo
	s_and_b32 s14, s22, exec_lo
	s_and_b32 s21, s21, exec_lo
	s_or_b32 s61, s5, s14
	s_or_b32 s60, s15, s21
	s_and_saveexec_b32 s14, s4
	s_cbranch_execz .LBB14_32
; %bb.137:                              ;   in Loop: Header=BB14_33 Depth=1
	s_xor_b32 s4, s20, -1
	s_mov_b32 s70, 1
	s_and_not1_b32 vcc_lo, exec_lo, s4
	s_cbranch_vccnz .LBB14_148
; %bb.138:                              ;   in Loop: Header=BB14_33 Depth=1
	v_cmp_gt_i64_e64 s4, s[26:27], s[12:13]
                                        ; implicit-def: $sgpr70
                                        ; implicit-def: $sgpr5
                                        ; implicit-def: $sgpr15
	s_delay_alu instid0(VALU_DEP_1)
	s_and_b32 vcc_lo, exec_lo, s4
	s_mov_b32 s4, -1
	s_cbranch_vccnz .LBB14_144
; %bb.139:                              ;   in Loop: Header=BB14_33 Depth=1
	ds_load_b64 v[2:3], v13 offset:5120
	s_waitcnt lgkmcnt(0)
	v_cmp_ne_u64_e32 vcc_lo, 0, v[2:3]
	s_cbranch_vccnz .LBB14_143
; %bb.140:                              ;   in Loop: Header=BB14_33 Depth=1
	s_and_saveexec_b32 s4, s0
	s_cbranch_execz .LBB14_142
; %bb.141:                              ;   in Loop: Header=BB14_33 Depth=1
	v_dual_mov_b32 v2, s12 :: v_dual_mov_b32 v3, s13
	ds_store_b64 v13, v[2:3] offset:5128
.LBB14_142:                             ;   in Loop: Header=BB14_33 Depth=1
	s_or_b32 exec_lo, exec_lo, s4
	s_waitcnt lgkmcnt(0)
	s_barrier
	buffer_gl0_inv
.LBB14_143:                             ;   in Loop: Header=BB14_33 Depth=1
	s_and_b32 s5, s63, s18
	s_or_b32 s15, s62, s16
	s_mov_b32 s4, 0
	s_mov_b32 s70, 8
.LBB14_144:                             ;   in Loop: Header=BB14_33 Depth=1
	s_and_not1_b32 vcc_lo, exec_lo, s4
	s_cbranch_vccnz .LBB14_146
; %bb.145:                              ;   in Loop: Header=BB14_33 Depth=1
	s_sub_u32 s26, s26, s12
	s_subb_u32 s27, s27, s13
	s_mov_b32 s4, -1
	s_mov_b32 s70, 0
	s_mov_b32 s5, s63
	;; [unrolled: 1-line block ×3, first 2 shown]
.LBB14_146:                             ;   in Loop: Header=BB14_33 Depth=1
	s_delay_alu instid0(SALU_CYCLE_1)
	s_mov_b32 s62, s15
	s_mov_b32 s63, s5
	s_and_b32 vcc_lo, exec_lo, s4
	s_mov_b32 s15, -1
	s_cbranch_vccnz .LBB14_149
.LBB14_147:                             ;   in Loop: Header=BB14_33 Depth=1
	s_mov_b32 s5, -1
                                        ; implicit-def: $sgpr19
                                        ; implicit-def: $sgpr21
                                        ; implicit-def: $sgpr20
	s_delay_alu instid0(SALU_CYCLE_1) | instskip(NEXT) | instid1(SALU_CYCLE_1)
	s_and_saveexec_b32 s4, s5
	s_xor_b32 s4, exec_lo, s4
	s_cbranch_execz .LBB14_31
	s_branch .LBB14_295
.LBB14_148:                             ;   in Loop: Header=BB14_33 Depth=1
	s_mov_b64 s[26:27], 1
	s_mov_b32 s15, -1
	s_branch .LBB14_147
.LBB14_149:                             ;   in Loop: Header=BB14_33 Depth=1
	s_cmp_eq_u64 s[10:11], 1
	s_cselect_b32 s4, -1, 0
	s_cmp_eq_u64 s[26:27], 1
	s_cselect_b32 s5, -1, 0
	s_delay_alu instid0(SALU_CYCLE_1)
	s_and_b32 s22, s4, s5
	s_mov_b32 s4, -1
	s_and_b32 vcc_lo, exec_lo, s22
	s_cbranch_vccz .LBB14_164
; %bb.150:                              ;   in Loop: Header=BB14_33 Depth=1
	ds_load_b64 v[2:3], v13 offset:5120
	s_waitcnt lgkmcnt(0)
	s_barrier
	buffer_gl0_inv
	v_readfirstlane_b32 s12, v2
	v_readfirstlane_b32 s13, v3
	s_and_saveexec_b32 s4, s3
	s_cbranch_execz .LBB14_152
; %bb.151:                              ;   in Loop: Header=BB14_33 Depth=1
	ds_store_b8 v0, v13 offset:3072
.LBB14_152:                             ;   in Loop: Header=BB14_33 Depth=1
	s_or_b32 exec_lo, exec_lo, s4
	s_delay_alu instid0(VALU_DEP_1)
	v_cmp_gt_i64_e64 s19, s[12:13], 0
	s_lshl_b32 s4, 1, s17
	s_and_b32 s5, s63, s18
	s_or_b32 s62, s62, s16
	s_or_b32 s63, s5, s4
	s_waitcnt lgkmcnt(0)
	s_and_b32 vcc_lo, exec_lo, s19
	s_barrier
	buffer_gl0_inv
	s_cbranch_vccnz .LBB14_167
; %bb.153:                              ;   in Loop: Header=BB14_33 Depth=1
	s_mov_b32 s70, s67
	s_delay_alu instid0(SALU_CYCLE_1)
	s_cmp_lg_u64 s[70:71], 0
	s_cbranch_scc0 .LBB14_212
; %bb.154:                              ;   in Loop: Header=BB14_33 Depth=1
	v_cvt_f32_u32_e32 v2, s33
	s_sub_u32 s19, 0, s33
	s_subb_u32 s20, 0, 0
	s_delay_alu instid0(VALU_DEP_1) | instskip(NEXT) | instid1(VALU_DEP_1)
	v_fmac_f32_e32 v2, 0x4f800000, v40
	v_rcp_f32_e32 v2, v2
	s_waitcnt_depctr 0xfff
	v_mul_f32_e32 v2, 0x5f7ffffc, v2
	s_delay_alu instid0(VALU_DEP_1) | instskip(NEXT) | instid1(VALU_DEP_1)
	v_mul_f32_e32 v3, 0x2f800000, v2
	v_trunc_f32_e32 v3, v3
	s_delay_alu instid0(VALU_DEP_1) | instskip(SKIP_1) | instid1(VALU_DEP_2)
	v_fmac_f32_e32 v2, 0xcf800000, v3
	v_cvt_u32_f32_e32 v3, v3
	v_cvt_u32_f32_e32 v2, v2
	s_delay_alu instid0(VALU_DEP_2) | instskip(NEXT) | instid1(VALU_DEP_2)
	v_readfirstlane_b32 s4, v3
	v_readfirstlane_b32 s5, v2
	s_delay_alu instid0(VALU_DEP_2) | instskip(NEXT) | instid1(VALU_DEP_1)
	s_mul_i32 s21, s19, s4
	s_mul_hi_u32 s56, s19, s5
	s_mul_i32 s23, s20, s5
	s_add_i32 s21, s56, s21
	s_mul_i32 s57, s19, s5
	s_add_i32 s21, s21, s23
	s_mul_hi_u32 s56, s5, s57
	s_mul_hi_u32 s66, s4, s57
	s_mul_i32 s23, s4, s57
	s_mul_hi_u32 s57, s5, s21
	s_mul_i32 s5, s5, s21
	s_mul_hi_u32 s70, s4, s21
	s_add_u32 s5, s56, s5
	s_addc_u32 s56, 0, s57
	s_add_u32 s5, s5, s23
	s_mul_i32 s21, s4, s21
	s_addc_u32 s5, s56, s66
	s_addc_u32 s23, s70, 0
	s_add_u32 s5, s5, s21
	s_addc_u32 s21, 0, s23
	v_add_co_u32 v2, s5, v2, s5
	s_delay_alu instid0(VALU_DEP_1) | instskip(SKIP_1) | instid1(VALU_DEP_1)
	s_cmp_lg_u32 s5, 0
	s_addc_u32 s4, s4, s21
	v_readfirstlane_b32 s5, v2
	s_mul_i32 s21, s19, s4
	s_delay_alu instid0(VALU_DEP_1)
	s_mul_hi_u32 s23, s19, s5
	s_mul_i32 s20, s20, s5
	s_add_i32 s21, s23, s21
	s_mul_i32 s19, s19, s5
	s_add_i32 s21, s21, s20
	s_mul_hi_u32 s23, s4, s19
	s_mul_i32 s56, s4, s19
	s_mul_hi_u32 s19, s5, s19
	s_mul_hi_u32 s57, s5, s21
	s_mul_i32 s5, s5, s21
	s_mul_hi_u32 s20, s4, s21
	s_add_u32 s5, s19, s5
	s_addc_u32 s19, 0, s57
	s_add_u32 s5, s5, s56
	s_mul_i32 s21, s4, s21
	s_addc_u32 s5, s19, s23
	s_addc_u32 s19, s20, 0
	s_add_u32 s5, s5, s21
	s_addc_u32 s19, 0, s19
	v_add_co_u32 v2, s5, v2, s5
	s_delay_alu instid0(VALU_DEP_1) | instskip(SKIP_2) | instid1(VALU_DEP_1)
	s_cmp_lg_u32 s5, 0
	s_addc_u32 s19, s4, s19
	s_ashr_i32 s20, s71, 31
	v_readfirstlane_b32 s23, v2
	s_add_u32 s4, s93, s20
	s_mov_b32 s21, s20
	s_addc_u32 s5, s71, s20
	s_delay_alu instid0(SALU_CYCLE_1) | instskip(NEXT) | instid1(SALU_CYCLE_1)
	s_xor_b64 s[4:5], s[4:5], s[20:21]
	s_mul_i32 s56, s4, s19
	s_mul_hi_u32 s57, s4, s23
	s_mul_hi_u32 s21, s4, s19
	;; [unrolled: 1-line block ×3, first 2 shown]
	s_mul_i32 s23, s5, s23
	s_add_u32 s56, s57, s56
	s_addc_u32 s21, 0, s21
	s_mul_hi_u32 s66, s5, s19
	s_add_u32 s23, s56, s23
	s_mul_i32 s19, s5, s19
	s_addc_u32 s21, s21, s70
	s_addc_u32 s23, s66, 0
	s_add_u32 s19, s21, s19
	s_addc_u32 s21, 0, s23
	s_mul_hi_u32 s23, s33, s19
	s_mul_i32 s19, s33, s19
	s_mul_i32 s21, s33, s21
	v_sub_co_u32 v2, s4, s4, s19
	s_add_i32 s23, s23, s21
	s_cmp_lg_u32 s4, 0
	s_delay_alu instid0(VALU_DEP_1) | instskip(SKIP_2) | instid1(VALU_DEP_1)
	v_sub_co_u32 v3, s4, v2, s33
	s_subb_u32 s5, s5, s23
	s_cmp_lg_u32 s4, 0
	v_cmp_le_u32_e32 vcc_lo, s33, v3
	v_sub_co_u32 v4, s4, v3, s33
	s_subb_u32 s19, s5, 0
	s_cmp_lg_u32 s4, 0
	v_cndmask_b32_e64 v5, 0, -1, vcc_lo
	s_subb_u32 s4, s19, 0
	s_cmp_eq_u32 s19, 0
	v_mov_b32_e32 v7, s4
	s_cselect_b32 vcc_lo, -1, 0
	s_cmp_eq_u32 s5, 0
	v_cndmask_b32_e32 v5, -1, v5, vcc_lo
	v_cmp_le_u32_e32 vcc_lo, s33, v2
	s_cselect_b32 s4, -1, 0
	v_cndmask_b32_e64 v6, 0, -1, vcc_lo
	s_delay_alu instid0(VALU_DEP_3) | instskip(NEXT) | instid1(VALU_DEP_2)
	v_cmp_ne_u32_e32 vcc_lo, 0, v5
	v_cndmask_b32_e64 v5, -1, v6, s4
	v_cndmask_b32_e32 v3, v3, v4, vcc_lo
	v_cndmask_b32_e32 v6, s19, v7, vcc_lo
	s_delay_alu instid0(VALU_DEP_3) | instskip(NEXT) | instid1(VALU_DEP_3)
	v_cmp_ne_u32_e32 vcc_lo, 0, v5
	v_cndmask_b32_e32 v2, v2, v3, vcc_lo
	s_delay_alu instid0(VALU_DEP_3) | instskip(NEXT) | instid1(VALU_DEP_2)
	v_cndmask_b32_e32 v4, s5, v6, vcc_lo
	v_xor_b32_e32 v2, s20, v2
	s_delay_alu instid0(VALU_DEP_2) | instskip(NEXT) | instid1(VALU_DEP_2)
	v_xor_b32_e32 v3, s20, v4
	v_sub_co_u32 v2, vcc_lo, v2, s20
	s_delay_alu instid0(VALU_DEP_2)
	v_subrev_co_ci_u32_e32 v3, vcc_lo, s20, v3, vcc_lo
	s_cbranch_execnz .LBB14_156
.LBB14_155:                             ;   in Loop: Header=BB14_33 Depth=1
	v_cvt_f32_u32_e32 v2, s33
	s_sub_i32 s4, 0, s33
	s_delay_alu instid0(VALU_DEP_1) | instskip(SKIP_2) | instid1(VALU_DEP_1)
	v_rcp_iflag_f32_e32 v2, v2
	s_waitcnt_depctr 0xfff
	v_mul_f32_e32 v2, 0x4f7ffffe, v2
	v_cvt_u32_f32_e32 v2, v2
	s_delay_alu instid0(VALU_DEP_1) | instskip(NEXT) | instid1(VALU_DEP_1)
	v_mul_lo_u32 v3, s4, v2
	v_mul_hi_u32 v3, v2, v3
	s_delay_alu instid0(VALU_DEP_1) | instskip(NEXT) | instid1(VALU_DEP_1)
	v_add_nc_u32_e32 v2, v2, v3
	v_mul_hi_u32 v2, s93, v2
	s_delay_alu instid0(VALU_DEP_1) | instskip(NEXT) | instid1(VALU_DEP_1)
	v_mul_lo_u32 v2, v2, s33
	v_sub_nc_u32_e32 v2, s93, v2
	s_delay_alu instid0(VALU_DEP_1) | instskip(SKIP_1) | instid1(VALU_DEP_2)
	v_subrev_nc_u32_e32 v3, s33, v2
	v_cmp_le_u32_e32 vcc_lo, s33, v2
	v_cndmask_b32_e32 v2, v2, v3, vcc_lo
	s_delay_alu instid0(VALU_DEP_1) | instskip(SKIP_1) | instid1(VALU_DEP_2)
	v_subrev_nc_u32_e32 v3, s33, v2
	v_cmp_le_u32_e32 vcc_lo, s33, v2
	v_cndmask_b32_e32 v12, v2, v3, vcc_lo
	s_delay_alu instid0(VALU_DEP_1)
	v_dual_mov_b32 v2, v12 :: v_dual_mov_b32 v3, v13
.LBB14_156:                             ;   in Loop: Header=BB14_33 Depth=1
	s_delay_alu instid0(VALU_DEP_1) | instskip(NEXT) | instid1(VALU_DEP_2)
	v_sub_co_u32 v2, vcc_lo, s93, v2
	v_sub_co_ci_u32_e32 v3, vcc_lo, s71, v3, vcc_lo
	s_mov_b32 s4, 0
	s_mov_b32 s5, exec_lo
                                        ; implicit-def: $vgpr41
	s_delay_alu instid0(VALU_DEP_1)
	v_cmpx_gt_i64_e64 v[2:3], v[0:1]
	s_cbranch_execz .LBB14_169
; %bb.157:                              ;   in Loop: Header=BB14_33 Depth=1
	v_dual_mov_b32 v4, v10 :: v_dual_mov_b32 v5, v11
	v_dual_mov_b32 v7, v1 :: v_dual_mov_b32 v6, v0
	s_mov_b32 s19, 0
                                        ; implicit-def: $sgpr20
	s_set_inst_prefetch_distance 0x1
	s_branch .LBB14_159
	.p2align	6
.LBB14_158:                             ;   in Loop: Header=BB14_159 Depth=2
	s_or_b32 exec_lo, exec_lo, s4
	s_waitcnt vmcnt(0) lgkmcnt(0)
	s_barrier
	buffer_gl0_inv
	ds_load_u16 v8, v13 offset:3072
	v_add_co_u32 v6, vcc_lo, v6, s33
	v_add_co_ci_u32_e32 v7, vcc_lo, 0, v7, vcc_lo
	s_waitcnt lgkmcnt(0)
	s_barrier
	buffer_gl0_inv
	v_cmp_ge_i64_e32 vcc_lo, v[6:7], v[2:3]
	v_and_b32_e32 v9, 0xff, v8
	s_delay_alu instid0(VALU_DEP_1) | instskip(NEXT) | instid1(VALU_DEP_1)
	v_cmp_ne_u16_e64 s4, 0, v9
	s_or_b32 s21, s4, vcc_lo
	v_add_co_u32 v4, vcc_lo, v4, s88
	s_and_b32 s21, exec_lo, s21
	v_add_co_ci_u32_e32 v5, vcc_lo, s35, v5, vcc_lo
	s_or_b32 s19, s21, s19
	s_and_not1_b32 s20, s20, exec_lo
	s_and_b32 s4, s4, exec_lo
	s_delay_alu instid0(SALU_CYCLE_1)
	s_or_b32 s20, s20, s4
	s_and_not1_b32 exec_lo, exec_lo, s19
	s_cbranch_execz .LBB14_168
.LBB14_159:                             ;   Parent Loop BB14_33 Depth=1
                                        ; =>  This Inner Loop Header: Depth=2
	s_delay_alu instid0(VALU_DEP_1)
	v_cmp_gt_i64_e32 vcc_lo, s[24:25], v[6:7]
	v_mov_b32_e32 v8, 0
	s_and_saveexec_b32 s4, vcc_lo
	s_cbranch_execz .LBB14_161
; %bb.160:                              ;   in Loop: Header=BB14_159 Depth=2
	global_load_u8 v8, v[4:5], off
.LBB14_161:                             ;   in Loop: Header=BB14_159 Depth=2
	s_or_b32 exec_lo, exec_lo, s4
	s_and_saveexec_b32 s4, vcc_lo
	s_cbranch_execz .LBB14_158
; %bb.162:                              ;   in Loop: Header=BB14_159 Depth=2
	s_waitcnt vmcnt(0)
	v_bfe_i32 v9, v8, 0, 8
	s_delay_alu instid0(VALU_DEP_1) | instskip(NEXT) | instid1(VALU_DEP_1)
	v_add_nc_u32_e32 v9, 0x80, v9
	v_and_b32_e32 v9, s62, v9
	s_delay_alu instid0(VALU_DEP_1)
	v_cmp_eq_u32_e32 vcc_lo, s63, v9
	s_and_b32 exec_lo, exec_lo, vcc_lo
	s_cbranch_execz .LBB14_158
; %bb.163:                              ;   in Loop: Header=BB14_159 Depth=2
	v_lshlrev_b16 v8, 8, v8
	s_delay_alu instid0(VALU_DEP_1)
	v_or_b32_e32 v8, 1, v8
	ds_store_b16 v13, v8 offset:3072
	s_branch .LBB14_158
.LBB14_164:                             ;   in Loop: Header=BB14_33 Depth=1
                                        ; implicit-def: $sgpr20
                                        ; implicit-def: $sgpr21
                                        ; implicit-def: $sgpr19
	s_branch .LBB14_183
.LBB14_165:                             ;   in Loop: Header=BB14_33 Depth=1
                                        ; implicit-def: $vgpr2_vgpr3
	s_branch .LBB14_110
.LBB14_166:                             ;   in Loop: Header=BB14_33 Depth=1
                                        ; implicit-def: $vgpr2_vgpr3
	s_branch .LBB14_125
.LBB14_167:                             ;   in Loop: Header=BB14_33 Depth=1
	s_mov_b32 s20, -1
	s_mov_b32 s4, 0
                                        ; implicit-def: $sgpr19
                                        ; implicit-def: $vgpr41
	s_mov_b32 s21, s20
	s_cbranch_execnz .LBB14_170
	s_branch .LBB14_183
.LBB14_168:                             ;   in Loop: Header=BB14_33 Depth=1
	s_set_inst_prefetch_distance 0x2
	s_or_b32 exec_lo, exec_lo, s19
	v_lshrrev_b16 v41, 8, v8
	s_and_b32 s4, s20, exec_lo
.LBB14_169:                             ;   in Loop: Header=BB14_33 Depth=1
	s_or_b32 exec_lo, exec_lo, s5
	s_mov_b32 s19, -1
	s_mov_b32 s20, 0
	s_delay_alu instid0(SALU_CYCLE_1)
	s_mov_b32 s21, s20
	s_branch .LBB14_183
.LBB14_170:                             ;   in Loop: Header=BB14_33 Depth=1
	s_add_u32 s19, s91, s12
	s_addc_u32 s5, s92, s13
	s_mov_b32 s4, s67
	s_delay_alu instid0(SALU_CYCLE_1)
	s_cmp_lg_u64 s[4:5], 0
	s_cbranch_scc0 .LBB14_213
; %bb.171:                              ;   in Loop: Header=BB14_33 Depth=1
	v_cvt_f32_u32_e32 v2, s33
	s_sub_u32 s21, 0, s33
	s_subb_u32 s23, 0, 0
	s_delay_alu instid0(VALU_DEP_1) | instskip(NEXT) | instid1(VALU_DEP_1)
	v_fmac_f32_e32 v2, 0x4f800000, v40
	v_rcp_f32_e32 v2, v2
	s_waitcnt_depctr 0xfff
	v_mul_f32_e32 v2, 0x5f7ffffc, v2
	s_delay_alu instid0(VALU_DEP_1) | instskip(NEXT) | instid1(VALU_DEP_1)
	v_mul_f32_e32 v3, 0x2f800000, v2
	v_trunc_f32_e32 v3, v3
	s_delay_alu instid0(VALU_DEP_1) | instskip(SKIP_1) | instid1(VALU_DEP_2)
	v_fmac_f32_e32 v2, 0xcf800000, v3
	v_cvt_u32_f32_e32 v3, v3
	v_cvt_u32_f32_e32 v2, v2
	s_delay_alu instid0(VALU_DEP_2) | instskip(NEXT) | instid1(VALU_DEP_2)
	v_readfirstlane_b32 s4, v3
	v_readfirstlane_b32 s20, v2
	s_delay_alu instid0(VALU_DEP_2) | instskip(NEXT) | instid1(VALU_DEP_1)
	s_mul_i32 s56, s21, s4
	s_mul_hi_u32 s66, s21, s20
	s_mul_i32 s57, s23, s20
	s_add_i32 s56, s66, s56
	s_mul_i32 s70, s21, s20
	s_add_i32 s56, s56, s57
	s_mul_hi_u32 s66, s20, s70
	s_mul_hi_u32 s78, s4, s70
	s_mul_i32 s57, s4, s70
	s_mul_hi_u32 s70, s20, s56
	s_mul_i32 s20, s20, s56
	s_mul_hi_u32 s79, s4, s56
	s_add_u32 s20, s66, s20
	s_addc_u32 s66, 0, s70
	s_add_u32 s20, s20, s57
	s_mul_i32 s56, s4, s56
	s_addc_u32 s20, s66, s78
	s_addc_u32 s57, s79, 0
	s_add_u32 s20, s20, s56
	s_addc_u32 s56, 0, s57
	v_add_co_u32 v2, s20, v2, s20
	s_delay_alu instid0(VALU_DEP_1) | instskip(SKIP_1) | instid1(VALU_DEP_1)
	s_cmp_lg_u32 s20, 0
	s_addc_u32 s4, s4, s56
	v_readfirstlane_b32 s20, v2
	s_mul_i32 s56, s21, s4
	s_delay_alu instid0(VALU_DEP_1)
	s_mul_hi_u32 s57, s21, s20
	s_mul_i32 s23, s23, s20
	s_add_i32 s56, s57, s56
	s_mul_i32 s21, s21, s20
	s_add_i32 s56, s56, s23
	s_mul_hi_u32 s57, s4, s21
	s_mul_i32 s66, s4, s21
	s_mul_hi_u32 s21, s20, s21
	s_mul_hi_u32 s70, s20, s56
	s_mul_i32 s20, s20, s56
	s_mul_hi_u32 s23, s4, s56
	s_add_u32 s20, s21, s20
	s_addc_u32 s21, 0, s70
	s_add_u32 s20, s20, s66
	s_mul_i32 s56, s4, s56
	s_addc_u32 s20, s21, s57
	s_addc_u32 s21, s23, 0
	s_add_u32 s20, s20, s56
	s_addc_u32 s21, 0, s21
	v_add_co_u32 v2, s20, v2, s20
	s_delay_alu instid0(VALU_DEP_1) | instskip(SKIP_2) | instid1(VALU_DEP_1)
	s_cmp_lg_u32 s20, 0
	s_addc_u32 s4, s4, s21
	s_ashr_i32 s20, s5, 31
	v_readfirstlane_b32 s23, v2
	s_add_u32 s56, s19, s20
	s_mov_b32 s21, s20
	s_addc_u32 s57, s5, s20
	s_delay_alu instid0(SALU_CYCLE_1) | instskip(NEXT) | instid1(SALU_CYCLE_1)
	s_xor_b64 s[56:57], s[56:57], s[20:21]
	s_mul_i32 s66, s56, s4
	s_mul_hi_u32 s70, s56, s23
	s_mul_hi_u32 s21, s56, s4
	;; [unrolled: 1-line block ×3, first 2 shown]
	s_mul_i32 s23, s57, s23
	s_add_u32 s66, s70, s66
	s_addc_u32 s21, 0, s21
	s_mul_hi_u32 s78, s57, s4
	s_add_u32 s23, s66, s23
	s_mul_i32 s4, s57, s4
	s_addc_u32 s21, s21, s79
	s_addc_u32 s23, s78, 0
	s_add_u32 s4, s21, s4
	s_addc_u32 s21, 0, s23
	s_mul_hi_u32 s23, s33, s4
	s_mul_i32 s4, s33, s4
	s_mul_i32 s21, s33, s21
	v_sub_co_u32 v2, s4, s56, s4
	s_add_i32 s23, s23, s21
	s_cmp_lg_u32 s4, 0
	s_delay_alu instid0(VALU_DEP_1) | instskip(SKIP_2) | instid1(VALU_DEP_1)
	v_sub_co_u32 v3, s4, v2, s33
	s_subb_u32 s21, s57, s23
	s_cmp_lg_u32 s4, 0
	v_cmp_le_u32_e32 vcc_lo, s33, v3
	v_sub_co_u32 v4, s4, v3, s33
	s_subb_u32 s23, s21, 0
	s_cmp_lg_u32 s4, 0
	v_cndmask_b32_e64 v5, 0, -1, vcc_lo
	s_subb_u32 s4, s23, 0
	s_cmp_eq_u32 s23, 0
	v_mov_b32_e32 v7, s4
	s_cselect_b32 vcc_lo, -1, 0
	s_cmp_eq_u32 s21, 0
	v_cndmask_b32_e32 v5, -1, v5, vcc_lo
	v_cmp_le_u32_e32 vcc_lo, s33, v2
	s_cselect_b32 s4, -1, 0
	v_cndmask_b32_e64 v6, 0, -1, vcc_lo
	s_delay_alu instid0(VALU_DEP_3) | instskip(NEXT) | instid1(VALU_DEP_2)
	v_cmp_ne_u32_e32 vcc_lo, 0, v5
	v_cndmask_b32_e64 v5, -1, v6, s4
	v_cndmask_b32_e32 v3, v3, v4, vcc_lo
	v_cndmask_b32_e32 v6, s23, v7, vcc_lo
	s_delay_alu instid0(VALU_DEP_3) | instskip(NEXT) | instid1(VALU_DEP_3)
	v_cmp_ne_u32_e32 vcc_lo, 0, v5
	v_cndmask_b32_e32 v2, v2, v3, vcc_lo
	s_delay_alu instid0(VALU_DEP_3) | instskip(NEXT) | instid1(VALU_DEP_2)
	v_cndmask_b32_e32 v4, s21, v6, vcc_lo
	v_xor_b32_e32 v2, s20, v2
	s_delay_alu instid0(VALU_DEP_2) | instskip(NEXT) | instid1(VALU_DEP_2)
	v_xor_b32_e32 v3, s20, v4
	v_sub_co_u32 v2, vcc_lo, v2, s20
	s_delay_alu instid0(VALU_DEP_2)
	v_subrev_co_ci_u32_e32 v3, vcc_lo, s20, v3, vcc_lo
	s_cbranch_execnz .LBB14_173
.LBB14_172:                             ;   in Loop: Header=BB14_33 Depth=1
	v_cvt_f32_u32_e32 v2, s33
	s_sub_i32 s4, 0, s33
	s_delay_alu instid0(VALU_DEP_1) | instskip(SKIP_2) | instid1(VALU_DEP_1)
	v_rcp_iflag_f32_e32 v2, v2
	s_waitcnt_depctr 0xfff
	v_mul_f32_e32 v2, 0x4f7ffffe, v2
	v_cvt_u32_f32_e32 v2, v2
	s_delay_alu instid0(VALU_DEP_1) | instskip(NEXT) | instid1(VALU_DEP_1)
	v_mul_lo_u32 v3, s4, v2
	v_mul_hi_u32 v3, v2, v3
	s_delay_alu instid0(VALU_DEP_1) | instskip(NEXT) | instid1(VALU_DEP_1)
	v_add_nc_u32_e32 v2, v2, v3
	v_mul_hi_u32 v2, s19, v2
	s_delay_alu instid0(VALU_DEP_1) | instskip(NEXT) | instid1(VALU_DEP_1)
	v_mul_lo_u32 v2, v2, s33
	v_sub_nc_u32_e32 v2, s19, v2
	s_delay_alu instid0(VALU_DEP_1) | instskip(SKIP_1) | instid1(VALU_DEP_2)
	v_subrev_nc_u32_e32 v3, s33, v2
	v_cmp_le_u32_e32 vcc_lo, s33, v2
	v_cndmask_b32_e32 v2, v2, v3, vcc_lo
	s_delay_alu instid0(VALU_DEP_1) | instskip(SKIP_1) | instid1(VALU_DEP_2)
	v_subrev_nc_u32_e32 v3, s33, v2
	v_cmp_le_u32_e32 vcc_lo, s33, v2
	v_cndmask_b32_e32 v12, v2, v3, vcc_lo
	s_delay_alu instid0(VALU_DEP_1)
	v_dual_mov_b32 v2, v12 :: v_dual_mov_b32 v3, v13
.LBB14_173:                             ;   in Loop: Header=BB14_33 Depth=1
	s_delay_alu instid0(VALU_DEP_1) | instskip(NEXT) | instid1(VALU_DEP_2)
	v_sub_co_u32 v2, vcc_lo, s19, v2
	v_sub_co_ci_u32_e32 v3, vcc_lo, s5, v3, vcc_lo
	s_mov_b32 s4, 0
	s_mov_b32 s5, exec_lo
                                        ; implicit-def: $vgpr41
	s_delay_alu instid0(VALU_DEP_1)
	v_cmpx_gt_i64_e64 v[2:3], v[0:1]
	s_cbranch_execz .LBB14_182
; %bb.174:                              ;   in Loop: Header=BB14_33 Depth=1
	v_dual_mov_b32 v6, v0 :: v_dual_mov_b32 v5, v1
	v_mov_b32_e32 v4, v0
	s_mov_b32 s19, 0
                                        ; implicit-def: $sgpr20
	s_set_inst_prefetch_distance 0x1
	s_branch .LBB14_176
	.p2align	6
.LBB14_175:                             ;   in Loop: Header=BB14_176 Depth=2
	s_or_b32 exec_lo, exec_lo, s4
	s_waitcnt lgkmcnt(0)
	s_barrier
	buffer_gl0_inv
	ds_load_u16 v7, v13 offset:3072
	v_add_co_u32 v4, vcc_lo, v4, s33
	v_add_co_ci_u32_e32 v5, vcc_lo, 0, v5, vcc_lo
	v_add_nc_u32_e32 v6, s33, v6
	s_waitcnt lgkmcnt(0)
	s_barrier
	s_delay_alu instid0(VALU_DEP_2) | instskip(SKIP_2) | instid1(VALU_DEP_1)
	v_cmp_ge_i64_e32 vcc_lo, v[4:5], v[2:3]
	buffer_gl0_inv
	v_and_b32_e32 v8, 0xff, v7
	v_cmp_ne_u16_e64 s4, 0, v8
	s_delay_alu instid0(VALU_DEP_1) | instskip(NEXT) | instid1(SALU_CYCLE_1)
	s_or_b32 s21, s4, vcc_lo
	s_and_b32 s21, exec_lo, s21
	s_delay_alu instid0(SALU_CYCLE_1) | instskip(SKIP_2) | instid1(SALU_CYCLE_1)
	s_or_b32 s19, s21, s19
	s_and_not1_b32 s20, s20, exec_lo
	s_and_b32 s4, s4, exec_lo
	s_or_b32 s20, s20, s4
	s_and_not1_b32 exec_lo, exec_lo, s19
	s_cbranch_execz .LBB14_181
.LBB14_176:                             ;   Parent Loop BB14_33 Depth=1
                                        ; =>  This Inner Loop Header: Depth=2
	s_delay_alu instid0(VALU_DEP_1)
	v_cmp_gt_i64_e32 vcc_lo, s[12:13], v[4:5]
	v_mov_b32_e32 v7, 0
	s_and_saveexec_b32 s4, vcc_lo
	s_cbranch_execz .LBB14_178
; %bb.177:                              ;   in Loop: Header=BB14_176 Depth=2
	ds_load_u8 v7, v6
.LBB14_178:                             ;   in Loop: Header=BB14_176 Depth=2
	s_or_b32 exec_lo, exec_lo, s4
	s_and_saveexec_b32 s4, vcc_lo
	s_cbranch_execz .LBB14_175
; %bb.179:                              ;   in Loop: Header=BB14_176 Depth=2
	s_waitcnt lgkmcnt(0)
	v_bfe_i32 v8, v7, 0, 8
	s_delay_alu instid0(VALU_DEP_1) | instskip(NEXT) | instid1(VALU_DEP_1)
	v_add_nc_u32_e32 v8, 0x80, v8
	v_and_b32_e32 v8, s62, v8
	s_delay_alu instid0(VALU_DEP_1)
	v_cmp_eq_u32_e32 vcc_lo, s63, v8
	s_and_b32 exec_lo, exec_lo, vcc_lo
	s_cbranch_execz .LBB14_175
; %bb.180:                              ;   in Loop: Header=BB14_176 Depth=2
	v_lshlrev_b16 v7, 8, v7
	s_delay_alu instid0(VALU_DEP_1)
	v_or_b32_e32 v7, 1, v7
	ds_store_b16 v13, v7 offset:3072
	s_branch .LBB14_175
.LBB14_181:                             ;   in Loop: Header=BB14_33 Depth=1
	s_set_inst_prefetch_distance 0x2
	s_or_b32 exec_lo, exec_lo, s19
	v_lshrrev_b16 v41, 8, v7
	s_and_b32 s4, s20, exec_lo
.LBB14_182:                             ;   in Loop: Header=BB14_33 Depth=1
	s_or_b32 exec_lo, exec_lo, s5
	s_mov_b32 s21, -1
	s_mov_b32 s20, 0
	s_mov_b32 s19, 0
.LBB14_183:                             ;   in Loop: Header=BB14_33 Depth=1
	s_mov_b32 s5, 0
                                        ; implicit-def: $sgpr70
	s_and_saveexec_b32 s12, s4
	s_cbranch_execz .LBB14_294
; %bb.184:                              ;   in Loop: Header=BB14_33 Depth=1
	s_xor_b32 s4, s22, -1
	s_mov_b32 s70, 1
	s_and_not1_b32 vcc_lo, exec_lo, s4
	s_cbranch_vccnz .LBB14_195
; %bb.185:                              ;   in Loop: Header=BB14_33 Depth=1
	v_cmp_gt_i64_e64 s4, s[26:27], s[10:11]
                                        ; implicit-def: $sgpr70
                                        ; implicit-def: $sgpr5
                                        ; implicit-def: $sgpr13
	s_delay_alu instid0(VALU_DEP_1)
	s_and_b32 vcc_lo, exec_lo, s4
	s_mov_b32 s4, -1
	s_cbranch_vccnz .LBB14_191
; %bb.186:                              ;   in Loop: Header=BB14_33 Depth=1
	ds_load_b64 v[2:3], v13 offset:5120
	s_waitcnt lgkmcnt(0)
	v_cmp_ne_u64_e32 vcc_lo, 0, v[2:3]
	s_cbranch_vccnz .LBB14_190
; %bb.187:                              ;   in Loop: Header=BB14_33 Depth=1
	s_and_saveexec_b32 s4, s0
	s_cbranch_execz .LBB14_189
; %bb.188:                              ;   in Loop: Header=BB14_33 Depth=1
	v_dual_mov_b32 v2, s10 :: v_dual_mov_b32 v3, s11
	ds_store_b64 v13, v[2:3] offset:5128
.LBB14_189:                             ;   in Loop: Header=BB14_33 Depth=1
	s_or_b32 exec_lo, exec_lo, s4
	s_waitcnt lgkmcnt(0)
	s_barrier
	buffer_gl0_inv
.LBB14_190:                             ;   in Loop: Header=BB14_33 Depth=1
	s_lshl_b32 s4, 1, s17
	s_and_b32 s5, s63, s18
	s_or_b32 s13, s62, s16
	s_or_b32 s5, s5, s4
	s_mov_b32 s4, 0
	s_mov_b32 s70, 8
.LBB14_191:                             ;   in Loop: Header=BB14_33 Depth=1
	s_and_not1_b32 vcc_lo, exec_lo, s4
	s_cbranch_vccnz .LBB14_193
; %bb.192:                              ;   in Loop: Header=BB14_33 Depth=1
	s_sub_u32 s26, s26, s10
	s_subb_u32 s27, s27, s11
	s_mov_b32 s4, -1
	s_mov_b32 s70, 0
	s_mov_b32 s5, s63
	;; [unrolled: 1-line block ×3, first 2 shown]
.LBB14_193:                             ;   in Loop: Header=BB14_33 Depth=1
	s_delay_alu instid0(SALU_CYCLE_1)
	s_mov_b32 s62, s13
	s_mov_b32 s63, s5
	s_and_not1_b32 vcc_lo, exec_lo, s4
	s_mov_b32 s5, -1
	s_cbranch_vccz .LBB14_196
.LBB14_194:                             ;   in Loop: Header=BB14_33 Depth=1
                                        ; implicit-def: $sgpr22
                                        ; implicit-def: $sgpr23
                                        ; implicit-def: $sgpr13
	s_branch .LBB14_293
.LBB14_195:                             ;   in Loop: Header=BB14_33 Depth=1
	s_mov_b64 s[26:27], 1
	s_mov_b32 s5, -1
	s_cbranch_execnz .LBB14_194
.LBB14_196:                             ;   in Loop: Header=BB14_33 Depth=1
	s_cmp_eq_u64 s[8:9], 1
	s_cselect_b32 s4, -1, 0
	s_cmp_eq_u64 s[26:27], 1
	s_cselect_b32 s5, -1, 0
	s_delay_alu instid0(SALU_CYCLE_1)
	s_and_b32 s66, s4, s5
	s_mov_b32 s4, -1
	s_and_b32 vcc_lo, exec_lo, s66
	s_cbranch_vccz .LBB14_211
; %bb.197:                              ;   in Loop: Header=BB14_33 Depth=1
	ds_load_b64 v[2:3], v13 offset:5120
	s_waitcnt lgkmcnt(0)
	s_barrier
	buffer_gl0_inv
	v_readfirstlane_b32 s10, v2
	v_readfirstlane_b32 s11, v3
	s_and_saveexec_b32 s4, s3
	s_cbranch_execz .LBB14_199
; %bb.198:                              ;   in Loop: Header=BB14_33 Depth=1
	ds_store_b8 v0, v13 offset:3072
.LBB14_199:                             ;   in Loop: Header=BB14_33 Depth=1
	s_or_b32 exec_lo, exec_lo, s4
	s_delay_alu instid0(VALU_DEP_1)
	v_cmp_gt_i64_e64 s13, s[10:11], 0
	s_lshl_b32 s4, 2, s17
	s_and_b32 s5, s63, s18
	s_or_b32 s62, s62, s16
	s_or_b32 s63, s5, s4
	s_waitcnt lgkmcnt(0)
	s_and_b32 vcc_lo, exec_lo, s13
	s_barrier
	buffer_gl0_inv
	s_cbranch_vccnz .LBB14_214
; %bb.200:                              ;   in Loop: Header=BB14_33 Depth=1
	s_mov_b32 s70, s67
	s_delay_alu instid0(SALU_CYCLE_1)
	s_cmp_lg_u64 s[70:71], 0
	s_cbranch_scc0 .LBB14_259
; %bb.201:                              ;   in Loop: Header=BB14_33 Depth=1
	v_cvt_f32_u32_e32 v2, s33
	s_sub_u32 s13, 0, s33
	s_subb_u32 s22, 0, 0
	s_delay_alu instid0(VALU_DEP_1) | instskip(NEXT) | instid1(VALU_DEP_1)
	v_fmac_f32_e32 v2, 0x4f800000, v40
	v_rcp_f32_e32 v2, v2
	s_waitcnt_depctr 0xfff
	v_mul_f32_e32 v2, 0x5f7ffffc, v2
	s_delay_alu instid0(VALU_DEP_1) | instskip(NEXT) | instid1(VALU_DEP_1)
	v_mul_f32_e32 v3, 0x2f800000, v2
	v_trunc_f32_e32 v3, v3
	s_delay_alu instid0(VALU_DEP_1) | instskip(SKIP_1) | instid1(VALU_DEP_2)
	v_fmac_f32_e32 v2, 0xcf800000, v3
	v_cvt_u32_f32_e32 v3, v3
	v_cvt_u32_f32_e32 v2, v2
	s_delay_alu instid0(VALU_DEP_2) | instskip(NEXT) | instid1(VALU_DEP_2)
	v_readfirstlane_b32 s4, v3
	v_readfirstlane_b32 s5, v2
	s_delay_alu instid0(VALU_DEP_2) | instskip(NEXT) | instid1(VALU_DEP_1)
	s_mul_i32 s23, s13, s4
	s_mul_hi_u32 s57, s13, s5
	s_mul_i32 s56, s22, s5
	s_add_i32 s23, s57, s23
	s_mul_i32 s70, s13, s5
	s_add_i32 s23, s23, s56
	s_mul_hi_u32 s57, s5, s70
	s_mul_hi_u32 s78, s4, s70
	s_mul_i32 s56, s4, s70
	s_mul_hi_u32 s70, s5, s23
	s_mul_i32 s5, s5, s23
	s_mul_hi_u32 s79, s4, s23
	s_add_u32 s5, s57, s5
	s_addc_u32 s57, 0, s70
	s_add_u32 s5, s5, s56
	s_mul_i32 s23, s4, s23
	s_addc_u32 s5, s57, s78
	s_addc_u32 s56, s79, 0
	s_add_u32 s5, s5, s23
	s_addc_u32 s23, 0, s56
	v_add_co_u32 v2, s5, v2, s5
	s_delay_alu instid0(VALU_DEP_1) | instskip(SKIP_1) | instid1(VALU_DEP_1)
	s_cmp_lg_u32 s5, 0
	s_addc_u32 s4, s4, s23
	v_readfirstlane_b32 s5, v2
	s_mul_i32 s23, s13, s4
	s_delay_alu instid0(VALU_DEP_1)
	s_mul_hi_u32 s56, s13, s5
	s_mul_i32 s22, s22, s5
	s_add_i32 s23, s56, s23
	s_mul_i32 s13, s13, s5
	s_add_i32 s23, s23, s22
	s_mul_hi_u32 s56, s4, s13
	s_mul_i32 s57, s4, s13
	s_mul_hi_u32 s13, s5, s13
	s_mul_hi_u32 s70, s5, s23
	s_mul_i32 s5, s5, s23
	s_mul_hi_u32 s22, s4, s23
	s_add_u32 s5, s13, s5
	s_addc_u32 s13, 0, s70
	s_add_u32 s5, s5, s57
	s_mul_i32 s23, s4, s23
	s_addc_u32 s5, s13, s56
	s_addc_u32 s13, s22, 0
	s_add_u32 s5, s5, s23
	s_addc_u32 s13, 0, s13
	v_add_co_u32 v2, s5, v2, s5
	s_delay_alu instid0(VALU_DEP_1) | instskip(SKIP_2) | instid1(VALU_DEP_1)
	s_cmp_lg_u32 s5, 0
	s_addc_u32 s13, s4, s13
	s_ashr_i32 s22, s71, 31
	v_readfirstlane_b32 s56, v2
	s_add_u32 s4, s93, s22
	s_mov_b32 s23, s22
	s_addc_u32 s5, s71, s22
	s_delay_alu instid0(SALU_CYCLE_1) | instskip(NEXT) | instid1(SALU_CYCLE_1)
	s_xor_b64 s[4:5], s[4:5], s[22:23]
	s_mul_i32 s57, s4, s13
	s_mul_hi_u32 s70, s4, s56
	s_mul_hi_u32 s23, s4, s13
	;; [unrolled: 1-line block ×3, first 2 shown]
	s_mul_i32 s56, s5, s56
	s_add_u32 s57, s70, s57
	s_addc_u32 s23, 0, s23
	s_mul_hi_u32 s78, s5, s13
	s_add_u32 s56, s57, s56
	s_mul_i32 s13, s5, s13
	s_addc_u32 s23, s23, s79
	s_addc_u32 s56, s78, 0
	s_add_u32 s13, s23, s13
	s_addc_u32 s23, 0, s56
	s_mul_hi_u32 s56, s33, s13
	s_mul_i32 s13, s33, s13
	s_mul_i32 s23, s33, s23
	v_sub_co_u32 v2, s4, s4, s13
	s_add_i32 s56, s56, s23
	s_cmp_lg_u32 s4, 0
	s_delay_alu instid0(VALU_DEP_1) | instskip(SKIP_2) | instid1(VALU_DEP_1)
	v_sub_co_u32 v3, s4, v2, s33
	s_subb_u32 s5, s5, s56
	s_cmp_lg_u32 s4, 0
	v_cmp_le_u32_e32 vcc_lo, s33, v3
	v_sub_co_u32 v4, s4, v3, s33
	s_subb_u32 s13, s5, 0
	s_cmp_lg_u32 s4, 0
	v_cndmask_b32_e64 v5, 0, -1, vcc_lo
	s_subb_u32 s4, s13, 0
	s_cmp_eq_u32 s13, 0
	v_mov_b32_e32 v7, s4
	s_cselect_b32 vcc_lo, -1, 0
	s_cmp_eq_u32 s5, 0
	v_cndmask_b32_e32 v5, -1, v5, vcc_lo
	v_cmp_le_u32_e32 vcc_lo, s33, v2
	s_cselect_b32 s4, -1, 0
	v_cndmask_b32_e64 v6, 0, -1, vcc_lo
	s_delay_alu instid0(VALU_DEP_3) | instskip(NEXT) | instid1(VALU_DEP_2)
	v_cmp_ne_u32_e32 vcc_lo, 0, v5
	v_cndmask_b32_e64 v5, -1, v6, s4
	v_cndmask_b32_e32 v3, v3, v4, vcc_lo
	v_cndmask_b32_e32 v6, s13, v7, vcc_lo
	s_delay_alu instid0(VALU_DEP_3) | instskip(NEXT) | instid1(VALU_DEP_3)
	v_cmp_ne_u32_e32 vcc_lo, 0, v5
	v_cndmask_b32_e32 v2, v2, v3, vcc_lo
	s_delay_alu instid0(VALU_DEP_3) | instskip(NEXT) | instid1(VALU_DEP_2)
	v_cndmask_b32_e32 v4, s5, v6, vcc_lo
	v_xor_b32_e32 v2, s22, v2
	s_delay_alu instid0(VALU_DEP_2) | instskip(NEXT) | instid1(VALU_DEP_2)
	v_xor_b32_e32 v3, s22, v4
	v_sub_co_u32 v2, vcc_lo, v2, s22
	s_delay_alu instid0(VALU_DEP_2)
	v_subrev_co_ci_u32_e32 v3, vcc_lo, s22, v3, vcc_lo
	s_cbranch_execnz .LBB14_203
.LBB14_202:                             ;   in Loop: Header=BB14_33 Depth=1
	v_cvt_f32_u32_e32 v2, s33
	s_sub_i32 s4, 0, s33
	s_delay_alu instid0(VALU_DEP_1) | instskip(SKIP_2) | instid1(VALU_DEP_1)
	v_rcp_iflag_f32_e32 v2, v2
	s_waitcnt_depctr 0xfff
	v_mul_f32_e32 v2, 0x4f7ffffe, v2
	v_cvt_u32_f32_e32 v2, v2
	s_delay_alu instid0(VALU_DEP_1) | instskip(NEXT) | instid1(VALU_DEP_1)
	v_mul_lo_u32 v3, s4, v2
	v_mul_hi_u32 v3, v2, v3
	s_delay_alu instid0(VALU_DEP_1) | instskip(NEXT) | instid1(VALU_DEP_1)
	v_add_nc_u32_e32 v2, v2, v3
	v_mul_hi_u32 v2, s93, v2
	s_delay_alu instid0(VALU_DEP_1) | instskip(NEXT) | instid1(VALU_DEP_1)
	v_mul_lo_u32 v2, v2, s33
	v_sub_nc_u32_e32 v2, s93, v2
	s_delay_alu instid0(VALU_DEP_1) | instskip(SKIP_1) | instid1(VALU_DEP_2)
	v_subrev_nc_u32_e32 v3, s33, v2
	v_cmp_le_u32_e32 vcc_lo, s33, v2
	v_cndmask_b32_e32 v2, v2, v3, vcc_lo
	s_delay_alu instid0(VALU_DEP_1) | instskip(SKIP_1) | instid1(VALU_DEP_2)
	v_subrev_nc_u32_e32 v3, s33, v2
	v_cmp_le_u32_e32 vcc_lo, s33, v2
	v_cndmask_b32_e32 v12, v2, v3, vcc_lo
	s_delay_alu instid0(VALU_DEP_1)
	v_dual_mov_b32 v2, v12 :: v_dual_mov_b32 v3, v13
.LBB14_203:                             ;   in Loop: Header=BB14_33 Depth=1
	s_delay_alu instid0(VALU_DEP_1) | instskip(NEXT) | instid1(VALU_DEP_2)
	v_sub_co_u32 v2, vcc_lo, s93, v2
	v_sub_co_ci_u32_e32 v3, vcc_lo, s71, v3, vcc_lo
	s_mov_b32 s4, 0
	s_mov_b32 s5, exec_lo
                                        ; implicit-def: $vgpr41
	s_delay_alu instid0(VALU_DEP_1)
	v_cmpx_gt_i64_e64 v[2:3], v[0:1]
	s_cbranch_execz .LBB14_216
; %bb.204:                              ;   in Loop: Header=BB14_33 Depth=1
	v_dual_mov_b32 v4, v10 :: v_dual_mov_b32 v5, v11
	v_dual_mov_b32 v7, v1 :: v_dual_mov_b32 v6, v0
	s_mov_b32 s13, 0
                                        ; implicit-def: $sgpr22
	s_set_inst_prefetch_distance 0x1
	s_branch .LBB14_206
	.p2align	6
.LBB14_205:                             ;   in Loop: Header=BB14_206 Depth=2
	s_or_b32 exec_lo, exec_lo, s4
	s_waitcnt vmcnt(0) lgkmcnt(0)
	s_barrier
	buffer_gl0_inv
	ds_load_u16 v8, v13 offset:3072
	v_add_co_u32 v6, vcc_lo, v6, s33
	v_add_co_ci_u32_e32 v7, vcc_lo, 0, v7, vcc_lo
	s_waitcnt lgkmcnt(0)
	s_barrier
	buffer_gl0_inv
	v_cmp_ge_i64_e32 vcc_lo, v[6:7], v[2:3]
	v_and_b32_e32 v9, 0xff, v8
	s_delay_alu instid0(VALU_DEP_1) | instskip(NEXT) | instid1(VALU_DEP_1)
	v_cmp_ne_u16_e64 s4, 0, v9
	s_or_b32 s23, s4, vcc_lo
	v_add_co_u32 v4, vcc_lo, v4, s88
	s_and_b32 s23, exec_lo, s23
	v_add_co_ci_u32_e32 v5, vcc_lo, s35, v5, vcc_lo
	s_or_b32 s13, s23, s13
	s_and_not1_b32 s22, s22, exec_lo
	s_and_b32 s4, s4, exec_lo
	s_delay_alu instid0(SALU_CYCLE_1)
	s_or_b32 s22, s22, s4
	s_and_not1_b32 exec_lo, exec_lo, s13
	s_cbranch_execz .LBB14_215
.LBB14_206:                             ;   Parent Loop BB14_33 Depth=1
                                        ; =>  This Inner Loop Header: Depth=2
	s_delay_alu instid0(VALU_DEP_1)
	v_cmp_gt_i64_e32 vcc_lo, s[24:25], v[6:7]
	v_mov_b32_e32 v8, 0
	s_and_saveexec_b32 s4, vcc_lo
	s_cbranch_execz .LBB14_208
; %bb.207:                              ;   in Loop: Header=BB14_206 Depth=2
	global_load_u8 v8, v[4:5], off
.LBB14_208:                             ;   in Loop: Header=BB14_206 Depth=2
	s_or_b32 exec_lo, exec_lo, s4
	s_and_saveexec_b32 s4, vcc_lo
	s_cbranch_execz .LBB14_205
; %bb.209:                              ;   in Loop: Header=BB14_206 Depth=2
	s_waitcnt vmcnt(0)
	v_bfe_i32 v9, v8, 0, 8
	s_delay_alu instid0(VALU_DEP_1) | instskip(NEXT) | instid1(VALU_DEP_1)
	v_add_nc_u32_e32 v9, 0x80, v9
	v_and_b32_e32 v9, s62, v9
	s_delay_alu instid0(VALU_DEP_1)
	v_cmp_eq_u32_e32 vcc_lo, s63, v9
	s_and_b32 exec_lo, exec_lo, vcc_lo
	s_cbranch_execz .LBB14_205
; %bb.210:                              ;   in Loop: Header=BB14_206 Depth=2
	v_lshlrev_b16 v8, 8, v8
	s_delay_alu instid0(VALU_DEP_1)
	v_or_b32_e32 v8, 1, v8
	ds_store_b16 v13, v8 offset:3072
	s_branch .LBB14_205
.LBB14_211:                             ;   in Loop: Header=BB14_33 Depth=1
                                        ; implicit-def: $sgpr13
                                        ; implicit-def: $sgpr23
                                        ; implicit-def: $sgpr22
	s_branch .LBB14_230
.LBB14_212:                             ;   in Loop: Header=BB14_33 Depth=1
                                        ; implicit-def: $vgpr2_vgpr3
	s_branch .LBB14_155
.LBB14_213:                             ;   in Loop: Header=BB14_33 Depth=1
                                        ; implicit-def: $vgpr2_vgpr3
	s_branch .LBB14_172
.LBB14_214:                             ;   in Loop: Header=BB14_33 Depth=1
	s_mov_b32 s13, -1
	s_mov_b32 s4, 0
                                        ; implicit-def: $sgpr22
                                        ; implicit-def: $vgpr41
	s_mov_b32 s23, s13
	s_cbranch_execnz .LBB14_217
	s_branch .LBB14_230
.LBB14_215:                             ;   in Loop: Header=BB14_33 Depth=1
	s_set_inst_prefetch_distance 0x2
	s_or_b32 exec_lo, exec_lo, s13
	v_lshrrev_b16 v41, 8, v8
	s_and_b32 s4, s22, exec_lo
.LBB14_216:                             ;   in Loop: Header=BB14_33 Depth=1
	s_or_b32 exec_lo, exec_lo, s5
	s_mov_b32 s22, -1
	s_mov_b32 s13, 0
	s_delay_alu instid0(SALU_CYCLE_1)
	s_mov_b32 s23, s13
	s_branch .LBB14_230
.LBB14_217:                             ;   in Loop: Header=BB14_33 Depth=1
	s_add_u32 s13, s91, s10
	s_addc_u32 s5, s92, s11
	s_mov_b32 s4, s67
	s_delay_alu instid0(SALU_CYCLE_1)
	s_cmp_lg_u64 s[4:5], 0
	s_cbranch_scc0 .LBB14_260
; %bb.218:                              ;   in Loop: Header=BB14_33 Depth=1
	v_cvt_f32_u32_e32 v2, s33
	s_sub_u32 s23, 0, s33
	s_subb_u32 s56, 0, 0
	s_delay_alu instid0(VALU_DEP_1) | instskip(NEXT) | instid1(VALU_DEP_1)
	v_fmac_f32_e32 v2, 0x4f800000, v40
	v_rcp_f32_e32 v2, v2
	s_waitcnt_depctr 0xfff
	v_mul_f32_e32 v2, 0x5f7ffffc, v2
	s_delay_alu instid0(VALU_DEP_1) | instskip(NEXT) | instid1(VALU_DEP_1)
	v_mul_f32_e32 v3, 0x2f800000, v2
	v_trunc_f32_e32 v3, v3
	s_delay_alu instid0(VALU_DEP_1) | instskip(SKIP_1) | instid1(VALU_DEP_2)
	v_fmac_f32_e32 v2, 0xcf800000, v3
	v_cvt_u32_f32_e32 v3, v3
	v_cvt_u32_f32_e32 v2, v2
	s_delay_alu instid0(VALU_DEP_2) | instskip(NEXT) | instid1(VALU_DEP_2)
	v_readfirstlane_b32 s4, v3
	v_readfirstlane_b32 s22, v2
	s_delay_alu instid0(VALU_DEP_2) | instskip(NEXT) | instid1(VALU_DEP_1)
	s_mul_i32 s57, s23, s4
	s_mul_hi_u32 s78, s23, s22
	s_mul_i32 s70, s56, s22
	s_add_i32 s57, s78, s57
	s_mul_i32 s79, s23, s22
	s_add_i32 s57, s57, s70
	s_mul_hi_u32 s78, s22, s79
	s_mul_hi_u32 s80, s4, s79
	s_mul_i32 s70, s4, s79
	s_mul_hi_u32 s79, s22, s57
	s_mul_i32 s22, s22, s57
	s_mul_hi_u32 s81, s4, s57
	s_add_u32 s22, s78, s22
	s_addc_u32 s78, 0, s79
	s_add_u32 s22, s22, s70
	s_mul_i32 s57, s4, s57
	s_addc_u32 s22, s78, s80
	s_addc_u32 s70, s81, 0
	s_add_u32 s22, s22, s57
	s_addc_u32 s57, 0, s70
	v_add_co_u32 v2, s22, v2, s22
	s_delay_alu instid0(VALU_DEP_1) | instskip(SKIP_1) | instid1(VALU_DEP_1)
	s_cmp_lg_u32 s22, 0
	s_addc_u32 s4, s4, s57
	v_readfirstlane_b32 s22, v2
	s_mul_i32 s57, s23, s4
	s_delay_alu instid0(VALU_DEP_1)
	s_mul_hi_u32 s70, s23, s22
	s_mul_i32 s56, s56, s22
	s_add_i32 s57, s70, s57
	s_mul_i32 s23, s23, s22
	s_add_i32 s57, s57, s56
	s_mul_hi_u32 s70, s4, s23
	s_mul_i32 s78, s4, s23
	s_mul_hi_u32 s23, s22, s23
	s_mul_hi_u32 s79, s22, s57
	s_mul_i32 s22, s22, s57
	s_mul_hi_u32 s56, s4, s57
	s_add_u32 s22, s23, s22
	s_addc_u32 s23, 0, s79
	s_add_u32 s22, s22, s78
	s_mul_i32 s57, s4, s57
	s_addc_u32 s22, s23, s70
	s_addc_u32 s23, s56, 0
	s_add_u32 s22, s22, s57
	s_addc_u32 s23, 0, s23
	v_add_co_u32 v2, s22, v2, s22
	s_delay_alu instid0(VALU_DEP_1) | instskip(SKIP_2) | instid1(VALU_DEP_1)
	s_cmp_lg_u32 s22, 0
	s_addc_u32 s4, s4, s23
	s_ashr_i32 s22, s5, 31
	v_readfirstlane_b32 s70, v2
	s_add_u32 s56, s13, s22
	s_mov_b32 s23, s22
	s_addc_u32 s57, s5, s22
	s_delay_alu instid0(SALU_CYCLE_1) | instskip(NEXT) | instid1(SALU_CYCLE_1)
	s_xor_b64 s[56:57], s[56:57], s[22:23]
	s_mul_i32 s78, s56, s4
	s_mul_hi_u32 s79, s56, s70
	s_mul_hi_u32 s23, s56, s4
	;; [unrolled: 1-line block ×3, first 2 shown]
	s_mul_i32 s70, s57, s70
	s_add_u32 s78, s79, s78
	s_addc_u32 s23, 0, s23
	s_mul_hi_u32 s80, s57, s4
	s_add_u32 s70, s78, s70
	s_mul_i32 s4, s57, s4
	s_addc_u32 s23, s23, s81
	s_addc_u32 s70, s80, 0
	s_add_u32 s4, s23, s4
	s_addc_u32 s23, 0, s70
	s_mul_hi_u32 s70, s33, s4
	s_mul_i32 s4, s33, s4
	s_mul_i32 s23, s33, s23
	v_sub_co_u32 v2, s4, s56, s4
	s_add_i32 s70, s70, s23
	s_cmp_lg_u32 s4, 0
	s_delay_alu instid0(VALU_DEP_1) | instskip(SKIP_2) | instid1(VALU_DEP_1)
	v_sub_co_u32 v3, s4, v2, s33
	s_subb_u32 s23, s57, s70
	s_cmp_lg_u32 s4, 0
	v_cmp_le_u32_e32 vcc_lo, s33, v3
	v_sub_co_u32 v4, s4, v3, s33
	s_subb_u32 s56, s23, 0
	s_cmp_lg_u32 s4, 0
	v_cndmask_b32_e64 v5, 0, -1, vcc_lo
	s_subb_u32 s4, s56, 0
	s_cmp_eq_u32 s56, 0
	v_mov_b32_e32 v7, s4
	s_cselect_b32 vcc_lo, -1, 0
	s_cmp_eq_u32 s23, 0
	v_cndmask_b32_e32 v5, -1, v5, vcc_lo
	v_cmp_le_u32_e32 vcc_lo, s33, v2
	s_cselect_b32 s4, -1, 0
	v_cndmask_b32_e64 v6, 0, -1, vcc_lo
	s_delay_alu instid0(VALU_DEP_3) | instskip(NEXT) | instid1(VALU_DEP_2)
	v_cmp_ne_u32_e32 vcc_lo, 0, v5
	v_cndmask_b32_e64 v5, -1, v6, s4
	v_cndmask_b32_e32 v3, v3, v4, vcc_lo
	v_cndmask_b32_e32 v6, s56, v7, vcc_lo
	s_delay_alu instid0(VALU_DEP_3) | instskip(NEXT) | instid1(VALU_DEP_3)
	v_cmp_ne_u32_e32 vcc_lo, 0, v5
	v_cndmask_b32_e32 v2, v2, v3, vcc_lo
	s_delay_alu instid0(VALU_DEP_3) | instskip(NEXT) | instid1(VALU_DEP_2)
	v_cndmask_b32_e32 v4, s23, v6, vcc_lo
	v_xor_b32_e32 v2, s22, v2
	s_delay_alu instid0(VALU_DEP_2) | instskip(NEXT) | instid1(VALU_DEP_2)
	v_xor_b32_e32 v3, s22, v4
	v_sub_co_u32 v2, vcc_lo, v2, s22
	s_delay_alu instid0(VALU_DEP_2)
	v_subrev_co_ci_u32_e32 v3, vcc_lo, s22, v3, vcc_lo
	s_cbranch_execnz .LBB14_220
.LBB14_219:                             ;   in Loop: Header=BB14_33 Depth=1
	v_cvt_f32_u32_e32 v2, s33
	s_sub_i32 s4, 0, s33
	s_delay_alu instid0(VALU_DEP_1) | instskip(SKIP_2) | instid1(VALU_DEP_1)
	v_rcp_iflag_f32_e32 v2, v2
	s_waitcnt_depctr 0xfff
	v_mul_f32_e32 v2, 0x4f7ffffe, v2
	v_cvt_u32_f32_e32 v2, v2
	s_delay_alu instid0(VALU_DEP_1) | instskip(NEXT) | instid1(VALU_DEP_1)
	v_mul_lo_u32 v3, s4, v2
	v_mul_hi_u32 v3, v2, v3
	s_delay_alu instid0(VALU_DEP_1) | instskip(NEXT) | instid1(VALU_DEP_1)
	v_add_nc_u32_e32 v2, v2, v3
	v_mul_hi_u32 v2, s13, v2
	s_delay_alu instid0(VALU_DEP_1) | instskip(NEXT) | instid1(VALU_DEP_1)
	v_mul_lo_u32 v2, v2, s33
	v_sub_nc_u32_e32 v2, s13, v2
	s_delay_alu instid0(VALU_DEP_1) | instskip(SKIP_1) | instid1(VALU_DEP_2)
	v_subrev_nc_u32_e32 v3, s33, v2
	v_cmp_le_u32_e32 vcc_lo, s33, v2
	v_cndmask_b32_e32 v2, v2, v3, vcc_lo
	s_delay_alu instid0(VALU_DEP_1) | instskip(SKIP_1) | instid1(VALU_DEP_2)
	v_subrev_nc_u32_e32 v3, s33, v2
	v_cmp_le_u32_e32 vcc_lo, s33, v2
	v_cndmask_b32_e32 v12, v2, v3, vcc_lo
	s_delay_alu instid0(VALU_DEP_1)
	v_dual_mov_b32 v2, v12 :: v_dual_mov_b32 v3, v13
.LBB14_220:                             ;   in Loop: Header=BB14_33 Depth=1
	s_delay_alu instid0(VALU_DEP_1) | instskip(NEXT) | instid1(VALU_DEP_2)
	v_sub_co_u32 v2, vcc_lo, s13, v2
	v_sub_co_ci_u32_e32 v3, vcc_lo, s5, v3, vcc_lo
	s_mov_b32 s4, 0
	s_mov_b32 s5, exec_lo
                                        ; implicit-def: $vgpr41
	s_delay_alu instid0(VALU_DEP_1)
	v_cmpx_gt_i64_e64 v[2:3], v[0:1]
	s_cbranch_execz .LBB14_229
; %bb.221:                              ;   in Loop: Header=BB14_33 Depth=1
	v_dual_mov_b32 v6, v0 :: v_dual_mov_b32 v5, v1
	v_mov_b32_e32 v4, v0
	s_mov_b32 s13, 0
                                        ; implicit-def: $sgpr22
	s_set_inst_prefetch_distance 0x1
	s_branch .LBB14_223
	.p2align	6
.LBB14_222:                             ;   in Loop: Header=BB14_223 Depth=2
	s_or_b32 exec_lo, exec_lo, s4
	s_waitcnt lgkmcnt(0)
	s_barrier
	buffer_gl0_inv
	ds_load_u16 v7, v13 offset:3072
	v_add_co_u32 v4, vcc_lo, v4, s33
	v_add_co_ci_u32_e32 v5, vcc_lo, 0, v5, vcc_lo
	v_add_nc_u32_e32 v6, s33, v6
	s_waitcnt lgkmcnt(0)
	s_barrier
	s_delay_alu instid0(VALU_DEP_2) | instskip(SKIP_2) | instid1(VALU_DEP_1)
	v_cmp_ge_i64_e32 vcc_lo, v[4:5], v[2:3]
	buffer_gl0_inv
	v_and_b32_e32 v8, 0xff, v7
	v_cmp_ne_u16_e64 s4, 0, v8
	s_delay_alu instid0(VALU_DEP_1) | instskip(NEXT) | instid1(SALU_CYCLE_1)
	s_or_b32 s23, s4, vcc_lo
	s_and_b32 s23, exec_lo, s23
	s_delay_alu instid0(SALU_CYCLE_1) | instskip(SKIP_2) | instid1(SALU_CYCLE_1)
	s_or_b32 s13, s23, s13
	s_and_not1_b32 s22, s22, exec_lo
	s_and_b32 s4, s4, exec_lo
	s_or_b32 s22, s22, s4
	s_and_not1_b32 exec_lo, exec_lo, s13
	s_cbranch_execz .LBB14_228
.LBB14_223:                             ;   Parent Loop BB14_33 Depth=1
                                        ; =>  This Inner Loop Header: Depth=2
	s_delay_alu instid0(VALU_DEP_1)
	v_cmp_gt_i64_e32 vcc_lo, s[10:11], v[4:5]
	v_mov_b32_e32 v7, 0
	s_and_saveexec_b32 s4, vcc_lo
	s_cbranch_execz .LBB14_225
; %bb.224:                              ;   in Loop: Header=BB14_223 Depth=2
	ds_load_u8 v7, v6
.LBB14_225:                             ;   in Loop: Header=BB14_223 Depth=2
	s_or_b32 exec_lo, exec_lo, s4
	s_and_saveexec_b32 s4, vcc_lo
	s_cbranch_execz .LBB14_222
; %bb.226:                              ;   in Loop: Header=BB14_223 Depth=2
	s_waitcnt lgkmcnt(0)
	v_bfe_i32 v8, v7, 0, 8
	s_delay_alu instid0(VALU_DEP_1) | instskip(NEXT) | instid1(VALU_DEP_1)
	v_add_nc_u32_e32 v8, 0x80, v8
	v_and_b32_e32 v8, s62, v8
	s_delay_alu instid0(VALU_DEP_1)
	v_cmp_eq_u32_e32 vcc_lo, s63, v8
	s_and_b32 exec_lo, exec_lo, vcc_lo
	s_cbranch_execz .LBB14_222
; %bb.227:                              ;   in Loop: Header=BB14_223 Depth=2
	v_lshlrev_b16 v7, 8, v7
	s_delay_alu instid0(VALU_DEP_1)
	v_or_b32_e32 v7, 1, v7
	ds_store_b16 v13, v7 offset:3072
	s_branch .LBB14_222
.LBB14_228:                             ;   in Loop: Header=BB14_33 Depth=1
	s_set_inst_prefetch_distance 0x2
	s_or_b32 exec_lo, exec_lo, s13
	v_lshrrev_b16 v41, 8, v7
	s_and_b32 s4, s22, exec_lo
.LBB14_229:                             ;   in Loop: Header=BB14_33 Depth=1
	s_or_b32 exec_lo, exec_lo, s5
	s_mov_b32 s23, -1
	s_mov_b32 s13, 0
	s_mov_b32 s22, 0
.LBB14_230:                             ;   in Loop: Header=BB14_33 Depth=1
	s_mov_b32 s5, 0
                                        ; implicit-def: $sgpr70
	s_and_saveexec_b32 s10, s4
	s_cbranch_execz .LBB14_292
; %bb.231:                              ;   in Loop: Header=BB14_33 Depth=1
	s_xor_b32 s4, s66, -1
	s_mov_b32 s70, 1
	s_and_not1_b32 vcc_lo, exec_lo, s4
	s_cbranch_vccnz .LBB14_242
; %bb.232:                              ;   in Loop: Header=BB14_33 Depth=1
	v_cmp_gt_i64_e64 s4, s[26:27], s[8:9]
                                        ; implicit-def: $sgpr70
                                        ; implicit-def: $sgpr5
                                        ; implicit-def: $sgpr11
	s_delay_alu instid0(VALU_DEP_1)
	s_and_b32 vcc_lo, exec_lo, s4
	s_mov_b32 s4, -1
	s_cbranch_vccnz .LBB14_238
; %bb.233:                              ;   in Loop: Header=BB14_33 Depth=1
	ds_load_b64 v[2:3], v13 offset:5120
	s_waitcnt lgkmcnt(0)
	v_cmp_ne_u64_e32 vcc_lo, 0, v[2:3]
	s_cbranch_vccnz .LBB14_237
; %bb.234:                              ;   in Loop: Header=BB14_33 Depth=1
	s_and_saveexec_b32 s4, s0
	s_cbranch_execz .LBB14_236
; %bb.235:                              ;   in Loop: Header=BB14_33 Depth=1
	v_dual_mov_b32 v2, s8 :: v_dual_mov_b32 v3, s9
	ds_store_b64 v13, v[2:3] offset:5128
.LBB14_236:                             ;   in Loop: Header=BB14_33 Depth=1
	s_or_b32 exec_lo, exec_lo, s4
	s_waitcnt lgkmcnt(0)
	s_barrier
	buffer_gl0_inv
.LBB14_237:                             ;   in Loop: Header=BB14_33 Depth=1
	s_lshl_b32 s4, 2, s17
	s_and_b32 s5, s63, s18
	s_or_b32 s11, s62, s16
	s_or_b32 s5, s5, s4
	s_mov_b32 s4, 0
	s_mov_b32 s70, 8
.LBB14_238:                             ;   in Loop: Header=BB14_33 Depth=1
	s_and_not1_b32 vcc_lo, exec_lo, s4
	s_cbranch_vccnz .LBB14_240
; %bb.239:                              ;   in Loop: Header=BB14_33 Depth=1
	s_sub_u32 s26, s26, s8
	s_subb_u32 s27, s27, s9
	s_mov_b32 s4, -1
	s_mov_b32 s70, 0
	s_mov_b32 s5, s63
	;; [unrolled: 1-line block ×3, first 2 shown]
.LBB14_240:                             ;   in Loop: Header=BB14_33 Depth=1
	s_delay_alu instid0(SALU_CYCLE_1)
	s_mov_b32 s62, s11
	s_mov_b32 s63, s5
	s_and_not1_b32 vcc_lo, exec_lo, s4
	s_mov_b32 s9, -1
	s_cbranch_vccz .LBB14_243
.LBB14_241:                             ;   in Loop: Header=BB14_33 Depth=1
                                        ; implicit-def: $sgpr17
                                        ; implicit-def: $sgpr56
                                        ; implicit-def: $sgpr18
	s_branch .LBB14_291
.LBB14_242:                             ;   in Loop: Header=BB14_33 Depth=1
	s_mov_b64 s[26:27], 1
	s_mov_b32 s9, -1
	s_cbranch_execnz .LBB14_241
.LBB14_243:                             ;   in Loop: Header=BB14_33 Depth=1
	s_cmp_eq_u64 s[6:7], 1
	s_mov_b32 s57, -1
	s_cselect_b32 s4, -1, 0
	s_cmp_eq_u64 s[26:27], 1
	s_cselect_b32 s5, -1, 0
	s_delay_alu instid0(SALU_CYCLE_1) | instskip(NEXT) | instid1(SALU_CYCLE_1)
	s_and_b32 s11, s4, s5
	s_and_b32 vcc_lo, exec_lo, s11
	s_cbranch_vccz .LBB14_258
; %bb.244:                              ;   in Loop: Header=BB14_33 Depth=1
	ds_load_b64 v[2:3], v13 offset:5120
	s_waitcnt lgkmcnt(0)
	s_barrier
	buffer_gl0_inv
	v_readfirstlane_b32 s8, v2
	v_readfirstlane_b32 s9, v3
	s_and_saveexec_b32 s4, s3
	s_cbranch_execz .LBB14_246
; %bb.245:                              ;   in Loop: Header=BB14_33 Depth=1
	ds_store_b8 v0, v13 offset:3072
.LBB14_246:                             ;   in Loop: Header=BB14_33 Depth=1
	s_or_b32 exec_lo, exec_lo, s4
	s_delay_alu instid0(VALU_DEP_1)
	v_cmp_gt_i64_e64 s4, s[8:9], 0
	s_or_b32 s63, s63, s16
	s_or_b32 s62, s62, s16
	s_waitcnt lgkmcnt(0)
	s_barrier
	buffer_gl0_inv
	s_and_b32 vcc_lo, exec_lo, s4
	s_cbranch_vccnz .LBB14_261
; %bb.247:                              ;   in Loop: Header=BB14_33 Depth=1
	s_mov_b32 s70, s67
	s_delay_alu instid0(SALU_CYCLE_1)
	s_cmp_lg_u64 s[70:71], 0
	s_cbranch_scc0 .LBB14_297
; %bb.248:                              ;   in Loop: Header=BB14_33 Depth=1
	v_cvt_f32_u32_e32 v2, s33
	s_sub_u32 s17, 0, s33
	s_subb_u32 s18, 0, 0
	s_delay_alu instid0(VALU_DEP_1) | instskip(NEXT) | instid1(VALU_DEP_1)
	v_fmac_f32_e32 v2, 0x4f800000, v40
	v_rcp_f32_e32 v2, v2
	s_waitcnt_depctr 0xfff
	v_mul_f32_e32 v2, 0x5f7ffffc, v2
	s_delay_alu instid0(VALU_DEP_1) | instskip(NEXT) | instid1(VALU_DEP_1)
	v_mul_f32_e32 v3, 0x2f800000, v2
	v_trunc_f32_e32 v3, v3
	s_delay_alu instid0(VALU_DEP_1) | instskip(SKIP_1) | instid1(VALU_DEP_2)
	v_fmac_f32_e32 v2, 0xcf800000, v3
	v_cvt_u32_f32_e32 v3, v3
	v_cvt_u32_f32_e32 v2, v2
	s_delay_alu instid0(VALU_DEP_2) | instskip(NEXT) | instid1(VALU_DEP_2)
	v_readfirstlane_b32 s4, v3
	v_readfirstlane_b32 s5, v2
	s_delay_alu instid0(VALU_DEP_2) | instskip(NEXT) | instid1(VALU_DEP_1)
	s_mul_i32 s56, s17, s4
	s_mul_hi_u32 s66, s17, s5
	s_mul_i32 s57, s18, s5
	s_add_i32 s56, s66, s56
	s_mul_i32 s70, s17, s5
	s_add_i32 s56, s56, s57
	s_mul_hi_u32 s66, s5, s70
	s_mul_hi_u32 s78, s4, s70
	s_mul_i32 s57, s4, s70
	s_mul_hi_u32 s70, s5, s56
	s_mul_i32 s5, s5, s56
	s_mul_hi_u32 s79, s4, s56
	s_add_u32 s5, s66, s5
	s_addc_u32 s66, 0, s70
	s_add_u32 s5, s5, s57
	s_mul_i32 s56, s4, s56
	s_addc_u32 s5, s66, s78
	s_addc_u32 s57, s79, 0
	s_add_u32 s5, s5, s56
	s_addc_u32 s56, 0, s57
	v_add_co_u32 v2, s5, v2, s5
	s_delay_alu instid0(VALU_DEP_1) | instskip(SKIP_1) | instid1(VALU_DEP_1)
	s_cmp_lg_u32 s5, 0
	s_addc_u32 s4, s4, s56
	v_readfirstlane_b32 s5, v2
	s_mul_i32 s56, s17, s4
	s_delay_alu instid0(VALU_DEP_1)
	s_mul_hi_u32 s57, s17, s5
	s_mul_i32 s18, s18, s5
	s_add_i32 s56, s57, s56
	s_mul_i32 s17, s17, s5
	s_add_i32 s56, s56, s18
	s_mul_hi_u32 s57, s4, s17
	s_mul_i32 s66, s4, s17
	s_mul_hi_u32 s17, s5, s17
	s_mul_hi_u32 s70, s5, s56
	s_mul_i32 s5, s5, s56
	s_mul_hi_u32 s18, s4, s56
	s_add_u32 s5, s17, s5
	s_addc_u32 s17, 0, s70
	s_add_u32 s5, s5, s66
	s_mul_i32 s56, s4, s56
	s_addc_u32 s5, s17, s57
	s_addc_u32 s17, s18, 0
	s_add_u32 s5, s5, s56
	s_addc_u32 s17, 0, s17
	v_add_co_u32 v2, s5, v2, s5
	s_delay_alu instid0(VALU_DEP_1) | instskip(SKIP_2) | instid1(VALU_DEP_1)
	s_cmp_lg_u32 s5, 0
	s_addc_u32 s17, s4, s17
	s_ashr_i32 s56, s71, 31
	v_readfirstlane_b32 s18, v2
	s_add_u32 s4, s93, s56
	s_mov_b32 s57, s56
	s_addc_u32 s5, s71, s56
	s_delay_alu instid0(SALU_CYCLE_1) | instskip(NEXT) | instid1(SALU_CYCLE_1)
	s_xor_b64 s[4:5], s[4:5], s[56:57]
	s_mul_i32 s66, s4, s17
	s_mul_hi_u32 s70, s4, s18
	s_mul_hi_u32 s57, s4, s17
	;; [unrolled: 1-line block ×3, first 2 shown]
	s_mul_i32 s18, s5, s18
	s_add_u32 s66, s70, s66
	s_addc_u32 s57, 0, s57
	s_mul_hi_u32 s78, s5, s17
	s_add_u32 s18, s66, s18
	s_mul_i32 s17, s5, s17
	s_addc_u32 s18, s57, s79
	s_addc_u32 s57, s78, 0
	s_add_u32 s17, s18, s17
	s_addc_u32 s18, 0, s57
	s_mul_hi_u32 s57, s33, s17
	s_mul_i32 s17, s33, s17
	s_mul_i32 s18, s33, s18
	v_sub_co_u32 v2, s4, s4, s17
	s_add_i32 s57, s57, s18
	s_cmp_lg_u32 s4, 0
	s_delay_alu instid0(VALU_DEP_1) | instskip(SKIP_2) | instid1(VALU_DEP_1)
	v_sub_co_u32 v3, s4, v2, s33
	s_subb_u32 s5, s5, s57
	s_cmp_lg_u32 s4, 0
	v_cmp_le_u32_e32 vcc_lo, s33, v3
	v_sub_co_u32 v4, s4, v3, s33
	s_subb_u32 s17, s5, 0
	s_cmp_lg_u32 s4, 0
	v_cndmask_b32_e64 v5, 0, -1, vcc_lo
	s_subb_u32 s4, s17, 0
	s_cmp_eq_u32 s17, 0
	v_mov_b32_e32 v7, s4
	s_cselect_b32 vcc_lo, -1, 0
	s_cmp_eq_u32 s5, 0
	v_cndmask_b32_e32 v5, -1, v5, vcc_lo
	v_cmp_le_u32_e32 vcc_lo, s33, v2
	s_cselect_b32 s4, -1, 0
	v_cndmask_b32_e64 v6, 0, -1, vcc_lo
	s_delay_alu instid0(VALU_DEP_3) | instskip(NEXT) | instid1(VALU_DEP_2)
	v_cmp_ne_u32_e32 vcc_lo, 0, v5
	v_cndmask_b32_e64 v5, -1, v6, s4
	v_cndmask_b32_e32 v3, v3, v4, vcc_lo
	v_cndmask_b32_e32 v6, s17, v7, vcc_lo
	s_delay_alu instid0(VALU_DEP_3) | instskip(NEXT) | instid1(VALU_DEP_3)
	v_cmp_ne_u32_e32 vcc_lo, 0, v5
	v_cndmask_b32_e32 v2, v2, v3, vcc_lo
	s_delay_alu instid0(VALU_DEP_3) | instskip(NEXT) | instid1(VALU_DEP_2)
	v_cndmask_b32_e32 v4, s5, v6, vcc_lo
	v_xor_b32_e32 v2, s56, v2
	s_delay_alu instid0(VALU_DEP_2) | instskip(NEXT) | instid1(VALU_DEP_2)
	v_xor_b32_e32 v3, s56, v4
	v_sub_co_u32 v2, vcc_lo, v2, s56
	s_delay_alu instid0(VALU_DEP_2)
	v_subrev_co_ci_u32_e32 v3, vcc_lo, s56, v3, vcc_lo
	s_cbranch_execnz .LBB14_250
.LBB14_249:                             ;   in Loop: Header=BB14_33 Depth=1
	v_cvt_f32_u32_e32 v2, s33
	s_sub_i32 s4, 0, s33
	s_delay_alu instid0(VALU_DEP_1) | instskip(SKIP_2) | instid1(VALU_DEP_1)
	v_rcp_iflag_f32_e32 v2, v2
	s_waitcnt_depctr 0xfff
	v_mul_f32_e32 v2, 0x4f7ffffe, v2
	v_cvt_u32_f32_e32 v2, v2
	s_delay_alu instid0(VALU_DEP_1) | instskip(NEXT) | instid1(VALU_DEP_1)
	v_mul_lo_u32 v3, s4, v2
	v_mul_hi_u32 v3, v2, v3
	s_delay_alu instid0(VALU_DEP_1) | instskip(NEXT) | instid1(VALU_DEP_1)
	v_add_nc_u32_e32 v2, v2, v3
	v_mul_hi_u32 v2, s93, v2
	s_delay_alu instid0(VALU_DEP_1) | instskip(NEXT) | instid1(VALU_DEP_1)
	v_mul_lo_u32 v2, v2, s33
	v_sub_nc_u32_e32 v2, s93, v2
	s_delay_alu instid0(VALU_DEP_1) | instskip(SKIP_1) | instid1(VALU_DEP_2)
	v_subrev_nc_u32_e32 v3, s33, v2
	v_cmp_le_u32_e32 vcc_lo, s33, v2
	v_cndmask_b32_e32 v2, v2, v3, vcc_lo
	s_delay_alu instid0(VALU_DEP_1) | instskip(SKIP_1) | instid1(VALU_DEP_2)
	v_subrev_nc_u32_e32 v3, s33, v2
	v_cmp_le_u32_e32 vcc_lo, s33, v2
	v_cndmask_b32_e32 v12, v2, v3, vcc_lo
	s_delay_alu instid0(VALU_DEP_1)
	v_dual_mov_b32 v2, v12 :: v_dual_mov_b32 v3, v13
.LBB14_250:                             ;   in Loop: Header=BB14_33 Depth=1
	s_delay_alu instid0(VALU_DEP_1) | instskip(NEXT) | instid1(VALU_DEP_2)
	v_sub_co_u32 v2, vcc_lo, s93, v2
	v_sub_co_ci_u32_e32 v3, vcc_lo, s71, v3, vcc_lo
	s_mov_b32 s57, 0
	s_mov_b32 s5, exec_lo
                                        ; implicit-def: $vgpr41
	s_delay_alu instid0(VALU_DEP_1)
	v_cmpx_gt_i64_e64 v[2:3], v[0:1]
	s_cbranch_execz .LBB14_263
; %bb.251:                              ;   in Loop: Header=BB14_33 Depth=1
	v_dual_mov_b32 v4, v10 :: v_dual_mov_b32 v5, v11
	v_dual_mov_b32 v7, v1 :: v_dual_mov_b32 v6, v0
	s_mov_b32 s17, 0
                                        ; implicit-def: $sgpr18
	s_set_inst_prefetch_distance 0x1
	s_branch .LBB14_253
	.p2align	6
.LBB14_252:                             ;   in Loop: Header=BB14_253 Depth=2
	s_or_b32 exec_lo, exec_lo, s4
	s_waitcnt vmcnt(0) lgkmcnt(0)
	s_barrier
	buffer_gl0_inv
	ds_load_u16 v8, v13 offset:3072
	v_add_co_u32 v6, vcc_lo, v6, s33
	v_add_co_ci_u32_e32 v7, vcc_lo, 0, v7, vcc_lo
	s_waitcnt lgkmcnt(0)
	s_barrier
	buffer_gl0_inv
	v_cmp_ge_i64_e32 vcc_lo, v[6:7], v[2:3]
	v_and_b32_e32 v9, 0xff, v8
	s_delay_alu instid0(VALU_DEP_1) | instskip(NEXT) | instid1(VALU_DEP_1)
	v_cmp_ne_u16_e64 s4, 0, v9
	s_or_b32 s56, s4, vcc_lo
	v_add_co_u32 v4, vcc_lo, v4, s88
	s_and_b32 s56, exec_lo, s56
	v_add_co_ci_u32_e32 v5, vcc_lo, s35, v5, vcc_lo
	s_or_b32 s17, s56, s17
	s_and_not1_b32 s18, s18, exec_lo
	s_and_b32 s4, s4, exec_lo
	s_delay_alu instid0(SALU_CYCLE_1)
	s_or_b32 s18, s18, s4
	s_and_not1_b32 exec_lo, exec_lo, s17
	s_cbranch_execz .LBB14_262
.LBB14_253:                             ;   Parent Loop BB14_33 Depth=1
                                        ; =>  This Inner Loop Header: Depth=2
	s_delay_alu instid0(VALU_DEP_1)
	v_cmp_gt_i64_e32 vcc_lo, s[24:25], v[6:7]
	v_mov_b32_e32 v8, 0
	s_and_saveexec_b32 s4, vcc_lo
	s_cbranch_execz .LBB14_255
; %bb.254:                              ;   in Loop: Header=BB14_253 Depth=2
	global_load_u8 v8, v[4:5], off
.LBB14_255:                             ;   in Loop: Header=BB14_253 Depth=2
	s_or_b32 exec_lo, exec_lo, s4
	s_and_saveexec_b32 s4, vcc_lo
	s_cbranch_execz .LBB14_252
; %bb.256:                              ;   in Loop: Header=BB14_253 Depth=2
	s_waitcnt vmcnt(0)
	v_bfe_i32 v9, v8, 0, 8
	s_delay_alu instid0(VALU_DEP_1) | instskip(NEXT) | instid1(VALU_DEP_1)
	v_add_nc_u32_e32 v9, 0x80, v9
	v_and_b32_e32 v9, s62, v9
	s_delay_alu instid0(VALU_DEP_1)
	v_cmp_eq_u32_e32 vcc_lo, s63, v9
	s_and_b32 exec_lo, exec_lo, vcc_lo
	s_cbranch_execz .LBB14_252
; %bb.257:                              ;   in Loop: Header=BB14_253 Depth=2
	v_lshlrev_b16 v8, 8, v8
	s_delay_alu instid0(VALU_DEP_1)
	v_or_b32_e32 v8, 1, v8
	ds_store_b16 v13, v8 offset:3072
	s_branch .LBB14_252
.LBB14_258:                             ;   in Loop: Header=BB14_33 Depth=1
                                        ; implicit-def: $sgpr17
                                        ; implicit-def: $sgpr56
                                        ; implicit-def: $sgpr18
	s_branch .LBB14_277
.LBB14_259:                             ;   in Loop: Header=BB14_33 Depth=1
                                        ; implicit-def: $vgpr2_vgpr3
	s_branch .LBB14_202
.LBB14_260:                             ;   in Loop: Header=BB14_33 Depth=1
                                        ; implicit-def: $vgpr2_vgpr3
	s_branch .LBB14_219
.LBB14_261:                             ;   in Loop: Header=BB14_33 Depth=1
	s_mov_b32 s17, -1
	s_mov_b32 s57, 0
                                        ; implicit-def: $sgpr18
                                        ; implicit-def: $vgpr41
	s_mov_b32 s56, s17
	s_cbranch_execnz .LBB14_264
	s_branch .LBB14_277
.LBB14_262:                             ;   in Loop: Header=BB14_33 Depth=1
	s_set_inst_prefetch_distance 0x2
	s_or_b32 exec_lo, exec_lo, s17
	v_lshrrev_b16 v41, 8, v8
	s_and_b32 s57, s18, exec_lo
.LBB14_263:                             ;   in Loop: Header=BB14_33 Depth=1
	s_or_b32 exec_lo, exec_lo, s5
	s_mov_b32 s18, -1
	s_mov_b32 s17, 0
	s_delay_alu instid0(SALU_CYCLE_1)
	s_mov_b32 s56, s17
	s_branch .LBB14_277
.LBB14_264:                             ;   in Loop: Header=BB14_33 Depth=1
	s_add_u32 s17, s91, s8
	s_addc_u32 s5, s92, s9
	s_mov_b32 s4, s67
	s_delay_alu instid0(SALU_CYCLE_1)
	s_cmp_lg_u64 s[4:5], 0
	s_cbranch_scc0 .LBB14_298
; %bb.265:                              ;   in Loop: Header=BB14_33 Depth=1
	v_cvt_f32_u32_e32 v2, s33
	s_sub_u32 s56, 0, s33
	s_subb_u32 s57, 0, 0
	s_delay_alu instid0(VALU_DEP_1) | instskip(NEXT) | instid1(VALU_DEP_1)
	v_fmac_f32_e32 v2, 0x4f800000, v40
	v_rcp_f32_e32 v2, v2
	s_waitcnt_depctr 0xfff
	v_mul_f32_e32 v2, 0x5f7ffffc, v2
	s_delay_alu instid0(VALU_DEP_1) | instskip(NEXT) | instid1(VALU_DEP_1)
	v_mul_f32_e32 v3, 0x2f800000, v2
	v_trunc_f32_e32 v3, v3
	s_delay_alu instid0(VALU_DEP_1) | instskip(SKIP_1) | instid1(VALU_DEP_2)
	v_fmac_f32_e32 v2, 0xcf800000, v3
	v_cvt_u32_f32_e32 v3, v3
	v_cvt_u32_f32_e32 v2, v2
	s_delay_alu instid0(VALU_DEP_2) | instskip(NEXT) | instid1(VALU_DEP_2)
	v_readfirstlane_b32 s4, v3
	v_readfirstlane_b32 s18, v2
	s_delay_alu instid0(VALU_DEP_2) | instskip(NEXT) | instid1(VALU_DEP_1)
	s_mul_i32 s66, s56, s4
	s_mul_hi_u32 s78, s56, s18
	s_mul_i32 s70, s57, s18
	s_add_i32 s66, s78, s66
	s_mul_i32 s79, s56, s18
	s_add_i32 s66, s66, s70
	s_mul_hi_u32 s78, s18, s79
	s_mul_hi_u32 s80, s4, s79
	s_mul_i32 s70, s4, s79
	s_mul_hi_u32 s79, s18, s66
	s_mul_i32 s18, s18, s66
	s_mul_hi_u32 s81, s4, s66
	s_add_u32 s18, s78, s18
	s_addc_u32 s78, 0, s79
	s_add_u32 s18, s18, s70
	s_mul_i32 s66, s4, s66
	s_addc_u32 s18, s78, s80
	s_addc_u32 s70, s81, 0
	s_add_u32 s18, s18, s66
	s_addc_u32 s66, 0, s70
	v_add_co_u32 v2, s18, v2, s18
	s_delay_alu instid0(VALU_DEP_1) | instskip(SKIP_1) | instid1(VALU_DEP_1)
	s_cmp_lg_u32 s18, 0
	s_addc_u32 s4, s4, s66
	v_readfirstlane_b32 s18, v2
	s_mul_i32 s66, s56, s4
	s_delay_alu instid0(VALU_DEP_1)
	s_mul_hi_u32 s70, s56, s18
	s_mul_i32 s57, s57, s18
	s_add_i32 s66, s70, s66
	s_mul_i32 s56, s56, s18
	s_add_i32 s66, s66, s57
	s_mul_hi_u32 s70, s4, s56
	s_mul_i32 s78, s4, s56
	s_mul_hi_u32 s56, s18, s56
	s_mul_hi_u32 s79, s18, s66
	s_mul_i32 s18, s18, s66
	s_mul_hi_u32 s57, s4, s66
	s_add_u32 s18, s56, s18
	s_addc_u32 s56, 0, s79
	s_add_u32 s18, s18, s78
	s_mul_i32 s66, s4, s66
	s_addc_u32 s18, s56, s70
	s_addc_u32 s56, s57, 0
	s_add_u32 s18, s18, s66
	s_addc_u32 s56, 0, s56
	v_add_co_u32 v2, s18, v2, s18
	s_delay_alu instid0(VALU_DEP_1) | instskip(SKIP_2) | instid1(VALU_DEP_1)
	s_cmp_lg_u32 s18, 0
	s_addc_u32 s4, s4, s56
	s_ashr_i32 s56, s5, 31
	v_readfirstlane_b32 s18, v2
	s_add_u32 s78, s17, s56
	s_mov_b32 s57, s56
	s_addc_u32 s79, s5, s56
	s_delay_alu instid0(SALU_CYCLE_1) | instskip(NEXT) | instid1(SALU_CYCLE_1)
	s_xor_b64 s[78:79], s[78:79], s[56:57]
	s_mul_i32 s66, s78, s4
	s_mul_hi_u32 s70, s78, s18
	s_mul_hi_u32 s57, s78, s4
	;; [unrolled: 1-line block ×3, first 2 shown]
	s_mul_i32 s18, s79, s18
	s_add_u32 s66, s70, s66
	s_addc_u32 s57, 0, s57
	s_mul_hi_u32 s80, s79, s4
	s_add_u32 s18, s66, s18
	s_mul_i32 s4, s79, s4
	s_addc_u32 s18, s57, s81
	s_addc_u32 s57, s80, 0
	s_add_u32 s4, s18, s4
	s_addc_u32 s18, 0, s57
	s_mul_hi_u32 s57, s33, s4
	s_mul_i32 s4, s33, s4
	s_mul_i32 s18, s33, s18
	v_sub_co_u32 v2, s4, s78, s4
	s_add_i32 s57, s57, s18
	s_cmp_lg_u32 s4, 0
	s_delay_alu instid0(VALU_DEP_1) | instskip(SKIP_2) | instid1(VALU_DEP_1)
	v_sub_co_u32 v3, s4, v2, s33
	s_subb_u32 s18, s79, s57
	s_cmp_lg_u32 s4, 0
	v_cmp_le_u32_e32 vcc_lo, s33, v3
	v_sub_co_u32 v4, s4, v3, s33
	s_subb_u32 s57, s18, 0
	s_cmp_lg_u32 s4, 0
	v_cndmask_b32_e64 v5, 0, -1, vcc_lo
	s_subb_u32 s4, s57, 0
	s_cmp_eq_u32 s57, 0
	v_mov_b32_e32 v7, s4
	s_cselect_b32 vcc_lo, -1, 0
	s_cmp_eq_u32 s18, 0
	v_cndmask_b32_e32 v5, -1, v5, vcc_lo
	v_cmp_le_u32_e32 vcc_lo, s33, v2
	s_cselect_b32 s4, -1, 0
	v_cndmask_b32_e64 v6, 0, -1, vcc_lo
	s_delay_alu instid0(VALU_DEP_3) | instskip(NEXT) | instid1(VALU_DEP_2)
	v_cmp_ne_u32_e32 vcc_lo, 0, v5
	v_cndmask_b32_e64 v5, -1, v6, s4
	v_cndmask_b32_e32 v3, v3, v4, vcc_lo
	v_cndmask_b32_e32 v6, s57, v7, vcc_lo
	s_delay_alu instid0(VALU_DEP_3) | instskip(NEXT) | instid1(VALU_DEP_3)
	v_cmp_ne_u32_e32 vcc_lo, 0, v5
	v_cndmask_b32_e32 v2, v2, v3, vcc_lo
	s_delay_alu instid0(VALU_DEP_3) | instskip(NEXT) | instid1(VALU_DEP_2)
	v_cndmask_b32_e32 v4, s18, v6, vcc_lo
	v_xor_b32_e32 v2, s56, v2
	s_delay_alu instid0(VALU_DEP_2) | instskip(NEXT) | instid1(VALU_DEP_2)
	v_xor_b32_e32 v3, s56, v4
	v_sub_co_u32 v2, vcc_lo, v2, s56
	s_delay_alu instid0(VALU_DEP_2)
	v_subrev_co_ci_u32_e32 v3, vcc_lo, s56, v3, vcc_lo
	s_cbranch_execnz .LBB14_267
.LBB14_266:                             ;   in Loop: Header=BB14_33 Depth=1
	v_cvt_f32_u32_e32 v2, s33
	s_sub_i32 s4, 0, s33
	s_delay_alu instid0(VALU_DEP_1) | instskip(SKIP_2) | instid1(VALU_DEP_1)
	v_rcp_iflag_f32_e32 v2, v2
	s_waitcnt_depctr 0xfff
	v_mul_f32_e32 v2, 0x4f7ffffe, v2
	v_cvt_u32_f32_e32 v2, v2
	s_delay_alu instid0(VALU_DEP_1) | instskip(NEXT) | instid1(VALU_DEP_1)
	v_mul_lo_u32 v3, s4, v2
	v_mul_hi_u32 v3, v2, v3
	s_delay_alu instid0(VALU_DEP_1) | instskip(NEXT) | instid1(VALU_DEP_1)
	v_add_nc_u32_e32 v2, v2, v3
	v_mul_hi_u32 v2, s17, v2
	s_delay_alu instid0(VALU_DEP_1) | instskip(NEXT) | instid1(VALU_DEP_1)
	v_mul_lo_u32 v2, v2, s33
	v_sub_nc_u32_e32 v2, s17, v2
	s_delay_alu instid0(VALU_DEP_1) | instskip(SKIP_1) | instid1(VALU_DEP_2)
	v_subrev_nc_u32_e32 v3, s33, v2
	v_cmp_le_u32_e32 vcc_lo, s33, v2
	v_cndmask_b32_e32 v2, v2, v3, vcc_lo
	s_delay_alu instid0(VALU_DEP_1) | instskip(SKIP_1) | instid1(VALU_DEP_2)
	v_subrev_nc_u32_e32 v3, s33, v2
	v_cmp_le_u32_e32 vcc_lo, s33, v2
	v_cndmask_b32_e32 v12, v2, v3, vcc_lo
	s_delay_alu instid0(VALU_DEP_1)
	v_dual_mov_b32 v2, v12 :: v_dual_mov_b32 v3, v13
.LBB14_267:                             ;   in Loop: Header=BB14_33 Depth=1
	s_delay_alu instid0(VALU_DEP_1) | instskip(NEXT) | instid1(VALU_DEP_2)
	v_sub_co_u32 v2, vcc_lo, s17, v2
	v_sub_co_ci_u32_e32 v3, vcc_lo, s5, v3, vcc_lo
	s_mov_b32 s57, 0
	s_mov_b32 s5, exec_lo
                                        ; implicit-def: $vgpr41
	s_delay_alu instid0(VALU_DEP_1)
	v_cmpx_gt_i64_e64 v[2:3], v[0:1]
	s_cbranch_execz .LBB14_276
; %bb.268:                              ;   in Loop: Header=BB14_33 Depth=1
	v_dual_mov_b32 v6, v0 :: v_dual_mov_b32 v5, v1
	v_mov_b32_e32 v4, v0
	s_mov_b32 s17, 0
                                        ; implicit-def: $sgpr18
	s_set_inst_prefetch_distance 0x1
	s_branch .LBB14_270
	.p2align	6
.LBB14_269:                             ;   in Loop: Header=BB14_270 Depth=2
	s_or_b32 exec_lo, exec_lo, s4
	s_waitcnt lgkmcnt(0)
	s_barrier
	buffer_gl0_inv
	ds_load_u16 v7, v13 offset:3072
	v_add_co_u32 v4, vcc_lo, v4, s33
	v_add_co_ci_u32_e32 v5, vcc_lo, 0, v5, vcc_lo
	v_add_nc_u32_e32 v6, s33, v6
	s_waitcnt lgkmcnt(0)
	s_barrier
	s_delay_alu instid0(VALU_DEP_2) | instskip(SKIP_2) | instid1(VALU_DEP_1)
	v_cmp_ge_i64_e32 vcc_lo, v[4:5], v[2:3]
	buffer_gl0_inv
	v_and_b32_e32 v8, 0xff, v7
	v_cmp_ne_u16_e64 s4, 0, v8
	s_delay_alu instid0(VALU_DEP_1) | instskip(NEXT) | instid1(SALU_CYCLE_1)
	s_or_b32 s56, s4, vcc_lo
	s_and_b32 s56, exec_lo, s56
	s_delay_alu instid0(SALU_CYCLE_1) | instskip(SKIP_2) | instid1(SALU_CYCLE_1)
	s_or_b32 s17, s56, s17
	s_and_not1_b32 s18, s18, exec_lo
	s_and_b32 s4, s4, exec_lo
	s_or_b32 s18, s18, s4
	s_and_not1_b32 exec_lo, exec_lo, s17
	s_cbranch_execz .LBB14_275
.LBB14_270:                             ;   Parent Loop BB14_33 Depth=1
                                        ; =>  This Inner Loop Header: Depth=2
	s_delay_alu instid0(VALU_DEP_1)
	v_cmp_gt_i64_e32 vcc_lo, s[8:9], v[4:5]
	v_mov_b32_e32 v7, 0
	s_and_saveexec_b32 s4, vcc_lo
	s_cbranch_execz .LBB14_272
; %bb.271:                              ;   in Loop: Header=BB14_270 Depth=2
	ds_load_u8 v7, v6
.LBB14_272:                             ;   in Loop: Header=BB14_270 Depth=2
	s_or_b32 exec_lo, exec_lo, s4
	s_and_saveexec_b32 s4, vcc_lo
	s_cbranch_execz .LBB14_269
; %bb.273:                              ;   in Loop: Header=BB14_270 Depth=2
	s_waitcnt lgkmcnt(0)
	v_bfe_i32 v8, v7, 0, 8
	s_delay_alu instid0(VALU_DEP_1) | instskip(NEXT) | instid1(VALU_DEP_1)
	v_add_nc_u32_e32 v8, 0x80, v8
	v_and_b32_e32 v8, s62, v8
	s_delay_alu instid0(VALU_DEP_1)
	v_cmp_eq_u32_e32 vcc_lo, s63, v8
	s_and_b32 exec_lo, exec_lo, vcc_lo
	s_cbranch_execz .LBB14_269
; %bb.274:                              ;   in Loop: Header=BB14_270 Depth=2
	v_lshlrev_b16 v7, 8, v7
	s_delay_alu instid0(VALU_DEP_1)
	v_or_b32_e32 v7, 1, v7
	ds_store_b16 v13, v7 offset:3072
	s_branch .LBB14_269
.LBB14_275:                             ;   in Loop: Header=BB14_33 Depth=1
	s_set_inst_prefetch_distance 0x2
	s_or_b32 exec_lo, exec_lo, s17
	v_lshrrev_b16 v41, 8, v7
	s_and_b32 s57, s18, exec_lo
.LBB14_276:                             ;   in Loop: Header=BB14_33 Depth=1
	s_or_b32 exec_lo, exec_lo, s5
	s_mov_b32 s56, -1
	s_mov_b32 s17, 0
	s_mov_b32 s18, 0
.LBB14_277:                             ;   in Loop: Header=BB14_33 Depth=1
	s_mov_b32 s9, 0
                                        ; implicit-def: $sgpr70
                                        ; implicit-def: $sgpr4_sgpr5
	s_and_saveexec_b32 s8, s57
	s_cbranch_execz .LBB14_290
; %bb.278:                              ;   in Loop: Header=BB14_33 Depth=1
	s_xor_b32 s9, s11, -1
	s_mov_b64 s[4:5], 1
	s_and_not1_b32 vcc_lo, exec_lo, s9
	s_mov_b32 s70, 1
	s_cbranch_vccnz .LBB14_289
; %bb.279:                              ;   in Loop: Header=BB14_33 Depth=1
	v_cmp_gt_i64_e64 s4, s[26:27], s[6:7]
	s_delay_alu instid0(VALU_DEP_1)
	s_and_b32 vcc_lo, exec_lo, s4
	s_cbranch_vccnz .LBB14_285
; %bb.280:                              ;   in Loop: Header=BB14_33 Depth=1
	ds_load_b64 v[2:3], v13 offset:5120
	s_waitcnt lgkmcnt(0)
	v_cmp_ne_u64_e32 vcc_lo, 0, v[2:3]
	s_cbranch_vccnz .LBB14_284
; %bb.281:                              ;   in Loop: Header=BB14_33 Depth=1
	s_and_saveexec_b32 s4, s0
	s_cbranch_execz .LBB14_283
; %bb.282:                              ;   in Loop: Header=BB14_33 Depth=1
	v_dual_mov_b32 v2, s6 :: v_dual_mov_b32 v3, s7
	ds_store_b64 v13, v[2:3] offset:5128
.LBB14_283:                             ;   in Loop: Header=BB14_33 Depth=1
	s_or_b32 exec_lo, exec_lo, s4
	s_waitcnt lgkmcnt(0)
	s_barrier
	buffer_gl0_inv
.LBB14_284:                             ;   in Loop: Header=BB14_33 Depth=1
	s_or_b32 s9, s63, s16
	s_or_b32 s11, s62, s16
	s_mov_b32 s4, 0
	s_mov_b32 s70, 8
	s_branch .LBB14_286
.LBB14_285:                             ;   in Loop: Header=BB14_33 Depth=1
	s_mov_b32 s4, -1
                                        ; implicit-def: $sgpr70
                                        ; implicit-def: $sgpr9
                                        ; implicit-def: $sgpr11
.LBB14_286:                             ;   in Loop: Header=BB14_33 Depth=1
	s_delay_alu instid0(SALU_CYCLE_1)
	s_and_not1_b32 vcc_lo, exec_lo, s4
	s_cbranch_vccnz .LBB14_288
; %bb.287:                              ;   in Loop: Header=BB14_33 Depth=1
	s_sub_u32 s26, s26, s6
	s_subb_u32 s27, s27, s7
	s_mov_b32 s70, 8
	s_mov_b32 s9, s63
	;; [unrolled: 1-line block ×3, first 2 shown]
.LBB14_288:                             ;   in Loop: Header=BB14_33 Depth=1
	s_mov_b64 s[4:5], s[26:27]
	s_mov_b32 s63, s9
	s_mov_b32 s62, s11
.LBB14_289:                             ;   in Loop: Header=BB14_33 Depth=1
	s_mov_b32 s9, exec_lo
.LBB14_290:                             ;   in Loop: Header=BB14_33 Depth=1
	s_or_b32 exec_lo, exec_lo, s8
	s_mov_b64 s[26:27], s[4:5]
.LBB14_291:                             ;   in Loop: Header=BB14_33 Depth=1
	s_and_not1_b32 s4, s13, exec_lo
	s_and_b32 s5, s17, exec_lo
	s_and_not1_b32 s6, s22, exec_lo
	s_or_b32 s13, s4, s5
	s_and_not1_b32 s4, s23, exec_lo
	s_and_b32 s5, s56, exec_lo
	s_and_b32 s7, s18, exec_lo
	s_or_b32 s23, s4, s5
	s_or_b32 s22, s6, s7
	s_and_b32 s5, s9, exec_lo
.LBB14_292:                             ;   in Loop: Header=BB14_33 Depth=1
	s_or_b32 exec_lo, exec_lo, s10
.LBB14_293:                             ;   in Loop: Header=BB14_33 Depth=1
	s_delay_alu instid0(SALU_CYCLE_1)
	s_and_not1_b32 s4, s20, exec_lo
	s_and_b32 s6, s13, exec_lo
	s_and_not1_b32 s7, s19, exec_lo
	s_or_b32 s20, s4, s6
	s_and_not1_b32 s4, s21, exec_lo
	s_and_b32 s6, s23, exec_lo
	s_and_b32 s8, s22, exec_lo
	s_or_b32 s21, s4, s6
	s_or_b32 s19, s7, s8
	s_and_b32 s5, s5, exec_lo
.LBB14_294:                             ;   in Loop: Header=BB14_33 Depth=1
	s_or_b32 exec_lo, exec_lo, s12
	s_and_saveexec_b32 s4, s5
	s_delay_alu instid0(SALU_CYCLE_1)
	s_xor_b32 s4, exec_lo, s4
	s_cbranch_execz .LBB14_31
.LBB14_295:                             ;   in Loop: Header=BB14_33 Depth=1
	s_and_b32 s5, s70, -9
	s_delay_alu instid0(SALU_CYCLE_1)
	s_cmp_eq_u32 s5, 0
	s_cbranch_scc1 .LBB14_29
; %bb.296:                              ;   in Loop: Header=BB14_33 Depth=1
	s_mov_b32 s5, -1
	s_mov_b32 s6, -1
                                        ; implicit-def: $sgpr62
                                        ; implicit-def: $sgpr99
                                        ; implicit-def: $sgpr104
	s_branch .LBB14_30
.LBB14_297:                             ;   in Loop: Header=BB14_33 Depth=1
                                        ; implicit-def: $vgpr2_vgpr3
	s_branch .LBB14_249
.LBB14_298:                             ;   in Loop: Header=BB14_33 Depth=1
                                        ; implicit-def: $vgpr2_vgpr3
	s_branch .LBB14_266
.LBB14_299:
	s_or_b32 exec_lo, exec_lo, s100
	s_xor_b32 s5, s103, -1
	s_xor_b32 s2, s101, -1
	;; [unrolled: 1-line block ×3, first 2 shown]
	s_mov_b32 s3, 0
	s_and_saveexec_b32 s6, s2
	s_delay_alu instid0(SALU_CYCLE_1)
	s_xor_b32 s2, exec_lo, s6
	s_cbranch_execz .LBB14_322
; %bb.300:
	s_and_saveexec_b32 s3, s5
	s_delay_alu instid0(SALU_CYCLE_1)
	s_xor_b32 s3, exec_lo, s3
	s_cbranch_execz .LBB14_320
; %bb.301:
	s_and_saveexec_b32 s5, s4
	s_delay_alu instid0(SALU_CYCLE_1)
	s_xor_b32 s4, exec_lo, s5
; %bb.302:
	v_xor_b32_e32 v41, 0xffffff80, v2
; %bb.303:
	s_or_b32 exec_lo, exec_lo, s4
	s_and_saveexec_b32 s4, s0
	s_cbranch_execz .LBB14_305
; %bb.304:
	v_dual_mov_b32 v2, 0 :: v_dual_mov_b32 v3, s24
	ds_store_b32 v2, v3 offset:5140
.LBB14_305:
	s_or_b32 exec_lo, exec_lo, s4
	s_waitcnt lgkmcnt(0)
	s_barrier
	buffer_gl0_inv
	s_and_saveexec_b32 s4, s1
	s_cbranch_execz .LBB14_317
; %bb.306:
	v_mov_b32_e32 v2, 0
	v_and_b32_e32 v6, 0xff, v41
	s_mov_b32 s5, 0
                                        ; implicit-def: $sgpr6
                                        ; implicit-def: $sgpr7
                                        ; implicit-def: $sgpr8
	ds_load_b32 v4, v2 offset:5140
	s_waitcnt lgkmcnt(0)
	v_ashrrev_i32_e32 v5, 31, v4
	s_set_inst_prefetch_distance 0x1
	s_branch .LBB14_309
	.p2align	6
.LBB14_307:                             ;   in Loop: Header=BB14_309 Depth=1
	s_or_b32 exec_lo, exec_lo, s11
	s_delay_alu instid0(SALU_CYCLE_1)
	s_and_not1_b32 s8, s8, exec_lo
	s_and_b32 s10, s10, exec_lo
	s_and_not1_b32 s7, s7, exec_lo
	s_and_b32 s1, s1, exec_lo
	s_or_b32 s8, s8, s10
	s_or_b32 s7, s7, s1
.LBB14_308:                             ;   in Loop: Header=BB14_309 Depth=1
	s_or_b32 exec_lo, exec_lo, s9
	s_delay_alu instid0(SALU_CYCLE_1) | instskip(NEXT) | instid1(SALU_CYCLE_1)
	s_and_b32 s1, exec_lo, s7
	s_or_b32 s5, s1, s5
	s_and_not1_b32 s1, s6, exec_lo
	s_and_b32 s6, s8, exec_lo
	s_delay_alu instid0(SALU_CYCLE_1)
	s_or_b32 s6, s1, s6
	s_and_not1_b32 exec_lo, exec_lo, s5
	s_cbranch_execz .LBB14_312
.LBB14_309:                             ; =>This Inner Loop Header: Depth=1
	v_dual_mov_b32 v3, v1 :: v_dual_mov_b32 v2, v0
	s_or_b32 s8, s8, exec_lo
	s_or_b32 s7, s7, exec_lo
	s_mov_b32 s9, exec_lo
                                        ; implicit-def: $vgpr0_vgpr1
	s_delay_alu instid0(VALU_DEP_1)
	v_cmpx_lt_i64_e64 v[2:3], v[4:5]
	s_cbranch_execz .LBB14_308
; %bb.310:                              ;   in Loop: Header=BB14_309 Depth=1
	global_load_u8 v0, v[10:11], off
	s_mov_b32 s1, -1
	s_mov_b32 s10, 0
	s_waitcnt vmcnt(0)
	v_cmp_ne_u16_e32 vcc_lo, v0, v6
                                        ; implicit-def: $vgpr0_vgpr1
	s_and_saveexec_b32 s11, vcc_lo
	s_cbranch_execz .LBB14_307
; %bb.311:                              ;   in Loop: Header=BB14_309 Depth=1
	v_add_co_u32 v0, vcc_lo, v2, s33
	v_add_co_ci_u32_e32 v1, vcc_lo, 0, v3, vcc_lo
	v_add_co_u32 v10, s1, v10, s88
	s_delay_alu instid0(VALU_DEP_1) | instskip(NEXT) | instid1(VALU_DEP_3)
	v_add_co_ci_u32_e64 v11, s1, s35, v11, s1
	v_cmp_le_i64_e32 vcc_lo, s[24:25], v[0:1]
	s_mov_b32 s10, exec_lo
	s_or_not1_b32 s1, vcc_lo, exec_lo
	s_branch .LBB14_307
.LBB14_312:
	s_set_inst_prefetch_distance 0x2
	s_or_b32 exec_lo, exec_lo, s5
	s_xor_b32 s1, s6, -1
	s_delay_alu instid0(SALU_CYCLE_1) | instskip(NEXT) | instid1(SALU_CYCLE_1)
	s_and_saveexec_b32 s5, s1
	s_xor_b32 s5, exec_lo, s5
	s_cbranch_execz .LBB14_317
; %bb.313:
	s_mov_b32 s5, exec_lo
	s_brev_b32 s1, -2
.LBB14_314:                             ; =>This Inner Loop Header: Depth=1
	s_ctz_i32_b32 s6, s5
	s_delay_alu instid0(SALU_CYCLE_1) | instskip(SKIP_1) | instid1(SALU_CYCLE_1)
	v_readlane_b32 s7, v2, s6
	s_lshl_b32 s6, 1, s6
	s_and_not1_b32 s5, s5, s6
	s_delay_alu instid0(VALU_DEP_1)
	s_min_i32 s1, s1, s7
	s_cmp_lg_u32 s5, 0
	s_cbranch_scc1 .LBB14_314
; %bb.315:
	v_mbcnt_lo_u32_b32 v0, exec_lo, 0
	s_mov_b32 s5, exec_lo
	s_delay_alu instid0(VALU_DEP_1)
	v_cmpx_eq_u32_e32 0, v0
	s_xor_b32 s5, exec_lo, s5
	s_cbranch_execz .LBB14_317
; %bb.316:
	v_dual_mov_b32 v0, 0 :: v_dual_mov_b32 v1, s1
	ds_min_i32 v0, v1 offset:5140
.LBB14_317:
	s_or_b32 exec_lo, exec_lo, s4
	s_waitcnt lgkmcnt(0)
	s_barrier
	buffer_gl0_inv
	s_and_saveexec_b32 s4, s0
	s_cbranch_execz .LBB14_319
; %bb.318:
	s_mul_i32 s0, s54, s43
	s_mul_hi_u32 s1, s54, s42
	v_readlane_b32 s16, v45, 0
	s_add_i32 s0, s1, s0
	s_mul_i32 s1, s55, s42
	v_readlane_b32 s17, v45, 1
	s_mul_i32 s5, s54, s42
	s_add_i32 s0, s0, s1
	s_sub_u32 s5, s34, s5
	s_subb_u32 s0, 0, s0
	s_mul_i32 s1, s5, s17
	s_mul_hi_u32 s6, s5, s16
	s_mul_i32 s0, s0, s16
	s_add_i32 s1, s6, s1
	s_mul_i32 s6, s52, s37
	s_mul_hi_u32 s7, s52, s36
	s_add_i32 s1, s1, s0
	s_add_i32 s0, s7, s6
	s_mul_i32 s6, s53, s36
	s_mul_i32 s7, s52, s36
	s_add_i32 s0, s0, s6
	s_sub_u32 s6, s28, s7
	s_subb_u32 s0, s29, s0
	s_mul_i32 s7, s6, s51
	s_mul_hi_u32 s8, s6, s50
	s_mul_i32 s0, s0, s50
	s_add_i32 s7, s8, s7
	s_mul_hi_u32 s8, s52, s48
	s_add_i32 s0, s7, s0
	s_mul_i32 s7, s52, s49
	s_mul_i32 s9, s28, s39
	s_add_i32 s7, s8, s7
	s_mul_i32 s8, s53, s48
	s_mul_hi_u32 s10, s28, s38
	s_add_i32 s11, s7, s8
	s_add_i32 s7, s10, s9
	s_mul_i32 s8, s29, s38
	s_mul_i32 s9, s28, s38
	s_add_i32 s7, s7, s8
	s_sub_u32 s8, s34, s9
	s_subb_u32 s7, 0, s7
	s_mul_i32 s9, s8, s65
	s_mul_hi_u32 s12, s8, s64
	s_mul_i32 s7, s7, s64
	s_add_i32 s9, s12, s9
	s_mul_i32 s12, s58, s41
	s_mul_hi_u32 s13, s58, s40
	s_add_i32 s14, s9, s7
	s_add_i32 s7, s13, s12
	s_mul_i32 s9, s59, s40
	v_mov_b32_e32 v2, 0
	s_mul_i32 s12, s58, s40
	s_add_i32 s7, s7, s9
	s_sub_u32 s12, s54, s12
	s_mul_i32 s13, s8, s64
	s_mul_i32 s8, s12, s47
	s_mul_hi_u32 s9, s12, s46
	ds_load_b32 v0, v2 offset:5140
	s_subb_u32 s7, s55, s7
	s_add_i32 s8, s9, s8
	s_mul_i32 s9, s58, s45
	s_mul_hi_u32 s15, s58, s44
	v_readlane_b32 s18, v45, 4
	v_readlane_b32 s19, v45, 5
	s_mul_i32 s7, s7, s46
	s_add_i32 s9, s15, s9
	s_mul_i32 s15, s59, s44
	s_mul_i32 s10, s52, s48
	s_add_i32 s7, s8, s7
	s_add_i32 s9, s9, s15
	s_mul_i32 s6, s6, s50
	s_add_u32 s10, s18, s10
	s_addc_u32 s11, s19, s11
	s_add_u32 s6, s10, s6
	s_addc_u32 s0, s11, s0
	s_add_u32 s10, s6, s13
	s_mul_i32 s6, s12, s46
	v_readlane_b32 s12, v45, 2
	s_mul_i32 s8, s58, s44
	v_readlane_b32 s13, v45, 3
	s_addc_u32 s11, s0, s14
	s_lshl_b64 s[8:9], s[8:9], 3
	s_mul_i32 s0, s5, s16
	s_add_u32 s8, s12, s8
	s_addc_u32 s9, s13, s9
	s_lshl_b64 s[6:7], s[6:7], 3
	s_waitcnt lgkmcnt(0)
	v_ashrrev_i32_e32 v1, 31, v0
	s_add_u32 s5, s8, s6
	s_addc_u32 s6, s9, s7
	s_lshl_b64 s[0:1], s[0:1], 3
	s_delay_alu instid0(SALU_CYCLE_1)
	s_add_u32 s0, s5, s0
	s_addc_u32 s1, s6, s1
	s_clause 0x1
	global_store_b64 v2, v[0:1], s[0:1]
	global_store_b8 v2, v41, s[10:11]
.LBB14_319:
	s_or_b32 exec_lo, exec_lo, s4
.LBB14_320:
	s_or_saveexec_b32 s0, s3
	s_mov_b32 s1, 0
	s_xor_b32 exec_lo, exec_lo, s0
	s_cbranch_execnz .LBB14_328
.LBB14_321:
	s_or_b32 exec_lo, exec_lo, s0
	s_delay_alu instid0(SALU_CYCLE_1)
	s_and_b32 s3, s1, exec_lo
.LBB14_322:
	s_and_not1_saveexec_b32 s0, s2
	s_cbranch_execnz .LBB14_326
; %bb.323:
	s_or_b32 exec_lo, exec_lo, s0
	s_and_saveexec_b32 s0, s3
.LBB14_324:
	; divergent unreachable
.LBB14_325:
	s_nop 0
	s_sendmsg sendmsg(MSG_DEALLOC_VGPRS)
	s_endpgm
.LBB14_326:
	s_cbranch_execnz .LBB14_330
; %bb.327:
	s_or_b32 s3, s3, exec_lo
	s_or_b32 exec_lo, exec_lo, s0
	s_and_saveexec_b32 s0, s3
	s_cbranch_execnz .LBB14_324
	s_branch .LBB14_325
.LBB14_328:
	s_cbranch_execnz .LBB14_332
; %bb.329:
	s_mov_b32 s1, exec_lo
	s_branch .LBB14_321
.LBB14_330:
	s_trap 2
	s_sendmsg_rtn_b32 s0, sendmsg(MSG_RTN_GET_DOORBELL)
	s_mov_b32 ttmp2, m0
	s_waitcnt lgkmcnt(0)
	s_and_b32 s0, s0, 0x3ff
	s_delay_alu instid0(SALU_CYCLE_1) | instskip(NEXT) | instid1(SALU_CYCLE_1)
	s_bitset1_b32 s0, 10
	s_mov_b32 m0, s0
	s_sendmsg sendmsg(MSG_INTERRUPT)
	s_mov_b32 m0, ttmp2
.LBB14_331:                             ; =>This Inner Loop Header: Depth=1
	s_sethalt 5
	s_branch .LBB14_331
.LBB14_332:
	s_trap 2
	s_sendmsg_rtn_b32 s0, sendmsg(MSG_RTN_GET_DOORBELL)
	s_mov_b32 ttmp2, m0
	s_waitcnt lgkmcnt(0)
	s_and_b32 s0, s0, 0x3ff
	s_delay_alu instid0(SALU_CYCLE_1) | instskip(NEXT) | instid1(SALU_CYCLE_1)
	s_bitset1_b32 s0, 10
	s_mov_b32 m0, s0
	s_sendmsg sendmsg(MSG_INTERRUPT)
	s_mov_b32 m0, ttmp2
.LBB14_333:                             ; =>This Inner Loop Header: Depth=1
	s_sethalt 5
	s_branch .LBB14_333
	.section	.rodata,"a",@progbits
	.p2align	6, 0x0
	.amdhsa_kernel _ZN2at6native12_GLOBAL__N_114gatherKthValueIalLi3EEEvNS_4cuda6detail10TensorInfoIKT_T0_EES8_S8_S8_S8_NS5_IS6_S8_EENS5_IlS8_EE
		.amdhsa_group_segment_fixed_size 5144
		.amdhsa_private_segment_fixed_size 0
		.amdhsa_kernarg_size 1536
		.amdhsa_user_sgpr_count 13
		.amdhsa_user_sgpr_dispatch_ptr 0
		.amdhsa_user_sgpr_queue_ptr 0
		.amdhsa_user_sgpr_kernarg_segment_ptr 1
		.amdhsa_user_sgpr_dispatch_id 0
		.amdhsa_user_sgpr_private_segment_size 0
		.amdhsa_wavefront_size32 1
		.amdhsa_uses_dynamic_stack 0
		.amdhsa_enable_private_segment 0
		.amdhsa_system_sgpr_workgroup_id_x 1
		.amdhsa_system_sgpr_workgroup_id_y 1
		.amdhsa_system_sgpr_workgroup_id_z 1
		.amdhsa_system_sgpr_workgroup_info 0
		.amdhsa_system_vgpr_workitem_id 0
		.amdhsa_next_free_vgpr 46
		.amdhsa_next_free_sgpr 105
		.amdhsa_reserve_vcc 1
		.amdhsa_float_round_mode_32 0
		.amdhsa_float_round_mode_16_64 0
		.amdhsa_float_denorm_mode_32 3
		.amdhsa_float_denorm_mode_16_64 3
		.amdhsa_dx10_clamp 1
		.amdhsa_ieee_mode 1
		.amdhsa_fp16_overflow 0
		.amdhsa_workgroup_processor_mode 1
		.amdhsa_memory_ordered 1
		.amdhsa_forward_progress 0
		.amdhsa_shared_vgpr_count 0
		.amdhsa_exception_fp_ieee_invalid_op 0
		.amdhsa_exception_fp_denorm_src 0
		.amdhsa_exception_fp_ieee_div_zero 0
		.amdhsa_exception_fp_ieee_overflow 0
		.amdhsa_exception_fp_ieee_underflow 0
		.amdhsa_exception_fp_ieee_inexact 0
		.amdhsa_exception_int_div_zero 0
	.end_amdhsa_kernel
	.section	.text._ZN2at6native12_GLOBAL__N_114gatherKthValueIalLi3EEEvNS_4cuda6detail10TensorInfoIKT_T0_EES8_S8_S8_S8_NS5_IS6_S8_EENS5_IlS8_EE,"axG",@progbits,_ZN2at6native12_GLOBAL__N_114gatherKthValueIalLi3EEEvNS_4cuda6detail10TensorInfoIKT_T0_EES8_S8_S8_S8_NS5_IS6_S8_EENS5_IlS8_EE,comdat
.Lfunc_end14:
	.size	_ZN2at6native12_GLOBAL__N_114gatherKthValueIalLi3EEEvNS_4cuda6detail10TensorInfoIKT_T0_EES8_S8_S8_S8_NS5_IS6_S8_EENS5_IlS8_EE, .Lfunc_end14-_ZN2at6native12_GLOBAL__N_114gatherKthValueIalLi3EEEvNS_4cuda6detail10TensorInfoIKT_T0_EES8_S8_S8_S8_NS5_IS6_S8_EENS5_IlS8_EE
                                        ; -- End function
	.section	.AMDGPU.csdata,"",@progbits
; Kernel info:
; codeLenInByte = 22392
; NumSgprs: 107
; NumVgprs: 46
; ScratchSize: 0
; MemoryBound: 0
; FloatMode: 240
; IeeeMode: 1
; LDSByteSize: 5144 bytes/workgroup (compile time only)
; SGPRBlocks: 13
; VGPRBlocks: 5
; NumSGPRsForWavesPerEU: 107
; NumVGPRsForWavesPerEU: 46
; Occupancy: 16
; WaveLimiterHint : 1
; COMPUTE_PGM_RSRC2:SCRATCH_EN: 0
; COMPUTE_PGM_RSRC2:USER_SGPR: 13
; COMPUTE_PGM_RSRC2:TRAP_HANDLER: 0
; COMPUTE_PGM_RSRC2:TGID_X_EN: 1
; COMPUTE_PGM_RSRC2:TGID_Y_EN: 1
; COMPUTE_PGM_RSRC2:TGID_Z_EN: 1
; COMPUTE_PGM_RSRC2:TIDIG_COMP_CNT: 0
	.section	.text._ZN2at6native12_GLOBAL__N_114gatherKthValueIalLin1EEEvNS_4cuda6detail10TensorInfoIKT_T0_EES8_S8_S8_S8_NS5_IS6_S8_EENS5_IlS8_EE,"axG",@progbits,_ZN2at6native12_GLOBAL__N_114gatherKthValueIalLin1EEEvNS_4cuda6detail10TensorInfoIKT_T0_EES8_S8_S8_S8_NS5_IS6_S8_EENS5_IlS8_EE,comdat
	.globl	_ZN2at6native12_GLOBAL__N_114gatherKthValueIalLin1EEEvNS_4cuda6detail10TensorInfoIKT_T0_EES8_S8_S8_S8_NS5_IS6_S8_EENS5_IlS8_EE ; -- Begin function _ZN2at6native12_GLOBAL__N_114gatherKthValueIalLin1EEEvNS_4cuda6detail10TensorInfoIKT_T0_EES8_S8_S8_S8_NS5_IS6_S8_EENS5_IlS8_EE
	.p2align	8
	.type	_ZN2at6native12_GLOBAL__N_114gatherKthValueIalLin1EEEvNS_4cuda6detail10TensorInfoIKT_T0_EES8_S8_S8_S8_NS5_IS6_S8_EENS5_IlS8_EE,@function
_ZN2at6native12_GLOBAL__N_114gatherKthValueIalLin1EEEvNS_4cuda6detail10TensorInfoIKT_T0_EES8_S8_S8_S8_NS5_IS6_S8_EENS5_IlS8_EE: ; @_ZN2at6native12_GLOBAL__N_114gatherKthValueIalLin1EEEvNS_4cuda6detail10TensorInfoIKT_T0_EES8_S8_S8_S8_NS5_IS6_S8_EENS5_IlS8_EE
; %bb.0:
	s_clause 0x1
	s_load_b64 s[8:9], s[0:1], 0x500
	s_load_b256 s[24:31], s[0:1], 0x1a0
	s_add_u32 s6, s0, 0x500
	s_addc_u32 s7, s1, 0
	s_mov_b32 s3, 0
	s_waitcnt lgkmcnt(0)
	s_mul_i32 s2, s9, s15
	s_delay_alu instid0(SALU_CYCLE_1) | instskip(NEXT) | instid1(SALU_CYCLE_1)
	s_add_i32 s2, s2, s14
	s_mul_i32 s2, s2, s8
	s_delay_alu instid0(SALU_CYCLE_1) | instskip(NEXT) | instid1(SALU_CYCLE_1)
	s_add_i32 s2, s2, s13
	v_cmp_ge_i64_e64 s4, s[2:3], s[28:29]
	s_delay_alu instid0(VALU_DEP_1)
	s_and_b32 vcc_lo, exec_lo, s4
	s_cbranch_vccnz .LBB15_325
; %bb.1:
	s_load_b32 s9, s[0:1], 0x198
	s_mov_b64 s[4:5], 0
	s_mov_b64 s[10:11], s[2:3]
	s_waitcnt lgkmcnt(0)
	s_cmp_lt_i32 s9, 2
	s_cbranch_scc1 .LBB15_9
; %bb.2:
	s_mov_b32 s14, 0
	s_add_i32 s4, s9, -1
	s_mov_b32 s5, s14
	s_add_i32 s9, s9, 1
	s_lshl_b64 s[10:11], s[4:5], 3
	s_mov_b64 s[4:5], 0
	s_add_u32 s10, s10, s0
	s_addc_u32 s11, s11, s1
	s_add_u32 s16, s10, 8
	s_addc_u32 s17, s11, 0
	s_mov_b64 s[18:19], s[2:3]
.LBB15_3:                               ; =>This Inner Loop Header: Depth=1
	s_load_b64 s[20:21], s[16:17], 0x0
	s_mov_b32 s12, -1
	s_waitcnt lgkmcnt(0)
	s_or_b64 s[10:11], s[18:19], s[20:21]
	s_delay_alu instid0(SALU_CYCLE_1) | instskip(NEXT) | instid1(SALU_CYCLE_1)
	s_mov_b32 s15, s11
                                        ; implicit-def: $sgpr10_sgpr11
	s_cmp_lg_u64 s[14:15], 0
	s_cbranch_scc0 .LBB15_5
; %bb.4:                                ;   in Loop: Header=BB15_3 Depth=1
	s_ashr_i32 s10, s21, 31
	s_delay_alu instid0(SALU_CYCLE_1) | instskip(SKIP_2) | instid1(SALU_CYCLE_1)
	s_add_u32 s22, s20, s10
	s_mov_b32 s11, s10
	s_addc_u32 s23, s21, s10
	s_xor_b64 s[22:23], s[22:23], s[10:11]
	s_delay_alu instid0(SALU_CYCLE_1)
	v_cvt_f32_u32_e32 v1, s22
	v_cvt_f32_u32_e32 v2, s23
	s_sub_u32 s28, 0, s22
	s_subb_u32 s29, 0, s23
	s_waitcnt_depctr 0xfff
	v_fmac_f32_e32 v1, 0x4f800000, v2
	s_delay_alu instid0(VALU_DEP_1) | instskip(SKIP_2) | instid1(VALU_DEP_1)
	v_rcp_f32_e32 v1, v1
	s_waitcnt_depctr 0xfff
	v_mul_f32_e32 v1, 0x5f7ffffc, v1
	v_mul_f32_e32 v2, 0x2f800000, v1
	s_delay_alu instid0(VALU_DEP_1) | instskip(NEXT) | instid1(VALU_DEP_1)
	v_trunc_f32_e32 v2, v2
	v_fmac_f32_e32 v1, 0xcf800000, v2
	v_cvt_u32_f32_e32 v2, v2
	s_delay_alu instid0(VALU_DEP_2) | instskip(NEXT) | instid1(VALU_DEP_2)
	v_cvt_u32_f32_e32 v1, v1
	v_readfirstlane_b32 s12, v2
	s_delay_alu instid0(VALU_DEP_2) | instskip(NEXT) | instid1(VALU_DEP_2)
	v_readfirstlane_b32 s15, v1
	s_mul_i32 s33, s28, s12
	s_delay_alu instid0(VALU_DEP_1)
	s_mul_hi_u32 s35, s28, s15
	s_mul_i32 s34, s29, s15
	s_add_i32 s33, s35, s33
	s_mul_i32 s36, s28, s15
	s_add_i32 s33, s33, s34
	s_mul_hi_u32 s35, s15, s36
	s_mul_hi_u32 s37, s12, s36
	s_mul_i32 s34, s12, s36
	s_mul_hi_u32 s36, s15, s33
	s_mul_i32 s15, s15, s33
	s_mul_hi_u32 s38, s12, s33
	s_add_u32 s15, s35, s15
	s_addc_u32 s35, 0, s36
	s_add_u32 s15, s15, s34
	s_mul_i32 s33, s12, s33
	s_addc_u32 s15, s35, s37
	s_addc_u32 s34, s38, 0
	s_add_u32 s15, s15, s33
	s_addc_u32 s33, 0, s34
	v_add_co_u32 v1, s15, v1, s15
	s_delay_alu instid0(VALU_DEP_1) | instskip(SKIP_1) | instid1(VALU_DEP_1)
	s_cmp_lg_u32 s15, 0
	s_addc_u32 s12, s12, s33
	v_readfirstlane_b32 s15, v1
	s_mul_i32 s33, s28, s12
	s_delay_alu instid0(VALU_DEP_1)
	s_mul_hi_u32 s34, s28, s15
	s_mul_i32 s29, s29, s15
	s_add_i32 s33, s34, s33
	s_mul_i32 s28, s28, s15
	s_add_i32 s33, s33, s29
	s_mul_hi_u32 s34, s12, s28
	s_mul_i32 s35, s12, s28
	s_mul_hi_u32 s28, s15, s28
	s_mul_hi_u32 s36, s15, s33
	s_mul_i32 s15, s15, s33
	s_mul_hi_u32 s29, s12, s33
	s_add_u32 s15, s28, s15
	s_addc_u32 s28, 0, s36
	s_add_u32 s15, s15, s35
	s_mul_i32 s33, s12, s33
	s_addc_u32 s15, s28, s34
	s_addc_u32 s28, s29, 0
	s_add_u32 s15, s15, s33
	s_addc_u32 s28, 0, s28
	v_add_co_u32 v1, s15, v1, s15
	s_delay_alu instid0(VALU_DEP_1) | instskip(SKIP_2) | instid1(VALU_DEP_1)
	s_cmp_lg_u32 s15, 0
	s_addc_u32 s12, s12, s28
	s_ashr_i32 s28, s19, 31
	v_readfirstlane_b32 s15, v1
	s_add_u32 s34, s18, s28
	s_mov_b32 s29, s28
	s_addc_u32 s35, s19, s28
	s_delay_alu instid0(SALU_CYCLE_1) | instskip(NEXT) | instid1(SALU_CYCLE_1)
	s_xor_b64 s[34:35], s[34:35], s[28:29]
	s_mul_i32 s36, s34, s12
	s_mul_hi_u32 s37, s34, s15
	s_mul_hi_u32 s33, s34, s12
	;; [unrolled: 1-line block ×3, first 2 shown]
	s_mul_i32 s15, s35, s15
	s_add_u32 s36, s37, s36
	s_addc_u32 s33, 0, s33
	s_mul_hi_u32 s38, s35, s12
	s_add_u32 s15, s36, s15
	s_mul_i32 s12, s35, s12
	s_addc_u32 s15, s33, s39
	s_addc_u32 s33, s38, 0
	s_add_u32 s12, s15, s12
	s_addc_u32 s15, 0, s33
	s_mul_i32 s38, s22, s12
	s_mul_hi_u32 s33, s22, s12
	s_mul_i32 s37, s22, s15
	v_sub_co_u32 v1, s34, s34, s38
	s_mul_i32 s36, s23, s12
	s_add_i32 s33, s33, s37
	s_delay_alu instid0(SALU_CYCLE_1) | instskip(NEXT) | instid1(VALU_DEP_1)
	s_add_i32 s33, s33, s36
	v_sub_co_u32 v2, s37, v1, s22
	s_sub_i32 s36, s35, s33
	s_cmp_lg_u32 s34, 0
	s_subb_u32 s36, s36, s23
	s_cmp_lg_u32 s37, 0
	v_readfirstlane_b32 s37, v2
	s_subb_u32 s36, s36, 0
	s_delay_alu instid0(SALU_CYCLE_1) | instskip(SKIP_1) | instid1(VALU_DEP_1)
	s_cmp_ge_u32 s36, s23
	s_cselect_b32 s38, -1, 0
	s_cmp_ge_u32 s37, s22
	s_cselect_b32 s37, -1, 0
	s_cmp_eq_u32 s36, s23
	s_cselect_b32 s36, s37, s38
	s_add_u32 s37, s12, 1
	s_addc_u32 s38, s15, 0
	s_add_u32 s39, s12, 2
	s_addc_u32 s40, s15, 0
	s_cmp_lg_u32 s36, 0
	s_cselect_b32 s36, s39, s37
	s_cselect_b32 s37, s40, s38
	s_cmp_lg_u32 s34, 0
	v_readfirstlane_b32 s34, v1
	s_subb_u32 s33, s35, s33
	s_delay_alu instid0(SALU_CYCLE_1) | instskip(SKIP_1) | instid1(VALU_DEP_1)
	s_cmp_ge_u32 s33, s23
	s_cselect_b32 s35, -1, 0
	s_cmp_ge_u32 s34, s22
	s_cselect_b32 s22, -1, 0
	s_cmp_eq_u32 s33, s23
	s_cselect_b32 s22, s22, s35
	s_delay_alu instid0(SALU_CYCLE_1)
	s_cmp_lg_u32 s22, 0
	s_cselect_b32 s23, s37, s15
	s_cselect_b32 s22, s36, s12
	s_xor_b64 s[10:11], s[28:29], s[10:11]
	s_mov_b32 s12, 0
	s_xor_b64 s[22:23], s[22:23], s[10:11]
	s_delay_alu instid0(SALU_CYCLE_1)
	s_sub_u32 s10, s22, s10
	s_subb_u32 s11, s23, s11
.LBB15_5:                               ;   in Loop: Header=BB15_3 Depth=1
	s_and_not1_b32 vcc_lo, exec_lo, s12
	s_cbranch_vccnz .LBB15_7
; %bb.6:                                ;   in Loop: Header=BB15_3 Depth=1
	v_cvt_f32_u32_e32 v1, s20
	s_sub_i32 s11, 0, s20
	s_waitcnt_depctr 0xfff
	v_rcp_iflag_f32_e32 v1, v1
	s_waitcnt_depctr 0xfff
	v_mul_f32_e32 v1, 0x4f7ffffe, v1
	s_delay_alu instid0(VALU_DEP_1) | instskip(NEXT) | instid1(VALU_DEP_1)
	v_cvt_u32_f32_e32 v1, v1
	v_readfirstlane_b32 s10, v1
	s_delay_alu instid0(VALU_DEP_1) | instskip(NEXT) | instid1(SALU_CYCLE_1)
	s_mul_i32 s11, s11, s10
	s_mul_hi_u32 s11, s10, s11
	s_delay_alu instid0(SALU_CYCLE_1) | instskip(NEXT) | instid1(SALU_CYCLE_1)
	s_add_i32 s10, s10, s11
	s_mul_hi_u32 s10, s18, s10
	s_delay_alu instid0(SALU_CYCLE_1) | instskip(SKIP_2) | instid1(SALU_CYCLE_1)
	s_mul_i32 s11, s10, s20
	s_add_i32 s12, s10, 1
	s_sub_i32 s11, s18, s11
	s_sub_i32 s15, s11, s20
	s_cmp_ge_u32 s11, s20
	s_cselect_b32 s10, s12, s10
	s_cselect_b32 s11, s15, s11
	s_add_i32 s12, s10, 1
	s_cmp_ge_u32 s11, s20
	s_mov_b32 s11, s14
	s_cselect_b32 s10, s12, s10
.LBB15_7:                               ;   in Loop: Header=BB15_3 Depth=1
	s_load_b64 s[22:23], s[16:17], 0xc8
	s_mul_i32 s12, s10, s21
	s_mul_hi_u32 s15, s10, s20
	s_mul_i32 s21, s11, s20
	s_add_i32 s12, s15, s12
	s_mul_i32 s15, s10, s20
	s_add_i32 s12, s12, s21
	s_sub_u32 s15, s18, s15
	s_subb_u32 s12, s19, s12
	s_waitcnt lgkmcnt(0)
	s_mul_i32 s12, s22, s12
	s_mul_hi_u32 s18, s22, s15
	s_mul_i32 s19, s23, s15
	s_add_i32 s12, s18, s12
	s_mul_i32 s15, s22, s15
	s_add_i32 s12, s12, s19
	s_add_u32 s4, s15, s4
	s_addc_u32 s5, s12, s5
	s_add_i32 s9, s9, -1
	s_add_u32 s16, s16, -8
	s_addc_u32 s17, s17, -1
	s_cmp_gt_u32 s9, 2
	s_cbranch_scc0 .LBB15_9
; %bb.8:                                ;   in Loop: Header=BB15_3 Depth=1
	s_mov_b64 s[18:19], s[10:11]
	s_branch .LBB15_3
.LBB15_9:
	s_clause 0x1
	s_load_b32 s9, s[0:1], 0x358
	s_load_b64 s[14:15], s[0:1], 0xd0
	s_add_u32 s16, s0, 0x1c0
	s_addc_u32 s17, s1, 0
	s_mov_b64 s[28:29], 0
	s_mov_b64 s[34:35], s[2:3]
	s_waitcnt lgkmcnt(0)
	s_cmp_lt_i32 s9, 2
	s_cbranch_scc1 .LBB15_17
; %bb.10:
	s_mov_b32 s18, 0
	s_add_i32 s20, s9, -1
	s_mov_b32 s21, s18
	s_add_i32 s9, s9, 1
	s_lshl_b64 s[20:21], s[20:21], 3
	s_mov_b64 s[22:23], s[2:3]
	s_add_u32 s12, s20, s16
	s_addc_u32 s19, s21, s17
	s_add_u32 s20, s12, 8
	s_addc_u32 s21, s19, 0
.LBB15_11:                              ; =>This Inner Loop Header: Depth=1
	s_load_b64 s[36:37], s[20:21], 0x0
	s_mov_b32 s12, -1
	s_waitcnt lgkmcnt(0)
	s_or_b64 s[34:35], s[22:23], s[36:37]
	s_delay_alu instid0(SALU_CYCLE_1) | instskip(NEXT) | instid1(SALU_CYCLE_1)
	s_mov_b32 s19, s35
                                        ; implicit-def: $sgpr34_sgpr35
	s_cmp_lg_u64 s[18:19], 0
	s_cbranch_scc0 .LBB15_13
; %bb.12:                               ;   in Loop: Header=BB15_11 Depth=1
	s_ashr_i32 s34, s37, 31
	s_delay_alu instid0(SALU_CYCLE_1) | instskip(SKIP_2) | instid1(SALU_CYCLE_1)
	s_add_u32 s38, s36, s34
	s_mov_b32 s35, s34
	s_addc_u32 s39, s37, s34
	s_xor_b64 s[38:39], s[38:39], s[34:35]
	s_delay_alu instid0(SALU_CYCLE_1)
	v_cvt_f32_u32_e32 v1, s38
	v_cvt_f32_u32_e32 v2, s39
	s_sub_u32 s33, 0, s38
	s_subb_u32 s40, 0, s39
	s_waitcnt_depctr 0xfff
	v_fmac_f32_e32 v1, 0x4f800000, v2
	s_delay_alu instid0(VALU_DEP_1) | instskip(SKIP_2) | instid1(VALU_DEP_1)
	v_rcp_f32_e32 v1, v1
	s_waitcnt_depctr 0xfff
	v_mul_f32_e32 v1, 0x5f7ffffc, v1
	v_mul_f32_e32 v2, 0x2f800000, v1
	s_delay_alu instid0(VALU_DEP_1) | instskip(NEXT) | instid1(VALU_DEP_1)
	v_trunc_f32_e32 v2, v2
	v_fmac_f32_e32 v1, 0xcf800000, v2
	v_cvt_u32_f32_e32 v2, v2
	s_delay_alu instid0(VALU_DEP_2) | instskip(NEXT) | instid1(VALU_DEP_2)
	v_cvt_u32_f32_e32 v1, v1
	v_readfirstlane_b32 s12, v2
	s_delay_alu instid0(VALU_DEP_2) | instskip(NEXT) | instid1(VALU_DEP_2)
	v_readfirstlane_b32 s19, v1
	s_mul_i32 s41, s33, s12
	s_delay_alu instid0(VALU_DEP_1)
	s_mul_hi_u32 s43, s33, s19
	s_mul_i32 s42, s40, s19
	s_add_i32 s41, s43, s41
	s_mul_i32 s44, s33, s19
	s_add_i32 s41, s41, s42
	s_mul_hi_u32 s43, s19, s44
	s_mul_hi_u32 s45, s12, s44
	s_mul_i32 s42, s12, s44
	s_mul_hi_u32 s44, s19, s41
	s_mul_i32 s19, s19, s41
	s_mul_hi_u32 s46, s12, s41
	s_add_u32 s19, s43, s19
	s_addc_u32 s43, 0, s44
	s_add_u32 s19, s19, s42
	s_mul_i32 s41, s12, s41
	s_addc_u32 s19, s43, s45
	s_addc_u32 s42, s46, 0
	s_add_u32 s19, s19, s41
	s_addc_u32 s41, 0, s42
	v_add_co_u32 v1, s19, v1, s19
	s_delay_alu instid0(VALU_DEP_1) | instskip(SKIP_1) | instid1(VALU_DEP_1)
	s_cmp_lg_u32 s19, 0
	s_addc_u32 s12, s12, s41
	v_readfirstlane_b32 s19, v1
	s_mul_i32 s41, s33, s12
	s_delay_alu instid0(VALU_DEP_1)
	s_mul_hi_u32 s42, s33, s19
	s_mul_i32 s40, s40, s19
	s_add_i32 s41, s42, s41
	s_mul_i32 s33, s33, s19
	s_add_i32 s41, s41, s40
	s_mul_hi_u32 s42, s12, s33
	s_mul_i32 s43, s12, s33
	s_mul_hi_u32 s33, s19, s33
	s_mul_hi_u32 s44, s19, s41
	s_mul_i32 s19, s19, s41
	s_mul_hi_u32 s40, s12, s41
	s_add_u32 s19, s33, s19
	s_addc_u32 s33, 0, s44
	s_add_u32 s19, s19, s43
	s_mul_i32 s41, s12, s41
	s_addc_u32 s19, s33, s42
	s_addc_u32 s33, s40, 0
	s_add_u32 s19, s19, s41
	s_addc_u32 s33, 0, s33
	v_add_co_u32 v1, s19, v1, s19
	s_delay_alu instid0(VALU_DEP_1) | instskip(SKIP_2) | instid1(VALU_DEP_1)
	s_cmp_lg_u32 s19, 0
	s_addc_u32 s12, s12, s33
	s_ashr_i32 s40, s23, 31
	v_readfirstlane_b32 s19, v1
	s_add_u32 s42, s22, s40
	s_mov_b32 s41, s40
	s_addc_u32 s43, s23, s40
	s_delay_alu instid0(SALU_CYCLE_1) | instskip(NEXT) | instid1(SALU_CYCLE_1)
	s_xor_b64 s[42:43], s[42:43], s[40:41]
	s_mul_i32 s44, s42, s12
	s_mul_hi_u32 s45, s42, s19
	s_mul_hi_u32 s33, s42, s12
	;; [unrolled: 1-line block ×3, first 2 shown]
	s_mul_i32 s19, s43, s19
	s_add_u32 s44, s45, s44
	s_addc_u32 s33, 0, s33
	s_mul_hi_u32 s46, s43, s12
	s_add_u32 s19, s44, s19
	s_mul_i32 s12, s43, s12
	s_addc_u32 s19, s33, s47
	s_addc_u32 s33, s46, 0
	s_add_u32 s12, s19, s12
	s_addc_u32 s19, 0, s33
	s_mul_i32 s46, s38, s12
	s_mul_hi_u32 s33, s38, s12
	s_mul_i32 s45, s38, s19
	v_sub_co_u32 v1, s42, s42, s46
	s_mul_i32 s44, s39, s12
	s_add_i32 s33, s33, s45
	s_delay_alu instid0(SALU_CYCLE_1) | instskip(NEXT) | instid1(VALU_DEP_1)
	s_add_i32 s33, s33, s44
	v_sub_co_u32 v2, s45, v1, s38
	s_sub_i32 s44, s43, s33
	s_cmp_lg_u32 s42, 0
	s_subb_u32 s44, s44, s39
	s_cmp_lg_u32 s45, 0
	v_readfirstlane_b32 s45, v2
	s_subb_u32 s44, s44, 0
	s_delay_alu instid0(SALU_CYCLE_1) | instskip(SKIP_1) | instid1(VALU_DEP_1)
	s_cmp_ge_u32 s44, s39
	s_cselect_b32 s46, -1, 0
	s_cmp_ge_u32 s45, s38
	s_cselect_b32 s45, -1, 0
	s_cmp_eq_u32 s44, s39
	s_cselect_b32 s44, s45, s46
	s_add_u32 s45, s12, 1
	s_addc_u32 s46, s19, 0
	s_add_u32 s47, s12, 2
	s_addc_u32 s48, s19, 0
	s_cmp_lg_u32 s44, 0
	s_cselect_b32 s44, s47, s45
	s_cselect_b32 s45, s48, s46
	s_cmp_lg_u32 s42, 0
	v_readfirstlane_b32 s42, v1
	s_subb_u32 s33, s43, s33
	s_delay_alu instid0(SALU_CYCLE_1) | instskip(SKIP_1) | instid1(VALU_DEP_1)
	s_cmp_ge_u32 s33, s39
	s_cselect_b32 s43, -1, 0
	s_cmp_ge_u32 s42, s38
	s_cselect_b32 s38, -1, 0
	s_cmp_eq_u32 s33, s39
	s_cselect_b32 s33, s38, s43
	s_delay_alu instid0(SALU_CYCLE_1)
	s_cmp_lg_u32 s33, 0
	s_cselect_b32 s39, s45, s19
	s_cselect_b32 s38, s44, s12
	s_xor_b64 s[34:35], s[40:41], s[34:35]
	s_mov_b32 s12, 0
	s_xor_b64 s[38:39], s[38:39], s[34:35]
	s_delay_alu instid0(SALU_CYCLE_1)
	s_sub_u32 s34, s38, s34
	s_subb_u32 s35, s39, s35
.LBB15_13:                              ;   in Loop: Header=BB15_11 Depth=1
	s_and_not1_b32 vcc_lo, exec_lo, s12
	s_cbranch_vccnz .LBB15_15
; %bb.14:                               ;   in Loop: Header=BB15_11 Depth=1
	v_cvt_f32_u32_e32 v1, s36
	s_sub_i32 s19, 0, s36
	s_mov_b32 s35, s18
	s_waitcnt_depctr 0xfff
	v_rcp_iflag_f32_e32 v1, v1
	s_waitcnt_depctr 0xfff
	v_mul_f32_e32 v1, 0x4f7ffffe, v1
	s_delay_alu instid0(VALU_DEP_1) | instskip(NEXT) | instid1(VALU_DEP_1)
	v_cvt_u32_f32_e32 v1, v1
	v_readfirstlane_b32 s12, v1
	s_delay_alu instid0(VALU_DEP_1) | instskip(NEXT) | instid1(SALU_CYCLE_1)
	s_mul_i32 s19, s19, s12
	s_mul_hi_u32 s19, s12, s19
	s_delay_alu instid0(SALU_CYCLE_1) | instskip(NEXT) | instid1(SALU_CYCLE_1)
	s_add_i32 s12, s12, s19
	s_mul_hi_u32 s12, s22, s12
	s_delay_alu instid0(SALU_CYCLE_1) | instskip(SKIP_2) | instid1(SALU_CYCLE_1)
	s_mul_i32 s19, s12, s36
	s_add_i32 s33, s12, 1
	s_sub_i32 s19, s22, s19
	s_sub_i32 s34, s19, s36
	s_cmp_ge_u32 s19, s36
	s_cselect_b32 s12, s33, s12
	s_cselect_b32 s19, s34, s19
	s_add_i32 s33, s12, 1
	s_cmp_ge_u32 s19, s36
	s_cselect_b32 s34, s33, s12
.LBB15_15:                              ;   in Loop: Header=BB15_11 Depth=1
	s_load_b64 s[38:39], s[20:21], 0xc8
	s_mul_i32 s12, s34, s37
	s_mul_hi_u32 s19, s34, s36
	s_mul_i32 s33, s35, s36
	s_add_i32 s12, s19, s12
	s_mul_i32 s19, s34, s36
	s_add_i32 s12, s12, s33
	s_sub_u32 s19, s22, s19
	s_subb_u32 s12, s23, s12
	s_waitcnt lgkmcnt(0)
	s_mul_i32 s12, s38, s12
	s_mul_hi_u32 s22, s38, s19
	s_mul_i32 s23, s39, s19
	s_add_i32 s12, s22, s12
	s_mul_i32 s19, s38, s19
	s_add_i32 s12, s12, s23
	s_add_u32 s28, s19, s28
	s_addc_u32 s29, s12, s29
	s_add_i32 s9, s9, -1
	s_add_u32 s20, s20, -8
	s_addc_u32 s21, s21, -1
	s_cmp_gt_u32 s9, 2
	s_cbranch_scc0 .LBB15_17
; %bb.16:                               ;   in Loop: Header=BB15_11 Depth=1
	s_mov_b64 s[22:23], s[34:35]
	s_branch .LBB15_11
.LBB15_17:
	s_clause 0x1
	s_load_b32 s9, s[0:1], 0x4f8
	s_load_b64 s[36:37], s[16:17], 0xd0
	s_add_u32 s12, s0, 0x360
	s_addc_u32 s17, s1, 0
	s_mov_b64 s[38:39], 0
	s_waitcnt lgkmcnt(0)
	s_cmp_lt_i32 s9, 2
	s_cbranch_scc1 .LBB15_25
; %bb.18:
	s_mov_b32 s16, 0
	s_add_i32 s18, s9, -1
	s_mov_b32 s19, s16
	s_add_i32 s9, s9, 1
	s_lshl_b64 s[18:19], s[18:19], 3
	s_delay_alu instid0(SALU_CYCLE_1)
	s_add_u32 s12, s18, s12
	s_addc_u32 s17, s19, s17
	s_add_u32 s18, s12, 8
	s_addc_u32 s19, s17, 0
.LBB15_19:                              ; =>This Inner Loop Header: Depth=1
	s_load_b64 s[20:21], s[18:19], 0x0
	s_mov_b32 s12, -1
                                        ; implicit-def: $sgpr40_sgpr41
	s_waitcnt lgkmcnt(0)
	s_or_b64 s[22:23], s[2:3], s[20:21]
	s_delay_alu instid0(SALU_CYCLE_1) | instskip(NEXT) | instid1(SALU_CYCLE_1)
	s_mov_b32 s17, s23
	s_cmp_lg_u64 s[16:17], 0
	s_cbranch_scc0 .LBB15_21
; %bb.20:                               ;   in Loop: Header=BB15_19 Depth=1
	s_ashr_i32 s22, s21, 31
	s_delay_alu instid0(SALU_CYCLE_1) | instskip(SKIP_2) | instid1(SALU_CYCLE_1)
	s_add_u32 s40, s20, s22
	s_mov_b32 s23, s22
	s_addc_u32 s41, s21, s22
	s_xor_b64 s[40:41], s[40:41], s[22:23]
	s_delay_alu instid0(SALU_CYCLE_1)
	v_cvt_f32_u32_e32 v1, s40
	v_cvt_f32_u32_e32 v2, s41
	s_sub_u32 s33, 0, s40
	s_subb_u32 s42, 0, s41
	s_waitcnt_depctr 0xfff
	v_fmac_f32_e32 v1, 0x4f800000, v2
	s_delay_alu instid0(VALU_DEP_1) | instskip(SKIP_2) | instid1(VALU_DEP_1)
	v_rcp_f32_e32 v1, v1
	s_waitcnt_depctr 0xfff
	v_mul_f32_e32 v1, 0x5f7ffffc, v1
	v_mul_f32_e32 v2, 0x2f800000, v1
	s_delay_alu instid0(VALU_DEP_1) | instskip(NEXT) | instid1(VALU_DEP_1)
	v_trunc_f32_e32 v2, v2
	v_fmac_f32_e32 v1, 0xcf800000, v2
	v_cvt_u32_f32_e32 v2, v2
	s_delay_alu instid0(VALU_DEP_2) | instskip(NEXT) | instid1(VALU_DEP_2)
	v_cvt_u32_f32_e32 v1, v1
	v_readfirstlane_b32 s12, v2
	s_delay_alu instid0(VALU_DEP_2) | instskip(NEXT) | instid1(VALU_DEP_2)
	v_readfirstlane_b32 s17, v1
	s_mul_i32 s43, s33, s12
	s_delay_alu instid0(VALU_DEP_1)
	s_mul_hi_u32 s45, s33, s17
	s_mul_i32 s44, s42, s17
	s_add_i32 s43, s45, s43
	s_mul_i32 s46, s33, s17
	s_add_i32 s43, s43, s44
	s_mul_hi_u32 s45, s17, s46
	s_mul_hi_u32 s47, s12, s46
	s_mul_i32 s44, s12, s46
	s_mul_hi_u32 s46, s17, s43
	s_mul_i32 s17, s17, s43
	s_mul_hi_u32 s48, s12, s43
	s_add_u32 s17, s45, s17
	s_addc_u32 s45, 0, s46
	s_add_u32 s17, s17, s44
	s_mul_i32 s43, s12, s43
	s_addc_u32 s17, s45, s47
	s_addc_u32 s44, s48, 0
	s_add_u32 s17, s17, s43
	s_addc_u32 s43, 0, s44
	v_add_co_u32 v1, s17, v1, s17
	s_delay_alu instid0(VALU_DEP_1) | instskip(SKIP_1) | instid1(VALU_DEP_1)
	s_cmp_lg_u32 s17, 0
	s_addc_u32 s12, s12, s43
	v_readfirstlane_b32 s17, v1
	s_mul_i32 s43, s33, s12
	s_delay_alu instid0(VALU_DEP_1)
	s_mul_hi_u32 s44, s33, s17
	s_mul_i32 s42, s42, s17
	s_add_i32 s43, s44, s43
	s_mul_i32 s33, s33, s17
	s_add_i32 s43, s43, s42
	s_mul_hi_u32 s44, s12, s33
	s_mul_i32 s45, s12, s33
	s_mul_hi_u32 s33, s17, s33
	s_mul_hi_u32 s46, s17, s43
	s_mul_i32 s17, s17, s43
	s_mul_hi_u32 s42, s12, s43
	s_add_u32 s17, s33, s17
	s_addc_u32 s33, 0, s46
	s_add_u32 s17, s17, s45
	s_mul_i32 s43, s12, s43
	s_addc_u32 s17, s33, s44
	s_addc_u32 s33, s42, 0
	s_add_u32 s17, s17, s43
	s_addc_u32 s33, 0, s33
	v_add_co_u32 v1, s17, v1, s17
	s_delay_alu instid0(VALU_DEP_1) | instskip(SKIP_2) | instid1(VALU_DEP_1)
	s_cmp_lg_u32 s17, 0
	s_addc_u32 s12, s12, s33
	s_ashr_i32 s42, s3, 31
	v_readfirstlane_b32 s17, v1
	s_add_u32 s44, s2, s42
	s_mov_b32 s43, s42
	s_addc_u32 s45, s3, s42
	s_delay_alu instid0(SALU_CYCLE_1) | instskip(NEXT) | instid1(SALU_CYCLE_1)
	s_xor_b64 s[44:45], s[44:45], s[42:43]
	s_mul_i32 s46, s44, s12
	s_mul_hi_u32 s47, s44, s17
	s_mul_hi_u32 s33, s44, s12
	;; [unrolled: 1-line block ×3, first 2 shown]
	s_mul_i32 s17, s45, s17
	s_add_u32 s46, s47, s46
	s_addc_u32 s33, 0, s33
	s_mul_hi_u32 s48, s45, s12
	s_add_u32 s17, s46, s17
	s_mul_i32 s12, s45, s12
	s_addc_u32 s17, s33, s49
	s_addc_u32 s33, s48, 0
	s_add_u32 s12, s17, s12
	s_addc_u32 s17, 0, s33
	s_mul_i32 s48, s40, s12
	s_mul_hi_u32 s33, s40, s12
	s_mul_i32 s47, s40, s17
	v_sub_co_u32 v1, s44, s44, s48
	s_mul_i32 s46, s41, s12
	s_add_i32 s33, s33, s47
	s_delay_alu instid0(SALU_CYCLE_1) | instskip(NEXT) | instid1(VALU_DEP_1)
	s_add_i32 s33, s33, s46
	v_sub_co_u32 v2, s47, v1, s40
	s_sub_i32 s46, s45, s33
	s_cmp_lg_u32 s44, 0
	s_subb_u32 s46, s46, s41
	s_cmp_lg_u32 s47, 0
	v_readfirstlane_b32 s47, v2
	s_subb_u32 s46, s46, 0
	s_delay_alu instid0(SALU_CYCLE_1) | instskip(SKIP_1) | instid1(VALU_DEP_1)
	s_cmp_ge_u32 s46, s41
	s_cselect_b32 s48, -1, 0
	s_cmp_ge_u32 s47, s40
	s_cselect_b32 s47, -1, 0
	s_cmp_eq_u32 s46, s41
	s_cselect_b32 s46, s47, s48
	s_add_u32 s47, s12, 1
	s_addc_u32 s48, s17, 0
	s_add_u32 s49, s12, 2
	s_addc_u32 s50, s17, 0
	s_cmp_lg_u32 s46, 0
	s_cselect_b32 s46, s49, s47
	s_cselect_b32 s47, s50, s48
	s_cmp_lg_u32 s44, 0
	v_readfirstlane_b32 s44, v1
	s_subb_u32 s33, s45, s33
	s_delay_alu instid0(SALU_CYCLE_1) | instskip(SKIP_1) | instid1(VALU_DEP_1)
	s_cmp_ge_u32 s33, s41
	s_cselect_b32 s45, -1, 0
	s_cmp_ge_u32 s44, s40
	s_cselect_b32 s40, -1, 0
	s_cmp_eq_u32 s33, s41
	s_cselect_b32 s33, s40, s45
	s_delay_alu instid0(SALU_CYCLE_1)
	s_cmp_lg_u32 s33, 0
	s_cselect_b32 s41, s47, s17
	s_cselect_b32 s40, s46, s12
	s_xor_b64 s[22:23], s[42:43], s[22:23]
	s_mov_b32 s12, 0
	s_xor_b64 s[40:41], s[40:41], s[22:23]
	s_delay_alu instid0(SALU_CYCLE_1)
	s_sub_u32 s40, s40, s22
	s_subb_u32 s41, s41, s23
.LBB15_21:                              ;   in Loop: Header=BB15_19 Depth=1
	s_and_not1_b32 vcc_lo, exec_lo, s12
	s_cbranch_vccnz .LBB15_23
; %bb.22:                               ;   in Loop: Header=BB15_19 Depth=1
	v_cvt_f32_u32_e32 v1, s20
	s_sub_i32 s17, 0, s20
	s_mov_b32 s41, s16
	s_waitcnt_depctr 0xfff
	v_rcp_iflag_f32_e32 v1, v1
	s_waitcnt_depctr 0xfff
	v_mul_f32_e32 v1, 0x4f7ffffe, v1
	s_delay_alu instid0(VALU_DEP_1) | instskip(NEXT) | instid1(VALU_DEP_1)
	v_cvt_u32_f32_e32 v1, v1
	v_readfirstlane_b32 s12, v1
	s_delay_alu instid0(VALU_DEP_1) | instskip(NEXT) | instid1(SALU_CYCLE_1)
	s_mul_i32 s17, s17, s12
	s_mul_hi_u32 s17, s12, s17
	s_delay_alu instid0(SALU_CYCLE_1) | instskip(NEXT) | instid1(SALU_CYCLE_1)
	s_add_i32 s12, s12, s17
	s_mul_hi_u32 s12, s2, s12
	s_delay_alu instid0(SALU_CYCLE_1) | instskip(SKIP_2) | instid1(SALU_CYCLE_1)
	s_mul_i32 s17, s12, s20
	s_add_i32 s22, s12, 1
	s_sub_i32 s17, s2, s17
	s_sub_i32 s23, s17, s20
	s_cmp_ge_u32 s17, s20
	s_cselect_b32 s12, s22, s12
	s_cselect_b32 s17, s23, s17
	s_add_i32 s22, s12, 1
	s_cmp_ge_u32 s17, s20
	s_cselect_b32 s40, s22, s12
.LBB15_23:                              ;   in Loop: Header=BB15_19 Depth=1
	s_load_b64 s[22:23], s[18:19], 0xc8
	s_mul_i32 s12, s40, s21
	s_mul_hi_u32 s17, s40, s20
	s_mul_i32 s21, s41, s20
	s_add_i32 s12, s17, s12
	s_mul_i32 s17, s40, s20
	s_add_i32 s12, s12, s21
	s_sub_u32 s2, s2, s17
	s_subb_u32 s3, s3, s12
	s_waitcnt lgkmcnt(0)
	s_mul_i32 s3, s22, s3
	s_mul_hi_u32 s12, s22, s2
	s_mul_i32 s17, s23, s2
	s_add_i32 s3, s12, s3
	s_mul_i32 s2, s22, s2
	s_add_i32 s3, s3, s17
	s_add_u32 s38, s2, s38
	s_addc_u32 s39, s3, s39
	s_add_i32 s9, s9, -1
	s_add_u32 s18, s18, -8
	s_addc_u32 s19, s19, -1
	s_cmp_gt_u32 s9, 2
	s_cbranch_scc0 .LBB15_26
; %bb.24:                               ;   in Loop: Header=BB15_19 Depth=1
	s_mov_b64 s[2:3], s[40:41]
	s_branch .LBB15_19
.LBB15_25:
	s_mov_b64 s[40:41], s[2:3]
.LBB15_26:
	s_clause 0x3
	s_load_b64 s[16:17], s[0:1], 0x0
	s_load_b64 s[44:45], s[0:1], 0x1c0
	;; [unrolled: 1-line block ×4, first 2 shown]
	v_cmp_eq_u32_e64 s0, 0, v0
	s_mov_b32 s49, 0
	s_delay_alu instid0(VALU_DEP_1)
	s_and_saveexec_b32 s1, s0
	s_cbranch_execz .LBB15_28
; %bb.27:
	v_dual_mov_b32 v1, 0 :: v_dual_mov_b32 v4, s25
	s_delay_alu instid0(VALU_DEP_1)
	v_dual_mov_b32 v3, s24 :: v_dual_mov_b32 v2, v1
	ds_store_b32 v1, v1 offset:5136
	ds_store_b128 v1, v[1:4] offset:5120
.LBB15_28:
	s_or_b32 exec_lo, exec_lo, s1
	v_mad_u64_u32 v[2:3], null, v0, s30, 0
	s_mul_i32 s1, s14, s11
	s_waitcnt lgkmcnt(0)
	s_barrier
	buffer_gl0_inv
	s_load_b32 s11, s[6:7], 0xc
	s_mul_hi_u32 s2, s14, s10
	v_dual_mov_b32 v1, v3 :: v_dual_lshlrev_b32 v16, 2, v0
	s_mul_i32 s3, s15, s10
	s_add_i32 s1, s2, s1
	v_mbcnt_lo_u32_b32 v33, -1, 0
	s_delay_alu instid0(VALU_DEP_2)
	v_mad_u64_u32 v[3:4], null, v0, s31, v[1:2]
	v_or_b32_e32 v9, 3, v16
	v_or_b32_e32 v10, 2, v16
	s_mul_i32 s10, s14, s10
	v_lshrrev_b32_e32 v4, 3, v0
	s_add_i32 s9, s1, s3
	s_add_u32 s1, s16, s10
	s_addc_u32 s2, s17, s9
	v_mad_u64_u32 v[18:19], null, s30, v9, 0
	v_mad_u64_u32 v[20:21], null, s30, v10, 0
	s_add_u32 s50, s1, s4
	v_cmp_gt_u32_e32 vcc_lo, 32, v0
	v_cmp_gt_i32_e64 s1, 4, v33
	v_dual_mov_b32 v13, 0 :: v_dual_and_b32 v34, 0x7c, v4
	v_lshlrev_b64 v[4:5], v33, -1
	s_addc_u32 s51, s2, s5
	s_waitcnt lgkmcnt(0)
	s_and_b32 s33, s11, 0xffff
	s_and_b32 s72, vcc_lo, s1
	s_bfe_u32 s12, s11, 0xb0005
	s_add_u32 s74, s33, -1
	v_mov_b32_e32 v1, v13
	s_addc_u32 s75, 0, -1
	v_not_b32_e32 v35, v4
	v_mov_b32_e32 v4, v19
	v_mad_u64_u32 v[22:23], null, s30, v16, s[30:31]
	v_mov_b32_e32 v5, v21
	s_add_u32 s76, s74, s24
	s_addc_u32 s53, s75, s25
	s_cmp_lt_u32 s13, s8
	v_mov_b32_e32 v17, v13
	s_cselect_b32 s8, 12, 18
	s_delay_alu instid0(VALU_DEP_3)
	v_mov_b32_e32 v6, v23
	v_mad_u64_u32 v[7:8], null, s31, v9, v[4:5]
	s_add_u32 s54, s6, s8
	s_addc_u32 s55, s7, 0
	s_add_i32 s6, s12, -1
	s_bfe_u32 s78, s33, 0x30005
	s_cmp_gt_u32 s6, 6
	v_mad_u64_u32 v[8:9], null, s31, v10, v[5:6]
	s_cselect_b32 s79, -1, 0
	s_and_b32 s80, s12, 0x7f8
	s_cmp_lg_u32 s78, 0
	v_mad_u64_u32 v[4:5], null, s31, v16, v[6:7]
	s_cselect_b32 s81, -1, 0
	s_add_u32 s4, s4, s10
	v_add_co_u32 v14, vcc_lo, s50, v2
	s_addc_u32 s5, s5, s9
	s_add_u32 s56, s16, s4
	v_add_co_ci_u32_e32 v15, vcc_lo, s51, v3, vcc_lo
	s_addc_u32 s57, s17, s5
	v_add_co_u32 v37, s4, s24, v0
	v_add_co_u32 v10, vcc_lo, s56, v2
	v_cmp_lt_i64_e64 s73, 0xc00, s[24:25]
	v_cmp_gt_i64_e64 s1, s[24:25], v[0:1]
	v_lshlrev_b64 v[23:24], 2, v[2:3]
	v_cmp_eq_u32_e64 s2, 0, v33
	v_cmp_gt_u32_e64 s3, 2, v0
	v_cmp_gt_u16_e64 s77, s11, 31
	v_mov_b32_e32 v19, v7
	v_mov_b32_e32 v21, v8
	;; [unrolled: 1-line block ×3, first 2 shown]
	v_add_co_ci_u32_e64 v38, null, s25, 0, s4
	v_lshl_or_b32 v39, v33, 3, 0xc00
	v_add_co_ci_u32_e32 v11, vcc_lo, s57, v3, vcc_lo
	v_cvt_f32_ubyte0_e32 v40, 0
	v_mov_b32_e32 v41, 0
	s_mul_i32 s4, s31, s33
	s_mul_hi_u32 s5, s30, s33
	s_mov_b32 s82, 6
	s_lshl_b64 s[58:59], s[30:31], 2
	s_add_i32 s70, s5, s4
	s_mul_i32 s71, s30, s33
	s_mov_b32 s83, 0
	s_mov_b32 s87, 0
	s_mov_b32 s92, 0
	s_mov_b32 s91, 0
                                        ; implicit-def: $sgpr84
                                        ; implicit-def: $sgpr86
                                        ; implicit-def: $sgpr85
                                        ; implicit-def: $sgpr89
                                        ; implicit-def: $sgpr90
                                        ; implicit-def: $sgpr88
	s_branch .LBB15_33
.LBB15_29:                              ;   in Loop: Header=BB15_33 Depth=1
	s_xor_b32 s87, s87, 1
	s_add_i32 s7, s82, -2
	s_cmp_eq_u32 s82, 0
	s_mov_b32 s5, 0
	s_cselect_b32 s6, -1, 0
	s_mov_b32 s82, s7
.LBB15_30:                              ;   in Loop: Header=BB15_33 Depth=1
	s_and_not1_b32 s7, s20, exec_lo
	s_and_b32 s5, s5, exec_lo
	s_and_not1_b32 s21, s21, exec_lo
	s_or_b32 s20, s7, s5
	s_and_not1_b32 s19, s19, exec_lo
	s_or_not1_b32 s15, s6, exec_lo
.LBB15_31:                              ;   in Loop: Header=BB15_33 Depth=1
	s_or_b32 exec_lo, exec_lo, s4
	s_delay_alu instid0(SALU_CYCLE_1)
	s_and_not1_b32 s4, s88, exec_lo
	s_and_b32 s5, s20, exec_lo
	s_and_not1_b32 s6, s89, exec_lo
	s_or_b32 s88, s4, s5
	s_and_not1_b32 s4, s90, exec_lo
	s_and_b32 s5, s21, exec_lo
	s_and_b32 s7, s19, exec_lo
	s_or_b32 s90, s4, s5
	s_or_b32 s89, s6, s7
	s_or_not1_b32 s19, s15, exec_lo
.LBB15_32:                              ;   in Loop: Header=BB15_33 Depth=1
	s_or_b32 exec_lo, exec_lo, s14
	s_delay_alu instid0(SALU_CYCLE_1)
	s_and_b32 s4, exec_lo, s19
	v_mov_b32_e32 v2, s92
	s_or_b32 s83, s4, s83
	s_and_not1_b32 s4, s85, exec_lo
	s_and_b32 s5, s88, exec_lo
	s_and_not1_b32 s6, s84, exec_lo
	s_or_b32 s85, s4, s5
	s_and_not1_b32 s4, s86, exec_lo
	s_and_b32 s5, s90, exec_lo
	s_and_b32 s7, s89, exec_lo
	s_or_b32 s86, s4, s5
	s_or_b32 s84, s6, s7
	s_and_not1_b32 exec_lo, exec_lo, s83
	s_cbranch_execz .LBB15_299
.LBB15_33:                              ; =>This Loop Header: Depth=1
                                        ;     Child Loop BB15_38 Depth 2
                                        ;     Child Loop BB15_57 Depth 2
	;; [unrolled: 1-line block ×16, first 2 shown]
	ds_load_b128 v[2:5], v13 offset:5120
	s_waitcnt lgkmcnt(0)
	v_readfirstlane_b32 s61, v3
	v_readfirstlane_b32 s60, v2
	s_delay_alu instid0(VALU_DEP_1) | instskip(NEXT) | instid1(VALU_DEP_1)
	v_cmp_gt_i64_e64 s4, s[60:61], 0
	s_and_b32 vcc_lo, exec_lo, s4
	s_cbranch_vccnz .LBB15_64
; %bb.34:                               ;   in Loop: Header=BB15_33 Depth=1
	s_and_b32 vcc_lo, exec_lo, s73
	s_cbranch_vccz .LBB15_46
; %bb.35:                               ;   in Loop: Header=BB15_33 Depth=1
	v_cmp_gt_i64_e32 vcc_lo, 0xc01, v[4:5]
	s_mov_b32 s6, 0
	s_mov_b32 s4, 0
	s_cbranch_vccz .LBB15_51
; %bb.36:                               ;   in Loop: Header=BB15_33 Depth=1
	global_load_u16 v6, v13, s[54:55]
	global_load_u8 v7, v[14:15], off
	s_mov_b32 s8, 0
	s_waitcnt vmcnt(1)
	v_readfirstlane_b32 s4, v6
	v_and_b32_e32 v6, 0xffff, v6
	s_delay_alu instid0(VALU_DEP_2) | instskip(NEXT) | instid1(SALU_CYCLE_1)
	s_and_b32 s4, 0xffff, s4
	v_add_nc_u32_e32 v8, s4, v0
	s_mul_i32 s5, s31, s4
	s_mul_hi_u32 s7, s30, s4
	s_mul_i32 s9, s30, s4
	s_add_i32 s7, s7, s5
	v_mad_u64_u32 v[2:3], null, s30, v8, s[56:57]
	s_delay_alu instid0(VALU_DEP_1) | instskip(NEXT) | instid1(VALU_DEP_1)
	v_mad_u64_u32 v[4:5], null, s31, v8, v[3:4]
	v_mov_b32_e32 v3, v4
	v_dual_mov_b32 v5, v1 :: v_dual_mov_b32 v4, v0
	s_branch .LBB15_38
.LBB15_37:                              ;   in Loop: Header=BB15_38 Depth=2
	s_or_b32 exec_lo, exec_lo, s5
	v_add_co_u32 v2, vcc_lo, v2, s9
	v_add_co_ci_u32_e32 v3, vcc_lo, s7, v3, vcc_lo
	v_mov_b32_e32 v7, v8
	s_and_not1_b32 exec_lo, exec_lo, s8
	s_cbranch_execz .LBB15_47
.LBB15_38:                              ;   Parent Loop BB15_33 Depth=1
                                        ; =>  This Inner Loop Header: Depth=2
	s_delay_alu instid0(VALU_DEP_1) | instskip(NEXT) | instid1(VALU_DEP_2)
	v_add_co_u32 v4, vcc_lo, v4, v6
	v_add_co_ci_u32_e32 v5, vcc_lo, 0, v5, vcc_lo
	s_waitcnt lgkmcnt(0)
	v_dual_mov_b32 v9, 0 :: v_dual_mov_b32 v8, 0
	s_mov_b32 s5, exec_lo
	s_delay_alu instid0(VALU_DEP_2)
	v_cmp_le_i64_e32 vcc_lo, s[24:25], v[4:5]
	v_cmpx_gt_i64_e64 s[24:25], v[4:5]
	s_cbranch_execz .LBB15_40
; %bb.39:                               ;   in Loop: Header=BB15_38 Depth=2
	global_load_u8 v8, v[2:3], off
.LBB15_40:                              ;   in Loop: Header=BB15_38 Depth=2
	s_or_b32 exec_lo, exec_lo, s5
	s_waitcnt vmcnt(0)
	v_bfe_i32 v12, v7, 0, 8
	s_delay_alu instid0(VALU_DEP_1) | instskip(NEXT) | instid1(VALU_DEP_1)
	v_add_nc_u32_e32 v12, 0x80, v12
	v_and_b32_e32 v12, s91, v12
	s_delay_alu instid0(VALU_DEP_1) | instskip(NEXT) | instid1(VALU_DEP_1)
	v_cmp_eq_u32_e64 s4, s92, v12
	s_cmp_lg_u32 s4, 0
	s_cselect_b32 s5, -1, 0
	s_delay_alu instid0(SALU_CYCLE_1) | instskip(NEXT) | instid1(SALU_CYCLE_1)
	s_and_b32 s5, s2, s5
	s_and_saveexec_b32 s10, s5
	s_cbranch_execz .LBB15_44
; %bb.41:                               ;   in Loop: Header=BB15_38 Depth=2
	s_mov_b32 s13, exec_lo
	s_bcnt1_i32_b32 s11, s4
	v_mbcnt_lo_u32_b32 v9, s13, 0
	s_mov_b32 s12, exec_lo
                                        ; implicit-def: $vgpr12
	s_delay_alu instid0(VALU_DEP_1)
	v_cmpx_eq_u32_e32 0, v9
	s_cbranch_execz .LBB15_43
; %bb.42:                               ;   in Loop: Header=BB15_38 Depth=2
	s_bcnt1_i32_b32 s5, s13
	s_delay_alu instid0(SALU_CYCLE_1) | instskip(NEXT) | instid1(SALU_CYCLE_1)
	s_mul_i32 s5, s11, s5
	v_mov_b32_e32 v12, s5
	ds_add_rtn_u32 v12, v13, v12 offset:5136
.LBB15_43:                              ;   in Loop: Header=BB15_38 Depth=2
	s_or_b32 exec_lo, exec_lo, s12
	s_waitcnt lgkmcnt(0)
	v_readfirstlane_b32 s5, v12
	s_delay_alu instid0(VALU_DEP_1)
	v_mad_u32_u24 v9, s11, v9, s5
.LBB15_44:                              ;   in Loop: Header=BB15_38 Depth=2
	s_or_b32 exec_lo, exec_lo, s10
	ds_bpermute_b32 v9, v13, v9
	s_and_b32 s5, exec_lo, vcc_lo
	s_delay_alu instid0(SALU_CYCLE_1)
	s_or_b32 s8, s5, s8
	s_and_saveexec_b32 s5, s4
	s_cbranch_execz .LBB15_37
; %bb.45:                               ;   in Loop: Header=BB15_38 Depth=2
	v_and_b32_e32 v12, s4, v35
	s_waitcnt lgkmcnt(0)
	s_delay_alu instid0(VALU_DEP_1)
	v_bcnt_u32_b32 v9, v12, v9
	ds_store_b8 v9, v7
	s_branch .LBB15_37
.LBB15_46:                              ;   in Loop: Header=BB15_33 Depth=1
	s_mov_b32 s6, -1
	s_mov_b32 s4, 0
	s_branch .LBB15_50
.LBB15_47:                              ;   in Loop: Header=BB15_33 Depth=1
	s_or_b32 exec_lo, exec_lo, s8
	s_waitcnt lgkmcnt(0)
	s_barrier
	buffer_gl0_inv
	s_and_saveexec_b32 s4, s0
	s_cbranch_execz .LBB15_49
; %bb.48:                               ;   in Loop: Header=BB15_33 Depth=1
	ds_load_b32 v2, v13 offset:5136
	s_waitcnt lgkmcnt(0)
	v_ashrrev_i32_e32 v3, 31, v2
	ds_store_b64 v13, v[2:3] offset:5120
.LBB15_49:                              ;   in Loop: Header=BB15_33 Depth=1
	s_or_b32 exec_lo, exec_lo, s4
	s_waitcnt lgkmcnt(0)
	s_mov_b32 s4, -1
	s_barrier
.LBB15_50:                              ;   in Loop: Header=BB15_33 Depth=1
                                        ; implicit-def: $sgpr60_sgpr61
.LBB15_51:                              ;   in Loop: Header=BB15_33 Depth=1
	s_and_b32 vcc_lo, exec_lo, s6
	s_cbranch_vccz .LBB15_62
; %bb.52:                               ;   in Loop: Header=BB15_33 Depth=1
	v_mov_b32_e32 v6, 0
	s_and_saveexec_b32 s4, s1
	s_cbranch_execz .LBB15_54
; %bb.53:                               ;   in Loop: Header=BB15_33 Depth=1
	global_load_u8 v6, v[14:15], off
.LBB15_54:                              ;   in Loop: Header=BB15_33 Depth=1
	s_or_b32 exec_lo, exec_lo, s4
	s_and_saveexec_b32 s5, s1
	s_cbranch_execz .LBB15_59
; %bb.55:                               ;   in Loop: Header=BB15_33 Depth=1
	global_load_u16 v8, v13, s[54:55]
	s_mov_b32 s9, 0
	s_waitcnt vmcnt(0)
	v_readfirstlane_b32 s4, v8
	v_and_b32_e32 v8, 0xffff, v8
	s_delay_alu instid0(VALU_DEP_2) | instskip(NEXT) | instid1(SALU_CYCLE_1)
	s_and_b32 s6, 0xffff, s4
	v_add_nc_u32_e32 v7, s6, v0
	s_mul_i32 s4, s31, s6
	s_mul_hi_u32 s7, s30, s6
	s_mul_i32 s8, s30, s6
	s_add_i32 s7, s7, s4
	v_mad_u64_u32 v[2:3], null, s30, v7, s[56:57]
	s_delay_alu instid0(VALU_DEP_1) | instskip(SKIP_1) | instid1(VALU_DEP_2)
	v_mad_u64_u32 v[4:5], null, s31, v7, v[3:4]
	v_mov_b32_e32 v7, v0
	v_mov_b32_e32 v3, v4
	v_dual_mov_b32 v5, v1 :: v_dual_mov_b32 v4, v0
	s_branch .LBB15_57
	.p2align	6
.LBB15_56:                              ;   in Loop: Header=BB15_57 Depth=2
	s_or_b32 exec_lo, exec_lo, s10
	s_delay_alu instid0(SALU_CYCLE_1)
	s_and_b32 s4, exec_lo, vcc_lo
	v_add_co_u32 v2, vcc_lo, v2, s8
	ds_store_b8 v7, v6
	s_waitcnt vmcnt(0)
	v_dual_mov_b32 v6, v9 :: v_dual_add_nc_u32 v7, s6, v7
	v_add_co_ci_u32_e32 v3, vcc_lo, s7, v3, vcc_lo
	s_or_b32 s9, s4, s9
	s_delay_alu instid0(SALU_CYCLE_1)
	s_and_not1_b32 exec_lo, exec_lo, s9
	s_cbranch_execz .LBB15_59
.LBB15_57:                              ;   Parent Loop BB15_33 Depth=1
                                        ; =>  This Inner Loop Header: Depth=2
	s_delay_alu instid0(VALU_DEP_1) | instskip(NEXT) | instid1(VALU_DEP_2)
	v_add_co_u32 v4, vcc_lo, v4, v8
	v_add_co_ci_u32_e32 v5, vcc_lo, 0, v5, vcc_lo
	v_mov_b32_e32 v9, 0
	s_mov_b32 s10, exec_lo
	s_delay_alu instid0(VALU_DEP_2)
	v_cmp_le_i64_e32 vcc_lo, s[24:25], v[4:5]
	v_cmpx_gt_i64_e64 s[24:25], v[4:5]
	s_cbranch_execz .LBB15_56
; %bb.58:                               ;   in Loop: Header=BB15_57 Depth=2
	global_load_u8 v9, v[2:3], off
	s_branch .LBB15_56
.LBB15_59:                              ;   in Loop: Header=BB15_33 Depth=1
	s_or_b32 exec_lo, exec_lo, s5
	s_waitcnt vmcnt(0) lgkmcnt(0)
	s_barrier
	buffer_gl0_inv
	s_and_saveexec_b32 s4, s0
	s_cbranch_execz .LBB15_61
; %bb.60:                               ;   in Loop: Header=BB15_33 Depth=1
	v_dual_mov_b32 v2, s24 :: v_dual_mov_b32 v3, s25
	ds_store_b64 v13, v[2:3] offset:5120
.LBB15_61:                              ;   in Loop: Header=BB15_33 Depth=1
	s_or_b32 exec_lo, exec_lo, s4
	s_mov_b32 s4, -1
	s_waitcnt lgkmcnt(0)
	s_barrier
                                        ; implicit-def: $sgpr60_sgpr61
.LBB15_62:                              ;   in Loop: Header=BB15_33 Depth=1
	s_and_b32 vcc_lo, exec_lo, s4
	s_cbranch_vccz .LBB15_64
; %bb.63:                               ;   in Loop: Header=BB15_33 Depth=1
	buffer_gl0_inv
	ds_load_b64 v[2:3], v13 offset:5120
	s_waitcnt lgkmcnt(0)
	v_readfirstlane_b32 s60, v2
.LBB15_64:                              ;   in Loop: Header=BB15_33 Depth=1
	s_delay_alu instid0(VALU_DEP_1)
	s_cmp_lt_i32 s60, 1
	s_cbranch_scc0 .LBB15_79
; %bb.65:                               ;   in Loop: Header=BB15_33 Depth=1
	global_load_u16 v4, v13, s[54:55]
	s_mov_b32 s5, s25
	s_waitcnt vmcnt(0)
	v_readfirstlane_b32 s4, v4
	s_delay_alu instid0(VALU_DEP_1)
	s_and_b32 s6, 0xffff, s4
	s_mov_b32 s4, s49
	s_lshl_b32 s48, s6, 2
	s_cmp_lg_u64 s[4:5], 0
	s_cbranch_scc0 .LBB15_99
; %bb.66:                               ;   in Loop: Header=BB15_33 Depth=1
	v_cvt_f32_u32_e32 v2, s48
	s_sub_u32 s6, 0, s48
	s_subb_u32 s7, 0, 0
	s_delay_alu instid0(VALU_DEP_1) | instskip(NEXT) | instid1(VALU_DEP_1)
	v_fmac_f32_e32 v2, 0x4f800000, v40
	v_rcp_f32_e32 v2, v2
	s_waitcnt_depctr 0xfff
	v_mul_f32_e32 v2, 0x5f7ffffc, v2
	s_delay_alu instid0(VALU_DEP_1) | instskip(NEXT) | instid1(VALU_DEP_1)
	v_mul_f32_e32 v3, 0x2f800000, v2
	v_trunc_f32_e32 v3, v3
	s_delay_alu instid0(VALU_DEP_1) | instskip(SKIP_1) | instid1(VALU_DEP_2)
	v_fmac_f32_e32 v2, 0xcf800000, v3
	v_cvt_u32_f32_e32 v3, v3
	v_cvt_u32_f32_e32 v2, v2
	s_delay_alu instid0(VALU_DEP_2) | instskip(NEXT) | instid1(VALU_DEP_2)
	v_readfirstlane_b32 s4, v3
	v_readfirstlane_b32 s5, v2
	s_delay_alu instid0(VALU_DEP_2) | instskip(NEXT) | instid1(VALU_DEP_1)
	s_mul_i32 s8, s6, s4
	s_mul_hi_u32 s10, s6, s5
	s_mul_i32 s9, s7, s5
	s_add_i32 s8, s10, s8
	s_mul_i32 s11, s6, s5
	s_add_i32 s8, s8, s9
	s_mul_hi_u32 s10, s5, s11
	s_mul_hi_u32 s12, s4, s11
	s_mul_i32 s9, s4, s11
	s_mul_hi_u32 s11, s5, s8
	s_mul_i32 s5, s5, s8
	s_mul_hi_u32 s13, s4, s8
	s_add_u32 s5, s10, s5
	s_addc_u32 s10, 0, s11
	s_add_u32 s5, s5, s9
	s_mul_i32 s8, s4, s8
	s_addc_u32 s5, s10, s12
	s_addc_u32 s9, s13, 0
	s_add_u32 s5, s5, s8
	s_addc_u32 s8, 0, s9
	v_add_co_u32 v2, s5, v2, s5
	s_delay_alu instid0(VALU_DEP_1) | instskip(SKIP_1) | instid1(VALU_DEP_1)
	s_cmp_lg_u32 s5, 0
	s_addc_u32 s4, s4, s8
	v_readfirstlane_b32 s5, v2
	s_mul_i32 s8, s6, s4
	s_delay_alu instid0(VALU_DEP_1)
	s_mul_hi_u32 s9, s6, s5
	s_mul_i32 s7, s7, s5
	s_add_i32 s8, s9, s8
	s_mul_i32 s6, s6, s5
	s_add_i32 s8, s8, s7
	s_mul_hi_u32 s9, s4, s6
	s_mul_i32 s10, s4, s6
	s_mul_hi_u32 s6, s5, s6
	s_mul_hi_u32 s11, s5, s8
	s_mul_i32 s5, s5, s8
	s_mul_hi_u32 s7, s4, s8
	s_add_u32 s5, s6, s5
	s_addc_u32 s6, 0, s11
	s_add_u32 s5, s5, s10
	s_mul_i32 s8, s4, s8
	s_addc_u32 s5, s6, s9
	s_addc_u32 s6, s7, 0
	s_add_u32 s5, s5, s8
	s_addc_u32 s6, 0, s6
	v_add_co_u32 v2, s5, v2, s5
	s_delay_alu instid0(VALU_DEP_1) | instskip(SKIP_2) | instid1(VALU_DEP_1)
	s_cmp_lg_u32 s5, 0
	s_addc_u32 s8, s4, s6
	s_ashr_i32 s6, s25, 31
	v_readfirstlane_b32 s9, v2
	s_add_u32 s4, s24, s6
	s_mov_b32 s7, s6
	s_addc_u32 s5, s25, s6
	s_delay_alu instid0(SALU_CYCLE_1) | instskip(NEXT) | instid1(SALU_CYCLE_1)
	s_xor_b64 s[4:5], s[4:5], s[6:7]
	s_mul_i32 s10, s4, s8
	s_mul_hi_u32 s11, s4, s9
	s_mul_hi_u32 s7, s4, s8
	;; [unrolled: 1-line block ×3, first 2 shown]
	s_mul_i32 s9, s5, s9
	s_add_u32 s10, s11, s10
	s_addc_u32 s7, 0, s7
	s_mul_hi_u32 s12, s5, s8
	s_add_u32 s9, s10, s9
	s_mul_i32 s8, s5, s8
	s_addc_u32 s7, s7, s13
	s_addc_u32 s9, s12, 0
	s_add_u32 s7, s7, s8
	s_addc_u32 s8, 0, s9
	s_mul_hi_u32 s9, s48, s7
	s_mul_i32 s7, s48, s7
	s_mul_i32 s8, s48, s8
	v_sub_co_u32 v2, s4, s4, s7
	s_add_i32 s9, s9, s8
	s_cmp_lg_u32 s4, 0
	s_delay_alu instid0(VALU_DEP_1) | instskip(SKIP_2) | instid1(VALU_DEP_1)
	v_sub_co_u32 v3, s4, v2, s48
	s_subb_u32 s5, s5, s9
	s_cmp_lg_u32 s4, 0
	v_cmp_le_u32_e32 vcc_lo, s48, v3
	v_sub_co_u32 v5, s4, v3, s48
	s_subb_u32 s7, s5, 0
	s_cmp_lg_u32 s4, 0
	v_cndmask_b32_e64 v6, 0, -1, vcc_lo
	s_subb_u32 s4, s7, 0
	s_cmp_eq_u32 s7, 0
	v_mov_b32_e32 v8, s4
	s_cselect_b32 vcc_lo, -1, 0
	s_cmp_eq_u32 s5, 0
	v_cndmask_b32_e32 v6, -1, v6, vcc_lo
	v_cmp_le_u32_e32 vcc_lo, s48, v2
	s_cselect_b32 s4, -1, 0
	v_cndmask_b32_e64 v7, 0, -1, vcc_lo
	s_delay_alu instid0(VALU_DEP_3) | instskip(NEXT) | instid1(VALU_DEP_2)
	v_cmp_ne_u32_e32 vcc_lo, 0, v6
	v_cndmask_b32_e64 v6, -1, v7, s4
	v_cndmask_b32_e32 v7, s7, v8, vcc_lo
	v_cndmask_b32_e32 v3, v3, v5, vcc_lo
	s_delay_alu instid0(VALU_DEP_3) | instskip(NEXT) | instid1(VALU_DEP_2)
	v_cmp_ne_u32_e32 vcc_lo, 0, v6
	v_cndmask_b32_e32 v2, v2, v3, vcc_lo
	s_delay_alu instid0(VALU_DEP_4) | instskip(NEXT) | instid1(VALU_DEP_2)
	v_cndmask_b32_e32 v5, s5, v7, vcc_lo
	v_xor_b32_e32 v2, s6, v2
	s_delay_alu instid0(VALU_DEP_2) | instskip(NEXT) | instid1(VALU_DEP_2)
	v_xor_b32_e32 v3, s6, v5
	v_sub_co_u32 v25, vcc_lo, v2, s6
	s_delay_alu instid0(VALU_DEP_2)
	v_subrev_co_ci_u32_e32 v26, vcc_lo, s6, v3, vcc_lo
	s_cbranch_execnz .LBB15_68
.LBB15_67:                              ;   in Loop: Header=BB15_33 Depth=1
	v_cvt_f32_u32_e32 v2, s48
	s_sub_i32 s4, 0, s48
	s_delay_alu instid0(VALU_DEP_1) | instskip(SKIP_2) | instid1(VALU_DEP_1)
	v_rcp_iflag_f32_e32 v2, v2
	s_waitcnt_depctr 0xfff
	v_mul_f32_e32 v2, 0x4f7ffffe, v2
	v_cvt_u32_f32_e32 v2, v2
	s_delay_alu instid0(VALU_DEP_1) | instskip(NEXT) | instid1(VALU_DEP_1)
	v_mul_lo_u32 v3, s4, v2
	v_mul_hi_u32 v3, v2, v3
	s_delay_alu instid0(VALU_DEP_1) | instskip(NEXT) | instid1(VALU_DEP_1)
	v_add_nc_u32_e32 v2, v2, v3
	v_mul_hi_u32 v2, s24, v2
	s_delay_alu instid0(VALU_DEP_1) | instskip(NEXT) | instid1(VALU_DEP_1)
	v_mul_lo_u32 v2, v2, s48
	v_sub_nc_u32_e32 v2, s24, v2
	s_delay_alu instid0(VALU_DEP_1) | instskip(SKIP_1) | instid1(VALU_DEP_2)
	v_subrev_nc_u32_e32 v3, s48, v2
	v_cmp_le_u32_e32 vcc_lo, s48, v2
	v_cndmask_b32_e32 v2, v2, v3, vcc_lo
	s_delay_alu instid0(VALU_DEP_1) | instskip(SKIP_1) | instid1(VALU_DEP_2)
	v_subrev_nc_u32_e32 v3, s48, v2
	v_cmp_le_u32_e32 vcc_lo, s48, v2
	v_cndmask_b32_e32 v12, v2, v3, vcc_lo
	s_delay_alu instid0(VALU_DEP_1)
	v_dual_mov_b32 v26, v13 :: v_dual_mov_b32 v25, v12
.LBB15_68:                              ;   in Loop: Header=BB15_33 Depth=1
	v_mov_b32_e32 v2, 0
	v_dual_mov_b32 v3, 0 :: v_dual_and_b32 v12, 0xffff, v4
	s_delay_alu instid0(VALU_DEP_3) | instskip(NEXT) | instid1(VALU_DEP_4)
	v_sub_co_u32 v27, vcc_lo, s24, v25
	v_sub_co_ci_u32_e32 v28, vcc_lo, s25, v26, vcc_lo
	s_delay_alu instid0(VALU_DEP_3)
	v_dual_mov_b32 v5, v3 :: v_dual_mov_b32 v4, v2
	v_dual_mov_b32 v7, v3 :: v_dual_mov_b32 v6, v2
	;; [unrolled: 1-line block ×3, first 2 shown]
	s_mov_b64 s[62:63], 0
	s_mov_b32 s52, exec_lo
	v_cmpx_gt_i64_e64 v[27:28], v[16:17]
	s_cbranch_execz .LBB15_72
; %bb.69:                               ;   in Loop: Header=BB15_33 Depth=1
	v_mul_lo_u32 v2, s59, v12
	v_mul_hi_u32 v3, s58, v12
	v_mul_lo_u32 v42, s58, v12
	v_dual_mov_b32 v29, s50 :: v_dual_mov_b32 v30, s51
	s_and_b32 s61, s82, 0xfe
	s_mov_b32 s93, 0
	s_mov_b64 s[64:65], 0
	s_delay_alu instid0(VALU_DEP_3)
	v_dual_mov_b32 v32, v17 :: v_dual_add_nc_u32 v43, v3, v2
	v_mov_b32_e32 v31, v16
	s_mov_b64 s[66:67], 0
	s_mov_b64 s[68:69], 0
.LBB15_70:                              ;   Parent Loop BB15_33 Depth=1
                                        ; =>  This Inner Loop Header: Depth=2
	v_add_co_u32 v2, vcc_lo, v29, v23
	v_add_co_ci_u32_e32 v3, vcc_lo, v30, v24, vcc_lo
	v_add_co_u32 v4, vcc_lo, v29, v22
	v_add_co_ci_u32_e32 v5, vcc_lo, v30, v36, vcc_lo
	;; [unrolled: 2-line block ×4, first 2 shown]
	s_clause 0x3
	global_load_i8 v2, v[2:3], off
	global_load_i8 v3, v[4:5], off
	;; [unrolled: 1-line block ×4, first 2 shown]
	v_add_co_u32 v31, vcc_lo, v31, s48
	v_add_co_ci_u32_e32 v32, vcc_lo, 0, v32, vcc_lo
	v_add_co_u32 v29, vcc_lo, v29, v42
	v_add_co_ci_u32_e32 v30, vcc_lo, v30, v43, vcc_lo
	s_delay_alu instid0(VALU_DEP_3)
	v_cmp_ge_i64_e32 vcc_lo, v[31:32], v[27:28]
	s_waitcnt vmcnt(3)
	v_add_nc_u32_e32 v2, 0x80, v2
	s_waitcnt vmcnt(2)
	v_add_nc_u32_e32 v3, 0x80, v3
	;; [unrolled: 2-line block ×4, first 2 shown]
	v_and_b32_e32 v6, s91, v2
	v_bfe_u32 v2, v2, s61, 2
	v_and_b32_e32 v7, s91, v3
	v_bfe_u32 v3, v3, s61, 2
	v_and_b32_e32 v8, s91, v4
	v_bfe_u32 v4, v4, s61, 2
	v_cmp_eq_u32_e64 s4, s92, v6
	v_cmp_eq_u32_e64 s8, 0, v2
	v_and_b32_e32 v9, s91, v5
	v_bfe_u32 v5, v5, s61, 2
	v_cmp_eq_u32_e64 s5, s92, v7
	v_cmp_eq_u32_e64 s9, 0, v3
	;; [unrolled: 1-line block ×4, first 2 shown]
	s_and_b32 s8, s4, s8
	v_cmp_eq_u32_e64 s7, s92, v9
	v_cmp_eq_u32_e64 s11, 0, v5
	;; [unrolled: 1-line block ×5, first 2 shown]
	v_cndmask_b32_e64 v2, 0, 1, s8
	s_and_b32 s8, s5, s9
	v_cmp_eq_u32_e64 s13, 1, v3
	v_cmp_eq_u32_e64 s17, 2, v3
	v_cmp_eq_u32_e64 s21, 3, v3
	v_cndmask_b32_e64 v3, 0, 1, s8
	s_and_b32 s8, s6, s10
	v_cmp_eq_u32_e64 s14, 1, v4
	v_cmp_eq_u32_e64 s18, 2, v4
	v_cmp_eq_u32_e64 s22, 3, v4
	;; [unrolled: 5-line block ×3, first 2 shown]
	v_cndmask_b32_e64 v5, 0, 1, s8
	v_cmp_ne_u32_e64 s8, 0, v2
	v_cmp_ne_u32_e64 s9, 0, v3
	;; [unrolled: 1-line block ×3, first 2 shown]
	s_delay_alu instid0(VALU_DEP_4) | instskip(NEXT) | instid1(VALU_DEP_4)
	v_cmp_ne_u32_e64 s11, 0, v5
	s_bcnt1_i32_b32 s8, s8
	s_delay_alu instid0(VALU_DEP_3) | instskip(NEXT) | instid1(VALU_DEP_2)
	s_bcnt1_i32_b32 s9, s9
	s_bcnt1_i32_b32 s10, s10
	s_add_i32 s8, s9, s8
	s_bcnt1_i32_b32 s11, s11
	s_add_i32 s8, s8, s10
	s_delay_alu instid0(SALU_CYCLE_1) | instskip(NEXT) | instid1(SALU_CYCLE_1)
	s_add_i32 s8, s8, s11
	s_add_u32 s68, s68, s8
	s_addc_u32 s69, s69, 0
	s_and_b32 s8, s4, s12
	s_delay_alu instid0(SALU_CYCLE_1) | instskip(SKIP_1) | instid1(SALU_CYCLE_1)
	v_cndmask_b32_e64 v2, 0, 1, s8
	s_and_b32 s8, s5, s13
	v_cndmask_b32_e64 v3, 0, 1, s8
	s_and_b32 s8, s6, s14
	s_delay_alu instid0(SALU_CYCLE_1) | instskip(SKIP_1) | instid1(VALU_DEP_2)
	v_cndmask_b32_e64 v4, 0, 1, s8
	s_and_b32 s8, s7, s15
	v_cmp_ne_u32_e64 s9, 0, v3
	v_cndmask_b32_e64 v5, 0, 1, s8
	v_cmp_ne_u32_e64 s8, 0, v2
	v_cmp_ne_u32_e64 s10, 0, v4
	s_delay_alu instid0(VALU_DEP_4) | instskip(NEXT) | instid1(VALU_DEP_3)
	s_bcnt1_i32_b32 s9, s9
	v_cmp_ne_u32_e64 s11, 0, v5
	s_delay_alu instid0(VALU_DEP_3) | instskip(NEXT) | instid1(VALU_DEP_2)
	s_bcnt1_i32_b32 s8, s8
	s_bcnt1_i32_b32 s10, s10
	s_add_i32 s8, s9, s8
	s_delay_alu instid0(VALU_DEP_1) | instskip(SKIP_1) | instid1(SALU_CYCLE_1)
	s_bcnt1_i32_b32 s11, s11
	s_add_i32 s8, s8, s10
	s_add_i32 s8, s8, s11
	s_delay_alu instid0(SALU_CYCLE_1) | instskip(SKIP_2) | instid1(SALU_CYCLE_1)
	s_add_u32 s66, s66, s8
	s_addc_u32 s67, s67, 0
	s_and_b32 s8, s4, s16
	v_cndmask_b32_e64 v2, 0, 1, s8
	s_and_b32 s8, s5, s17
	s_delay_alu instid0(SALU_CYCLE_1) | instskip(SKIP_1) | instid1(SALU_CYCLE_1)
	v_cndmask_b32_e64 v3, 0, 1, s8
	s_and_b32 s8, s6, s18
	v_cndmask_b32_e64 v4, 0, 1, s8
	s_and_b32 s8, s7, s19
	s_delay_alu instid0(VALU_DEP_2) | instskip(SKIP_3) | instid1(VALU_DEP_4)
	v_cmp_ne_u32_e64 s9, 0, v3
	v_cndmask_b32_e64 v5, 0, 1, s8
	v_cmp_ne_u32_e64 s8, 0, v2
	v_cmp_ne_u32_e64 s10, 0, v4
	s_bcnt1_i32_b32 s9, s9
	s_delay_alu instid0(VALU_DEP_3) | instskip(NEXT) | instid1(VALU_DEP_3)
	v_cmp_ne_u32_e64 s11, 0, v5
	s_bcnt1_i32_b32 s8, s8
	s_delay_alu instid0(VALU_DEP_2) | instskip(SKIP_1) | instid1(VALU_DEP_1)
	s_bcnt1_i32_b32 s10, s10
	s_add_i32 s8, s9, s8
	s_bcnt1_i32_b32 s11, s11
	s_add_i32 s8, s8, s10
	s_delay_alu instid0(SALU_CYCLE_1) | instskip(NEXT) | instid1(SALU_CYCLE_1)
	s_add_i32 s8, s8, s11
	s_add_u32 s64, s64, s8
	s_addc_u32 s65, s65, 0
	v_mov_b32_e32 v6, s64
	s_and_b32 s4, s4, s20
	v_mov_b32_e32 v7, s65
	v_cndmask_b32_e64 v2, 0, 1, s4
	s_and_b32 s4, s5, s21
	s_delay_alu instid0(SALU_CYCLE_1) | instskip(SKIP_1) | instid1(SALU_CYCLE_1)
	v_cndmask_b32_e64 v3, 0, 1, s4
	s_and_b32 s4, s6, s22
	v_cndmask_b32_e64 v4, 0, 1, s4
	s_and_b32 s4, s7, s23
	s_delay_alu instid0(VALU_DEP_2)
	v_cmp_ne_u32_e64 s5, 0, v3
	v_cndmask_b32_e64 v5, 0, 1, s4
	v_cmp_ne_u32_e64 s4, 0, v2
	v_cmp_ne_u32_e64 s6, 0, v4
	v_mov_b32_e32 v2, s68
	s_bcnt1_i32_b32 s5, s5
	v_cmp_ne_u32_e64 s7, 0, v5
	s_bcnt1_i32_b32 s4, s4
	s_bcnt1_i32_b32 s6, s6
	s_add_i32 s4, s5, s4
	v_mov_b32_e32 v4, s66
	s_bcnt1_i32_b32 s5, s7
	s_add_i32 s4, s4, s6
	v_mov_b32_e32 v3, s69
	s_add_i32 s4, s4, s5
	v_mov_b32_e32 v5, s67
	s_add_u32 s62, s62, s4
	s_addc_u32 s63, s63, 0
	s_delay_alu instid0(SALU_CYCLE_1) | instskip(SKIP_1) | instid1(SALU_CYCLE_1)
	v_dual_mov_b32 v8, s62 :: v_dual_mov_b32 v9, s63
	s_or_b32 s93, vcc_lo, s93
	s_and_not1_b32 exec_lo, exec_lo, s93
	s_cbranch_execnz .LBB15_70
; %bb.71:                               ;   in Loop: Header=BB15_33 Depth=1
	s_or_b32 exec_lo, exec_lo, s93
.LBB15_72:                              ;   in Loop: Header=BB15_33 Depth=1
	s_delay_alu instid0(SALU_CYCLE_1) | instskip(SKIP_3) | instid1(VALU_DEP_2)
	s_or_b32 exec_lo, exec_lo, s52
	v_add_co_u32 v27, vcc_lo, v27, v0
	v_add_co_ci_u32_e32 v28, vcc_lo, 0, v28, vcc_lo
	v_mov_b32_e32 v31, 0
	v_cmp_gt_i64_e32 vcc_lo, s[24:25], v[27:28]
	s_and_saveexec_b32 s4, vcc_lo
	s_cbranch_execz .LBB15_74
; %bb.73:                               ;   in Loop: Header=BB15_33 Depth=1
	v_mad_u64_u32 v[29:30], null, v27, s30, s[50:51]
	v_mul_lo_u32 v31, v27, s31
	v_mul_lo_u32 v32, v28, s30
	s_delay_alu instid0(VALU_DEP_1)
	v_add3_u32 v30, v32, v30, v31
	global_load_u8 v31, v[29:30], off
.LBB15_74:                              ;   in Loop: Header=BB15_33 Depth=1
	s_or_b32 exec_lo, exec_lo, s4
	s_and_saveexec_b32 s8, vcc_lo
	s_cbranch_execz .LBB15_81
; %bb.75:                               ;   in Loop: Header=BB15_33 Depth=1
	v_add_co_u32 v29, vcc_lo, v37, v12
	v_add_co_ci_u32_e32 v30, vcc_lo, 0, v38, vcc_lo
	v_mul_lo_u32 v42, s31, v12
	s_delay_alu instid0(VALU_DEP_3) | instskip(NEXT) | instid1(VALU_DEP_3)
	v_sub_co_u32 v29, vcc_lo, v29, v25
	v_sub_co_ci_u32_e32 v25, vcc_lo, v30, v26, vcc_lo
	v_mul_hi_u32 v43, s30, v12
	s_delay_alu instid0(VALU_DEP_3) | instskip(SKIP_1) | instid1(VALU_DEP_3)
	v_mul_lo_u32 v32, s31, v29
	s_and_b32 s10, s82, 0xfe
	v_mul_lo_u32 v30, s30, v25
	v_mad_u64_u32 v[25:26], null, s30, v29, s[56:57]
	v_mul_lo_u32 v29, s30, v12
	s_mov_b32 s9, 0
	s_delay_alu instid0(VALU_DEP_2)
	v_add3_u32 v26, v32, v26, v30
	v_add_nc_u32_e32 v30, v43, v42
	s_branch .LBB15_77
.LBB15_76:                              ;   in Loop: Header=BB15_77 Depth=2
	s_or_b32 exec_lo, exec_lo, s5
	s_waitcnt vmcnt(0)
	v_bfe_i32 v31, v31, 0, 8
	s_and_b32 s6, exec_lo, vcc_lo
	s_delay_alu instid0(SALU_CYCLE_1) | instskip(NEXT) | instid1(VALU_DEP_1)
	s_or_b32 s9, s6, s9
	v_add_nc_u32_e32 v31, 0x80, v31
	s_delay_alu instid0(VALU_DEP_1) | instskip(SKIP_1) | instid1(VALU_DEP_2)
	v_and_b32_e32 v42, s91, v31
	v_bfe_u32 v31, v31, s10, 2
	v_cmp_eq_u32_e64 s4, s92, v42
	s_delay_alu instid0(VALU_DEP_2) | instskip(SKIP_2) | instid1(VALU_DEP_3)
	v_cmp_eq_u32_e64 s5, 0, v31
	v_cmp_eq_u32_e32 vcc_lo, 1, v31
	v_cmp_eq_u32_e64 s6, 2, v31
	s_and_b32 s5, s4, s5
	s_delay_alu instid0(SALU_CYCLE_1) | instskip(SKIP_4) | instid1(SALU_CYCLE_1)
	v_cndmask_b32_e64 v42, 0, 1, s5
	s_and_b32 s5, s4, vcc_lo
	v_cmp_eq_u32_e32 vcc_lo, 3, v31
	v_cndmask_b32_e64 v43, 0, 1, s5
	s_and_b32 s5, s4, s6
	v_cndmask_b32_e64 v44, 0, 1, s5
	v_cmp_ne_u32_e64 s5, 0, v42
	s_delay_alu instid0(VALU_DEP_3) | instskip(SKIP_1) | instid1(SALU_CYCLE_1)
	v_cmp_ne_u32_e64 s6, 0, v43
	s_and_b32 s4, s4, vcc_lo
	v_cndmask_b32_e64 v31, 0, 1, s4
	s_delay_alu instid0(VALU_DEP_3)
	s_bcnt1_i32_b32 s4, s5
	v_cmp_ne_u32_e64 s7, 0, v44
	v_add_co_u32 v2, vcc_lo, v2, s4
	s_bcnt1_i32_b32 s5, s6
	v_add_co_ci_u32_e32 v3, vcc_lo, 0, v3, vcc_lo
	v_add_co_u32 v4, vcc_lo, v4, s5
	v_add_co_ci_u32_e32 v5, vcc_lo, 0, v5, vcc_lo
	s_bcnt1_i32_b32 s6, s7
	v_cmp_ne_u32_e32 vcc_lo, 0, v31
	v_mov_b32_e32 v31, v32
	v_add_co_u32 v6, s4, v6, s6
	s_delay_alu instid0(VALU_DEP_1) | instskip(SKIP_1) | instid1(SALU_CYCLE_1)
	v_add_co_ci_u32_e64 v7, s4, 0, v7, s4
	s_bcnt1_i32_b32 s4, vcc_lo
	v_add_co_u32 v8, vcc_lo, v8, s4
	v_add_co_ci_u32_e32 v9, vcc_lo, 0, v9, vcc_lo
	v_add_co_u32 v25, vcc_lo, v25, v29
	v_add_co_ci_u32_e32 v26, vcc_lo, v26, v30, vcc_lo
	s_and_not1_b32 exec_lo, exec_lo, s9
	s_cbranch_execz .LBB15_80
.LBB15_77:                              ;   Parent Loop BB15_33 Depth=1
                                        ; =>  This Inner Loop Header: Depth=2
	v_add_co_u32 v27, vcc_lo, v27, v12
	v_add_co_ci_u32_e32 v28, vcc_lo, 0, v28, vcc_lo
	v_mov_b32_e32 v32, 0
	s_mov_b32 s5, exec_lo
	s_delay_alu instid0(VALU_DEP_2)
	v_cmp_le_i64_e32 vcc_lo, s[24:25], v[27:28]
	v_cmpx_gt_i64_e64 s[24:25], v[27:28]
	s_cbranch_execz .LBB15_76
; %bb.78:                               ;   in Loop: Header=BB15_77 Depth=2
	global_load_u8 v32, v[25:26], off
	s_branch .LBB15_76
.LBB15_79:                              ;   in Loop: Header=BB15_33 Depth=1
                                        ; implicit-def: $vgpr8_vgpr9
                                        ; implicit-def: $vgpr4_vgpr5
	s_cbranch_execnz .LBB15_82
	s_branch .LBB15_91
.LBB15_80:                              ;   in Loop: Header=BB15_33 Depth=1
	s_or_b32 exec_lo, exec_lo, s9
.LBB15_81:                              ;   in Loop: Header=BB15_33 Depth=1
	s_delay_alu instid0(SALU_CYCLE_1)
	s_or_b32 exec_lo, exec_lo, s8
	s_branch .LBB15_91
.LBB15_82:                              ;   in Loop: Header=BB15_33 Depth=1
	global_load_u16 v12, v13, s[54:55]
	s_mov_b64 s[62:63], 0
	s_mov_b32 s61, exec_lo
	s_waitcnt vmcnt(0)
	v_readfirstlane_b32 s4, v12
	s_delay_alu instid0(VALU_DEP_1) | instskip(NEXT) | instid1(SALU_CYCLE_1)
	s_and_b32 s4, 0xffff, s4
	s_lshl_b32 s52, s4, 2
	s_delay_alu instid0(SALU_CYCLE_1) | instskip(SKIP_1) | instid1(VALU_DEP_1)
	v_cvt_f32_u32_e32 v2, s52
	s_sub_i32 s5, 0, s52
	v_rcp_iflag_f32_e32 v2, v2
	s_waitcnt_depctr 0xfff
	v_mul_f32_e32 v2, 0x4f7ffffe, v2
	s_delay_alu instid0(VALU_DEP_1) | instskip(NEXT) | instid1(VALU_DEP_1)
	v_cvt_u32_f32_e32 v2, v2
	v_readfirstlane_b32 s4, v2
	v_mov_b32_e32 v2, 0
	v_mov_b32_e32 v3, 0
	s_delay_alu instid0(VALU_DEP_3) | instskip(NEXT) | instid1(VALU_DEP_1)
	s_mul_i32 s5, s5, s4
	v_dual_mov_b32 v5, v3 :: v_dual_mov_b32 v4, v2
	s_mul_hi_u32 s5, s4, s5
	v_dual_mov_b32 v7, v3 :: v_dual_mov_b32 v6, v2
	s_add_i32 s4, s4, s5
	v_dual_mov_b32 v9, v3 :: v_dual_mov_b32 v8, v2
	s_mul_hi_u32 s4, s60, s4
	s_delay_alu instid0(SALU_CYCLE_1) | instskip(NEXT) | instid1(SALU_CYCLE_1)
	s_mul_i32 s4, s4, s52
	s_sub_i32 s4, s60, s4
	s_delay_alu instid0(SALU_CYCLE_1) | instskip(SKIP_2) | instid1(SALU_CYCLE_1)
	s_sub_i32 s5, s4, s52
	s_cmp_ge_u32 s4, s52
	s_cselect_b32 s4, s5, s4
	s_sub_i32 s5, s4, s52
	s_cmp_ge_u32 s4, s52
	s_cselect_b32 s4, s5, s4
	s_delay_alu instid0(SALU_CYCLE_1) | instskip(NEXT) | instid1(SALU_CYCLE_1)
	s_sub_i32 s48, s60, s4
	v_cmpx_gt_u32_e64 s48, v16
	s_cbranch_execz .LBB15_86
; %bb.83:                               ;   in Loop: Header=BB15_33 Depth=1
	v_dual_mov_b32 v27, v16 :: v_dual_mov_b32 v26, v17
	v_mov_b32_e32 v25, v16
	s_and_b32 s94, s82, 0xfe
	s_mov_b32 s93, 0
	s_mov_b64 s[64:65], 0
	s_mov_b64 s[66:67], 0
	;; [unrolled: 1-line block ×3, first 2 shown]
.LBB15_84:                              ;   Parent Loop BB15_33 Depth=1
                                        ; =>  This Inner Loop Header: Depth=2
	ds_load_b32 v2, v27
	v_add_co_u32 v25, vcc_lo, v25, s52
	v_add_co_ci_u32_e32 v26, vcc_lo, 0, v26, vcc_lo
	s_delay_alu instid0(VALU_DEP_1)
	v_cmp_le_u64_e32 vcc_lo, s[48:49], v[25:26]
	s_waitcnt lgkmcnt(0)
	v_bfe_i32 v3, v2, 0, 8
	v_bfe_i32 v4, v2, 8, 8
	;; [unrolled: 1-line block ×3, first 2 shown]
	v_ashrrev_i32_e32 v2, 24, v2
	s_delay_alu instid0(VALU_DEP_4) | instskip(NEXT) | instid1(VALU_DEP_4)
	v_add_nc_u32_e32 v3, 0x80, v3
	v_add_nc_u32_e32 v4, 0x80, v4
	s_delay_alu instid0(VALU_DEP_4) | instskip(NEXT) | instid1(VALU_DEP_4)
	v_add_nc_u32_e32 v5, 0x80, v5
	v_add_nc_u32_e32 v2, 0x80, v2
	s_delay_alu instid0(VALU_DEP_4)
	v_and_b32_e32 v6, s91, v3
	v_bfe_u32 v3, v3, s94, 2
	v_and_b32_e32 v7, s91, v4
	v_bfe_u32 v4, v4, s94, 2
	;; [unrolled: 2-line block ×3, first 2 shown]
	v_cmp_eq_u32_e64 s4, s92, v6
	v_cmp_eq_u32_e64 s8, 0, v3
	v_and_b32_e32 v9, s91, v2
	v_bfe_u32 v2, v2, s94, 2
	v_cmp_eq_u32_e64 s5, s92, v7
	v_cmp_eq_u32_e64 s9, 0, v4
	;; [unrolled: 1-line block ×4, first 2 shown]
	s_and_b32 s8, s4, s8
	v_cmp_eq_u32_e64 s7, s92, v9
	v_cmp_eq_u32_e64 s11, 0, v2
	;; [unrolled: 1-line block ×5, first 2 shown]
	v_cndmask_b32_e64 v2, 0, 1, s8
	s_and_b32 s8, s5, s9
	v_cmp_eq_u32_e64 s12, 1, v3
	v_cmp_eq_u32_e64 s16, 2, v3
	v_cmp_eq_u32_e64 s20, 3, v3
	v_cndmask_b32_e64 v3, 0, 1, s8
	s_and_b32 s8, s6, s10
	v_cmp_eq_u32_e64 s13, 1, v4
	v_cmp_eq_u32_e64 s17, 2, v4
	v_cmp_eq_u32_e64 s21, 3, v4
	;; [unrolled: 5-line block ×3, first 2 shown]
	v_cndmask_b32_e64 v5, 0, 1, s8
	v_cmp_ne_u32_e64 s8, 0, v2
	v_cmp_ne_u32_e64 s9, 0, v3
	;; [unrolled: 1-line block ×3, first 2 shown]
	s_delay_alu instid0(VALU_DEP_4) | instskip(NEXT) | instid1(VALU_DEP_4)
	v_cmp_ne_u32_e64 s11, 0, v5
	s_bcnt1_i32_b32 s8, s8
	s_delay_alu instid0(VALU_DEP_3) | instskip(NEXT) | instid1(VALU_DEP_2)
	s_bcnt1_i32_b32 s9, s9
	s_bcnt1_i32_b32 s10, s10
	s_add_i32 s8, s9, s8
	s_bcnt1_i32_b32 s11, s11
	s_add_i32 s8, s8, s10
	s_delay_alu instid0(SALU_CYCLE_1) | instskip(NEXT) | instid1(SALU_CYCLE_1)
	s_add_i32 s8, s8, s11
	s_add_u32 s68, s68, s8
	s_addc_u32 s69, s69, 0
	s_and_b32 s8, s4, s12
	v_add_nc_u32_e32 v27, s52, v27
	v_cndmask_b32_e64 v2, 0, 1, s8
	s_and_b32 s8, s5, s13
	s_delay_alu instid0(SALU_CYCLE_1) | instskip(SKIP_1) | instid1(SALU_CYCLE_1)
	v_cndmask_b32_e64 v3, 0, 1, s8
	s_and_b32 s8, s6, s14
	v_cndmask_b32_e64 v4, 0, 1, s8
	s_and_b32 s8, s7, s15
	s_delay_alu instid0(VALU_DEP_2) | instskip(SKIP_3) | instid1(VALU_DEP_4)
	v_cmp_ne_u32_e64 s9, 0, v3
	v_cndmask_b32_e64 v5, 0, 1, s8
	v_cmp_ne_u32_e64 s8, 0, v2
	v_cmp_ne_u32_e64 s10, 0, v4
	s_bcnt1_i32_b32 s9, s9
	s_delay_alu instid0(VALU_DEP_3) | instskip(NEXT) | instid1(VALU_DEP_3)
	v_cmp_ne_u32_e64 s11, 0, v5
	s_bcnt1_i32_b32 s8, s8
	s_delay_alu instid0(VALU_DEP_2) | instskip(SKIP_1) | instid1(VALU_DEP_1)
	s_bcnt1_i32_b32 s10, s10
	s_add_i32 s8, s9, s8
	s_bcnt1_i32_b32 s11, s11
	s_add_i32 s8, s8, s10
	s_delay_alu instid0(SALU_CYCLE_1) | instskip(NEXT) | instid1(SALU_CYCLE_1)
	s_add_i32 s8, s8, s11
	s_add_u32 s66, s66, s8
	s_addc_u32 s67, s67, 0
	s_and_b32 s8, s4, s16
	s_delay_alu instid0(SALU_CYCLE_1) | instskip(SKIP_1) | instid1(SALU_CYCLE_1)
	v_cndmask_b32_e64 v2, 0, 1, s8
	s_and_b32 s8, s5, s17
	v_cndmask_b32_e64 v3, 0, 1, s8
	s_and_b32 s8, s6, s18
	s_delay_alu instid0(SALU_CYCLE_1) | instskip(SKIP_1) | instid1(VALU_DEP_2)
	v_cndmask_b32_e64 v4, 0, 1, s8
	s_and_b32 s8, s7, s19
	v_cmp_ne_u32_e64 s9, 0, v3
	v_cndmask_b32_e64 v5, 0, 1, s8
	v_cmp_ne_u32_e64 s8, 0, v2
	v_cmp_ne_u32_e64 s10, 0, v4
	s_delay_alu instid0(VALU_DEP_4) | instskip(NEXT) | instid1(VALU_DEP_3)
	s_bcnt1_i32_b32 s9, s9
	v_cmp_ne_u32_e64 s11, 0, v5
	s_delay_alu instid0(VALU_DEP_3) | instskip(NEXT) | instid1(VALU_DEP_2)
	s_bcnt1_i32_b32 s8, s8
	s_bcnt1_i32_b32 s10, s10
	s_add_i32 s8, s9, s8
	s_delay_alu instid0(VALU_DEP_1) | instskip(SKIP_1) | instid1(SALU_CYCLE_1)
	s_bcnt1_i32_b32 s11, s11
	s_add_i32 s8, s8, s10
	s_add_i32 s8, s8, s11
	s_delay_alu instid0(SALU_CYCLE_1)
	s_add_u32 s64, s64, s8
	s_addc_u32 s65, s65, 0
	s_and_b32 s4, s4, s20
	v_mov_b32_e32 v6, s64
	v_cndmask_b32_e64 v2, 0, 1, s4
	s_and_b32 s4, s5, s21
	v_mov_b32_e32 v7, s65
	v_cndmask_b32_e64 v3, 0, 1, s4
	s_and_b32 s4, s6, s22
	s_delay_alu instid0(SALU_CYCLE_1) | instskip(SKIP_1) | instid1(VALU_DEP_2)
	v_cndmask_b32_e64 v4, 0, 1, s4
	s_and_b32 s4, s7, s23
	v_cmp_ne_u32_e64 s5, 0, v3
	v_cndmask_b32_e64 v5, 0, 1, s4
	v_cmp_ne_u32_e64 s4, 0, v2
	v_mov_b32_e32 v2, s68
	v_cmp_ne_u32_e64 s6, 0, v4
	s_bcnt1_i32_b32 s5, s5
	v_cmp_ne_u32_e64 s7, 0, v5
	s_bcnt1_i32_b32 s4, s4
	v_mov_b32_e32 v4, s66
	s_bcnt1_i32_b32 s6, s6
	s_add_i32 s4, s5, s4
	s_bcnt1_i32_b32 s5, s7
	s_add_i32 s4, s4, s6
	v_mov_b32_e32 v3, s69
	s_add_i32 s4, s4, s5
	v_mov_b32_e32 v5, s67
	s_add_u32 s62, s62, s4
	s_addc_u32 s63, s63, 0
	s_delay_alu instid0(SALU_CYCLE_1) | instskip(SKIP_1) | instid1(SALU_CYCLE_1)
	v_dual_mov_b32 v8, s62 :: v_dual_mov_b32 v9, s63
	s_or_b32 s93, vcc_lo, s93
	s_and_not1_b32 exec_lo, exec_lo, s93
	s_cbranch_execnz .LBB15_84
; %bb.85:                               ;   in Loop: Header=BB15_33 Depth=1
	s_or_b32 exec_lo, exec_lo, s93
.LBB15_86:                              ;   in Loop: Header=BB15_33 Depth=1
	s_delay_alu instid0(SALU_CYCLE_1) | instskip(SKIP_3) | instid1(VALU_DEP_1)
	s_or_b32 exec_lo, exec_lo, s61
	v_and_b32_e32 v27, 0xffff, v12
	v_add_nc_u32_e32 v12, s48, v0
	s_mov_b32 s9, exec_lo
	v_cmpx_gt_u32_e64 s60, v12
	s_cbranch_execz .LBB15_90
; %bb.87:                               ;   in Loop: Header=BB15_33 Depth=1
	v_dual_mov_b32 v26, v13 :: v_dual_mov_b32 v25, v12
	s_mov_b32 s11, 0
	s_and_b32 s10, s60, 0x7fffffff
	s_and_b32 s13, s82, 0xfe
	s_mov_b32 s12, s11
.LBB15_88:                              ;   Parent Loop BB15_33 Depth=1
                                        ; =>  This Inner Loop Header: Depth=2
	ds_load_i8 v28, v12
	v_add_co_u32 v25, vcc_lo, v25, v27
	v_add_co_ci_u32_e32 v26, vcc_lo, 0, v26, vcc_lo
	v_add_nc_u32_e32 v12, v12, v27
	s_delay_alu instid0(VALU_DEP_2) | instskip(SKIP_2) | instid1(VALU_DEP_1)
	v_cmp_le_u64_e32 vcc_lo, s[10:11], v[25:26]
	s_waitcnt lgkmcnt(0)
	v_add_nc_u32_e32 v28, 0x80, v28
	v_and_b32_e32 v29, s91, v28
	v_bfe_u32 v28, v28, s13, 2
	s_delay_alu instid0(VALU_DEP_2) | instskip(NEXT) | instid1(VALU_DEP_2)
	v_cmp_eq_u32_e64 s4, s92, v29
	v_cmp_eq_u32_e64 s5, 0, v28
	;; [unrolled: 1-line block ×5, first 2 shown]
	s_delay_alu instid0(VALU_DEP_4) | instskip(NEXT) | instid1(SALU_CYCLE_1)
	s_and_b32 s5, s4, s5
	v_cndmask_b32_e64 v28, 0, 1, s5
	s_and_b32 s5, s4, s6
	s_delay_alu instid0(SALU_CYCLE_1)
	v_cndmask_b32_e64 v29, 0, 1, s5
	s_and_b32 s5, s4, s7
	s_and_b32 s4, s4, s8
	v_cndmask_b32_e64 v30, 0, 1, s5
	v_cndmask_b32_e64 v31, 0, 1, s4
	v_cmp_ne_u32_e64 s4, 0, v28
	v_cmp_ne_u32_e64 s5, 0, v29
	s_delay_alu instid0(VALU_DEP_4) | instskip(NEXT) | instid1(VALU_DEP_4)
	v_cmp_ne_u32_e64 s6, 0, v30
	v_cmp_ne_u32_e64 s7, 0, v31
	s_delay_alu instid0(VALU_DEP_4) | instskip(NEXT) | instid1(VALU_DEP_3)
	s_bcnt1_i32_b32 s4, s4
	s_bcnt1_i32_b32 s5, s5
	v_add_co_u32 v2, s4, v2, s4
	s_delay_alu instid0(VALU_DEP_1)
	v_add_co_ci_u32_e64 v3, s4, 0, v3, s4
	v_add_co_u32 v4, s4, v4, s5
	s_bcnt1_i32_b32 s6, s6
	v_add_co_ci_u32_e64 v5, s4, 0, v5, s4
	v_add_co_u32 v6, s4, v6, s6
	s_bcnt1_i32_b32 s7, s7
	v_add_co_ci_u32_e64 v7, s4, 0, v7, s4
	v_add_co_u32 v8, s4, v8, s7
	s_delay_alu instid0(VALU_DEP_1) | instskip(SKIP_1) | instid1(SALU_CYCLE_1)
	v_add_co_ci_u32_e64 v9, s4, 0, v9, s4
	s_or_b32 s12, vcc_lo, s12
	s_and_not1_b32 exec_lo, exec_lo, s12
	s_cbranch_execnz .LBB15_88
; %bb.89:                               ;   in Loop: Header=BB15_33 Depth=1
	s_or_b32 exec_lo, exec_lo, s12
.LBB15_90:                              ;   in Loop: Header=BB15_33 Depth=1
	s_delay_alu instid0(SALU_CYCLE_1)
	s_or_b32 exec_lo, exec_lo, s9
.LBB15_91:                              ;   in Loop: Header=BB15_33 Depth=1
	s_lshl_b32 s4, s87, 7
	s_and_saveexec_b32 s5, s2
	s_cbranch_execz .LBB15_93
; %bb.92:                               ;   in Loop: Header=BB15_33 Depth=1
	v_or_b32_e32 v12, s4, v34
	s_delay_alu instid0(VALU_DEP_1)
	v_lshlrev_b32_e32 v12, 3, v12
	ds_store_b128 v12, v[2:5] offset:3072
	ds_store_b128 v12, v[6:9] offset:3088
.LBB15_93:                              ;   in Loop: Header=BB15_33 Depth=1
	s_or_b32 exec_lo, exec_lo, s5
	s_waitcnt vmcnt(0) lgkmcnt(0)
	s_barrier
	buffer_gl0_inv
	s_and_saveexec_b32 s5, s72
	s_cbranch_execz .LBB15_104
; %bb.94:                               ;   in Loop: Header=BB15_33 Depth=1
	v_mov_b32_e32 v2, 0
	v_mov_b32_e32 v3, 0
	s_and_not1_b32 vcc_lo, exec_lo, s77
	s_cbranch_vccnz .LBB15_103
; %bb.95:                               ;   in Loop: Header=BB15_33 Depth=1
	v_mov_b32_e32 v2, 0
	v_mov_b32_e32 v3, 0
	s_and_not1_b32 vcc_lo, exec_lo, s79
	s_cbranch_vccnz .LBB15_100
; %bb.96:                               ;   in Loop: Header=BB15_33 Depth=1
	v_lshl_add_u32 v4, s87, 10, v39
	s_mov_b32 s6, 0
	s_set_inst_prefetch_distance 0x1
	.p2align	6
.LBB15_97:                              ;   Parent Loop BB15_33 Depth=1
                                        ; =>  This Inner Loop Header: Depth=2
	ds_load_2addr_b64 v[5:8], v4 offset1:4
	ds_load_2addr_b64 v[25:28], v4 offset0:8 offset1:12
	ds_load_2addr_b64 v[29:32], v4 offset0:16 offset1:20
	s_add_i32 s6, s6, 8
	s_delay_alu instid0(SALU_CYCLE_1) | instskip(SKIP_3) | instid1(VALU_DEP_2)
	s_cmp_eq_u32 s80, s6
	s_waitcnt lgkmcnt(2)
	v_add_co_u32 v2, vcc_lo, v5, v2
	v_add_co_ci_u32_e32 v3, vcc_lo, v6, v3, vcc_lo
	v_add_co_u32 v2, vcc_lo, v7, v2
	s_delay_alu instid0(VALU_DEP_2)
	v_add_co_ci_u32_e32 v3, vcc_lo, v8, v3, vcc_lo
	ds_load_2addr_b64 v[5:8], v4 offset0:24 offset1:28
	s_waitcnt lgkmcnt(2)
	v_add_co_u32 v2, vcc_lo, v25, v2
	v_add_co_ci_u32_e32 v3, vcc_lo, v26, v3, vcc_lo
	v_add_nc_u32_e32 v4, 0x100, v4
	s_delay_alu instid0(VALU_DEP_3) | instskip(NEXT) | instid1(VALU_DEP_3)
	v_add_co_u32 v2, vcc_lo, v27, v2
	v_add_co_ci_u32_e32 v3, vcc_lo, v28, v3, vcc_lo
	s_waitcnt lgkmcnt(1)
	s_delay_alu instid0(VALU_DEP_2) | instskip(NEXT) | instid1(VALU_DEP_2)
	v_add_co_u32 v2, vcc_lo, v29, v2
	v_add_co_ci_u32_e32 v3, vcc_lo, v30, v3, vcc_lo
	s_delay_alu instid0(VALU_DEP_2) | instskip(NEXT) | instid1(VALU_DEP_2)
	v_add_co_u32 v2, vcc_lo, v31, v2
	v_add_co_ci_u32_e32 v3, vcc_lo, v32, v3, vcc_lo
	s_waitcnt lgkmcnt(0)
	s_delay_alu instid0(VALU_DEP_2) | instskip(NEXT) | instid1(VALU_DEP_2)
	v_add_co_u32 v2, vcc_lo, v5, v2
	v_add_co_ci_u32_e32 v3, vcc_lo, v6, v3, vcc_lo
	s_delay_alu instid0(VALU_DEP_2) | instskip(NEXT) | instid1(VALU_DEP_2)
	v_add_co_u32 v2, vcc_lo, v7, v2
	v_add_co_ci_u32_e32 v3, vcc_lo, v8, v3, vcc_lo
	s_cbranch_scc0 .LBB15_97
; %bb.98:                               ;   in Loop: Header=BB15_33 Depth=1
	s_set_inst_prefetch_distance 0x2
	s_mov_b32 s6, s80
	s_and_not1_b32 vcc_lo, exec_lo, s81
	s_cbranch_vccz .LBB15_101
	s_branch .LBB15_103
.LBB15_99:                              ;   in Loop: Header=BB15_33 Depth=1
                                        ; implicit-def: $vgpr25_vgpr26
	s_branch .LBB15_67
.LBB15_100:                             ;   in Loop: Header=BB15_33 Depth=1
	s_mov_b32 s6, 0
	s_and_not1_b32 vcc_lo, exec_lo, s81
	s_cbranch_vccnz .LBB15_103
.LBB15_101:                             ;   in Loop: Header=BB15_33 Depth=1
	s_lshl_b32 s7, s87, 10
	s_lshl_b32 s6, s6, 5
	s_delay_alu instid0(SALU_CYCLE_1)
	v_add3_u32 v4, s7, s6, v39
	s_mov_b32 s6, s78
.LBB15_102:                             ;   Parent Loop BB15_33 Depth=1
                                        ; =>  This Inner Loop Header: Depth=2
	ds_load_b64 v[5:6], v4
	v_add_nc_u32_e32 v4, 32, v4
	s_add_i32 s6, s6, -1
	s_delay_alu instid0(SALU_CYCLE_1)
	s_cmp_lg_u32 s6, 0
	s_waitcnt lgkmcnt(0)
	v_add_co_u32 v2, vcc_lo, v5, v2
	v_add_co_ci_u32_e32 v3, vcc_lo, v6, v3, vcc_lo
	s_cbranch_scc1 .LBB15_102
.LBB15_103:                             ;   in Loop: Header=BB15_33 Depth=1
	v_add_lshl_u32 v4, s4, v33, 3
	ds_store_b64 v4, v[2:3] offset:3072
.LBB15_104:                             ;   in Loop: Header=BB15_33 Depth=1
	s_or_b32 exec_lo, exec_lo, s5
	s_lshl_b32 s4, s4, 3
	s_waitcnt lgkmcnt(0)
	v_mov_b32_e32 v6, s4
	s_barrier
	buffer_gl0_inv
	s_and_b32 s17, s82, 0xfe
	s_mov_b32 s19, -1
	ds_load_b128 v[2:5], v6 offset:3072
	ds_load_b128 v[6:9], v6 offset:3088
	s_lshl_b32 s16, 3, s17
	s_delay_alu instid0(SALU_CYCLE_1)
	s_not_b32 s18, s16
	s_waitcnt lgkmcnt(1)
	v_readfirstlane_b32 s13, v3
	v_readfirstlane_b32 s12, v2
	v_readfirstlane_b32 s10, v4
	v_readfirstlane_b32 s11, v5
	s_waitcnt lgkmcnt(0)
	v_readfirstlane_b32 s8, v6
	v_readfirstlane_b32 s9, v7
	s_cmp_eq_u64 s[12:13], 1
	v_readfirstlane_b32 s6, v8
	s_cselect_b32 s4, -1, 0
	s_cmp_eq_u64 s[26:27], 1
	v_readfirstlane_b32 s7, v9
	s_cselect_b32 s5, -1, 0
	s_delay_alu instid0(SALU_CYCLE_1) | instskip(NEXT) | instid1(SALU_CYCLE_1)
	s_and_b32 s20, s4, s5
	s_and_b32 vcc_lo, exec_lo, s20
	s_cbranch_vccz .LBB15_119
; %bb.105:                              ;   in Loop: Header=BB15_33 Depth=1
	ds_load_b64 v[2:3], v13 offset:5120
	s_waitcnt lgkmcnt(0)
	s_barrier
	buffer_gl0_inv
	v_readfirstlane_b32 s14, v2
	v_readfirstlane_b32 s15, v3
	s_and_saveexec_b32 s4, s3
	s_cbranch_execz .LBB15_107
; %bb.106:                              ;   in Loop: Header=BB15_33 Depth=1
	ds_store_b8 v0, v13 offset:3072
.LBB15_107:                             ;   in Loop: Header=BB15_33 Depth=1
	s_or_b32 exec_lo, exec_lo, s4
	s_delay_alu instid0(VALU_DEP_1)
	v_cmp_lt_i64_e64 s4, s[14:15], 1
	s_and_b32 s92, s92, s18
	s_or_b32 s91, s91, s16
	s_waitcnt lgkmcnt(0)
	s_barrier
	buffer_gl0_inv
	s_and_b32 vcc_lo, exec_lo, s4
	s_cbranch_vccz .LBB15_120
; %bb.108:                              ;   in Loop: Header=BB15_33 Depth=1
	s_mov_b32 s52, s49
	s_delay_alu instid0(SALU_CYCLE_1)
	s_cmp_lg_u64 s[52:53], 0
	s_cbranch_scc0 .LBB15_165
; %bb.109:                              ;   in Loop: Header=BB15_33 Depth=1
	v_cvt_f32_u32_e32 v2, s33
	s_sub_u32 s21, 0, s33
	s_subb_u32 s22, 0, 0
	s_delay_alu instid0(VALU_DEP_1) | instskip(NEXT) | instid1(VALU_DEP_1)
	v_fmac_f32_e32 v2, 0x4f800000, v40
	v_rcp_f32_e32 v2, v2
	s_waitcnt_depctr 0xfff
	v_mul_f32_e32 v2, 0x5f7ffffc, v2
	s_delay_alu instid0(VALU_DEP_1) | instskip(NEXT) | instid1(VALU_DEP_1)
	v_mul_f32_e32 v3, 0x2f800000, v2
	v_trunc_f32_e32 v3, v3
	s_delay_alu instid0(VALU_DEP_1) | instskip(SKIP_1) | instid1(VALU_DEP_2)
	v_fmac_f32_e32 v2, 0xcf800000, v3
	v_cvt_u32_f32_e32 v3, v3
	v_cvt_u32_f32_e32 v2, v2
	s_delay_alu instid0(VALU_DEP_2) | instskip(NEXT) | instid1(VALU_DEP_2)
	v_readfirstlane_b32 s4, v3
	v_readfirstlane_b32 s5, v2
	s_delay_alu instid0(VALU_DEP_2) | instskip(NEXT) | instid1(VALU_DEP_1)
	s_mul_i32 s23, s21, s4
	s_mul_hi_u32 s52, s21, s5
	s_mul_i32 s48, s22, s5
	s_add_i32 s23, s52, s23
	s_mul_i32 s60, s21, s5
	s_add_i32 s23, s23, s48
	s_mul_hi_u32 s52, s5, s60
	s_mul_hi_u32 s61, s4, s60
	s_mul_i32 s48, s4, s60
	s_mul_hi_u32 s60, s5, s23
	s_mul_i32 s5, s5, s23
	s_mul_hi_u32 s62, s4, s23
	s_add_u32 s5, s52, s5
	s_addc_u32 s52, 0, s60
	s_add_u32 s5, s5, s48
	s_mul_i32 s23, s4, s23
	s_addc_u32 s5, s52, s61
	s_addc_u32 s48, s62, 0
	s_add_u32 s5, s5, s23
	s_addc_u32 s23, 0, s48
	v_add_co_u32 v2, s5, v2, s5
	s_delay_alu instid0(VALU_DEP_1) | instskip(SKIP_1) | instid1(VALU_DEP_1)
	s_cmp_lg_u32 s5, 0
	s_addc_u32 s4, s4, s23
	v_readfirstlane_b32 s5, v2
	s_mul_i32 s23, s21, s4
	s_delay_alu instid0(VALU_DEP_1)
	s_mul_hi_u32 s48, s21, s5
	s_mul_i32 s22, s22, s5
	s_add_i32 s23, s48, s23
	s_mul_i32 s21, s21, s5
	s_add_i32 s23, s23, s22
	s_mul_hi_u32 s48, s4, s21
	s_mul_i32 s52, s4, s21
	s_mul_hi_u32 s21, s5, s21
	s_mul_hi_u32 s60, s5, s23
	s_mul_i32 s5, s5, s23
	s_mul_hi_u32 s22, s4, s23
	s_add_u32 s5, s21, s5
	s_addc_u32 s21, 0, s60
	s_add_u32 s5, s5, s52
	s_mul_i32 s23, s4, s23
	s_addc_u32 s5, s21, s48
	s_addc_u32 s21, s22, 0
	s_add_u32 s5, s5, s23
	s_addc_u32 s21, 0, s21
	v_add_co_u32 v2, s5, v2, s5
	s_delay_alu instid0(VALU_DEP_1) | instskip(SKIP_2) | instid1(VALU_DEP_1)
	s_cmp_lg_u32 s5, 0
	s_addc_u32 s21, s4, s21
	s_ashr_i32 s22, s53, 31
	v_readfirstlane_b32 s48, v2
	s_add_u32 s4, s76, s22
	s_mov_b32 s23, s22
	s_addc_u32 s5, s53, s22
	s_delay_alu instid0(SALU_CYCLE_1) | instskip(NEXT) | instid1(SALU_CYCLE_1)
	s_xor_b64 s[4:5], s[4:5], s[22:23]
	s_mul_i32 s52, s4, s21
	s_mul_hi_u32 s60, s4, s48
	s_mul_hi_u32 s23, s4, s21
	s_mul_hi_u32 s62, s5, s48
	s_mul_i32 s48, s5, s48
	s_add_u32 s52, s60, s52
	s_addc_u32 s23, 0, s23
	s_mul_hi_u32 s61, s5, s21
	s_add_u32 s48, s52, s48
	s_mul_i32 s21, s5, s21
	s_addc_u32 s23, s23, s62
	s_addc_u32 s48, s61, 0
	s_add_u32 s21, s23, s21
	s_addc_u32 s23, 0, s48
	s_mul_hi_u32 s48, s33, s21
	s_mul_i32 s21, s33, s21
	s_mul_i32 s23, s33, s23
	v_sub_co_u32 v2, s4, s4, s21
	s_add_i32 s48, s48, s23
	s_cmp_lg_u32 s4, 0
	s_delay_alu instid0(VALU_DEP_1) | instskip(SKIP_2) | instid1(VALU_DEP_1)
	v_sub_co_u32 v3, s4, v2, s33
	s_subb_u32 s5, s5, s48
	s_cmp_lg_u32 s4, 0
	v_cmp_le_u32_e32 vcc_lo, s33, v3
	v_sub_co_u32 v4, s4, v3, s33
	s_subb_u32 s21, s5, 0
	s_cmp_lg_u32 s4, 0
	v_cndmask_b32_e64 v5, 0, -1, vcc_lo
	s_subb_u32 s4, s21, 0
	s_cmp_eq_u32 s21, 0
	v_mov_b32_e32 v7, s4
	s_cselect_b32 vcc_lo, -1, 0
	s_cmp_eq_u32 s5, 0
	v_cndmask_b32_e32 v5, -1, v5, vcc_lo
	v_cmp_le_u32_e32 vcc_lo, s33, v2
	s_cselect_b32 s4, -1, 0
	v_cndmask_b32_e64 v6, 0, -1, vcc_lo
	s_delay_alu instid0(VALU_DEP_3) | instskip(NEXT) | instid1(VALU_DEP_2)
	v_cmp_ne_u32_e32 vcc_lo, 0, v5
	v_cndmask_b32_e64 v5, -1, v6, s4
	v_cndmask_b32_e32 v3, v3, v4, vcc_lo
	v_cndmask_b32_e32 v6, s21, v7, vcc_lo
	s_delay_alu instid0(VALU_DEP_3) | instskip(NEXT) | instid1(VALU_DEP_3)
	v_cmp_ne_u32_e32 vcc_lo, 0, v5
	v_cndmask_b32_e32 v2, v2, v3, vcc_lo
	s_delay_alu instid0(VALU_DEP_3) | instskip(NEXT) | instid1(VALU_DEP_2)
	v_cndmask_b32_e32 v4, s5, v6, vcc_lo
	v_xor_b32_e32 v2, s22, v2
	s_delay_alu instid0(VALU_DEP_2) | instskip(NEXT) | instid1(VALU_DEP_2)
	v_xor_b32_e32 v3, s22, v4
	v_sub_co_u32 v2, vcc_lo, v2, s22
	s_delay_alu instid0(VALU_DEP_2)
	v_subrev_co_ci_u32_e32 v3, vcc_lo, s22, v3, vcc_lo
	s_cbranch_execnz .LBB15_111
.LBB15_110:                             ;   in Loop: Header=BB15_33 Depth=1
	v_cvt_f32_u32_e32 v2, s33
	s_sub_i32 s4, 0, s33
	s_delay_alu instid0(VALU_DEP_1) | instskip(SKIP_2) | instid1(VALU_DEP_1)
	v_rcp_iflag_f32_e32 v2, v2
	s_waitcnt_depctr 0xfff
	v_mul_f32_e32 v2, 0x4f7ffffe, v2
	v_cvt_u32_f32_e32 v2, v2
	s_delay_alu instid0(VALU_DEP_1) | instskip(NEXT) | instid1(VALU_DEP_1)
	v_mul_lo_u32 v3, s4, v2
	v_mul_hi_u32 v3, v2, v3
	s_delay_alu instid0(VALU_DEP_1) | instskip(NEXT) | instid1(VALU_DEP_1)
	v_add_nc_u32_e32 v2, v2, v3
	v_mul_hi_u32 v2, s76, v2
	s_delay_alu instid0(VALU_DEP_1) | instskip(NEXT) | instid1(VALU_DEP_1)
	v_mul_lo_u32 v2, v2, s33
	v_sub_nc_u32_e32 v2, s76, v2
	s_delay_alu instid0(VALU_DEP_1) | instskip(SKIP_1) | instid1(VALU_DEP_2)
	v_subrev_nc_u32_e32 v3, s33, v2
	v_cmp_le_u32_e32 vcc_lo, s33, v2
	v_cndmask_b32_e32 v2, v2, v3, vcc_lo
	s_delay_alu instid0(VALU_DEP_1) | instskip(SKIP_1) | instid1(VALU_DEP_2)
	v_subrev_nc_u32_e32 v3, s33, v2
	v_cmp_le_u32_e32 vcc_lo, s33, v2
	v_cndmask_b32_e32 v12, v2, v3, vcc_lo
	s_delay_alu instid0(VALU_DEP_1)
	v_dual_mov_b32 v2, v12 :: v_dual_mov_b32 v3, v13
.LBB15_111:                             ;   in Loop: Header=BB15_33 Depth=1
	s_delay_alu instid0(VALU_DEP_1) | instskip(NEXT) | instid1(VALU_DEP_2)
	v_sub_co_u32 v2, vcc_lo, s76, v2
	v_sub_co_ci_u32_e32 v3, vcc_lo, s53, v3, vcc_lo
	s_mov_b32 s4, 0
	s_mov_b32 s5, exec_lo
                                        ; implicit-def: $vgpr41
	s_delay_alu instid0(VALU_DEP_1)
	v_cmpx_gt_i64_e64 v[2:3], v[0:1]
	s_cbranch_execz .LBB15_122
; %bb.112:                              ;   in Loop: Header=BB15_33 Depth=1
	v_dual_mov_b32 v4, v10 :: v_dual_mov_b32 v5, v11
	v_dual_mov_b32 v7, v1 :: v_dual_mov_b32 v6, v0
	s_mov_b32 s21, 0
                                        ; implicit-def: $sgpr22
	s_set_inst_prefetch_distance 0x1
	s_branch .LBB15_114
	.p2align	6
.LBB15_113:                             ;   in Loop: Header=BB15_114 Depth=2
	s_or_b32 exec_lo, exec_lo, s4
	s_waitcnt vmcnt(0) lgkmcnt(0)
	s_barrier
	buffer_gl0_inv
	ds_load_u16 v8, v13 offset:3072
	v_add_co_u32 v6, vcc_lo, v6, s33
	v_add_co_ci_u32_e32 v7, vcc_lo, 0, v7, vcc_lo
	s_waitcnt lgkmcnt(0)
	s_barrier
	buffer_gl0_inv
	v_cmp_ge_i64_e32 vcc_lo, v[6:7], v[2:3]
	v_and_b32_e32 v9, 0xff, v8
	s_delay_alu instid0(VALU_DEP_1) | instskip(NEXT) | instid1(VALU_DEP_1)
	v_cmp_ne_u16_e64 s4, 0, v9
	s_or_b32 s23, s4, vcc_lo
	v_add_co_u32 v4, vcc_lo, v4, s71
	s_and_b32 s23, exec_lo, s23
	v_add_co_ci_u32_e32 v5, vcc_lo, s70, v5, vcc_lo
	s_or_b32 s21, s23, s21
	s_and_not1_b32 s22, s22, exec_lo
	s_and_b32 s4, s4, exec_lo
	s_delay_alu instid0(SALU_CYCLE_1)
	s_or_b32 s22, s22, s4
	s_and_not1_b32 exec_lo, exec_lo, s21
	s_cbranch_execz .LBB15_121
.LBB15_114:                             ;   Parent Loop BB15_33 Depth=1
                                        ; =>  This Inner Loop Header: Depth=2
	s_delay_alu instid0(VALU_DEP_1)
	v_cmp_gt_i64_e32 vcc_lo, s[24:25], v[6:7]
	v_mov_b32_e32 v8, 0
	s_and_saveexec_b32 s4, vcc_lo
	s_cbranch_execz .LBB15_116
; %bb.115:                              ;   in Loop: Header=BB15_114 Depth=2
	global_load_u8 v8, v[4:5], off
.LBB15_116:                             ;   in Loop: Header=BB15_114 Depth=2
	s_or_b32 exec_lo, exec_lo, s4
	s_and_saveexec_b32 s4, vcc_lo
	s_cbranch_execz .LBB15_113
; %bb.117:                              ;   in Loop: Header=BB15_114 Depth=2
	s_waitcnt vmcnt(0)
	v_bfe_i32 v9, v8, 0, 8
	s_delay_alu instid0(VALU_DEP_1) | instskip(NEXT) | instid1(VALU_DEP_1)
	v_add_nc_u32_e32 v9, 0x80, v9
	v_and_b32_e32 v9, s91, v9
	s_delay_alu instid0(VALU_DEP_1)
	v_cmp_eq_u32_e32 vcc_lo, s92, v9
	s_and_b32 exec_lo, exec_lo, vcc_lo
	s_cbranch_execz .LBB15_113
; %bb.118:                              ;   in Loop: Header=BB15_114 Depth=2
	v_lshlrev_b16 v8, 8, v8
	s_delay_alu instid0(VALU_DEP_1)
	v_or_b32_e32 v8, 1, v8
	ds_store_b16 v13, v8 offset:3072
	s_branch .LBB15_113
.LBB15_119:                             ;   in Loop: Header=BB15_33 Depth=1
	s_mov_b32 s4, -1
                                        ; implicit-def: $sgpr5
                                        ; implicit-def: $sgpr22
                                        ; implicit-def: $sgpr21
	s_branch .LBB15_136
.LBB15_120:                             ;   in Loop: Header=BB15_33 Depth=1
	s_mov_b32 s5, -1
	s_mov_b32 s4, 0
                                        ; implicit-def: $sgpr21
                                        ; implicit-def: $vgpr41
	s_mov_b32 s22, s5
	s_cbranch_execnz .LBB15_123
	s_branch .LBB15_136
.LBB15_121:                             ;   in Loop: Header=BB15_33 Depth=1
	s_set_inst_prefetch_distance 0x2
	s_or_b32 exec_lo, exec_lo, s21
	v_lshrrev_b16 v41, 8, v8
	s_and_b32 s4, s22, exec_lo
.LBB15_122:                             ;   in Loop: Header=BB15_33 Depth=1
	s_or_b32 exec_lo, exec_lo, s5
	s_mov_b32 s21, -1
	s_mov_b32 s5, 0
	s_delay_alu instid0(SALU_CYCLE_1)
	s_mov_b32 s22, s5
	s_branch .LBB15_136
.LBB15_123:                             ;   in Loop: Header=BB15_33 Depth=1
	s_add_u32 s21, s74, s14
	s_addc_u32 s5, s75, s15
	s_mov_b32 s4, s49
	s_delay_alu instid0(SALU_CYCLE_1)
	s_cmp_lg_u64 s[4:5], 0
	s_cbranch_scc0 .LBB15_166
; %bb.124:                              ;   in Loop: Header=BB15_33 Depth=1
	v_cvt_f32_u32_e32 v2, s33
	s_sub_u32 s23, 0, s33
	s_subb_u32 s48, 0, 0
	s_delay_alu instid0(VALU_DEP_1) | instskip(NEXT) | instid1(VALU_DEP_1)
	v_fmac_f32_e32 v2, 0x4f800000, v40
	v_rcp_f32_e32 v2, v2
	s_waitcnt_depctr 0xfff
	v_mul_f32_e32 v2, 0x5f7ffffc, v2
	s_delay_alu instid0(VALU_DEP_1) | instskip(NEXT) | instid1(VALU_DEP_1)
	v_mul_f32_e32 v3, 0x2f800000, v2
	v_trunc_f32_e32 v3, v3
	s_delay_alu instid0(VALU_DEP_1) | instskip(SKIP_1) | instid1(VALU_DEP_2)
	v_fmac_f32_e32 v2, 0xcf800000, v3
	v_cvt_u32_f32_e32 v3, v3
	v_cvt_u32_f32_e32 v2, v2
	s_delay_alu instid0(VALU_DEP_2) | instskip(NEXT) | instid1(VALU_DEP_2)
	v_readfirstlane_b32 s4, v3
	v_readfirstlane_b32 s22, v2
	s_delay_alu instid0(VALU_DEP_2) | instskip(NEXT) | instid1(VALU_DEP_1)
	s_mul_i32 s52, s23, s4
	s_mul_hi_u32 s61, s23, s22
	s_mul_i32 s60, s48, s22
	s_add_i32 s52, s61, s52
	s_mul_i32 s62, s23, s22
	s_add_i32 s52, s52, s60
	s_mul_hi_u32 s61, s22, s62
	s_mul_hi_u32 s63, s4, s62
	s_mul_i32 s60, s4, s62
	s_mul_hi_u32 s62, s22, s52
	s_mul_i32 s22, s22, s52
	s_mul_hi_u32 s64, s4, s52
	s_add_u32 s22, s61, s22
	s_addc_u32 s61, 0, s62
	s_add_u32 s22, s22, s60
	s_mul_i32 s52, s4, s52
	s_addc_u32 s22, s61, s63
	s_addc_u32 s60, s64, 0
	s_add_u32 s22, s22, s52
	s_addc_u32 s52, 0, s60
	v_add_co_u32 v2, s22, v2, s22
	s_delay_alu instid0(VALU_DEP_1) | instskip(SKIP_1) | instid1(VALU_DEP_1)
	s_cmp_lg_u32 s22, 0
	s_addc_u32 s4, s4, s52
	v_readfirstlane_b32 s22, v2
	s_mul_i32 s52, s23, s4
	s_delay_alu instid0(VALU_DEP_1)
	s_mul_hi_u32 s60, s23, s22
	s_mul_i32 s48, s48, s22
	s_add_i32 s52, s60, s52
	s_mul_i32 s23, s23, s22
	s_add_i32 s52, s52, s48
	s_mul_hi_u32 s60, s4, s23
	s_mul_i32 s61, s4, s23
	s_mul_hi_u32 s23, s22, s23
	s_mul_hi_u32 s62, s22, s52
	s_mul_i32 s22, s22, s52
	s_mul_hi_u32 s48, s4, s52
	s_add_u32 s22, s23, s22
	s_addc_u32 s23, 0, s62
	s_add_u32 s22, s22, s61
	s_mul_i32 s52, s4, s52
	s_addc_u32 s22, s23, s60
	s_addc_u32 s23, s48, 0
	s_add_u32 s22, s22, s52
	s_addc_u32 s23, 0, s23
	v_add_co_u32 v2, s22, v2, s22
	s_delay_alu instid0(VALU_DEP_1) | instskip(SKIP_2) | instid1(VALU_DEP_1)
	s_cmp_lg_u32 s22, 0
	s_addc_u32 s4, s4, s23
	s_ashr_i32 s22, s5, 31
	v_readfirstlane_b32 s48, v2
	s_add_u32 s60, s21, s22
	s_mov_b32 s23, s22
	s_addc_u32 s61, s5, s22
	s_delay_alu instid0(SALU_CYCLE_1) | instskip(NEXT) | instid1(SALU_CYCLE_1)
	s_xor_b64 s[60:61], s[60:61], s[22:23]
	s_mul_i32 s52, s60, s4
	s_mul_hi_u32 s62, s60, s48
	s_mul_hi_u32 s23, s60, s4
	;; [unrolled: 1-line block ×3, first 2 shown]
	s_mul_i32 s48, s61, s48
	s_add_u32 s52, s62, s52
	s_addc_u32 s23, 0, s23
	s_mul_hi_u32 s63, s61, s4
	s_add_u32 s48, s52, s48
	s_mul_i32 s4, s61, s4
	s_addc_u32 s23, s23, s64
	s_addc_u32 s48, s63, 0
	s_add_u32 s4, s23, s4
	s_addc_u32 s23, 0, s48
	s_mul_hi_u32 s48, s33, s4
	s_mul_i32 s4, s33, s4
	s_mul_i32 s23, s33, s23
	v_sub_co_u32 v2, s4, s60, s4
	s_add_i32 s48, s48, s23
	s_cmp_lg_u32 s4, 0
	s_delay_alu instid0(VALU_DEP_1) | instskip(SKIP_2) | instid1(VALU_DEP_1)
	v_sub_co_u32 v3, s4, v2, s33
	s_subb_u32 s23, s61, s48
	s_cmp_lg_u32 s4, 0
	v_cmp_le_u32_e32 vcc_lo, s33, v3
	v_sub_co_u32 v4, s4, v3, s33
	s_subb_u32 s48, s23, 0
	s_cmp_lg_u32 s4, 0
	v_cndmask_b32_e64 v5, 0, -1, vcc_lo
	s_subb_u32 s4, s48, 0
	s_cmp_eq_u32 s48, 0
	v_mov_b32_e32 v7, s4
	s_cselect_b32 vcc_lo, -1, 0
	s_cmp_eq_u32 s23, 0
	v_cndmask_b32_e32 v5, -1, v5, vcc_lo
	v_cmp_le_u32_e32 vcc_lo, s33, v2
	s_cselect_b32 s4, -1, 0
	v_cndmask_b32_e64 v6, 0, -1, vcc_lo
	s_delay_alu instid0(VALU_DEP_3) | instskip(NEXT) | instid1(VALU_DEP_2)
	v_cmp_ne_u32_e32 vcc_lo, 0, v5
	v_cndmask_b32_e64 v5, -1, v6, s4
	v_cndmask_b32_e32 v3, v3, v4, vcc_lo
	v_cndmask_b32_e32 v6, s48, v7, vcc_lo
	s_delay_alu instid0(VALU_DEP_3) | instskip(NEXT) | instid1(VALU_DEP_3)
	v_cmp_ne_u32_e32 vcc_lo, 0, v5
	v_cndmask_b32_e32 v2, v2, v3, vcc_lo
	s_delay_alu instid0(VALU_DEP_3) | instskip(NEXT) | instid1(VALU_DEP_2)
	v_cndmask_b32_e32 v4, s23, v6, vcc_lo
	v_xor_b32_e32 v2, s22, v2
	s_delay_alu instid0(VALU_DEP_2) | instskip(NEXT) | instid1(VALU_DEP_2)
	v_xor_b32_e32 v3, s22, v4
	v_sub_co_u32 v2, vcc_lo, v2, s22
	s_delay_alu instid0(VALU_DEP_2)
	v_subrev_co_ci_u32_e32 v3, vcc_lo, s22, v3, vcc_lo
	s_cbranch_execnz .LBB15_126
.LBB15_125:                             ;   in Loop: Header=BB15_33 Depth=1
	v_cvt_f32_u32_e32 v2, s33
	s_sub_i32 s4, 0, s33
	s_delay_alu instid0(VALU_DEP_1) | instskip(SKIP_2) | instid1(VALU_DEP_1)
	v_rcp_iflag_f32_e32 v2, v2
	s_waitcnt_depctr 0xfff
	v_mul_f32_e32 v2, 0x4f7ffffe, v2
	v_cvt_u32_f32_e32 v2, v2
	s_delay_alu instid0(VALU_DEP_1) | instskip(NEXT) | instid1(VALU_DEP_1)
	v_mul_lo_u32 v3, s4, v2
	v_mul_hi_u32 v3, v2, v3
	s_delay_alu instid0(VALU_DEP_1) | instskip(NEXT) | instid1(VALU_DEP_1)
	v_add_nc_u32_e32 v2, v2, v3
	v_mul_hi_u32 v2, s21, v2
	s_delay_alu instid0(VALU_DEP_1) | instskip(NEXT) | instid1(VALU_DEP_1)
	v_mul_lo_u32 v2, v2, s33
	v_sub_nc_u32_e32 v2, s21, v2
	s_delay_alu instid0(VALU_DEP_1) | instskip(SKIP_1) | instid1(VALU_DEP_2)
	v_subrev_nc_u32_e32 v3, s33, v2
	v_cmp_le_u32_e32 vcc_lo, s33, v2
	v_cndmask_b32_e32 v2, v2, v3, vcc_lo
	s_delay_alu instid0(VALU_DEP_1) | instskip(SKIP_1) | instid1(VALU_DEP_2)
	v_subrev_nc_u32_e32 v3, s33, v2
	v_cmp_le_u32_e32 vcc_lo, s33, v2
	v_cndmask_b32_e32 v12, v2, v3, vcc_lo
	s_delay_alu instid0(VALU_DEP_1)
	v_dual_mov_b32 v2, v12 :: v_dual_mov_b32 v3, v13
.LBB15_126:                             ;   in Loop: Header=BB15_33 Depth=1
	s_delay_alu instid0(VALU_DEP_1) | instskip(NEXT) | instid1(VALU_DEP_2)
	v_sub_co_u32 v2, vcc_lo, s21, v2
	v_sub_co_ci_u32_e32 v3, vcc_lo, s5, v3, vcc_lo
	s_mov_b32 s4, 0
	s_mov_b32 s5, exec_lo
                                        ; implicit-def: $vgpr41
	s_delay_alu instid0(VALU_DEP_1)
	v_cmpx_gt_i64_e64 v[2:3], v[0:1]
	s_cbranch_execz .LBB15_135
; %bb.127:                              ;   in Loop: Header=BB15_33 Depth=1
	v_dual_mov_b32 v6, v0 :: v_dual_mov_b32 v5, v1
	v_mov_b32_e32 v4, v0
	s_mov_b32 s21, 0
                                        ; implicit-def: $sgpr22
	s_set_inst_prefetch_distance 0x1
	s_branch .LBB15_129
	.p2align	6
.LBB15_128:                             ;   in Loop: Header=BB15_129 Depth=2
	s_or_b32 exec_lo, exec_lo, s4
	s_waitcnt lgkmcnt(0)
	s_barrier
	buffer_gl0_inv
	ds_load_u16 v7, v13 offset:3072
	v_add_co_u32 v4, vcc_lo, v4, s33
	v_add_co_ci_u32_e32 v5, vcc_lo, 0, v5, vcc_lo
	v_add_nc_u32_e32 v6, s33, v6
	s_waitcnt lgkmcnt(0)
	s_barrier
	s_delay_alu instid0(VALU_DEP_2) | instskip(SKIP_2) | instid1(VALU_DEP_1)
	v_cmp_ge_i64_e32 vcc_lo, v[4:5], v[2:3]
	buffer_gl0_inv
	v_and_b32_e32 v8, 0xff, v7
	v_cmp_ne_u16_e64 s4, 0, v8
	s_delay_alu instid0(VALU_DEP_1) | instskip(NEXT) | instid1(SALU_CYCLE_1)
	s_or_b32 s23, s4, vcc_lo
	s_and_b32 s23, exec_lo, s23
	s_delay_alu instid0(SALU_CYCLE_1) | instskip(SKIP_2) | instid1(SALU_CYCLE_1)
	s_or_b32 s21, s23, s21
	s_and_not1_b32 s22, s22, exec_lo
	s_and_b32 s4, s4, exec_lo
	s_or_b32 s22, s22, s4
	s_and_not1_b32 exec_lo, exec_lo, s21
	s_cbranch_execz .LBB15_134
.LBB15_129:                             ;   Parent Loop BB15_33 Depth=1
                                        ; =>  This Inner Loop Header: Depth=2
	s_delay_alu instid0(VALU_DEP_1)
	v_cmp_gt_i64_e32 vcc_lo, s[14:15], v[4:5]
	v_mov_b32_e32 v7, 0
	s_and_saveexec_b32 s4, vcc_lo
	s_cbranch_execz .LBB15_131
; %bb.130:                              ;   in Loop: Header=BB15_129 Depth=2
	ds_load_u8 v7, v6
.LBB15_131:                             ;   in Loop: Header=BB15_129 Depth=2
	s_or_b32 exec_lo, exec_lo, s4
	s_and_saveexec_b32 s4, vcc_lo
	s_cbranch_execz .LBB15_128
; %bb.132:                              ;   in Loop: Header=BB15_129 Depth=2
	s_waitcnt lgkmcnt(0)
	v_bfe_i32 v8, v7, 0, 8
	s_delay_alu instid0(VALU_DEP_1) | instskip(NEXT) | instid1(VALU_DEP_1)
	v_add_nc_u32_e32 v8, 0x80, v8
	v_and_b32_e32 v8, s91, v8
	s_delay_alu instid0(VALU_DEP_1)
	v_cmp_eq_u32_e32 vcc_lo, s92, v8
	s_and_b32 exec_lo, exec_lo, vcc_lo
	s_cbranch_execz .LBB15_128
; %bb.133:                              ;   in Loop: Header=BB15_129 Depth=2
	v_lshlrev_b16 v7, 8, v7
	s_delay_alu instid0(VALU_DEP_1)
	v_or_b32_e32 v7, 1, v7
	ds_store_b16 v13, v7 offset:3072
	s_branch .LBB15_128
.LBB15_134:                             ;   in Loop: Header=BB15_33 Depth=1
	s_set_inst_prefetch_distance 0x2
	s_or_b32 exec_lo, exec_lo, s21
	v_lshrrev_b16 v41, 8, v7
	s_and_b32 s4, s22, exec_lo
.LBB15_135:                             ;   in Loop: Header=BB15_33 Depth=1
	s_or_b32 exec_lo, exec_lo, s5
	s_mov_b32 s22, -1
	s_mov_b32 s5, 0
	s_mov_b32 s21, 0
.LBB15_136:                             ;   in Loop: Header=BB15_33 Depth=1
	s_and_not1_b32 s14, s88, exec_lo
	s_and_b32 s5, s5, exec_lo
	s_and_not1_b32 s15, s89, exec_lo
	s_or_b32 s88, s14, s5
	s_and_not1_b32 s5, s90, exec_lo
	s_and_b32 s14, s22, exec_lo
	s_and_b32 s21, s21, exec_lo
	s_or_b32 s90, s5, s14
	s_or_b32 s89, s15, s21
	s_and_saveexec_b32 s14, s4
	s_cbranch_execz .LBB15_32
; %bb.137:                              ;   in Loop: Header=BB15_33 Depth=1
	s_xor_b32 s4, s20, -1
	s_mov_b32 s52, 1
	s_and_not1_b32 vcc_lo, exec_lo, s4
	s_cbranch_vccnz .LBB15_148
; %bb.138:                              ;   in Loop: Header=BB15_33 Depth=1
	v_cmp_gt_i64_e64 s4, s[26:27], s[12:13]
                                        ; implicit-def: $sgpr52
                                        ; implicit-def: $sgpr5
                                        ; implicit-def: $sgpr15
	s_delay_alu instid0(VALU_DEP_1)
	s_and_b32 vcc_lo, exec_lo, s4
	s_mov_b32 s4, -1
	s_cbranch_vccnz .LBB15_144
; %bb.139:                              ;   in Loop: Header=BB15_33 Depth=1
	ds_load_b64 v[2:3], v13 offset:5120
	s_waitcnt lgkmcnt(0)
	v_cmp_ne_u64_e32 vcc_lo, 0, v[2:3]
	s_cbranch_vccnz .LBB15_143
; %bb.140:                              ;   in Loop: Header=BB15_33 Depth=1
	s_and_saveexec_b32 s4, s0
	s_cbranch_execz .LBB15_142
; %bb.141:                              ;   in Loop: Header=BB15_33 Depth=1
	v_dual_mov_b32 v2, s12 :: v_dual_mov_b32 v3, s13
	ds_store_b64 v13, v[2:3] offset:5128
.LBB15_142:                             ;   in Loop: Header=BB15_33 Depth=1
	s_or_b32 exec_lo, exec_lo, s4
	s_waitcnt lgkmcnt(0)
	s_barrier
	buffer_gl0_inv
.LBB15_143:                             ;   in Loop: Header=BB15_33 Depth=1
	s_and_b32 s5, s92, s18
	s_or_b32 s15, s91, s16
	s_mov_b32 s4, 0
	s_mov_b32 s52, 8
.LBB15_144:                             ;   in Loop: Header=BB15_33 Depth=1
	s_and_not1_b32 vcc_lo, exec_lo, s4
	s_cbranch_vccnz .LBB15_146
; %bb.145:                              ;   in Loop: Header=BB15_33 Depth=1
	s_sub_u32 s26, s26, s12
	s_subb_u32 s27, s27, s13
	s_mov_b32 s4, -1
	s_mov_b32 s52, 0
	s_mov_b32 s5, s92
	;; [unrolled: 1-line block ×3, first 2 shown]
.LBB15_146:                             ;   in Loop: Header=BB15_33 Depth=1
	s_delay_alu instid0(SALU_CYCLE_1)
	s_mov_b32 s91, s15
	s_mov_b32 s92, s5
	s_and_b32 vcc_lo, exec_lo, s4
	s_mov_b32 s15, -1
	s_cbranch_vccnz .LBB15_149
.LBB15_147:                             ;   in Loop: Header=BB15_33 Depth=1
	s_mov_b32 s5, -1
                                        ; implicit-def: $sgpr19
                                        ; implicit-def: $sgpr21
                                        ; implicit-def: $sgpr20
	s_delay_alu instid0(SALU_CYCLE_1) | instskip(NEXT) | instid1(SALU_CYCLE_1)
	s_and_saveexec_b32 s4, s5
	s_xor_b32 s4, exec_lo, s4
	s_cbranch_execz .LBB15_31
	s_branch .LBB15_295
.LBB15_148:                             ;   in Loop: Header=BB15_33 Depth=1
	s_mov_b64 s[26:27], 1
	s_mov_b32 s15, -1
	s_branch .LBB15_147
.LBB15_149:                             ;   in Loop: Header=BB15_33 Depth=1
	s_cmp_eq_u64 s[10:11], 1
	s_cselect_b32 s4, -1, 0
	s_cmp_eq_u64 s[26:27], 1
	s_cselect_b32 s5, -1, 0
	s_delay_alu instid0(SALU_CYCLE_1)
	s_and_b32 s22, s4, s5
	s_mov_b32 s4, -1
	s_and_b32 vcc_lo, exec_lo, s22
	s_cbranch_vccz .LBB15_164
; %bb.150:                              ;   in Loop: Header=BB15_33 Depth=1
	ds_load_b64 v[2:3], v13 offset:5120
	s_waitcnt lgkmcnt(0)
	s_barrier
	buffer_gl0_inv
	v_readfirstlane_b32 s12, v2
	v_readfirstlane_b32 s13, v3
	s_and_saveexec_b32 s4, s3
	s_cbranch_execz .LBB15_152
; %bb.151:                              ;   in Loop: Header=BB15_33 Depth=1
	ds_store_b8 v0, v13 offset:3072
.LBB15_152:                             ;   in Loop: Header=BB15_33 Depth=1
	s_or_b32 exec_lo, exec_lo, s4
	s_delay_alu instid0(VALU_DEP_1)
	v_cmp_gt_i64_e64 s19, s[12:13], 0
	s_lshl_b32 s4, 1, s17
	s_and_b32 s5, s92, s18
	s_or_b32 s91, s91, s16
	s_or_b32 s92, s5, s4
	s_waitcnt lgkmcnt(0)
	s_and_b32 vcc_lo, exec_lo, s19
	s_barrier
	buffer_gl0_inv
	s_cbranch_vccnz .LBB15_167
; %bb.153:                              ;   in Loop: Header=BB15_33 Depth=1
	s_mov_b32 s52, s49
	s_delay_alu instid0(SALU_CYCLE_1)
	s_cmp_lg_u64 s[52:53], 0
	s_cbranch_scc0 .LBB15_212
; %bb.154:                              ;   in Loop: Header=BB15_33 Depth=1
	v_cvt_f32_u32_e32 v2, s33
	s_sub_u32 s19, 0, s33
	s_subb_u32 s20, 0, 0
	s_delay_alu instid0(VALU_DEP_1) | instskip(NEXT) | instid1(VALU_DEP_1)
	v_fmac_f32_e32 v2, 0x4f800000, v40
	v_rcp_f32_e32 v2, v2
	s_waitcnt_depctr 0xfff
	v_mul_f32_e32 v2, 0x5f7ffffc, v2
	s_delay_alu instid0(VALU_DEP_1) | instskip(NEXT) | instid1(VALU_DEP_1)
	v_mul_f32_e32 v3, 0x2f800000, v2
	v_trunc_f32_e32 v3, v3
	s_delay_alu instid0(VALU_DEP_1) | instskip(SKIP_1) | instid1(VALU_DEP_2)
	v_fmac_f32_e32 v2, 0xcf800000, v3
	v_cvt_u32_f32_e32 v3, v3
	v_cvt_u32_f32_e32 v2, v2
	s_delay_alu instid0(VALU_DEP_2) | instskip(NEXT) | instid1(VALU_DEP_2)
	v_readfirstlane_b32 s4, v3
	v_readfirstlane_b32 s5, v2
	s_delay_alu instid0(VALU_DEP_2) | instskip(NEXT) | instid1(VALU_DEP_1)
	s_mul_i32 s21, s19, s4
	s_mul_hi_u32 s48, s19, s5
	s_mul_i32 s23, s20, s5
	s_add_i32 s21, s48, s21
	s_mul_i32 s52, s19, s5
	s_add_i32 s21, s21, s23
	s_mul_hi_u32 s48, s5, s52
	s_mul_hi_u32 s60, s4, s52
	s_mul_i32 s23, s4, s52
	s_mul_hi_u32 s52, s5, s21
	s_mul_i32 s5, s5, s21
	s_mul_hi_u32 s61, s4, s21
	s_add_u32 s5, s48, s5
	s_addc_u32 s48, 0, s52
	s_add_u32 s5, s5, s23
	s_mul_i32 s21, s4, s21
	s_addc_u32 s5, s48, s60
	s_addc_u32 s23, s61, 0
	s_add_u32 s5, s5, s21
	s_addc_u32 s21, 0, s23
	v_add_co_u32 v2, s5, v2, s5
	s_delay_alu instid0(VALU_DEP_1) | instskip(SKIP_1) | instid1(VALU_DEP_1)
	s_cmp_lg_u32 s5, 0
	s_addc_u32 s4, s4, s21
	v_readfirstlane_b32 s5, v2
	s_mul_i32 s21, s19, s4
	s_delay_alu instid0(VALU_DEP_1)
	s_mul_hi_u32 s23, s19, s5
	s_mul_i32 s20, s20, s5
	s_add_i32 s21, s23, s21
	s_mul_i32 s19, s19, s5
	s_add_i32 s21, s21, s20
	s_mul_hi_u32 s23, s4, s19
	s_mul_i32 s48, s4, s19
	s_mul_hi_u32 s19, s5, s19
	s_mul_hi_u32 s52, s5, s21
	s_mul_i32 s5, s5, s21
	s_mul_hi_u32 s20, s4, s21
	s_add_u32 s5, s19, s5
	s_addc_u32 s19, 0, s52
	s_add_u32 s5, s5, s48
	s_mul_i32 s21, s4, s21
	s_addc_u32 s5, s19, s23
	s_addc_u32 s19, s20, 0
	s_add_u32 s5, s5, s21
	s_addc_u32 s19, 0, s19
	v_add_co_u32 v2, s5, v2, s5
	s_delay_alu instid0(VALU_DEP_1) | instskip(SKIP_2) | instid1(VALU_DEP_1)
	s_cmp_lg_u32 s5, 0
	s_addc_u32 s19, s4, s19
	s_ashr_i32 s20, s53, 31
	v_readfirstlane_b32 s23, v2
	s_add_u32 s4, s76, s20
	s_mov_b32 s21, s20
	s_addc_u32 s5, s53, s20
	s_delay_alu instid0(SALU_CYCLE_1) | instskip(NEXT) | instid1(SALU_CYCLE_1)
	s_xor_b64 s[4:5], s[4:5], s[20:21]
	s_mul_i32 s48, s4, s19
	s_mul_hi_u32 s52, s4, s23
	s_mul_hi_u32 s21, s4, s19
	s_mul_hi_u32 s61, s5, s23
	s_mul_i32 s23, s5, s23
	s_add_u32 s48, s52, s48
	s_addc_u32 s21, 0, s21
	s_mul_hi_u32 s60, s5, s19
	s_add_u32 s23, s48, s23
	s_mul_i32 s19, s5, s19
	s_addc_u32 s21, s21, s61
	s_addc_u32 s23, s60, 0
	s_add_u32 s19, s21, s19
	s_addc_u32 s21, 0, s23
	s_mul_hi_u32 s23, s33, s19
	s_mul_i32 s19, s33, s19
	s_mul_i32 s21, s33, s21
	v_sub_co_u32 v2, s4, s4, s19
	s_add_i32 s23, s23, s21
	s_cmp_lg_u32 s4, 0
	s_delay_alu instid0(VALU_DEP_1) | instskip(SKIP_2) | instid1(VALU_DEP_1)
	v_sub_co_u32 v3, s4, v2, s33
	s_subb_u32 s5, s5, s23
	s_cmp_lg_u32 s4, 0
	v_cmp_le_u32_e32 vcc_lo, s33, v3
	v_sub_co_u32 v4, s4, v3, s33
	s_subb_u32 s19, s5, 0
	s_cmp_lg_u32 s4, 0
	v_cndmask_b32_e64 v5, 0, -1, vcc_lo
	s_subb_u32 s4, s19, 0
	s_cmp_eq_u32 s19, 0
	v_mov_b32_e32 v7, s4
	s_cselect_b32 vcc_lo, -1, 0
	s_cmp_eq_u32 s5, 0
	v_cndmask_b32_e32 v5, -1, v5, vcc_lo
	v_cmp_le_u32_e32 vcc_lo, s33, v2
	s_cselect_b32 s4, -1, 0
	v_cndmask_b32_e64 v6, 0, -1, vcc_lo
	s_delay_alu instid0(VALU_DEP_3) | instskip(NEXT) | instid1(VALU_DEP_2)
	v_cmp_ne_u32_e32 vcc_lo, 0, v5
	v_cndmask_b32_e64 v5, -1, v6, s4
	v_cndmask_b32_e32 v3, v3, v4, vcc_lo
	v_cndmask_b32_e32 v6, s19, v7, vcc_lo
	s_delay_alu instid0(VALU_DEP_3) | instskip(NEXT) | instid1(VALU_DEP_3)
	v_cmp_ne_u32_e32 vcc_lo, 0, v5
	v_cndmask_b32_e32 v2, v2, v3, vcc_lo
	s_delay_alu instid0(VALU_DEP_3) | instskip(NEXT) | instid1(VALU_DEP_2)
	v_cndmask_b32_e32 v4, s5, v6, vcc_lo
	v_xor_b32_e32 v2, s20, v2
	s_delay_alu instid0(VALU_DEP_2) | instskip(NEXT) | instid1(VALU_DEP_2)
	v_xor_b32_e32 v3, s20, v4
	v_sub_co_u32 v2, vcc_lo, v2, s20
	s_delay_alu instid0(VALU_DEP_2)
	v_subrev_co_ci_u32_e32 v3, vcc_lo, s20, v3, vcc_lo
	s_cbranch_execnz .LBB15_156
.LBB15_155:                             ;   in Loop: Header=BB15_33 Depth=1
	v_cvt_f32_u32_e32 v2, s33
	s_sub_i32 s4, 0, s33
	s_delay_alu instid0(VALU_DEP_1) | instskip(SKIP_2) | instid1(VALU_DEP_1)
	v_rcp_iflag_f32_e32 v2, v2
	s_waitcnt_depctr 0xfff
	v_mul_f32_e32 v2, 0x4f7ffffe, v2
	v_cvt_u32_f32_e32 v2, v2
	s_delay_alu instid0(VALU_DEP_1) | instskip(NEXT) | instid1(VALU_DEP_1)
	v_mul_lo_u32 v3, s4, v2
	v_mul_hi_u32 v3, v2, v3
	s_delay_alu instid0(VALU_DEP_1) | instskip(NEXT) | instid1(VALU_DEP_1)
	v_add_nc_u32_e32 v2, v2, v3
	v_mul_hi_u32 v2, s76, v2
	s_delay_alu instid0(VALU_DEP_1) | instskip(NEXT) | instid1(VALU_DEP_1)
	v_mul_lo_u32 v2, v2, s33
	v_sub_nc_u32_e32 v2, s76, v2
	s_delay_alu instid0(VALU_DEP_1) | instskip(SKIP_1) | instid1(VALU_DEP_2)
	v_subrev_nc_u32_e32 v3, s33, v2
	v_cmp_le_u32_e32 vcc_lo, s33, v2
	v_cndmask_b32_e32 v2, v2, v3, vcc_lo
	s_delay_alu instid0(VALU_DEP_1) | instskip(SKIP_1) | instid1(VALU_DEP_2)
	v_subrev_nc_u32_e32 v3, s33, v2
	v_cmp_le_u32_e32 vcc_lo, s33, v2
	v_cndmask_b32_e32 v12, v2, v3, vcc_lo
	s_delay_alu instid0(VALU_DEP_1)
	v_dual_mov_b32 v2, v12 :: v_dual_mov_b32 v3, v13
.LBB15_156:                             ;   in Loop: Header=BB15_33 Depth=1
	s_delay_alu instid0(VALU_DEP_1) | instskip(NEXT) | instid1(VALU_DEP_2)
	v_sub_co_u32 v2, vcc_lo, s76, v2
	v_sub_co_ci_u32_e32 v3, vcc_lo, s53, v3, vcc_lo
	s_mov_b32 s4, 0
	s_mov_b32 s5, exec_lo
                                        ; implicit-def: $vgpr41
	s_delay_alu instid0(VALU_DEP_1)
	v_cmpx_gt_i64_e64 v[2:3], v[0:1]
	s_cbranch_execz .LBB15_169
; %bb.157:                              ;   in Loop: Header=BB15_33 Depth=1
	v_dual_mov_b32 v4, v10 :: v_dual_mov_b32 v5, v11
	v_dual_mov_b32 v7, v1 :: v_dual_mov_b32 v6, v0
	s_mov_b32 s19, 0
                                        ; implicit-def: $sgpr20
	s_set_inst_prefetch_distance 0x1
	s_branch .LBB15_159
	.p2align	6
.LBB15_158:                             ;   in Loop: Header=BB15_159 Depth=2
	s_or_b32 exec_lo, exec_lo, s4
	s_waitcnt vmcnt(0) lgkmcnt(0)
	s_barrier
	buffer_gl0_inv
	ds_load_u16 v8, v13 offset:3072
	v_add_co_u32 v6, vcc_lo, v6, s33
	v_add_co_ci_u32_e32 v7, vcc_lo, 0, v7, vcc_lo
	s_waitcnt lgkmcnt(0)
	s_barrier
	buffer_gl0_inv
	v_cmp_ge_i64_e32 vcc_lo, v[6:7], v[2:3]
	v_and_b32_e32 v9, 0xff, v8
	s_delay_alu instid0(VALU_DEP_1) | instskip(NEXT) | instid1(VALU_DEP_1)
	v_cmp_ne_u16_e64 s4, 0, v9
	s_or_b32 s21, s4, vcc_lo
	v_add_co_u32 v4, vcc_lo, v4, s71
	s_and_b32 s21, exec_lo, s21
	v_add_co_ci_u32_e32 v5, vcc_lo, s70, v5, vcc_lo
	s_or_b32 s19, s21, s19
	s_and_not1_b32 s20, s20, exec_lo
	s_and_b32 s4, s4, exec_lo
	s_delay_alu instid0(SALU_CYCLE_1)
	s_or_b32 s20, s20, s4
	s_and_not1_b32 exec_lo, exec_lo, s19
	s_cbranch_execz .LBB15_168
.LBB15_159:                             ;   Parent Loop BB15_33 Depth=1
                                        ; =>  This Inner Loop Header: Depth=2
	s_delay_alu instid0(VALU_DEP_1)
	v_cmp_gt_i64_e32 vcc_lo, s[24:25], v[6:7]
	v_mov_b32_e32 v8, 0
	s_and_saveexec_b32 s4, vcc_lo
	s_cbranch_execz .LBB15_161
; %bb.160:                              ;   in Loop: Header=BB15_159 Depth=2
	global_load_u8 v8, v[4:5], off
.LBB15_161:                             ;   in Loop: Header=BB15_159 Depth=2
	s_or_b32 exec_lo, exec_lo, s4
	s_and_saveexec_b32 s4, vcc_lo
	s_cbranch_execz .LBB15_158
; %bb.162:                              ;   in Loop: Header=BB15_159 Depth=2
	s_waitcnt vmcnt(0)
	v_bfe_i32 v9, v8, 0, 8
	s_delay_alu instid0(VALU_DEP_1) | instskip(NEXT) | instid1(VALU_DEP_1)
	v_add_nc_u32_e32 v9, 0x80, v9
	v_and_b32_e32 v9, s91, v9
	s_delay_alu instid0(VALU_DEP_1)
	v_cmp_eq_u32_e32 vcc_lo, s92, v9
	s_and_b32 exec_lo, exec_lo, vcc_lo
	s_cbranch_execz .LBB15_158
; %bb.163:                              ;   in Loop: Header=BB15_159 Depth=2
	v_lshlrev_b16 v8, 8, v8
	s_delay_alu instid0(VALU_DEP_1)
	v_or_b32_e32 v8, 1, v8
	ds_store_b16 v13, v8 offset:3072
	s_branch .LBB15_158
.LBB15_164:                             ;   in Loop: Header=BB15_33 Depth=1
                                        ; implicit-def: $sgpr20
                                        ; implicit-def: $sgpr21
                                        ; implicit-def: $sgpr19
	s_branch .LBB15_183
.LBB15_165:                             ;   in Loop: Header=BB15_33 Depth=1
                                        ; implicit-def: $vgpr2_vgpr3
	s_branch .LBB15_110
.LBB15_166:                             ;   in Loop: Header=BB15_33 Depth=1
                                        ; implicit-def: $vgpr2_vgpr3
	s_branch .LBB15_125
.LBB15_167:                             ;   in Loop: Header=BB15_33 Depth=1
	s_mov_b32 s20, -1
	s_mov_b32 s4, 0
                                        ; implicit-def: $sgpr19
                                        ; implicit-def: $vgpr41
	s_mov_b32 s21, s20
	s_cbranch_execnz .LBB15_170
	s_branch .LBB15_183
.LBB15_168:                             ;   in Loop: Header=BB15_33 Depth=1
	s_set_inst_prefetch_distance 0x2
	s_or_b32 exec_lo, exec_lo, s19
	v_lshrrev_b16 v41, 8, v8
	s_and_b32 s4, s20, exec_lo
.LBB15_169:                             ;   in Loop: Header=BB15_33 Depth=1
	s_or_b32 exec_lo, exec_lo, s5
	s_mov_b32 s19, -1
	s_mov_b32 s20, 0
	s_delay_alu instid0(SALU_CYCLE_1)
	s_mov_b32 s21, s20
	s_branch .LBB15_183
.LBB15_170:                             ;   in Loop: Header=BB15_33 Depth=1
	s_add_u32 s19, s74, s12
	s_addc_u32 s5, s75, s13
	s_mov_b32 s4, s49
	s_delay_alu instid0(SALU_CYCLE_1)
	s_cmp_lg_u64 s[4:5], 0
	s_cbranch_scc0 .LBB15_213
; %bb.171:                              ;   in Loop: Header=BB15_33 Depth=1
	v_cvt_f32_u32_e32 v2, s33
	s_sub_u32 s21, 0, s33
	s_subb_u32 s23, 0, 0
	s_delay_alu instid0(VALU_DEP_1) | instskip(NEXT) | instid1(VALU_DEP_1)
	v_fmac_f32_e32 v2, 0x4f800000, v40
	v_rcp_f32_e32 v2, v2
	s_waitcnt_depctr 0xfff
	v_mul_f32_e32 v2, 0x5f7ffffc, v2
	s_delay_alu instid0(VALU_DEP_1) | instskip(NEXT) | instid1(VALU_DEP_1)
	v_mul_f32_e32 v3, 0x2f800000, v2
	v_trunc_f32_e32 v3, v3
	s_delay_alu instid0(VALU_DEP_1) | instskip(SKIP_1) | instid1(VALU_DEP_2)
	v_fmac_f32_e32 v2, 0xcf800000, v3
	v_cvt_u32_f32_e32 v3, v3
	v_cvt_u32_f32_e32 v2, v2
	s_delay_alu instid0(VALU_DEP_2) | instskip(NEXT) | instid1(VALU_DEP_2)
	v_readfirstlane_b32 s4, v3
	v_readfirstlane_b32 s20, v2
	s_delay_alu instid0(VALU_DEP_2) | instskip(NEXT) | instid1(VALU_DEP_1)
	s_mul_i32 s48, s21, s4
	s_mul_hi_u32 s60, s21, s20
	s_mul_i32 s52, s23, s20
	s_add_i32 s48, s60, s48
	s_mul_i32 s61, s21, s20
	s_add_i32 s48, s48, s52
	s_mul_hi_u32 s60, s20, s61
	s_mul_hi_u32 s62, s4, s61
	s_mul_i32 s52, s4, s61
	s_mul_hi_u32 s61, s20, s48
	s_mul_i32 s20, s20, s48
	s_mul_hi_u32 s63, s4, s48
	s_add_u32 s20, s60, s20
	s_addc_u32 s60, 0, s61
	s_add_u32 s20, s20, s52
	s_mul_i32 s48, s4, s48
	s_addc_u32 s20, s60, s62
	s_addc_u32 s52, s63, 0
	s_add_u32 s20, s20, s48
	s_addc_u32 s48, 0, s52
	v_add_co_u32 v2, s20, v2, s20
	s_delay_alu instid0(VALU_DEP_1) | instskip(SKIP_1) | instid1(VALU_DEP_1)
	s_cmp_lg_u32 s20, 0
	s_addc_u32 s4, s4, s48
	v_readfirstlane_b32 s20, v2
	s_mul_i32 s48, s21, s4
	s_delay_alu instid0(VALU_DEP_1)
	s_mul_hi_u32 s52, s21, s20
	s_mul_i32 s23, s23, s20
	s_add_i32 s48, s52, s48
	s_mul_i32 s21, s21, s20
	s_add_i32 s48, s48, s23
	s_mul_hi_u32 s52, s4, s21
	s_mul_i32 s60, s4, s21
	s_mul_hi_u32 s21, s20, s21
	s_mul_hi_u32 s61, s20, s48
	s_mul_i32 s20, s20, s48
	s_mul_hi_u32 s23, s4, s48
	s_add_u32 s20, s21, s20
	s_addc_u32 s21, 0, s61
	s_add_u32 s20, s20, s60
	s_mul_i32 s48, s4, s48
	s_addc_u32 s20, s21, s52
	s_addc_u32 s21, s23, 0
	s_add_u32 s20, s20, s48
	s_addc_u32 s21, 0, s21
	v_add_co_u32 v2, s20, v2, s20
	s_delay_alu instid0(VALU_DEP_1) | instskip(SKIP_2) | instid1(VALU_DEP_1)
	s_cmp_lg_u32 s20, 0
	s_addc_u32 s4, s4, s21
	s_ashr_i32 s20, s5, 31
	v_readfirstlane_b32 s23, v2
	s_add_u32 s60, s19, s20
	s_mov_b32 s21, s20
	s_addc_u32 s61, s5, s20
	s_delay_alu instid0(SALU_CYCLE_1) | instskip(NEXT) | instid1(SALU_CYCLE_1)
	s_xor_b64 s[60:61], s[60:61], s[20:21]
	s_mul_i32 s48, s60, s4
	s_mul_hi_u32 s52, s60, s23
	s_mul_hi_u32 s21, s60, s4
	;; [unrolled: 1-line block ×3, first 2 shown]
	s_mul_i32 s23, s61, s23
	s_add_u32 s48, s52, s48
	s_addc_u32 s21, 0, s21
	s_mul_hi_u32 s62, s61, s4
	s_add_u32 s23, s48, s23
	s_mul_i32 s4, s61, s4
	s_addc_u32 s21, s21, s63
	s_addc_u32 s23, s62, 0
	s_add_u32 s4, s21, s4
	s_addc_u32 s21, 0, s23
	s_mul_hi_u32 s23, s33, s4
	s_mul_i32 s4, s33, s4
	s_mul_i32 s21, s33, s21
	v_sub_co_u32 v2, s4, s60, s4
	s_add_i32 s23, s23, s21
	s_cmp_lg_u32 s4, 0
	s_delay_alu instid0(VALU_DEP_1) | instskip(SKIP_2) | instid1(VALU_DEP_1)
	v_sub_co_u32 v3, s4, v2, s33
	s_subb_u32 s21, s61, s23
	s_cmp_lg_u32 s4, 0
	v_cmp_le_u32_e32 vcc_lo, s33, v3
	v_sub_co_u32 v4, s4, v3, s33
	s_subb_u32 s23, s21, 0
	s_cmp_lg_u32 s4, 0
	v_cndmask_b32_e64 v5, 0, -1, vcc_lo
	s_subb_u32 s4, s23, 0
	s_cmp_eq_u32 s23, 0
	v_mov_b32_e32 v7, s4
	s_cselect_b32 vcc_lo, -1, 0
	s_cmp_eq_u32 s21, 0
	v_cndmask_b32_e32 v5, -1, v5, vcc_lo
	v_cmp_le_u32_e32 vcc_lo, s33, v2
	s_cselect_b32 s4, -1, 0
	v_cndmask_b32_e64 v6, 0, -1, vcc_lo
	s_delay_alu instid0(VALU_DEP_3) | instskip(NEXT) | instid1(VALU_DEP_2)
	v_cmp_ne_u32_e32 vcc_lo, 0, v5
	v_cndmask_b32_e64 v5, -1, v6, s4
	v_cndmask_b32_e32 v3, v3, v4, vcc_lo
	v_cndmask_b32_e32 v6, s23, v7, vcc_lo
	s_delay_alu instid0(VALU_DEP_3) | instskip(NEXT) | instid1(VALU_DEP_3)
	v_cmp_ne_u32_e32 vcc_lo, 0, v5
	v_cndmask_b32_e32 v2, v2, v3, vcc_lo
	s_delay_alu instid0(VALU_DEP_3) | instskip(NEXT) | instid1(VALU_DEP_2)
	v_cndmask_b32_e32 v4, s21, v6, vcc_lo
	v_xor_b32_e32 v2, s20, v2
	s_delay_alu instid0(VALU_DEP_2) | instskip(NEXT) | instid1(VALU_DEP_2)
	v_xor_b32_e32 v3, s20, v4
	v_sub_co_u32 v2, vcc_lo, v2, s20
	s_delay_alu instid0(VALU_DEP_2)
	v_subrev_co_ci_u32_e32 v3, vcc_lo, s20, v3, vcc_lo
	s_cbranch_execnz .LBB15_173
.LBB15_172:                             ;   in Loop: Header=BB15_33 Depth=1
	v_cvt_f32_u32_e32 v2, s33
	s_sub_i32 s4, 0, s33
	s_delay_alu instid0(VALU_DEP_1) | instskip(SKIP_2) | instid1(VALU_DEP_1)
	v_rcp_iflag_f32_e32 v2, v2
	s_waitcnt_depctr 0xfff
	v_mul_f32_e32 v2, 0x4f7ffffe, v2
	v_cvt_u32_f32_e32 v2, v2
	s_delay_alu instid0(VALU_DEP_1) | instskip(NEXT) | instid1(VALU_DEP_1)
	v_mul_lo_u32 v3, s4, v2
	v_mul_hi_u32 v3, v2, v3
	s_delay_alu instid0(VALU_DEP_1) | instskip(NEXT) | instid1(VALU_DEP_1)
	v_add_nc_u32_e32 v2, v2, v3
	v_mul_hi_u32 v2, s19, v2
	s_delay_alu instid0(VALU_DEP_1) | instskip(NEXT) | instid1(VALU_DEP_1)
	v_mul_lo_u32 v2, v2, s33
	v_sub_nc_u32_e32 v2, s19, v2
	s_delay_alu instid0(VALU_DEP_1) | instskip(SKIP_1) | instid1(VALU_DEP_2)
	v_subrev_nc_u32_e32 v3, s33, v2
	v_cmp_le_u32_e32 vcc_lo, s33, v2
	v_cndmask_b32_e32 v2, v2, v3, vcc_lo
	s_delay_alu instid0(VALU_DEP_1) | instskip(SKIP_1) | instid1(VALU_DEP_2)
	v_subrev_nc_u32_e32 v3, s33, v2
	v_cmp_le_u32_e32 vcc_lo, s33, v2
	v_cndmask_b32_e32 v12, v2, v3, vcc_lo
	s_delay_alu instid0(VALU_DEP_1)
	v_dual_mov_b32 v2, v12 :: v_dual_mov_b32 v3, v13
.LBB15_173:                             ;   in Loop: Header=BB15_33 Depth=1
	s_delay_alu instid0(VALU_DEP_1) | instskip(NEXT) | instid1(VALU_DEP_2)
	v_sub_co_u32 v2, vcc_lo, s19, v2
	v_sub_co_ci_u32_e32 v3, vcc_lo, s5, v3, vcc_lo
	s_mov_b32 s4, 0
	s_mov_b32 s5, exec_lo
                                        ; implicit-def: $vgpr41
	s_delay_alu instid0(VALU_DEP_1)
	v_cmpx_gt_i64_e64 v[2:3], v[0:1]
	s_cbranch_execz .LBB15_182
; %bb.174:                              ;   in Loop: Header=BB15_33 Depth=1
	v_dual_mov_b32 v6, v0 :: v_dual_mov_b32 v5, v1
	v_mov_b32_e32 v4, v0
	s_mov_b32 s19, 0
                                        ; implicit-def: $sgpr20
	s_set_inst_prefetch_distance 0x1
	s_branch .LBB15_176
	.p2align	6
.LBB15_175:                             ;   in Loop: Header=BB15_176 Depth=2
	s_or_b32 exec_lo, exec_lo, s4
	s_waitcnt lgkmcnt(0)
	s_barrier
	buffer_gl0_inv
	ds_load_u16 v7, v13 offset:3072
	v_add_co_u32 v4, vcc_lo, v4, s33
	v_add_co_ci_u32_e32 v5, vcc_lo, 0, v5, vcc_lo
	v_add_nc_u32_e32 v6, s33, v6
	s_waitcnt lgkmcnt(0)
	s_barrier
	s_delay_alu instid0(VALU_DEP_2) | instskip(SKIP_2) | instid1(VALU_DEP_1)
	v_cmp_ge_i64_e32 vcc_lo, v[4:5], v[2:3]
	buffer_gl0_inv
	v_and_b32_e32 v8, 0xff, v7
	v_cmp_ne_u16_e64 s4, 0, v8
	s_delay_alu instid0(VALU_DEP_1) | instskip(NEXT) | instid1(SALU_CYCLE_1)
	s_or_b32 s21, s4, vcc_lo
	s_and_b32 s21, exec_lo, s21
	s_delay_alu instid0(SALU_CYCLE_1) | instskip(SKIP_2) | instid1(SALU_CYCLE_1)
	s_or_b32 s19, s21, s19
	s_and_not1_b32 s20, s20, exec_lo
	s_and_b32 s4, s4, exec_lo
	s_or_b32 s20, s20, s4
	s_and_not1_b32 exec_lo, exec_lo, s19
	s_cbranch_execz .LBB15_181
.LBB15_176:                             ;   Parent Loop BB15_33 Depth=1
                                        ; =>  This Inner Loop Header: Depth=2
	s_delay_alu instid0(VALU_DEP_1)
	v_cmp_gt_i64_e32 vcc_lo, s[12:13], v[4:5]
	v_mov_b32_e32 v7, 0
	s_and_saveexec_b32 s4, vcc_lo
	s_cbranch_execz .LBB15_178
; %bb.177:                              ;   in Loop: Header=BB15_176 Depth=2
	ds_load_u8 v7, v6
.LBB15_178:                             ;   in Loop: Header=BB15_176 Depth=2
	s_or_b32 exec_lo, exec_lo, s4
	s_and_saveexec_b32 s4, vcc_lo
	s_cbranch_execz .LBB15_175
; %bb.179:                              ;   in Loop: Header=BB15_176 Depth=2
	s_waitcnt lgkmcnt(0)
	v_bfe_i32 v8, v7, 0, 8
	s_delay_alu instid0(VALU_DEP_1) | instskip(NEXT) | instid1(VALU_DEP_1)
	v_add_nc_u32_e32 v8, 0x80, v8
	v_and_b32_e32 v8, s91, v8
	s_delay_alu instid0(VALU_DEP_1)
	v_cmp_eq_u32_e32 vcc_lo, s92, v8
	s_and_b32 exec_lo, exec_lo, vcc_lo
	s_cbranch_execz .LBB15_175
; %bb.180:                              ;   in Loop: Header=BB15_176 Depth=2
	v_lshlrev_b16 v7, 8, v7
	s_delay_alu instid0(VALU_DEP_1)
	v_or_b32_e32 v7, 1, v7
	ds_store_b16 v13, v7 offset:3072
	s_branch .LBB15_175
.LBB15_181:                             ;   in Loop: Header=BB15_33 Depth=1
	s_set_inst_prefetch_distance 0x2
	s_or_b32 exec_lo, exec_lo, s19
	v_lshrrev_b16 v41, 8, v7
	s_and_b32 s4, s20, exec_lo
.LBB15_182:                             ;   in Loop: Header=BB15_33 Depth=1
	s_or_b32 exec_lo, exec_lo, s5
	s_mov_b32 s21, -1
	s_mov_b32 s20, 0
	s_mov_b32 s19, 0
.LBB15_183:                             ;   in Loop: Header=BB15_33 Depth=1
	s_mov_b32 s5, 0
                                        ; implicit-def: $sgpr52
	s_and_saveexec_b32 s12, s4
	s_cbranch_execz .LBB15_294
; %bb.184:                              ;   in Loop: Header=BB15_33 Depth=1
	s_xor_b32 s4, s22, -1
	s_mov_b32 s52, 1
	s_and_not1_b32 vcc_lo, exec_lo, s4
	s_cbranch_vccnz .LBB15_195
; %bb.185:                              ;   in Loop: Header=BB15_33 Depth=1
	v_cmp_gt_i64_e64 s4, s[26:27], s[10:11]
                                        ; implicit-def: $sgpr52
                                        ; implicit-def: $sgpr5
                                        ; implicit-def: $sgpr13
	s_delay_alu instid0(VALU_DEP_1)
	s_and_b32 vcc_lo, exec_lo, s4
	s_mov_b32 s4, -1
	s_cbranch_vccnz .LBB15_191
; %bb.186:                              ;   in Loop: Header=BB15_33 Depth=1
	ds_load_b64 v[2:3], v13 offset:5120
	s_waitcnt lgkmcnt(0)
	v_cmp_ne_u64_e32 vcc_lo, 0, v[2:3]
	s_cbranch_vccnz .LBB15_190
; %bb.187:                              ;   in Loop: Header=BB15_33 Depth=1
	s_and_saveexec_b32 s4, s0
	s_cbranch_execz .LBB15_189
; %bb.188:                              ;   in Loop: Header=BB15_33 Depth=1
	v_dual_mov_b32 v2, s10 :: v_dual_mov_b32 v3, s11
	ds_store_b64 v13, v[2:3] offset:5128
.LBB15_189:                             ;   in Loop: Header=BB15_33 Depth=1
	s_or_b32 exec_lo, exec_lo, s4
	s_waitcnt lgkmcnt(0)
	s_barrier
	buffer_gl0_inv
.LBB15_190:                             ;   in Loop: Header=BB15_33 Depth=1
	s_lshl_b32 s4, 1, s17
	s_and_b32 s5, s92, s18
	s_or_b32 s13, s91, s16
	s_or_b32 s5, s5, s4
	s_mov_b32 s4, 0
	s_mov_b32 s52, 8
.LBB15_191:                             ;   in Loop: Header=BB15_33 Depth=1
	s_and_not1_b32 vcc_lo, exec_lo, s4
	s_cbranch_vccnz .LBB15_193
; %bb.192:                              ;   in Loop: Header=BB15_33 Depth=1
	s_sub_u32 s26, s26, s10
	s_subb_u32 s27, s27, s11
	s_mov_b32 s4, -1
	s_mov_b32 s52, 0
	s_mov_b32 s5, s92
	;; [unrolled: 1-line block ×3, first 2 shown]
.LBB15_193:                             ;   in Loop: Header=BB15_33 Depth=1
	s_delay_alu instid0(SALU_CYCLE_1)
	s_mov_b32 s91, s13
	s_mov_b32 s92, s5
	s_and_not1_b32 vcc_lo, exec_lo, s4
	s_mov_b32 s5, -1
	s_cbranch_vccz .LBB15_196
.LBB15_194:                             ;   in Loop: Header=BB15_33 Depth=1
                                        ; implicit-def: $sgpr22
                                        ; implicit-def: $sgpr23
                                        ; implicit-def: $sgpr13
	s_branch .LBB15_293
.LBB15_195:                             ;   in Loop: Header=BB15_33 Depth=1
	s_mov_b64 s[26:27], 1
	s_mov_b32 s5, -1
	s_cbranch_execnz .LBB15_194
.LBB15_196:                             ;   in Loop: Header=BB15_33 Depth=1
	s_cmp_eq_u64 s[8:9], 1
	s_cselect_b32 s4, -1, 0
	s_cmp_eq_u64 s[26:27], 1
	s_cselect_b32 s5, -1, 0
	s_delay_alu instid0(SALU_CYCLE_1)
	s_and_b32 s48, s4, s5
	s_mov_b32 s4, -1
	s_and_b32 vcc_lo, exec_lo, s48
	s_cbranch_vccz .LBB15_211
; %bb.197:                              ;   in Loop: Header=BB15_33 Depth=1
	ds_load_b64 v[2:3], v13 offset:5120
	s_waitcnt lgkmcnt(0)
	s_barrier
	buffer_gl0_inv
	v_readfirstlane_b32 s10, v2
	v_readfirstlane_b32 s11, v3
	s_and_saveexec_b32 s4, s3
	s_cbranch_execz .LBB15_199
; %bb.198:                              ;   in Loop: Header=BB15_33 Depth=1
	ds_store_b8 v0, v13 offset:3072
.LBB15_199:                             ;   in Loop: Header=BB15_33 Depth=1
	s_or_b32 exec_lo, exec_lo, s4
	s_delay_alu instid0(VALU_DEP_1)
	v_cmp_gt_i64_e64 s13, s[10:11], 0
	s_lshl_b32 s4, 2, s17
	s_and_b32 s5, s92, s18
	s_or_b32 s91, s91, s16
	s_or_b32 s92, s5, s4
	s_waitcnt lgkmcnt(0)
	s_and_b32 vcc_lo, exec_lo, s13
	s_barrier
	buffer_gl0_inv
	s_cbranch_vccnz .LBB15_214
; %bb.200:                              ;   in Loop: Header=BB15_33 Depth=1
	s_mov_b32 s52, s49
	s_delay_alu instid0(SALU_CYCLE_1)
	s_cmp_lg_u64 s[52:53], 0
	s_cbranch_scc0 .LBB15_259
; %bb.201:                              ;   in Loop: Header=BB15_33 Depth=1
	v_cvt_f32_u32_e32 v2, s33
	s_sub_u32 s13, 0, s33
	s_subb_u32 s22, 0, 0
	s_delay_alu instid0(VALU_DEP_1) | instskip(NEXT) | instid1(VALU_DEP_1)
	v_fmac_f32_e32 v2, 0x4f800000, v40
	v_rcp_f32_e32 v2, v2
	s_waitcnt_depctr 0xfff
	v_mul_f32_e32 v2, 0x5f7ffffc, v2
	s_delay_alu instid0(VALU_DEP_1) | instskip(NEXT) | instid1(VALU_DEP_1)
	v_mul_f32_e32 v3, 0x2f800000, v2
	v_trunc_f32_e32 v3, v3
	s_delay_alu instid0(VALU_DEP_1) | instskip(SKIP_1) | instid1(VALU_DEP_2)
	v_fmac_f32_e32 v2, 0xcf800000, v3
	v_cvt_u32_f32_e32 v3, v3
	v_cvt_u32_f32_e32 v2, v2
	s_delay_alu instid0(VALU_DEP_2) | instskip(NEXT) | instid1(VALU_DEP_2)
	v_readfirstlane_b32 s4, v3
	v_readfirstlane_b32 s5, v2
	s_delay_alu instid0(VALU_DEP_2) | instskip(NEXT) | instid1(VALU_DEP_1)
	s_mul_i32 s23, s13, s4
	s_mul_hi_u32 s60, s13, s5
	s_mul_i32 s52, s22, s5
	s_add_i32 s23, s60, s23
	s_mul_i32 s61, s13, s5
	s_add_i32 s23, s23, s52
	s_mul_hi_u32 s60, s5, s61
	s_mul_hi_u32 s62, s4, s61
	s_mul_i32 s52, s4, s61
	s_mul_hi_u32 s61, s5, s23
	s_mul_i32 s5, s5, s23
	s_mul_hi_u32 s63, s4, s23
	s_add_u32 s5, s60, s5
	s_addc_u32 s60, 0, s61
	s_add_u32 s5, s5, s52
	s_mul_i32 s23, s4, s23
	s_addc_u32 s5, s60, s62
	s_addc_u32 s52, s63, 0
	s_add_u32 s5, s5, s23
	s_addc_u32 s23, 0, s52
	v_add_co_u32 v2, s5, v2, s5
	s_delay_alu instid0(VALU_DEP_1) | instskip(SKIP_1) | instid1(VALU_DEP_1)
	s_cmp_lg_u32 s5, 0
	s_addc_u32 s4, s4, s23
	v_readfirstlane_b32 s5, v2
	s_mul_i32 s23, s13, s4
	s_delay_alu instid0(VALU_DEP_1)
	s_mul_hi_u32 s52, s13, s5
	s_mul_i32 s22, s22, s5
	s_add_i32 s23, s52, s23
	s_mul_i32 s13, s13, s5
	s_add_i32 s23, s23, s22
	s_mul_hi_u32 s52, s4, s13
	s_mul_i32 s60, s4, s13
	s_mul_hi_u32 s13, s5, s13
	s_mul_hi_u32 s61, s5, s23
	s_mul_i32 s5, s5, s23
	s_mul_hi_u32 s22, s4, s23
	s_add_u32 s5, s13, s5
	s_addc_u32 s13, 0, s61
	s_add_u32 s5, s5, s60
	s_mul_i32 s23, s4, s23
	s_addc_u32 s5, s13, s52
	s_addc_u32 s13, s22, 0
	s_add_u32 s5, s5, s23
	s_addc_u32 s13, 0, s13
	v_add_co_u32 v2, s5, v2, s5
	s_delay_alu instid0(VALU_DEP_1) | instskip(SKIP_2) | instid1(VALU_DEP_1)
	s_cmp_lg_u32 s5, 0
	s_addc_u32 s13, s4, s13
	s_ashr_i32 s22, s53, 31
	v_readfirstlane_b32 s52, v2
	s_add_u32 s4, s76, s22
	s_mov_b32 s23, s22
	s_addc_u32 s5, s53, s22
	s_delay_alu instid0(SALU_CYCLE_1) | instskip(NEXT) | instid1(SALU_CYCLE_1)
	s_xor_b64 s[4:5], s[4:5], s[22:23]
	s_mul_i32 s60, s4, s13
	s_mul_hi_u32 s61, s4, s52
	s_mul_hi_u32 s23, s4, s13
	s_mul_hi_u32 s63, s5, s52
	s_mul_i32 s52, s5, s52
	s_add_u32 s60, s61, s60
	s_addc_u32 s23, 0, s23
	s_mul_hi_u32 s62, s5, s13
	s_add_u32 s52, s60, s52
	s_mul_i32 s13, s5, s13
	s_addc_u32 s23, s23, s63
	s_addc_u32 s52, s62, 0
	s_add_u32 s13, s23, s13
	s_addc_u32 s23, 0, s52
	s_mul_hi_u32 s52, s33, s13
	s_mul_i32 s13, s33, s13
	s_mul_i32 s23, s33, s23
	v_sub_co_u32 v2, s4, s4, s13
	s_add_i32 s52, s52, s23
	s_cmp_lg_u32 s4, 0
	s_delay_alu instid0(VALU_DEP_1) | instskip(SKIP_2) | instid1(VALU_DEP_1)
	v_sub_co_u32 v3, s4, v2, s33
	s_subb_u32 s5, s5, s52
	s_cmp_lg_u32 s4, 0
	v_cmp_le_u32_e32 vcc_lo, s33, v3
	v_sub_co_u32 v4, s4, v3, s33
	s_subb_u32 s13, s5, 0
	s_cmp_lg_u32 s4, 0
	v_cndmask_b32_e64 v5, 0, -1, vcc_lo
	s_subb_u32 s4, s13, 0
	s_cmp_eq_u32 s13, 0
	v_mov_b32_e32 v7, s4
	s_cselect_b32 vcc_lo, -1, 0
	s_cmp_eq_u32 s5, 0
	v_cndmask_b32_e32 v5, -1, v5, vcc_lo
	v_cmp_le_u32_e32 vcc_lo, s33, v2
	s_cselect_b32 s4, -1, 0
	v_cndmask_b32_e64 v6, 0, -1, vcc_lo
	s_delay_alu instid0(VALU_DEP_3) | instskip(NEXT) | instid1(VALU_DEP_2)
	v_cmp_ne_u32_e32 vcc_lo, 0, v5
	v_cndmask_b32_e64 v5, -1, v6, s4
	v_cndmask_b32_e32 v3, v3, v4, vcc_lo
	v_cndmask_b32_e32 v6, s13, v7, vcc_lo
	s_delay_alu instid0(VALU_DEP_3) | instskip(NEXT) | instid1(VALU_DEP_3)
	v_cmp_ne_u32_e32 vcc_lo, 0, v5
	v_cndmask_b32_e32 v2, v2, v3, vcc_lo
	s_delay_alu instid0(VALU_DEP_3) | instskip(NEXT) | instid1(VALU_DEP_2)
	v_cndmask_b32_e32 v4, s5, v6, vcc_lo
	v_xor_b32_e32 v2, s22, v2
	s_delay_alu instid0(VALU_DEP_2) | instskip(NEXT) | instid1(VALU_DEP_2)
	v_xor_b32_e32 v3, s22, v4
	v_sub_co_u32 v2, vcc_lo, v2, s22
	s_delay_alu instid0(VALU_DEP_2)
	v_subrev_co_ci_u32_e32 v3, vcc_lo, s22, v3, vcc_lo
	s_cbranch_execnz .LBB15_203
.LBB15_202:                             ;   in Loop: Header=BB15_33 Depth=1
	v_cvt_f32_u32_e32 v2, s33
	s_sub_i32 s4, 0, s33
	s_delay_alu instid0(VALU_DEP_1) | instskip(SKIP_2) | instid1(VALU_DEP_1)
	v_rcp_iflag_f32_e32 v2, v2
	s_waitcnt_depctr 0xfff
	v_mul_f32_e32 v2, 0x4f7ffffe, v2
	v_cvt_u32_f32_e32 v2, v2
	s_delay_alu instid0(VALU_DEP_1) | instskip(NEXT) | instid1(VALU_DEP_1)
	v_mul_lo_u32 v3, s4, v2
	v_mul_hi_u32 v3, v2, v3
	s_delay_alu instid0(VALU_DEP_1) | instskip(NEXT) | instid1(VALU_DEP_1)
	v_add_nc_u32_e32 v2, v2, v3
	v_mul_hi_u32 v2, s76, v2
	s_delay_alu instid0(VALU_DEP_1) | instskip(NEXT) | instid1(VALU_DEP_1)
	v_mul_lo_u32 v2, v2, s33
	v_sub_nc_u32_e32 v2, s76, v2
	s_delay_alu instid0(VALU_DEP_1) | instskip(SKIP_1) | instid1(VALU_DEP_2)
	v_subrev_nc_u32_e32 v3, s33, v2
	v_cmp_le_u32_e32 vcc_lo, s33, v2
	v_cndmask_b32_e32 v2, v2, v3, vcc_lo
	s_delay_alu instid0(VALU_DEP_1) | instskip(SKIP_1) | instid1(VALU_DEP_2)
	v_subrev_nc_u32_e32 v3, s33, v2
	v_cmp_le_u32_e32 vcc_lo, s33, v2
	v_cndmask_b32_e32 v12, v2, v3, vcc_lo
	s_delay_alu instid0(VALU_DEP_1)
	v_dual_mov_b32 v2, v12 :: v_dual_mov_b32 v3, v13
.LBB15_203:                             ;   in Loop: Header=BB15_33 Depth=1
	s_delay_alu instid0(VALU_DEP_1) | instskip(NEXT) | instid1(VALU_DEP_2)
	v_sub_co_u32 v2, vcc_lo, s76, v2
	v_sub_co_ci_u32_e32 v3, vcc_lo, s53, v3, vcc_lo
	s_mov_b32 s4, 0
	s_mov_b32 s5, exec_lo
                                        ; implicit-def: $vgpr41
	s_delay_alu instid0(VALU_DEP_1)
	v_cmpx_gt_i64_e64 v[2:3], v[0:1]
	s_cbranch_execz .LBB15_216
; %bb.204:                              ;   in Loop: Header=BB15_33 Depth=1
	v_dual_mov_b32 v4, v10 :: v_dual_mov_b32 v5, v11
	v_dual_mov_b32 v7, v1 :: v_dual_mov_b32 v6, v0
	s_mov_b32 s13, 0
                                        ; implicit-def: $sgpr22
	s_set_inst_prefetch_distance 0x1
	s_branch .LBB15_206
	.p2align	6
.LBB15_205:                             ;   in Loop: Header=BB15_206 Depth=2
	s_or_b32 exec_lo, exec_lo, s4
	s_waitcnt vmcnt(0) lgkmcnt(0)
	s_barrier
	buffer_gl0_inv
	ds_load_u16 v8, v13 offset:3072
	v_add_co_u32 v6, vcc_lo, v6, s33
	v_add_co_ci_u32_e32 v7, vcc_lo, 0, v7, vcc_lo
	s_waitcnt lgkmcnt(0)
	s_barrier
	buffer_gl0_inv
	v_cmp_ge_i64_e32 vcc_lo, v[6:7], v[2:3]
	v_and_b32_e32 v9, 0xff, v8
	s_delay_alu instid0(VALU_DEP_1) | instskip(NEXT) | instid1(VALU_DEP_1)
	v_cmp_ne_u16_e64 s4, 0, v9
	s_or_b32 s23, s4, vcc_lo
	v_add_co_u32 v4, vcc_lo, v4, s71
	s_and_b32 s23, exec_lo, s23
	v_add_co_ci_u32_e32 v5, vcc_lo, s70, v5, vcc_lo
	s_or_b32 s13, s23, s13
	s_and_not1_b32 s22, s22, exec_lo
	s_and_b32 s4, s4, exec_lo
	s_delay_alu instid0(SALU_CYCLE_1)
	s_or_b32 s22, s22, s4
	s_and_not1_b32 exec_lo, exec_lo, s13
	s_cbranch_execz .LBB15_215
.LBB15_206:                             ;   Parent Loop BB15_33 Depth=1
                                        ; =>  This Inner Loop Header: Depth=2
	s_delay_alu instid0(VALU_DEP_1)
	v_cmp_gt_i64_e32 vcc_lo, s[24:25], v[6:7]
	v_mov_b32_e32 v8, 0
	s_and_saveexec_b32 s4, vcc_lo
	s_cbranch_execz .LBB15_208
; %bb.207:                              ;   in Loop: Header=BB15_206 Depth=2
	global_load_u8 v8, v[4:5], off
.LBB15_208:                             ;   in Loop: Header=BB15_206 Depth=2
	s_or_b32 exec_lo, exec_lo, s4
	s_and_saveexec_b32 s4, vcc_lo
	s_cbranch_execz .LBB15_205
; %bb.209:                              ;   in Loop: Header=BB15_206 Depth=2
	s_waitcnt vmcnt(0)
	v_bfe_i32 v9, v8, 0, 8
	s_delay_alu instid0(VALU_DEP_1) | instskip(NEXT) | instid1(VALU_DEP_1)
	v_add_nc_u32_e32 v9, 0x80, v9
	v_and_b32_e32 v9, s91, v9
	s_delay_alu instid0(VALU_DEP_1)
	v_cmp_eq_u32_e32 vcc_lo, s92, v9
	s_and_b32 exec_lo, exec_lo, vcc_lo
	s_cbranch_execz .LBB15_205
; %bb.210:                              ;   in Loop: Header=BB15_206 Depth=2
	v_lshlrev_b16 v8, 8, v8
	s_delay_alu instid0(VALU_DEP_1)
	v_or_b32_e32 v8, 1, v8
	ds_store_b16 v13, v8 offset:3072
	s_branch .LBB15_205
.LBB15_211:                             ;   in Loop: Header=BB15_33 Depth=1
                                        ; implicit-def: $sgpr13
                                        ; implicit-def: $sgpr23
                                        ; implicit-def: $sgpr22
	s_branch .LBB15_230
.LBB15_212:                             ;   in Loop: Header=BB15_33 Depth=1
                                        ; implicit-def: $vgpr2_vgpr3
	s_branch .LBB15_155
.LBB15_213:                             ;   in Loop: Header=BB15_33 Depth=1
                                        ; implicit-def: $vgpr2_vgpr3
	s_branch .LBB15_172
.LBB15_214:                             ;   in Loop: Header=BB15_33 Depth=1
	s_mov_b32 s13, -1
	s_mov_b32 s4, 0
                                        ; implicit-def: $sgpr22
                                        ; implicit-def: $vgpr41
	s_mov_b32 s23, s13
	s_cbranch_execnz .LBB15_217
	s_branch .LBB15_230
.LBB15_215:                             ;   in Loop: Header=BB15_33 Depth=1
	s_set_inst_prefetch_distance 0x2
	s_or_b32 exec_lo, exec_lo, s13
	v_lshrrev_b16 v41, 8, v8
	s_and_b32 s4, s22, exec_lo
.LBB15_216:                             ;   in Loop: Header=BB15_33 Depth=1
	s_or_b32 exec_lo, exec_lo, s5
	s_mov_b32 s22, -1
	s_mov_b32 s13, 0
	s_delay_alu instid0(SALU_CYCLE_1)
	s_mov_b32 s23, s13
	s_branch .LBB15_230
.LBB15_217:                             ;   in Loop: Header=BB15_33 Depth=1
	s_add_u32 s13, s74, s10
	s_addc_u32 s5, s75, s11
	s_mov_b32 s4, s49
	s_delay_alu instid0(SALU_CYCLE_1)
	s_cmp_lg_u64 s[4:5], 0
	s_cbranch_scc0 .LBB15_260
; %bb.218:                              ;   in Loop: Header=BB15_33 Depth=1
	v_cvt_f32_u32_e32 v2, s33
	s_sub_u32 s23, 0, s33
	s_subb_u32 s52, 0, 0
	s_delay_alu instid0(VALU_DEP_1) | instskip(NEXT) | instid1(VALU_DEP_1)
	v_fmac_f32_e32 v2, 0x4f800000, v40
	v_rcp_f32_e32 v2, v2
	s_waitcnt_depctr 0xfff
	v_mul_f32_e32 v2, 0x5f7ffffc, v2
	s_delay_alu instid0(VALU_DEP_1) | instskip(NEXT) | instid1(VALU_DEP_1)
	v_mul_f32_e32 v3, 0x2f800000, v2
	v_trunc_f32_e32 v3, v3
	s_delay_alu instid0(VALU_DEP_1) | instskip(SKIP_1) | instid1(VALU_DEP_2)
	v_fmac_f32_e32 v2, 0xcf800000, v3
	v_cvt_u32_f32_e32 v3, v3
	v_cvt_u32_f32_e32 v2, v2
	s_delay_alu instid0(VALU_DEP_2) | instskip(NEXT) | instid1(VALU_DEP_2)
	v_readfirstlane_b32 s4, v3
	v_readfirstlane_b32 s22, v2
	s_delay_alu instid0(VALU_DEP_2) | instskip(NEXT) | instid1(VALU_DEP_1)
	s_mul_i32 s60, s23, s4
	s_mul_hi_u32 s62, s23, s22
	s_mul_i32 s61, s52, s22
	s_add_i32 s60, s62, s60
	s_mul_i32 s63, s23, s22
	s_add_i32 s60, s60, s61
	s_mul_hi_u32 s62, s22, s63
	s_mul_hi_u32 s64, s4, s63
	s_mul_i32 s61, s4, s63
	s_mul_hi_u32 s63, s22, s60
	s_mul_i32 s22, s22, s60
	s_mul_hi_u32 s65, s4, s60
	s_add_u32 s22, s62, s22
	s_addc_u32 s62, 0, s63
	s_add_u32 s22, s22, s61
	s_mul_i32 s60, s4, s60
	s_addc_u32 s22, s62, s64
	s_addc_u32 s61, s65, 0
	s_add_u32 s22, s22, s60
	s_addc_u32 s60, 0, s61
	v_add_co_u32 v2, s22, v2, s22
	s_delay_alu instid0(VALU_DEP_1) | instskip(SKIP_1) | instid1(VALU_DEP_1)
	s_cmp_lg_u32 s22, 0
	s_addc_u32 s4, s4, s60
	v_readfirstlane_b32 s22, v2
	s_mul_i32 s60, s23, s4
	s_delay_alu instid0(VALU_DEP_1)
	s_mul_hi_u32 s61, s23, s22
	s_mul_i32 s52, s52, s22
	s_add_i32 s60, s61, s60
	s_mul_i32 s23, s23, s22
	s_add_i32 s60, s60, s52
	s_mul_hi_u32 s61, s4, s23
	s_mul_i32 s62, s4, s23
	s_mul_hi_u32 s23, s22, s23
	s_mul_hi_u32 s63, s22, s60
	s_mul_i32 s22, s22, s60
	s_mul_hi_u32 s52, s4, s60
	s_add_u32 s22, s23, s22
	s_addc_u32 s23, 0, s63
	s_add_u32 s22, s22, s62
	s_mul_i32 s60, s4, s60
	s_addc_u32 s22, s23, s61
	s_addc_u32 s23, s52, 0
	s_add_u32 s22, s22, s60
	s_addc_u32 s23, 0, s23
	v_add_co_u32 v2, s22, v2, s22
	s_delay_alu instid0(VALU_DEP_1) | instskip(SKIP_2) | instid1(VALU_DEP_1)
	s_cmp_lg_u32 s22, 0
	s_addc_u32 s4, s4, s23
	s_ashr_i32 s22, s5, 31
	v_readfirstlane_b32 s52, v2
	s_add_u32 s60, s13, s22
	s_mov_b32 s23, s22
	s_addc_u32 s61, s5, s22
	s_delay_alu instid0(SALU_CYCLE_1) | instskip(NEXT) | instid1(SALU_CYCLE_1)
	s_xor_b64 s[60:61], s[60:61], s[22:23]
	s_mul_i32 s62, s60, s4
	s_mul_hi_u32 s63, s60, s52
	s_mul_hi_u32 s23, s60, s4
	;; [unrolled: 1-line block ×3, first 2 shown]
	s_mul_i32 s52, s61, s52
	s_add_u32 s62, s63, s62
	s_addc_u32 s23, 0, s23
	s_mul_hi_u32 s64, s61, s4
	s_add_u32 s52, s62, s52
	s_mul_i32 s4, s61, s4
	s_addc_u32 s23, s23, s65
	s_addc_u32 s52, s64, 0
	s_add_u32 s4, s23, s4
	s_addc_u32 s23, 0, s52
	s_mul_hi_u32 s52, s33, s4
	s_mul_i32 s4, s33, s4
	s_mul_i32 s23, s33, s23
	v_sub_co_u32 v2, s4, s60, s4
	s_add_i32 s52, s52, s23
	s_cmp_lg_u32 s4, 0
	s_delay_alu instid0(VALU_DEP_1) | instskip(SKIP_2) | instid1(VALU_DEP_1)
	v_sub_co_u32 v3, s4, v2, s33
	s_subb_u32 s23, s61, s52
	s_cmp_lg_u32 s4, 0
	v_cmp_le_u32_e32 vcc_lo, s33, v3
	v_sub_co_u32 v4, s4, v3, s33
	s_subb_u32 s52, s23, 0
	s_cmp_lg_u32 s4, 0
	v_cndmask_b32_e64 v5, 0, -1, vcc_lo
	s_subb_u32 s4, s52, 0
	s_cmp_eq_u32 s52, 0
	v_mov_b32_e32 v7, s4
	s_cselect_b32 vcc_lo, -1, 0
	s_cmp_eq_u32 s23, 0
	v_cndmask_b32_e32 v5, -1, v5, vcc_lo
	v_cmp_le_u32_e32 vcc_lo, s33, v2
	s_cselect_b32 s4, -1, 0
	v_cndmask_b32_e64 v6, 0, -1, vcc_lo
	s_delay_alu instid0(VALU_DEP_3) | instskip(NEXT) | instid1(VALU_DEP_2)
	v_cmp_ne_u32_e32 vcc_lo, 0, v5
	v_cndmask_b32_e64 v5, -1, v6, s4
	v_cndmask_b32_e32 v3, v3, v4, vcc_lo
	v_cndmask_b32_e32 v6, s52, v7, vcc_lo
	s_delay_alu instid0(VALU_DEP_3) | instskip(NEXT) | instid1(VALU_DEP_3)
	v_cmp_ne_u32_e32 vcc_lo, 0, v5
	v_cndmask_b32_e32 v2, v2, v3, vcc_lo
	s_delay_alu instid0(VALU_DEP_3) | instskip(NEXT) | instid1(VALU_DEP_2)
	v_cndmask_b32_e32 v4, s23, v6, vcc_lo
	v_xor_b32_e32 v2, s22, v2
	s_delay_alu instid0(VALU_DEP_2) | instskip(NEXT) | instid1(VALU_DEP_2)
	v_xor_b32_e32 v3, s22, v4
	v_sub_co_u32 v2, vcc_lo, v2, s22
	s_delay_alu instid0(VALU_DEP_2)
	v_subrev_co_ci_u32_e32 v3, vcc_lo, s22, v3, vcc_lo
	s_cbranch_execnz .LBB15_220
.LBB15_219:                             ;   in Loop: Header=BB15_33 Depth=1
	v_cvt_f32_u32_e32 v2, s33
	s_sub_i32 s4, 0, s33
	s_delay_alu instid0(VALU_DEP_1) | instskip(SKIP_2) | instid1(VALU_DEP_1)
	v_rcp_iflag_f32_e32 v2, v2
	s_waitcnt_depctr 0xfff
	v_mul_f32_e32 v2, 0x4f7ffffe, v2
	v_cvt_u32_f32_e32 v2, v2
	s_delay_alu instid0(VALU_DEP_1) | instskip(NEXT) | instid1(VALU_DEP_1)
	v_mul_lo_u32 v3, s4, v2
	v_mul_hi_u32 v3, v2, v3
	s_delay_alu instid0(VALU_DEP_1) | instskip(NEXT) | instid1(VALU_DEP_1)
	v_add_nc_u32_e32 v2, v2, v3
	v_mul_hi_u32 v2, s13, v2
	s_delay_alu instid0(VALU_DEP_1) | instskip(NEXT) | instid1(VALU_DEP_1)
	v_mul_lo_u32 v2, v2, s33
	v_sub_nc_u32_e32 v2, s13, v2
	s_delay_alu instid0(VALU_DEP_1) | instskip(SKIP_1) | instid1(VALU_DEP_2)
	v_subrev_nc_u32_e32 v3, s33, v2
	v_cmp_le_u32_e32 vcc_lo, s33, v2
	v_cndmask_b32_e32 v2, v2, v3, vcc_lo
	s_delay_alu instid0(VALU_DEP_1) | instskip(SKIP_1) | instid1(VALU_DEP_2)
	v_subrev_nc_u32_e32 v3, s33, v2
	v_cmp_le_u32_e32 vcc_lo, s33, v2
	v_cndmask_b32_e32 v12, v2, v3, vcc_lo
	s_delay_alu instid0(VALU_DEP_1)
	v_dual_mov_b32 v2, v12 :: v_dual_mov_b32 v3, v13
.LBB15_220:                             ;   in Loop: Header=BB15_33 Depth=1
	s_delay_alu instid0(VALU_DEP_1) | instskip(NEXT) | instid1(VALU_DEP_2)
	v_sub_co_u32 v2, vcc_lo, s13, v2
	v_sub_co_ci_u32_e32 v3, vcc_lo, s5, v3, vcc_lo
	s_mov_b32 s4, 0
	s_mov_b32 s5, exec_lo
                                        ; implicit-def: $vgpr41
	s_delay_alu instid0(VALU_DEP_1)
	v_cmpx_gt_i64_e64 v[2:3], v[0:1]
	s_cbranch_execz .LBB15_229
; %bb.221:                              ;   in Loop: Header=BB15_33 Depth=1
	v_dual_mov_b32 v6, v0 :: v_dual_mov_b32 v5, v1
	v_mov_b32_e32 v4, v0
	s_mov_b32 s13, 0
                                        ; implicit-def: $sgpr22
	s_set_inst_prefetch_distance 0x1
	s_branch .LBB15_223
	.p2align	6
.LBB15_222:                             ;   in Loop: Header=BB15_223 Depth=2
	s_or_b32 exec_lo, exec_lo, s4
	s_waitcnt lgkmcnt(0)
	s_barrier
	buffer_gl0_inv
	ds_load_u16 v7, v13 offset:3072
	v_add_co_u32 v4, vcc_lo, v4, s33
	v_add_co_ci_u32_e32 v5, vcc_lo, 0, v5, vcc_lo
	v_add_nc_u32_e32 v6, s33, v6
	s_waitcnt lgkmcnt(0)
	s_barrier
	s_delay_alu instid0(VALU_DEP_2) | instskip(SKIP_2) | instid1(VALU_DEP_1)
	v_cmp_ge_i64_e32 vcc_lo, v[4:5], v[2:3]
	buffer_gl0_inv
	v_and_b32_e32 v8, 0xff, v7
	v_cmp_ne_u16_e64 s4, 0, v8
	s_delay_alu instid0(VALU_DEP_1) | instskip(NEXT) | instid1(SALU_CYCLE_1)
	s_or_b32 s23, s4, vcc_lo
	s_and_b32 s23, exec_lo, s23
	s_delay_alu instid0(SALU_CYCLE_1) | instskip(SKIP_2) | instid1(SALU_CYCLE_1)
	s_or_b32 s13, s23, s13
	s_and_not1_b32 s22, s22, exec_lo
	s_and_b32 s4, s4, exec_lo
	s_or_b32 s22, s22, s4
	s_and_not1_b32 exec_lo, exec_lo, s13
	s_cbranch_execz .LBB15_228
.LBB15_223:                             ;   Parent Loop BB15_33 Depth=1
                                        ; =>  This Inner Loop Header: Depth=2
	s_delay_alu instid0(VALU_DEP_1)
	v_cmp_gt_i64_e32 vcc_lo, s[10:11], v[4:5]
	v_mov_b32_e32 v7, 0
	s_and_saveexec_b32 s4, vcc_lo
	s_cbranch_execz .LBB15_225
; %bb.224:                              ;   in Loop: Header=BB15_223 Depth=2
	ds_load_u8 v7, v6
.LBB15_225:                             ;   in Loop: Header=BB15_223 Depth=2
	s_or_b32 exec_lo, exec_lo, s4
	s_and_saveexec_b32 s4, vcc_lo
	s_cbranch_execz .LBB15_222
; %bb.226:                              ;   in Loop: Header=BB15_223 Depth=2
	s_waitcnt lgkmcnt(0)
	v_bfe_i32 v8, v7, 0, 8
	s_delay_alu instid0(VALU_DEP_1) | instskip(NEXT) | instid1(VALU_DEP_1)
	v_add_nc_u32_e32 v8, 0x80, v8
	v_and_b32_e32 v8, s91, v8
	s_delay_alu instid0(VALU_DEP_1)
	v_cmp_eq_u32_e32 vcc_lo, s92, v8
	s_and_b32 exec_lo, exec_lo, vcc_lo
	s_cbranch_execz .LBB15_222
; %bb.227:                              ;   in Loop: Header=BB15_223 Depth=2
	v_lshlrev_b16 v7, 8, v7
	s_delay_alu instid0(VALU_DEP_1)
	v_or_b32_e32 v7, 1, v7
	ds_store_b16 v13, v7 offset:3072
	s_branch .LBB15_222
.LBB15_228:                             ;   in Loop: Header=BB15_33 Depth=1
	s_set_inst_prefetch_distance 0x2
	s_or_b32 exec_lo, exec_lo, s13
	v_lshrrev_b16 v41, 8, v7
	s_and_b32 s4, s22, exec_lo
.LBB15_229:                             ;   in Loop: Header=BB15_33 Depth=1
	s_or_b32 exec_lo, exec_lo, s5
	s_mov_b32 s23, -1
	s_mov_b32 s13, 0
	s_mov_b32 s22, 0
.LBB15_230:                             ;   in Loop: Header=BB15_33 Depth=1
	s_mov_b32 s5, 0
                                        ; implicit-def: $sgpr52
	s_and_saveexec_b32 s10, s4
	s_cbranch_execz .LBB15_292
; %bb.231:                              ;   in Loop: Header=BB15_33 Depth=1
	s_xor_b32 s4, s48, -1
	s_mov_b32 s52, 1
	s_and_not1_b32 vcc_lo, exec_lo, s4
	s_cbranch_vccnz .LBB15_242
; %bb.232:                              ;   in Loop: Header=BB15_33 Depth=1
	v_cmp_gt_i64_e64 s4, s[26:27], s[8:9]
                                        ; implicit-def: $sgpr52
                                        ; implicit-def: $sgpr5
                                        ; implicit-def: $sgpr11
	s_delay_alu instid0(VALU_DEP_1)
	s_and_b32 vcc_lo, exec_lo, s4
	s_mov_b32 s4, -1
	s_cbranch_vccnz .LBB15_238
; %bb.233:                              ;   in Loop: Header=BB15_33 Depth=1
	ds_load_b64 v[2:3], v13 offset:5120
	s_waitcnt lgkmcnt(0)
	v_cmp_ne_u64_e32 vcc_lo, 0, v[2:3]
	s_cbranch_vccnz .LBB15_237
; %bb.234:                              ;   in Loop: Header=BB15_33 Depth=1
	s_and_saveexec_b32 s4, s0
	s_cbranch_execz .LBB15_236
; %bb.235:                              ;   in Loop: Header=BB15_33 Depth=1
	v_dual_mov_b32 v2, s8 :: v_dual_mov_b32 v3, s9
	ds_store_b64 v13, v[2:3] offset:5128
.LBB15_236:                             ;   in Loop: Header=BB15_33 Depth=1
	s_or_b32 exec_lo, exec_lo, s4
	s_waitcnt lgkmcnt(0)
	s_barrier
	buffer_gl0_inv
.LBB15_237:                             ;   in Loop: Header=BB15_33 Depth=1
	s_lshl_b32 s4, 2, s17
	s_and_b32 s5, s92, s18
	s_or_b32 s11, s91, s16
	s_or_b32 s5, s5, s4
	s_mov_b32 s4, 0
	s_mov_b32 s52, 8
.LBB15_238:                             ;   in Loop: Header=BB15_33 Depth=1
	s_and_not1_b32 vcc_lo, exec_lo, s4
	s_cbranch_vccnz .LBB15_240
; %bb.239:                              ;   in Loop: Header=BB15_33 Depth=1
	s_sub_u32 s26, s26, s8
	s_subb_u32 s27, s27, s9
	s_mov_b32 s4, -1
	s_mov_b32 s52, 0
	s_mov_b32 s5, s92
	;; [unrolled: 1-line block ×3, first 2 shown]
.LBB15_240:                             ;   in Loop: Header=BB15_33 Depth=1
	s_delay_alu instid0(SALU_CYCLE_1)
	s_mov_b32 s91, s11
	s_mov_b32 s92, s5
	s_and_not1_b32 vcc_lo, exec_lo, s4
	s_mov_b32 s9, -1
	s_cbranch_vccz .LBB15_243
.LBB15_241:                             ;   in Loop: Header=BB15_33 Depth=1
                                        ; implicit-def: $sgpr17
                                        ; implicit-def: $sgpr48
                                        ; implicit-def: $sgpr18
	s_branch .LBB15_291
.LBB15_242:                             ;   in Loop: Header=BB15_33 Depth=1
	s_mov_b64 s[26:27], 1
	s_mov_b32 s9, -1
	s_cbranch_execnz .LBB15_241
.LBB15_243:                             ;   in Loop: Header=BB15_33 Depth=1
	s_cmp_eq_u64 s[6:7], 1
	s_mov_b32 s60, -1
	s_cselect_b32 s4, -1, 0
	s_cmp_eq_u64 s[26:27], 1
	s_cselect_b32 s5, -1, 0
	s_delay_alu instid0(SALU_CYCLE_1) | instskip(NEXT) | instid1(SALU_CYCLE_1)
	s_and_b32 s11, s4, s5
	s_and_b32 vcc_lo, exec_lo, s11
	s_cbranch_vccz .LBB15_258
; %bb.244:                              ;   in Loop: Header=BB15_33 Depth=1
	ds_load_b64 v[2:3], v13 offset:5120
	s_waitcnt lgkmcnt(0)
	s_barrier
	buffer_gl0_inv
	v_readfirstlane_b32 s8, v2
	v_readfirstlane_b32 s9, v3
	s_and_saveexec_b32 s4, s3
	s_cbranch_execz .LBB15_246
; %bb.245:                              ;   in Loop: Header=BB15_33 Depth=1
	ds_store_b8 v0, v13 offset:3072
.LBB15_246:                             ;   in Loop: Header=BB15_33 Depth=1
	s_or_b32 exec_lo, exec_lo, s4
	s_delay_alu instid0(VALU_DEP_1)
	v_cmp_gt_i64_e64 s4, s[8:9], 0
	s_or_b32 s92, s92, s16
	s_or_b32 s91, s91, s16
	s_waitcnt lgkmcnt(0)
	s_barrier
	buffer_gl0_inv
	s_and_b32 vcc_lo, exec_lo, s4
	s_cbranch_vccnz .LBB15_261
; %bb.247:                              ;   in Loop: Header=BB15_33 Depth=1
	s_mov_b32 s52, s49
	s_delay_alu instid0(SALU_CYCLE_1)
	s_cmp_lg_u64 s[52:53], 0
	s_cbranch_scc0 .LBB15_297
; %bb.248:                              ;   in Loop: Header=BB15_33 Depth=1
	v_cvt_f32_u32_e32 v2, s33
	s_sub_u32 s17, 0, s33
	s_subb_u32 s18, 0, 0
	s_delay_alu instid0(VALU_DEP_1) | instskip(NEXT) | instid1(VALU_DEP_1)
	v_fmac_f32_e32 v2, 0x4f800000, v40
	v_rcp_f32_e32 v2, v2
	s_waitcnt_depctr 0xfff
	v_mul_f32_e32 v2, 0x5f7ffffc, v2
	s_delay_alu instid0(VALU_DEP_1) | instskip(NEXT) | instid1(VALU_DEP_1)
	v_mul_f32_e32 v3, 0x2f800000, v2
	v_trunc_f32_e32 v3, v3
	s_delay_alu instid0(VALU_DEP_1) | instskip(SKIP_1) | instid1(VALU_DEP_2)
	v_fmac_f32_e32 v2, 0xcf800000, v3
	v_cvt_u32_f32_e32 v3, v3
	v_cvt_u32_f32_e32 v2, v2
	s_delay_alu instid0(VALU_DEP_2) | instskip(NEXT) | instid1(VALU_DEP_2)
	v_readfirstlane_b32 s4, v3
	v_readfirstlane_b32 s5, v2
	s_delay_alu instid0(VALU_DEP_2) | instskip(NEXT) | instid1(VALU_DEP_1)
	s_mul_i32 s48, s17, s4
	s_mul_hi_u32 s60, s17, s5
	s_mul_i32 s52, s18, s5
	s_add_i32 s48, s60, s48
	s_mul_i32 s61, s17, s5
	s_add_i32 s48, s48, s52
	s_mul_hi_u32 s60, s5, s61
	s_mul_hi_u32 s62, s4, s61
	s_mul_i32 s52, s4, s61
	s_mul_hi_u32 s61, s5, s48
	s_mul_i32 s5, s5, s48
	s_mul_hi_u32 s63, s4, s48
	s_add_u32 s5, s60, s5
	s_addc_u32 s60, 0, s61
	s_add_u32 s5, s5, s52
	s_mul_i32 s48, s4, s48
	s_addc_u32 s5, s60, s62
	s_addc_u32 s52, s63, 0
	s_add_u32 s5, s5, s48
	s_addc_u32 s48, 0, s52
	v_add_co_u32 v2, s5, v2, s5
	s_delay_alu instid0(VALU_DEP_1) | instskip(SKIP_1) | instid1(VALU_DEP_1)
	s_cmp_lg_u32 s5, 0
	s_addc_u32 s4, s4, s48
	v_readfirstlane_b32 s5, v2
	s_mul_i32 s48, s17, s4
	s_delay_alu instid0(VALU_DEP_1)
	s_mul_hi_u32 s52, s17, s5
	s_mul_i32 s18, s18, s5
	s_add_i32 s48, s52, s48
	s_mul_i32 s17, s17, s5
	s_add_i32 s48, s48, s18
	s_mul_hi_u32 s52, s4, s17
	s_mul_i32 s60, s4, s17
	s_mul_hi_u32 s17, s5, s17
	s_mul_hi_u32 s61, s5, s48
	s_mul_i32 s5, s5, s48
	s_mul_hi_u32 s18, s4, s48
	s_add_u32 s5, s17, s5
	s_addc_u32 s17, 0, s61
	s_add_u32 s5, s5, s60
	s_mul_i32 s48, s4, s48
	s_addc_u32 s5, s17, s52
	s_addc_u32 s17, s18, 0
	s_add_u32 s5, s5, s48
	s_addc_u32 s17, 0, s17
	v_add_co_u32 v2, s5, v2, s5
	s_delay_alu instid0(VALU_DEP_1) | instskip(SKIP_2) | instid1(VALU_DEP_1)
	s_cmp_lg_u32 s5, 0
	s_addc_u32 s17, s4, s17
	s_ashr_i32 s60, s53, 31
	v_readfirstlane_b32 s18, v2
	s_add_u32 s4, s76, s60
	s_mov_b32 s61, s60
	s_addc_u32 s5, s53, s60
	s_delay_alu instid0(SALU_CYCLE_1) | instskip(NEXT) | instid1(SALU_CYCLE_1)
	s_xor_b64 s[4:5], s[4:5], s[60:61]
	s_mul_i32 s52, s4, s17
	s_mul_hi_u32 s61, s4, s18
	s_mul_hi_u32 s48, s4, s17
	;; [unrolled: 1-line block ×3, first 2 shown]
	s_mul_i32 s18, s5, s18
	s_add_u32 s52, s61, s52
	s_addc_u32 s48, 0, s48
	s_mul_hi_u32 s62, s5, s17
	s_add_u32 s18, s52, s18
	s_mul_i32 s17, s5, s17
	s_addc_u32 s18, s48, s63
	s_addc_u32 s48, s62, 0
	s_add_u32 s17, s18, s17
	s_addc_u32 s18, 0, s48
	s_mul_hi_u32 s48, s33, s17
	s_mul_i32 s17, s33, s17
	s_mul_i32 s18, s33, s18
	v_sub_co_u32 v2, s4, s4, s17
	s_add_i32 s48, s48, s18
	s_cmp_lg_u32 s4, 0
	s_delay_alu instid0(VALU_DEP_1) | instskip(SKIP_2) | instid1(VALU_DEP_1)
	v_sub_co_u32 v3, s4, v2, s33
	s_subb_u32 s5, s5, s48
	s_cmp_lg_u32 s4, 0
	v_cmp_le_u32_e32 vcc_lo, s33, v3
	v_sub_co_u32 v4, s4, v3, s33
	s_subb_u32 s17, s5, 0
	s_cmp_lg_u32 s4, 0
	v_cndmask_b32_e64 v5, 0, -1, vcc_lo
	s_subb_u32 s4, s17, 0
	s_cmp_eq_u32 s17, 0
	v_mov_b32_e32 v7, s4
	s_cselect_b32 vcc_lo, -1, 0
	s_cmp_eq_u32 s5, 0
	v_cndmask_b32_e32 v5, -1, v5, vcc_lo
	v_cmp_le_u32_e32 vcc_lo, s33, v2
	s_cselect_b32 s4, -1, 0
	v_cndmask_b32_e64 v6, 0, -1, vcc_lo
	s_delay_alu instid0(VALU_DEP_3) | instskip(NEXT) | instid1(VALU_DEP_2)
	v_cmp_ne_u32_e32 vcc_lo, 0, v5
	v_cndmask_b32_e64 v5, -1, v6, s4
	v_cndmask_b32_e32 v3, v3, v4, vcc_lo
	v_cndmask_b32_e32 v6, s17, v7, vcc_lo
	s_delay_alu instid0(VALU_DEP_3) | instskip(NEXT) | instid1(VALU_DEP_3)
	v_cmp_ne_u32_e32 vcc_lo, 0, v5
	v_cndmask_b32_e32 v2, v2, v3, vcc_lo
	s_delay_alu instid0(VALU_DEP_3) | instskip(NEXT) | instid1(VALU_DEP_2)
	v_cndmask_b32_e32 v4, s5, v6, vcc_lo
	v_xor_b32_e32 v2, s60, v2
	s_delay_alu instid0(VALU_DEP_2) | instskip(NEXT) | instid1(VALU_DEP_2)
	v_xor_b32_e32 v3, s60, v4
	v_sub_co_u32 v2, vcc_lo, v2, s60
	s_delay_alu instid0(VALU_DEP_2)
	v_subrev_co_ci_u32_e32 v3, vcc_lo, s60, v3, vcc_lo
	s_cbranch_execnz .LBB15_250
.LBB15_249:                             ;   in Loop: Header=BB15_33 Depth=1
	v_cvt_f32_u32_e32 v2, s33
	s_sub_i32 s4, 0, s33
	s_delay_alu instid0(VALU_DEP_1) | instskip(SKIP_2) | instid1(VALU_DEP_1)
	v_rcp_iflag_f32_e32 v2, v2
	s_waitcnt_depctr 0xfff
	v_mul_f32_e32 v2, 0x4f7ffffe, v2
	v_cvt_u32_f32_e32 v2, v2
	s_delay_alu instid0(VALU_DEP_1) | instskip(NEXT) | instid1(VALU_DEP_1)
	v_mul_lo_u32 v3, s4, v2
	v_mul_hi_u32 v3, v2, v3
	s_delay_alu instid0(VALU_DEP_1) | instskip(NEXT) | instid1(VALU_DEP_1)
	v_add_nc_u32_e32 v2, v2, v3
	v_mul_hi_u32 v2, s76, v2
	s_delay_alu instid0(VALU_DEP_1) | instskip(NEXT) | instid1(VALU_DEP_1)
	v_mul_lo_u32 v2, v2, s33
	v_sub_nc_u32_e32 v2, s76, v2
	s_delay_alu instid0(VALU_DEP_1) | instskip(SKIP_1) | instid1(VALU_DEP_2)
	v_subrev_nc_u32_e32 v3, s33, v2
	v_cmp_le_u32_e32 vcc_lo, s33, v2
	v_cndmask_b32_e32 v2, v2, v3, vcc_lo
	s_delay_alu instid0(VALU_DEP_1) | instskip(SKIP_1) | instid1(VALU_DEP_2)
	v_subrev_nc_u32_e32 v3, s33, v2
	v_cmp_le_u32_e32 vcc_lo, s33, v2
	v_cndmask_b32_e32 v12, v2, v3, vcc_lo
	s_delay_alu instid0(VALU_DEP_1)
	v_dual_mov_b32 v2, v12 :: v_dual_mov_b32 v3, v13
.LBB15_250:                             ;   in Loop: Header=BB15_33 Depth=1
	s_delay_alu instid0(VALU_DEP_1) | instskip(NEXT) | instid1(VALU_DEP_2)
	v_sub_co_u32 v2, vcc_lo, s76, v2
	v_sub_co_ci_u32_e32 v3, vcc_lo, s53, v3, vcc_lo
	s_mov_b32 s60, 0
	s_mov_b32 s5, exec_lo
                                        ; implicit-def: $vgpr41
	s_delay_alu instid0(VALU_DEP_1)
	v_cmpx_gt_i64_e64 v[2:3], v[0:1]
	s_cbranch_execz .LBB15_263
; %bb.251:                              ;   in Loop: Header=BB15_33 Depth=1
	v_dual_mov_b32 v4, v10 :: v_dual_mov_b32 v5, v11
	v_dual_mov_b32 v7, v1 :: v_dual_mov_b32 v6, v0
	s_mov_b32 s17, 0
                                        ; implicit-def: $sgpr18
	s_set_inst_prefetch_distance 0x1
	s_branch .LBB15_253
	.p2align	6
.LBB15_252:                             ;   in Loop: Header=BB15_253 Depth=2
	s_or_b32 exec_lo, exec_lo, s4
	s_waitcnt vmcnt(0) lgkmcnt(0)
	s_barrier
	buffer_gl0_inv
	ds_load_u16 v8, v13 offset:3072
	v_add_co_u32 v6, vcc_lo, v6, s33
	v_add_co_ci_u32_e32 v7, vcc_lo, 0, v7, vcc_lo
	s_waitcnt lgkmcnt(0)
	s_barrier
	buffer_gl0_inv
	v_cmp_ge_i64_e32 vcc_lo, v[6:7], v[2:3]
	v_and_b32_e32 v9, 0xff, v8
	s_delay_alu instid0(VALU_DEP_1) | instskip(NEXT) | instid1(VALU_DEP_1)
	v_cmp_ne_u16_e64 s4, 0, v9
	s_or_b32 s48, s4, vcc_lo
	v_add_co_u32 v4, vcc_lo, v4, s71
	s_and_b32 s48, exec_lo, s48
	v_add_co_ci_u32_e32 v5, vcc_lo, s70, v5, vcc_lo
	s_or_b32 s17, s48, s17
	s_and_not1_b32 s18, s18, exec_lo
	s_and_b32 s4, s4, exec_lo
	s_delay_alu instid0(SALU_CYCLE_1)
	s_or_b32 s18, s18, s4
	s_and_not1_b32 exec_lo, exec_lo, s17
	s_cbranch_execz .LBB15_262
.LBB15_253:                             ;   Parent Loop BB15_33 Depth=1
                                        ; =>  This Inner Loop Header: Depth=2
	s_delay_alu instid0(VALU_DEP_1)
	v_cmp_gt_i64_e32 vcc_lo, s[24:25], v[6:7]
	v_mov_b32_e32 v8, 0
	s_and_saveexec_b32 s4, vcc_lo
	s_cbranch_execz .LBB15_255
; %bb.254:                              ;   in Loop: Header=BB15_253 Depth=2
	global_load_u8 v8, v[4:5], off
.LBB15_255:                             ;   in Loop: Header=BB15_253 Depth=2
	s_or_b32 exec_lo, exec_lo, s4
	s_and_saveexec_b32 s4, vcc_lo
	s_cbranch_execz .LBB15_252
; %bb.256:                              ;   in Loop: Header=BB15_253 Depth=2
	s_waitcnt vmcnt(0)
	v_bfe_i32 v9, v8, 0, 8
	s_delay_alu instid0(VALU_DEP_1) | instskip(NEXT) | instid1(VALU_DEP_1)
	v_add_nc_u32_e32 v9, 0x80, v9
	v_and_b32_e32 v9, s91, v9
	s_delay_alu instid0(VALU_DEP_1)
	v_cmp_eq_u32_e32 vcc_lo, s92, v9
	s_and_b32 exec_lo, exec_lo, vcc_lo
	s_cbranch_execz .LBB15_252
; %bb.257:                              ;   in Loop: Header=BB15_253 Depth=2
	v_lshlrev_b16 v8, 8, v8
	s_delay_alu instid0(VALU_DEP_1)
	v_or_b32_e32 v8, 1, v8
	ds_store_b16 v13, v8 offset:3072
	s_branch .LBB15_252
.LBB15_258:                             ;   in Loop: Header=BB15_33 Depth=1
                                        ; implicit-def: $sgpr17
                                        ; implicit-def: $sgpr48
                                        ; implicit-def: $sgpr18
	s_branch .LBB15_277
.LBB15_259:                             ;   in Loop: Header=BB15_33 Depth=1
                                        ; implicit-def: $vgpr2_vgpr3
	s_branch .LBB15_202
.LBB15_260:                             ;   in Loop: Header=BB15_33 Depth=1
                                        ; implicit-def: $vgpr2_vgpr3
	s_branch .LBB15_219
.LBB15_261:                             ;   in Loop: Header=BB15_33 Depth=1
	s_mov_b32 s17, -1
	s_mov_b32 s60, 0
                                        ; implicit-def: $sgpr18
                                        ; implicit-def: $vgpr41
	s_mov_b32 s48, s17
	s_cbranch_execnz .LBB15_264
	s_branch .LBB15_277
.LBB15_262:                             ;   in Loop: Header=BB15_33 Depth=1
	s_set_inst_prefetch_distance 0x2
	s_or_b32 exec_lo, exec_lo, s17
	v_lshrrev_b16 v41, 8, v8
	s_and_b32 s60, s18, exec_lo
.LBB15_263:                             ;   in Loop: Header=BB15_33 Depth=1
	s_or_b32 exec_lo, exec_lo, s5
	s_mov_b32 s18, -1
	s_mov_b32 s17, 0
	s_delay_alu instid0(SALU_CYCLE_1)
	s_mov_b32 s48, s17
	s_branch .LBB15_277
.LBB15_264:                             ;   in Loop: Header=BB15_33 Depth=1
	s_add_u32 s17, s74, s8
	s_addc_u32 s5, s75, s9
	s_mov_b32 s4, s49
	s_delay_alu instid0(SALU_CYCLE_1)
	s_cmp_lg_u64 s[4:5], 0
	s_cbranch_scc0 .LBB15_298
; %bb.265:                              ;   in Loop: Header=BB15_33 Depth=1
	v_cvt_f32_u32_e32 v2, s33
	s_sub_u32 s48, 0, s33
	s_subb_u32 s52, 0, 0
	s_delay_alu instid0(VALU_DEP_1) | instskip(NEXT) | instid1(VALU_DEP_1)
	v_fmac_f32_e32 v2, 0x4f800000, v40
	v_rcp_f32_e32 v2, v2
	s_waitcnt_depctr 0xfff
	v_mul_f32_e32 v2, 0x5f7ffffc, v2
	s_delay_alu instid0(VALU_DEP_1) | instskip(NEXT) | instid1(VALU_DEP_1)
	v_mul_f32_e32 v3, 0x2f800000, v2
	v_trunc_f32_e32 v3, v3
	s_delay_alu instid0(VALU_DEP_1) | instskip(SKIP_1) | instid1(VALU_DEP_2)
	v_fmac_f32_e32 v2, 0xcf800000, v3
	v_cvt_u32_f32_e32 v3, v3
	v_cvt_u32_f32_e32 v2, v2
	s_delay_alu instid0(VALU_DEP_2) | instskip(NEXT) | instid1(VALU_DEP_2)
	v_readfirstlane_b32 s4, v3
	v_readfirstlane_b32 s18, v2
	s_delay_alu instid0(VALU_DEP_2) | instskip(NEXT) | instid1(VALU_DEP_1)
	s_mul_i32 s60, s48, s4
	s_mul_hi_u32 s62, s48, s18
	s_mul_i32 s61, s52, s18
	s_add_i32 s60, s62, s60
	s_mul_i32 s63, s48, s18
	s_add_i32 s60, s60, s61
	s_mul_hi_u32 s62, s18, s63
	s_mul_hi_u32 s64, s4, s63
	s_mul_i32 s61, s4, s63
	s_mul_hi_u32 s63, s18, s60
	s_mul_i32 s18, s18, s60
	s_mul_hi_u32 s65, s4, s60
	s_add_u32 s18, s62, s18
	s_addc_u32 s62, 0, s63
	s_add_u32 s18, s18, s61
	s_mul_i32 s60, s4, s60
	s_addc_u32 s18, s62, s64
	s_addc_u32 s61, s65, 0
	s_add_u32 s18, s18, s60
	s_addc_u32 s60, 0, s61
	v_add_co_u32 v2, s18, v2, s18
	s_delay_alu instid0(VALU_DEP_1) | instskip(SKIP_1) | instid1(VALU_DEP_1)
	s_cmp_lg_u32 s18, 0
	s_addc_u32 s4, s4, s60
	v_readfirstlane_b32 s18, v2
	s_mul_i32 s60, s48, s4
	s_delay_alu instid0(VALU_DEP_1)
	s_mul_hi_u32 s61, s48, s18
	s_mul_i32 s52, s52, s18
	s_add_i32 s60, s61, s60
	s_mul_i32 s48, s48, s18
	s_add_i32 s60, s60, s52
	s_mul_hi_u32 s61, s4, s48
	s_mul_i32 s62, s4, s48
	s_mul_hi_u32 s48, s18, s48
	s_mul_hi_u32 s63, s18, s60
	s_mul_i32 s18, s18, s60
	s_mul_hi_u32 s52, s4, s60
	s_add_u32 s18, s48, s18
	s_addc_u32 s48, 0, s63
	s_add_u32 s18, s18, s62
	s_mul_i32 s60, s4, s60
	s_addc_u32 s18, s48, s61
	s_addc_u32 s48, s52, 0
	s_add_u32 s18, s18, s60
	s_addc_u32 s48, 0, s48
	v_add_co_u32 v2, s18, v2, s18
	s_delay_alu instid0(VALU_DEP_1) | instskip(SKIP_2) | instid1(VALU_DEP_1)
	s_cmp_lg_u32 s18, 0
	s_addc_u32 s4, s4, s48
	s_ashr_i32 s60, s5, 31
	v_readfirstlane_b32 s18, v2
	s_add_u32 s62, s17, s60
	s_mov_b32 s61, s60
	s_addc_u32 s63, s5, s60
	s_delay_alu instid0(SALU_CYCLE_1) | instskip(NEXT) | instid1(SALU_CYCLE_1)
	s_xor_b64 s[62:63], s[62:63], s[60:61]
	s_mul_i32 s52, s62, s4
	s_mul_hi_u32 s61, s62, s18
	s_mul_hi_u32 s48, s62, s4
	s_mul_hi_u32 s65, s63, s18
	s_mul_i32 s18, s63, s18
	s_add_u32 s52, s61, s52
	s_addc_u32 s48, 0, s48
	s_mul_hi_u32 s64, s63, s4
	s_add_u32 s18, s52, s18
	s_mul_i32 s4, s63, s4
	s_addc_u32 s18, s48, s65
	s_addc_u32 s48, s64, 0
	s_add_u32 s4, s18, s4
	s_addc_u32 s18, 0, s48
	s_mul_hi_u32 s48, s33, s4
	s_mul_i32 s4, s33, s4
	s_mul_i32 s18, s33, s18
	v_sub_co_u32 v2, s4, s62, s4
	s_add_i32 s48, s48, s18
	s_cmp_lg_u32 s4, 0
	s_delay_alu instid0(VALU_DEP_1) | instskip(SKIP_2) | instid1(VALU_DEP_1)
	v_sub_co_u32 v3, s4, v2, s33
	s_subb_u32 s18, s63, s48
	s_cmp_lg_u32 s4, 0
	v_cmp_le_u32_e32 vcc_lo, s33, v3
	v_sub_co_u32 v4, s4, v3, s33
	s_subb_u32 s48, s18, 0
	s_cmp_lg_u32 s4, 0
	v_cndmask_b32_e64 v5, 0, -1, vcc_lo
	s_subb_u32 s4, s48, 0
	s_cmp_eq_u32 s48, 0
	v_mov_b32_e32 v7, s4
	s_cselect_b32 vcc_lo, -1, 0
	s_cmp_eq_u32 s18, 0
	v_cndmask_b32_e32 v5, -1, v5, vcc_lo
	v_cmp_le_u32_e32 vcc_lo, s33, v2
	s_cselect_b32 s4, -1, 0
	v_cndmask_b32_e64 v6, 0, -1, vcc_lo
	s_delay_alu instid0(VALU_DEP_3) | instskip(NEXT) | instid1(VALU_DEP_2)
	v_cmp_ne_u32_e32 vcc_lo, 0, v5
	v_cndmask_b32_e64 v5, -1, v6, s4
	v_cndmask_b32_e32 v3, v3, v4, vcc_lo
	v_cndmask_b32_e32 v6, s48, v7, vcc_lo
	s_delay_alu instid0(VALU_DEP_3) | instskip(NEXT) | instid1(VALU_DEP_3)
	v_cmp_ne_u32_e32 vcc_lo, 0, v5
	v_cndmask_b32_e32 v2, v2, v3, vcc_lo
	s_delay_alu instid0(VALU_DEP_3) | instskip(NEXT) | instid1(VALU_DEP_2)
	v_cndmask_b32_e32 v4, s18, v6, vcc_lo
	v_xor_b32_e32 v2, s60, v2
	s_delay_alu instid0(VALU_DEP_2) | instskip(NEXT) | instid1(VALU_DEP_2)
	v_xor_b32_e32 v3, s60, v4
	v_sub_co_u32 v2, vcc_lo, v2, s60
	s_delay_alu instid0(VALU_DEP_2)
	v_subrev_co_ci_u32_e32 v3, vcc_lo, s60, v3, vcc_lo
	s_cbranch_execnz .LBB15_267
.LBB15_266:                             ;   in Loop: Header=BB15_33 Depth=1
	v_cvt_f32_u32_e32 v2, s33
	s_sub_i32 s4, 0, s33
	s_delay_alu instid0(VALU_DEP_1) | instskip(SKIP_2) | instid1(VALU_DEP_1)
	v_rcp_iflag_f32_e32 v2, v2
	s_waitcnt_depctr 0xfff
	v_mul_f32_e32 v2, 0x4f7ffffe, v2
	v_cvt_u32_f32_e32 v2, v2
	s_delay_alu instid0(VALU_DEP_1) | instskip(NEXT) | instid1(VALU_DEP_1)
	v_mul_lo_u32 v3, s4, v2
	v_mul_hi_u32 v3, v2, v3
	s_delay_alu instid0(VALU_DEP_1) | instskip(NEXT) | instid1(VALU_DEP_1)
	v_add_nc_u32_e32 v2, v2, v3
	v_mul_hi_u32 v2, s17, v2
	s_delay_alu instid0(VALU_DEP_1) | instskip(NEXT) | instid1(VALU_DEP_1)
	v_mul_lo_u32 v2, v2, s33
	v_sub_nc_u32_e32 v2, s17, v2
	s_delay_alu instid0(VALU_DEP_1) | instskip(SKIP_1) | instid1(VALU_DEP_2)
	v_subrev_nc_u32_e32 v3, s33, v2
	v_cmp_le_u32_e32 vcc_lo, s33, v2
	v_cndmask_b32_e32 v2, v2, v3, vcc_lo
	s_delay_alu instid0(VALU_DEP_1) | instskip(SKIP_1) | instid1(VALU_DEP_2)
	v_subrev_nc_u32_e32 v3, s33, v2
	v_cmp_le_u32_e32 vcc_lo, s33, v2
	v_cndmask_b32_e32 v12, v2, v3, vcc_lo
	s_delay_alu instid0(VALU_DEP_1)
	v_dual_mov_b32 v2, v12 :: v_dual_mov_b32 v3, v13
.LBB15_267:                             ;   in Loop: Header=BB15_33 Depth=1
	s_delay_alu instid0(VALU_DEP_1) | instskip(NEXT) | instid1(VALU_DEP_2)
	v_sub_co_u32 v2, vcc_lo, s17, v2
	v_sub_co_ci_u32_e32 v3, vcc_lo, s5, v3, vcc_lo
	s_mov_b32 s60, 0
	s_mov_b32 s5, exec_lo
                                        ; implicit-def: $vgpr41
	s_delay_alu instid0(VALU_DEP_1)
	v_cmpx_gt_i64_e64 v[2:3], v[0:1]
	s_cbranch_execz .LBB15_276
; %bb.268:                              ;   in Loop: Header=BB15_33 Depth=1
	v_dual_mov_b32 v6, v0 :: v_dual_mov_b32 v5, v1
	v_mov_b32_e32 v4, v0
	s_mov_b32 s17, 0
                                        ; implicit-def: $sgpr18
	s_set_inst_prefetch_distance 0x1
	s_branch .LBB15_270
	.p2align	6
.LBB15_269:                             ;   in Loop: Header=BB15_270 Depth=2
	s_or_b32 exec_lo, exec_lo, s4
	s_waitcnt lgkmcnt(0)
	s_barrier
	buffer_gl0_inv
	ds_load_u16 v7, v13 offset:3072
	v_add_co_u32 v4, vcc_lo, v4, s33
	v_add_co_ci_u32_e32 v5, vcc_lo, 0, v5, vcc_lo
	v_add_nc_u32_e32 v6, s33, v6
	s_waitcnt lgkmcnt(0)
	s_barrier
	s_delay_alu instid0(VALU_DEP_2) | instskip(SKIP_2) | instid1(VALU_DEP_1)
	v_cmp_ge_i64_e32 vcc_lo, v[4:5], v[2:3]
	buffer_gl0_inv
	v_and_b32_e32 v8, 0xff, v7
	v_cmp_ne_u16_e64 s4, 0, v8
	s_delay_alu instid0(VALU_DEP_1) | instskip(NEXT) | instid1(SALU_CYCLE_1)
	s_or_b32 s48, s4, vcc_lo
	s_and_b32 s48, exec_lo, s48
	s_delay_alu instid0(SALU_CYCLE_1) | instskip(SKIP_2) | instid1(SALU_CYCLE_1)
	s_or_b32 s17, s48, s17
	s_and_not1_b32 s18, s18, exec_lo
	s_and_b32 s4, s4, exec_lo
	s_or_b32 s18, s18, s4
	s_and_not1_b32 exec_lo, exec_lo, s17
	s_cbranch_execz .LBB15_275
.LBB15_270:                             ;   Parent Loop BB15_33 Depth=1
                                        ; =>  This Inner Loop Header: Depth=2
	s_delay_alu instid0(VALU_DEP_1)
	v_cmp_gt_i64_e32 vcc_lo, s[8:9], v[4:5]
	v_mov_b32_e32 v7, 0
	s_and_saveexec_b32 s4, vcc_lo
	s_cbranch_execz .LBB15_272
; %bb.271:                              ;   in Loop: Header=BB15_270 Depth=2
	ds_load_u8 v7, v6
.LBB15_272:                             ;   in Loop: Header=BB15_270 Depth=2
	s_or_b32 exec_lo, exec_lo, s4
	s_and_saveexec_b32 s4, vcc_lo
	s_cbranch_execz .LBB15_269
; %bb.273:                              ;   in Loop: Header=BB15_270 Depth=2
	s_waitcnt lgkmcnt(0)
	v_bfe_i32 v8, v7, 0, 8
	s_delay_alu instid0(VALU_DEP_1) | instskip(NEXT) | instid1(VALU_DEP_1)
	v_add_nc_u32_e32 v8, 0x80, v8
	v_and_b32_e32 v8, s91, v8
	s_delay_alu instid0(VALU_DEP_1)
	v_cmp_eq_u32_e32 vcc_lo, s92, v8
	s_and_b32 exec_lo, exec_lo, vcc_lo
	s_cbranch_execz .LBB15_269
; %bb.274:                              ;   in Loop: Header=BB15_270 Depth=2
	v_lshlrev_b16 v7, 8, v7
	s_delay_alu instid0(VALU_DEP_1)
	v_or_b32_e32 v7, 1, v7
	ds_store_b16 v13, v7 offset:3072
	s_branch .LBB15_269
.LBB15_275:                             ;   in Loop: Header=BB15_33 Depth=1
	s_set_inst_prefetch_distance 0x2
	s_or_b32 exec_lo, exec_lo, s17
	v_lshrrev_b16 v41, 8, v7
	s_and_b32 s60, s18, exec_lo
.LBB15_276:                             ;   in Loop: Header=BB15_33 Depth=1
	s_or_b32 exec_lo, exec_lo, s5
	s_mov_b32 s48, -1
	s_mov_b32 s17, 0
	s_mov_b32 s18, 0
.LBB15_277:                             ;   in Loop: Header=BB15_33 Depth=1
	s_mov_b32 s9, 0
                                        ; implicit-def: $sgpr52
                                        ; implicit-def: $sgpr4_sgpr5
	s_and_saveexec_b32 s8, s60
	s_cbranch_execz .LBB15_290
; %bb.278:                              ;   in Loop: Header=BB15_33 Depth=1
	s_xor_b32 s9, s11, -1
	s_mov_b64 s[4:5], 1
	s_and_not1_b32 vcc_lo, exec_lo, s9
	s_mov_b32 s52, 1
	s_cbranch_vccnz .LBB15_289
; %bb.279:                              ;   in Loop: Header=BB15_33 Depth=1
	v_cmp_gt_i64_e64 s4, s[26:27], s[6:7]
	s_delay_alu instid0(VALU_DEP_1)
	s_and_b32 vcc_lo, exec_lo, s4
	s_cbranch_vccnz .LBB15_285
; %bb.280:                              ;   in Loop: Header=BB15_33 Depth=1
	ds_load_b64 v[2:3], v13 offset:5120
	s_waitcnt lgkmcnt(0)
	v_cmp_ne_u64_e32 vcc_lo, 0, v[2:3]
	s_cbranch_vccnz .LBB15_284
; %bb.281:                              ;   in Loop: Header=BB15_33 Depth=1
	s_and_saveexec_b32 s4, s0
	s_cbranch_execz .LBB15_283
; %bb.282:                              ;   in Loop: Header=BB15_33 Depth=1
	v_dual_mov_b32 v2, s6 :: v_dual_mov_b32 v3, s7
	ds_store_b64 v13, v[2:3] offset:5128
.LBB15_283:                             ;   in Loop: Header=BB15_33 Depth=1
	s_or_b32 exec_lo, exec_lo, s4
	s_waitcnt lgkmcnt(0)
	s_barrier
	buffer_gl0_inv
.LBB15_284:                             ;   in Loop: Header=BB15_33 Depth=1
	s_or_b32 s9, s92, s16
	s_or_b32 s11, s91, s16
	s_mov_b32 s4, 0
	s_mov_b32 s52, 8
	s_branch .LBB15_286
.LBB15_285:                             ;   in Loop: Header=BB15_33 Depth=1
	s_mov_b32 s4, -1
                                        ; implicit-def: $sgpr52
                                        ; implicit-def: $sgpr9
                                        ; implicit-def: $sgpr11
.LBB15_286:                             ;   in Loop: Header=BB15_33 Depth=1
	s_delay_alu instid0(SALU_CYCLE_1)
	s_and_not1_b32 vcc_lo, exec_lo, s4
	s_cbranch_vccnz .LBB15_288
; %bb.287:                              ;   in Loop: Header=BB15_33 Depth=1
	s_sub_u32 s26, s26, s6
	s_subb_u32 s27, s27, s7
	s_mov_b32 s52, 8
	s_mov_b32 s9, s92
	;; [unrolled: 1-line block ×3, first 2 shown]
.LBB15_288:                             ;   in Loop: Header=BB15_33 Depth=1
	s_mov_b64 s[4:5], s[26:27]
	s_mov_b32 s92, s9
	s_mov_b32 s91, s11
.LBB15_289:                             ;   in Loop: Header=BB15_33 Depth=1
	s_mov_b32 s9, exec_lo
.LBB15_290:                             ;   in Loop: Header=BB15_33 Depth=1
	s_or_b32 exec_lo, exec_lo, s8
	s_mov_b64 s[26:27], s[4:5]
.LBB15_291:                             ;   in Loop: Header=BB15_33 Depth=1
	s_and_not1_b32 s4, s13, exec_lo
	s_and_b32 s5, s17, exec_lo
	s_and_not1_b32 s6, s22, exec_lo
	s_or_b32 s13, s4, s5
	s_and_not1_b32 s4, s23, exec_lo
	s_and_b32 s5, s48, exec_lo
	s_and_b32 s7, s18, exec_lo
	s_or_b32 s23, s4, s5
	s_or_b32 s22, s6, s7
	s_and_b32 s5, s9, exec_lo
.LBB15_292:                             ;   in Loop: Header=BB15_33 Depth=1
	s_or_b32 exec_lo, exec_lo, s10
.LBB15_293:                             ;   in Loop: Header=BB15_33 Depth=1
	s_delay_alu instid0(SALU_CYCLE_1)
	s_and_not1_b32 s4, s20, exec_lo
	s_and_b32 s6, s13, exec_lo
	s_and_not1_b32 s7, s19, exec_lo
	s_or_b32 s20, s4, s6
	s_and_not1_b32 s4, s21, exec_lo
	s_and_b32 s6, s23, exec_lo
	s_and_b32 s8, s22, exec_lo
	s_or_b32 s21, s4, s6
	s_or_b32 s19, s7, s8
	s_and_b32 s5, s5, exec_lo
.LBB15_294:                             ;   in Loop: Header=BB15_33 Depth=1
	s_or_b32 exec_lo, exec_lo, s12
	s_and_saveexec_b32 s4, s5
	s_delay_alu instid0(SALU_CYCLE_1)
	s_xor_b32 s4, exec_lo, s4
	s_cbranch_execz .LBB15_31
.LBB15_295:                             ;   in Loop: Header=BB15_33 Depth=1
	s_and_b32 s5, s52, -9
	s_delay_alu instid0(SALU_CYCLE_1)
	s_cmp_eq_u32 s5, 0
	s_cbranch_scc1 .LBB15_29
; %bb.296:                              ;   in Loop: Header=BB15_33 Depth=1
	s_mov_b32 s5, -1
	s_mov_b32 s6, -1
                                        ; implicit-def: $sgpr91
                                        ; implicit-def: $sgpr82
                                        ; implicit-def: $sgpr87
	s_branch .LBB15_30
.LBB15_297:                             ;   in Loop: Header=BB15_33 Depth=1
                                        ; implicit-def: $vgpr2_vgpr3
	s_branch .LBB15_249
.LBB15_298:                             ;   in Loop: Header=BB15_33 Depth=1
                                        ; implicit-def: $vgpr2_vgpr3
	s_branch .LBB15_266
.LBB15_299:
	s_or_b32 exec_lo, exec_lo, s83
	s_xor_b32 s5, s86, -1
	s_xor_b32 s2, s84, -1
	;; [unrolled: 1-line block ×3, first 2 shown]
	s_mov_b32 s3, 0
	s_and_saveexec_b32 s6, s2
	s_delay_alu instid0(SALU_CYCLE_1)
	s_xor_b32 s2, exec_lo, s6
	s_cbranch_execz .LBB15_322
; %bb.300:
	s_and_saveexec_b32 s3, s5
	s_delay_alu instid0(SALU_CYCLE_1)
	s_xor_b32 s3, exec_lo, s3
	s_cbranch_execz .LBB15_320
; %bb.301:
	s_and_saveexec_b32 s5, s4
	s_delay_alu instid0(SALU_CYCLE_1)
	s_xor_b32 s4, exec_lo, s5
; %bb.302:
	v_xor_b32_e32 v41, 0xffffff80, v2
; %bb.303:
	s_or_b32 exec_lo, exec_lo, s4
	s_and_saveexec_b32 s4, s0
	s_cbranch_execz .LBB15_305
; %bb.304:
	v_dual_mov_b32 v2, 0 :: v_dual_mov_b32 v3, s24
	ds_store_b32 v2, v3 offset:5140
.LBB15_305:
	s_or_b32 exec_lo, exec_lo, s4
	s_waitcnt lgkmcnt(0)
	s_barrier
	buffer_gl0_inv
	s_and_saveexec_b32 s4, s1
	s_cbranch_execz .LBB15_317
; %bb.306:
	v_mov_b32_e32 v2, 0
	v_and_b32_e32 v6, 0xff, v41
	s_mov_b32 s5, 0
                                        ; implicit-def: $sgpr6
                                        ; implicit-def: $sgpr7
                                        ; implicit-def: $sgpr8
	ds_load_b32 v4, v2 offset:5140
	s_waitcnt lgkmcnt(0)
	v_ashrrev_i32_e32 v5, 31, v4
	s_set_inst_prefetch_distance 0x1
	s_branch .LBB15_309
	.p2align	6
.LBB15_307:                             ;   in Loop: Header=BB15_309 Depth=1
	s_or_b32 exec_lo, exec_lo, s11
	s_delay_alu instid0(SALU_CYCLE_1)
	s_and_not1_b32 s8, s8, exec_lo
	s_and_b32 s10, s10, exec_lo
	s_and_not1_b32 s7, s7, exec_lo
	s_and_b32 s1, s1, exec_lo
	s_or_b32 s8, s8, s10
	s_or_b32 s7, s7, s1
.LBB15_308:                             ;   in Loop: Header=BB15_309 Depth=1
	s_or_b32 exec_lo, exec_lo, s9
	s_delay_alu instid0(SALU_CYCLE_1) | instskip(NEXT) | instid1(SALU_CYCLE_1)
	s_and_b32 s1, exec_lo, s7
	s_or_b32 s5, s1, s5
	s_and_not1_b32 s1, s6, exec_lo
	s_and_b32 s6, s8, exec_lo
	s_delay_alu instid0(SALU_CYCLE_1)
	s_or_b32 s6, s1, s6
	s_and_not1_b32 exec_lo, exec_lo, s5
	s_cbranch_execz .LBB15_312
.LBB15_309:                             ; =>This Inner Loop Header: Depth=1
	v_dual_mov_b32 v3, v1 :: v_dual_mov_b32 v2, v0
	s_or_b32 s8, s8, exec_lo
	s_or_b32 s7, s7, exec_lo
	s_mov_b32 s9, exec_lo
                                        ; implicit-def: $vgpr0_vgpr1
	s_delay_alu instid0(VALU_DEP_1)
	v_cmpx_lt_i64_e64 v[2:3], v[4:5]
	s_cbranch_execz .LBB15_308
; %bb.310:                              ;   in Loop: Header=BB15_309 Depth=1
	global_load_u8 v0, v[10:11], off
	s_mov_b32 s1, -1
	s_mov_b32 s10, 0
	s_waitcnt vmcnt(0)
	v_cmp_ne_u16_e32 vcc_lo, v0, v6
                                        ; implicit-def: $vgpr0_vgpr1
	s_and_saveexec_b32 s11, vcc_lo
	s_cbranch_execz .LBB15_307
; %bb.311:                              ;   in Loop: Header=BB15_309 Depth=1
	v_add_co_u32 v0, vcc_lo, v2, s33
	v_add_co_ci_u32_e32 v1, vcc_lo, 0, v3, vcc_lo
	v_add_co_u32 v10, s1, v10, s71
	s_delay_alu instid0(VALU_DEP_1) | instskip(NEXT) | instid1(VALU_DEP_3)
	v_add_co_ci_u32_e64 v11, s1, s70, v11, s1
	v_cmp_le_i64_e32 vcc_lo, s[24:25], v[0:1]
	s_mov_b32 s10, exec_lo
	s_or_not1_b32 s1, vcc_lo, exec_lo
	s_branch .LBB15_307
.LBB15_312:
	s_set_inst_prefetch_distance 0x2
	s_or_b32 exec_lo, exec_lo, s5
	s_xor_b32 s1, s6, -1
	s_delay_alu instid0(SALU_CYCLE_1) | instskip(NEXT) | instid1(SALU_CYCLE_1)
	s_and_saveexec_b32 s5, s1
	s_xor_b32 s5, exec_lo, s5
	s_cbranch_execz .LBB15_317
; %bb.313:
	s_mov_b32 s5, exec_lo
	s_brev_b32 s1, -2
.LBB15_314:                             ; =>This Inner Loop Header: Depth=1
	s_ctz_i32_b32 s6, s5
	s_delay_alu instid0(SALU_CYCLE_1) | instskip(SKIP_1) | instid1(SALU_CYCLE_1)
	v_readlane_b32 s7, v2, s6
	s_lshl_b32 s6, 1, s6
	s_and_not1_b32 s5, s5, s6
	s_delay_alu instid0(VALU_DEP_1)
	s_min_i32 s1, s1, s7
	s_cmp_lg_u32 s5, 0
	s_cbranch_scc1 .LBB15_314
; %bb.315:
	v_mbcnt_lo_u32_b32 v0, exec_lo, 0
	s_mov_b32 s5, exec_lo
	s_delay_alu instid0(VALU_DEP_1)
	v_cmpx_eq_u32_e32 0, v0
	s_xor_b32 s5, exec_lo, s5
	s_cbranch_execz .LBB15_317
; %bb.316:
	v_dual_mov_b32 v0, 0 :: v_dual_mov_b32 v1, s1
	ds_min_i32 v0, v1 offset:5140
.LBB15_317:
	s_or_b32 exec_lo, exec_lo, s4
	s_waitcnt lgkmcnt(0)
	s_barrier
	buffer_gl0_inv
	s_and_saveexec_b32 s1, s0
	s_cbranch_execz .LBB15_319
; %bb.318:
	v_mov_b32_e32 v2, 0
	s_mul_i32 s0, s36, s35
	s_mul_hi_u32 s5, s36, s34
	s_mul_i32 s8, s46, s41
	s_mul_hi_u32 s9, s46, s40
	ds_load_b32 v0, v2 offset:5140
	s_mul_i32 s6, s37, s34
	s_mul_i32 s10, s47, s40
	s_add_i32 s0, s5, s0
	s_add_i32 s5, s9, s8
	s_mul_i32 s7, s36, s34
	s_add_i32 s0, s0, s6
	s_add_i32 s5, s5, s10
	s_add_u32 s6, s44, s7
	s_mul_i32 s4, s46, s40
	s_addc_u32 s0, s45, s0
	s_add_u32 s6, s6, s28
	s_addc_u32 s7, s0, s29
	s_lshl_b64 s[4:5], s[4:5], 3
	s_delay_alu instid0(SALU_CYCLE_1) | instskip(SKIP_2) | instid1(SALU_CYCLE_1)
	s_add_u32 s0, s42, s4
	s_addc_u32 s8, s43, s5
	s_lshl_b64 s[4:5], s[38:39], 3
	s_add_u32 s4, s0, s4
	s_waitcnt lgkmcnt(0)
	v_ashrrev_i32_e32 v1, 31, v0
	s_addc_u32 s5, s8, s5
	s_clause 0x1
	global_store_b64 v2, v[0:1], s[4:5]
	global_store_b8 v2, v41, s[6:7]
.LBB15_319:
	s_or_b32 exec_lo, exec_lo, s1
.LBB15_320:
	s_or_saveexec_b32 s0, s3
	s_mov_b32 s1, 0
	s_xor_b32 exec_lo, exec_lo, s0
	s_cbranch_execnz .LBB15_328
.LBB15_321:
	s_or_b32 exec_lo, exec_lo, s0
	s_delay_alu instid0(SALU_CYCLE_1)
	s_and_b32 s3, s1, exec_lo
.LBB15_322:
	s_and_not1_saveexec_b32 s0, s2
	s_cbranch_execnz .LBB15_326
; %bb.323:
	s_or_b32 exec_lo, exec_lo, s0
	s_and_saveexec_b32 s0, s3
.LBB15_324:
	; divergent unreachable
.LBB15_325:
	s_nop 0
	s_sendmsg sendmsg(MSG_DEALLOC_VGPRS)
	s_endpgm
.LBB15_326:
	s_cbranch_execnz .LBB15_330
; %bb.327:
	s_or_b32 s3, s3, exec_lo
	s_or_b32 exec_lo, exec_lo, s0
	s_and_saveexec_b32 s0, s3
	s_cbranch_execnz .LBB15_324
	s_branch .LBB15_325
.LBB15_328:
	s_cbranch_execnz .LBB15_332
; %bb.329:
	s_mov_b32 s1, exec_lo
	s_branch .LBB15_321
.LBB15_330:
	s_trap 2
	s_sendmsg_rtn_b32 s0, sendmsg(MSG_RTN_GET_DOORBELL)
	s_mov_b32 ttmp2, m0
	s_waitcnt lgkmcnt(0)
	s_and_b32 s0, s0, 0x3ff
	s_delay_alu instid0(SALU_CYCLE_1) | instskip(NEXT) | instid1(SALU_CYCLE_1)
	s_bitset1_b32 s0, 10
	s_mov_b32 m0, s0
	s_sendmsg sendmsg(MSG_INTERRUPT)
	s_mov_b32 m0, ttmp2
.LBB15_331:                             ; =>This Inner Loop Header: Depth=1
	s_sethalt 5
	s_branch .LBB15_331
.LBB15_332:
	s_trap 2
	s_sendmsg_rtn_b32 s0, sendmsg(MSG_RTN_GET_DOORBELL)
	s_mov_b32 ttmp2, m0
	s_waitcnt lgkmcnt(0)
	s_and_b32 s0, s0, 0x3ff
	s_delay_alu instid0(SALU_CYCLE_1) | instskip(NEXT) | instid1(SALU_CYCLE_1)
	s_bitset1_b32 s0, 10
	s_mov_b32 m0, s0
	s_sendmsg sendmsg(MSG_INTERRUPT)
	s_mov_b32 m0, ttmp2
.LBB15_333:                             ; =>This Inner Loop Header: Depth=1
	s_sethalt 5
	s_branch .LBB15_333
	.section	.rodata,"a",@progbits
	.p2align	6, 0x0
	.amdhsa_kernel _ZN2at6native12_GLOBAL__N_114gatherKthValueIalLin1EEEvNS_4cuda6detail10TensorInfoIKT_T0_EES8_S8_S8_S8_NS5_IS6_S8_EENS5_IlS8_EE
		.amdhsa_group_segment_fixed_size 5144
		.amdhsa_private_segment_fixed_size 0
		.amdhsa_kernarg_size 1536
		.amdhsa_user_sgpr_count 13
		.amdhsa_user_sgpr_dispatch_ptr 0
		.amdhsa_user_sgpr_queue_ptr 0
		.amdhsa_user_sgpr_kernarg_segment_ptr 1
		.amdhsa_user_sgpr_dispatch_id 0
		.amdhsa_user_sgpr_private_segment_size 0
		.amdhsa_wavefront_size32 1
		.amdhsa_uses_dynamic_stack 0
		.amdhsa_enable_private_segment 0
		.amdhsa_system_sgpr_workgroup_id_x 1
		.amdhsa_system_sgpr_workgroup_id_y 1
		.amdhsa_system_sgpr_workgroup_id_z 1
		.amdhsa_system_sgpr_workgroup_info 0
		.amdhsa_system_vgpr_workitem_id 0
		.amdhsa_next_free_vgpr 45
		.amdhsa_next_free_sgpr 95
		.amdhsa_reserve_vcc 1
		.amdhsa_float_round_mode_32 0
		.amdhsa_float_round_mode_16_64 0
		.amdhsa_float_denorm_mode_32 3
		.amdhsa_float_denorm_mode_16_64 3
		.amdhsa_dx10_clamp 1
		.amdhsa_ieee_mode 1
		.amdhsa_fp16_overflow 0
		.amdhsa_workgroup_processor_mode 1
		.amdhsa_memory_ordered 1
		.amdhsa_forward_progress 0
		.amdhsa_shared_vgpr_count 0
		.amdhsa_exception_fp_ieee_invalid_op 0
		.amdhsa_exception_fp_denorm_src 0
		.amdhsa_exception_fp_ieee_div_zero 0
		.amdhsa_exception_fp_ieee_overflow 0
		.amdhsa_exception_fp_ieee_underflow 0
		.amdhsa_exception_fp_ieee_inexact 0
		.amdhsa_exception_int_div_zero 0
	.end_amdhsa_kernel
	.section	.text._ZN2at6native12_GLOBAL__N_114gatherKthValueIalLin1EEEvNS_4cuda6detail10TensorInfoIKT_T0_EES8_S8_S8_S8_NS5_IS6_S8_EENS5_IlS8_EE,"axG",@progbits,_ZN2at6native12_GLOBAL__N_114gatherKthValueIalLin1EEEvNS_4cuda6detail10TensorInfoIKT_T0_EES8_S8_S8_S8_NS5_IS6_S8_EENS5_IlS8_EE,comdat
.Lfunc_end15:
	.size	_ZN2at6native12_GLOBAL__N_114gatherKthValueIalLin1EEEvNS_4cuda6detail10TensorInfoIKT_T0_EES8_S8_S8_S8_NS5_IS6_S8_EENS5_IlS8_EE, .Lfunc_end15-_ZN2at6native12_GLOBAL__N_114gatherKthValueIalLin1EEEvNS_4cuda6detail10TensorInfoIKT_T0_EES8_S8_S8_S8_NS5_IS6_S8_EENS5_IlS8_EE
                                        ; -- End function
	.section	.AMDGPU.csdata,"",@progbits
; Kernel info:
; codeLenInByte = 20164
; NumSgprs: 97
; NumVgprs: 45
; ScratchSize: 0
; MemoryBound: 0
; FloatMode: 240
; IeeeMode: 1
; LDSByteSize: 5144 bytes/workgroup (compile time only)
; SGPRBlocks: 12
; VGPRBlocks: 5
; NumSGPRsForWavesPerEU: 97
; NumVGPRsForWavesPerEU: 45
; Occupancy: 16
; WaveLimiterHint : 1
; COMPUTE_PGM_RSRC2:SCRATCH_EN: 0
; COMPUTE_PGM_RSRC2:USER_SGPR: 13
; COMPUTE_PGM_RSRC2:TRAP_HANDLER: 0
; COMPUTE_PGM_RSRC2:TGID_X_EN: 1
; COMPUTE_PGM_RSRC2:TGID_Y_EN: 1
; COMPUTE_PGM_RSRC2:TGID_Z_EN: 1
; COMPUTE_PGM_RSRC2:TIDIG_COMP_CNT: 0
	.section	.text._ZN2at6native12_GLOBAL__N_114gatherKthValueIiiLi1EEEvNS_4cuda6detail10TensorInfoIKT_T0_EES8_S8_S8_S8_NS5_IS6_S8_EENS5_IlS8_EE,"axG",@progbits,_ZN2at6native12_GLOBAL__N_114gatherKthValueIiiLi1EEEvNS_4cuda6detail10TensorInfoIKT_T0_EES8_S8_S8_S8_NS5_IS6_S8_EENS5_IlS8_EE,comdat
	.globl	_ZN2at6native12_GLOBAL__N_114gatherKthValueIiiLi1EEEvNS_4cuda6detail10TensorInfoIKT_T0_EES8_S8_S8_S8_NS5_IS6_S8_EENS5_IlS8_EE ; -- Begin function _ZN2at6native12_GLOBAL__N_114gatherKthValueIiiLi1EEEvNS_4cuda6detail10TensorInfoIKT_T0_EES8_S8_S8_S8_NS5_IS6_S8_EENS5_IlS8_EE
	.p2align	8
	.type	_ZN2at6native12_GLOBAL__N_114gatherKthValueIiiLi1EEEvNS_4cuda6detail10TensorInfoIKT_T0_EES8_S8_S8_S8_NS5_IS6_S8_EENS5_IlS8_EE,@function
_ZN2at6native12_GLOBAL__N_114gatherKthValueIiiLi1EEEvNS_4cuda6detail10TensorInfoIKT_T0_EES8_S8_S8_S8_NS5_IS6_S8_EENS5_IlS8_EE: ; @_ZN2at6native12_GLOBAL__N_114gatherKthValueIiiLi1EEEvNS_4cuda6detail10TensorInfoIKT_T0_EES8_S8_S8_S8_NS5_IS6_S8_EENS5_IlS8_EE
; %bb.0:
	s_clause 0x1
	s_load_b64 s[6:7], s[0:1], 0x298
	s_load_b128 s[36:39], s[0:1], 0xd8
	s_add_u32 s4, s0, 0x298
	s_addc_u32 s5, s1, 0
	s_waitcnt lgkmcnt(0)
	s_mul_i32 s2, s7, s15
	s_delay_alu instid0(SALU_CYCLE_1) | instskip(NEXT) | instid1(SALU_CYCLE_1)
	s_add_i32 s2, s2, s14
	s_mul_i32 s29, s2, s6
	s_delay_alu instid0(SALU_CYCLE_1) | instskip(NEXT) | instid1(SALU_CYCLE_1)
	s_add_i32 s29, s29, s13
	s_cmp_ge_i32 s29, s38
	s_cbranch_scc1 .LBB16_266
; %bb.1:
	s_clause 0x3
	s_load_b64 s[30:31], s[0:1], 0x1c0
	s_load_b64 s[34:35], s[0:1], 0xe8
	s_load_b32 s3, s[0:1], 0x6c
	s_load_b64 s[8:9], s[0:1], 0x0
	v_cmp_eq_u32_e64 s2, 0, v0
	s_mov_b32 s45, 0
	s_delay_alu instid0(VALU_DEP_1)
	s_and_saveexec_b32 s7, s2
	s_cbranch_execz .LBB16_3
; %bb.2:
	v_dual_mov_b32 v1, 0 :: v_dual_mov_b32 v2, s36
	s_delay_alu instid0(VALU_DEP_1)
	v_mov_b32_e32 v3, v1
	ds_store_b96 v1, v[1:3] offset:4096
.LBB16_3:
	s_or_b32 exec_lo, exec_lo, s7
	s_waitcnt lgkmcnt(0)
	s_barrier
	buffer_gl0_inv
	s_load_b32 s7, s[4:5], 0xc
	s_mul_i32 s10, s3, s29
	v_mbcnt_lo_u32_b32 v18, -1, 0
	s_ashr_i32 s11, s10, 31
	s_clause 0x1
	s_load_b32 s33, s[0:1], 0x22c
	s_load_b32 s38, s[0:1], 0x154
	s_lshl_b64 s[10:11], s[10:11], 2
	v_cmp_gt_u32_e32 vcc_lo, 32, v0
	s_add_u32 s42, s8, s10
	s_addc_u32 s43, s9, s11
	v_cmp_gt_i32_e64 s0, 4, v18
	v_mul_lo_u32 v5, v0, s39
	v_mov_b32_e32 v7, 0
	v_lshrrev_b32_e32 v3, 3, v0
	v_lshlrev_b32_e32 v19, 2, v0
	s_and_b32 s47, vcc_lo, s0
	s_mov_b32 s10, s39
	v_mov_b32_e32 v6, v7
	v_and_b32_e32 v22, 0x7c, v3
	v_mad_u64_u32 v[12:13], null, s39, v19, s[10:11]
	v_mov_b32_e32 v13, 1
	s_waitcnt lgkmcnt(0)
	s_and_b32 s44, s7, 0xffff
	s_bfe_u32 s3, s7, 0xb0005
	s_lshl_b32 s46, s44, 2
	s_add_i32 s49, s44, -1
	v_cvt_f32_u32_e32 v1, s46
	s_add_i32 s59, s49, s36
	s_cmpk_gt_i32 s36, 0x300
	v_cvt_f32_u32_e32 v2, s44
	s_cselect_b32 s50, -1, 0
	v_rcp_iflag_f32_e32 v1, v1
	s_cmp_gt_u32 s44, 31
	v_lshlrev_b64 v[8:9], 2, v[5:6]
	s_cselect_b32 s51, -1, 0
	s_cmp_lt_u32 s13, s6
	v_rcp_iflag_f32_e32 v2, v2
	s_cselect_b32 s6, 12, 18
	v_lshlrev_b32_e32 v28, 4, v0
	s_add_u32 s40, s4, s6
	s_addc_u32 s41, s5, 0
	s_waitcnt_depctr 0xfff
	v_mul_f32_e32 v1, 0x4f7ffffe, v1
	s_add_i32 s4, s3, -1
	s_bfe_u32 s52, s44, 0x30005
	s_cmp_gt_u32 s4, 6
	v_add_co_u32 v8, vcc_lo, s42, v8
	v_cvt_u32_f32_e32 v1, v1
	s_cselect_b32 s53, -1, 0
	s_and_b32 s54, s3, 0x7f8
	s_cmp_lg_u32 s52, 0
	v_lshlrev_b32_e32 v26, 2, v5
	v_readfirstlane_b32 s4, v1
	s_cselect_b32 s55, -1, 0
	s_sub_i32 s3, 0, s46
	v_mul_f32_e32 v1, 0x4f7ffffe, v2
	v_add_co_ci_u32_e32 v9, vcc_lo, s43, v9, vcc_lo
	s_mul_i32 s5, s3, s4
	v_cmp_gt_u32_e64 s0, 2, v0
	s_mul_hi_u32 s5, s4, s5
	v_cvt_u32_f32_e32 v1, v1
	s_add_i32 s56, s4, s5
	v_cmp_gt_u32_e64 s1, s36, v0
	s_mul_hi_u32 s5, s36, s56
	v_cmp_gt_i32_e64 s3, s36, v0
	s_mul_i32 s5, s5, s46
	v_cmp_eq_u32_e64 s4, 0, v18
	s_sub_i32 s5, s36, s5
	v_add_nc_u32_e32 v20, 0xc00, v19
	s_sub_i32 s6, s5, s46
	s_cmp_ge_u32 s5, s46
	v_lshl_or_b32 v29, v18, 2, 0xc00
	s_cselect_b32 s5, s6, s5
	v_readfirstlane_b32 s6, v1
	s_sub_i32 s7, s5, s46
	s_cmp_ge_u32 s5, s46
	v_lshlrev_b64 v[1:2], v18, -1
	s_cselect_b32 s9, s7, s5
	s_sub_i32 s5, 0, s44
	s_sub_i32 s57, s36, s9
	s_mul_i32 s5, s5, s6
	v_add_nc_u32_e32 v21, s57, v0
	s_mul_hi_u32 s5, s6, s5
	s_abs_i32 s7, s59
	s_add_i32 s58, s6, s5
	v_not_b32_e32 v23, v1
	v_mul_lo_u32 v2, v21, s39
	s_mul_hi_u32 s5, s7, s58
	v_mov_b32_e32 v15, 0
	s_mul_i32 s5, s5, s44
	s_mul_i32 s48, s39, s44
	s_sub_i32 s5, s7, s5
	s_ashr_i32 s7, s59, 31
	s_sub_i32 s6, s5, s44
	v_ashrrev_i32_e32 v3, 31, v2
	s_cmp_ge_u32 s5, s44
	s_mov_b32 s65, 30
	s_cselect_b32 s5, s6, s5
	s_mov_b32 s68, 0
	v_lshlrev_b64 v[1:2], 2, v[2:3]
	s_sub_i32 s6, s5, s44
	s_cmp_ge_u32 s5, s44
	v_or_b32_e32 v3, 3, v19
	s_cselect_b32 s6, s6, s5
	v_cmp_gt_i32_e64 s5, s57, v19
	v_add_co_u32 v10, vcc_lo, s42, v1
	v_add3_u32 v1, s44, s36, v0
	v_add_co_ci_u32_e32 v11, vcc_lo, s43, v2, vcc_lo
	v_or_b32_e32 v2, 2, v19
	s_xor_b32 s8, s6, s7
	s_delay_alu instid0(VALU_DEP_3)
	v_subrev_nc_u32_e32 v1, s9, v1
	s_sub_i32 s7, s7, s8
	v_mul_lo_u32 v25, s39, v3
	v_mul_lo_u32 v24, s39, v2
	s_add_i32 s59, s59, s7
	v_mul_lo_u32 v27, s39, v1
	v_cmp_gt_u32_e64 s6, s36, v21
	v_cmp_gt_i32_e64 s7, s36, v21
	v_cmp_gt_i32_e64 s8, s59, v0
	s_lshl_b32 s60, s48, 2
	s_lshl_b32 s61, s44, 4
	s_mov_b32 s70, 0
	s_mov_b32 s71, 0
                                        ; implicit-def: $sgpr62
                                        ; implicit-def: $sgpr64
                                        ; implicit-def: $sgpr63
                                        ; implicit-def: $sgpr67
                                        ; implicit-def: $sgpr69
                                        ; implicit-def: $sgpr66
	s_branch .LBB16_8
.LBB16_4:                               ;   in Loop: Header=BB16_8 Depth=1
	s_xor_b32 s68, s68, 1
	s_add_i32 s13, s65, -2
	s_cmp_eq_u32 s65, 0
	s_mov_b32 s9, 0
	s_cselect_b32 s11, -1, 0
	s_mov_b32 s65, s13
.LBB16_5:                               ;   in Loop: Header=BB16_8 Depth=1
	s_and_not1_b32 s13, s15, exec_lo
	s_and_b32 s9, s9, exec_lo
	s_and_not1_b32 s17, s17, exec_lo
	s_or_b32 s15, s13, s9
	s_and_not1_b32 s14, s14, exec_lo
	s_or_not1_b32 s13, s11, exec_lo
	s_mov_b32 s37, s22
.LBB16_6:                               ;   in Loop: Header=BB16_8 Depth=1
	s_or_b32 exec_lo, exec_lo, s10
	s_delay_alu instid0(SALU_CYCLE_1)
	s_and_not1_b32 s9, s66, exec_lo
	s_and_b32 s10, s15, exec_lo
	s_and_not1_b32 s11, s67, exec_lo
	s_or_b32 s66, s9, s10
	s_and_not1_b32 s9, s69, exec_lo
	s_and_b32 s10, s17, exec_lo
	s_and_b32 s14, s14, exec_lo
	s_or_b32 s69, s9, s10
	s_or_b32 s67, s11, s14
	s_or_not1_b32 s14, s13, exec_lo
.LBB16_7:                               ;   in Loop: Header=BB16_8 Depth=1
	s_or_b32 exec_lo, exec_lo, s12
	s_delay_alu instid0(SALU_CYCLE_1)
	s_and_b32 s9, exec_lo, s14
	v_mov_b32_e32 v1, s70
	s_or_b32 s45, s9, s45
	s_and_not1_b32 s9, s63, exec_lo
	s_and_b32 s10, s66, exec_lo
	s_and_not1_b32 s11, s62, exec_lo
	s_or_b32 s63, s9, s10
	s_and_not1_b32 s9, s64, exec_lo
	s_and_b32 s10, s69, exec_lo
	s_and_b32 s12, s67, exec_lo
	s_or_b32 s64, s9, s10
	s_or_b32 s62, s11, s12
	s_and_not1_b32 exec_lo, exec_lo, s45
	s_cbranch_execz .LBB16_242
.LBB16_8:                               ; =>This Loop Header: Depth=1
                                        ;     Child Loop BB16_16 Depth 2
                                        ;     Child Loop BB16_35 Depth 2
	;; [unrolled: 1-line block ×16, first 2 shown]
	ds_load_b64 v[1:2], v7 offset:4096
	s_waitcnt lgkmcnt(0)
	v_readfirstlane_b32 s72, v1
	s_delay_alu instid0(VALU_DEP_1)
	s_cmp_gt_i32 s72, 0
	s_cbranch_scc1 .LBB16_42
; %bb.9:                                ;   in Loop: Header=BB16_8 Depth=1
	s_and_b32 vcc_lo, exec_lo, s50
	s_cbranch_vccz .LBB16_24
; %bb.10:                               ;   in Loop: Header=BB16_8 Depth=1
	v_cmp_gt_i32_e32 vcc_lo, 0x301, v2
	s_mov_b32 s10, 0
	s_mov_b32 s9, 0
	s_cbranch_vccz .LBB16_29
; %bb.11:                               ;   in Loop: Header=BB16_8 Depth=1
	v_mov_b32_e32 v1, 0
	s_and_saveexec_b32 s9, s1
	s_cbranch_execz .LBB16_13
; %bb.12:                               ;   in Loop: Header=BB16_8 Depth=1
	global_load_b32 v1, v[8:9], off
.LBB16_13:                              ;   in Loop: Header=BB16_8 Depth=1
	s_or_b32 exec_lo, exec_lo, s9
	s_and_saveexec_b32 s11, s1
	s_cbranch_execz .LBB16_25
; %bb.14:                               ;   in Loop: Header=BB16_8 Depth=1
	global_load_u16 v2, v7, s[40:41]
	v_mov_b32_e32 v4, v0
	s_mov_b32 s12, 0
	s_waitcnt vmcnt(0)
	v_add_nc_u32_e32 v3, v0, v2
	s_delay_alu instid0(VALU_DEP_1)
	v_mul_lo_u32 v6, s39, v3
	v_mul_lo_u32 v3, s39, v2
	s_branch .LBB16_16
.LBB16_15:                              ;   in Loop: Header=BB16_16 Depth=2
	s_or_b32 exec_lo, exec_lo, s9
	v_cmp_le_i32_e32 vcc_lo, s36, v4
	v_add_nc_u32_e32 v6, v6, v3
	s_waitcnt vmcnt(0)
	v_mov_b32_e32 v1, v14
	s_or_b32 s12, vcc_lo, s12
	s_delay_alu instid0(SALU_CYCLE_1)
	s_and_not1_b32 exec_lo, exec_lo, s12
	s_cbranch_execz .LBB16_25
.LBB16_16:                              ;   Parent Loop BB16_8 Depth=1
                                        ; =>  This Inner Loop Header: Depth=2
	v_add_nc_u32_e32 v4, v4, v2
	s_waitcnt lgkmcnt(0)
	v_mov_b32_e32 v16, 0
	v_mov_b32_e32 v14, 0
	s_mov_b32 s9, exec_lo
	v_cmpx_gt_u32_e64 s36, v4
	s_cbranch_execz .LBB16_18
; %bb.17:                               ;   in Loop: Header=BB16_16 Depth=2
	v_lshlrev_b64 v[30:31], 2, v[6:7]
	s_delay_alu instid0(VALU_DEP_1) | instskip(NEXT) | instid1(VALU_DEP_2)
	v_add_co_u32 v30, vcc_lo, s42, v30
	v_add_co_ci_u32_e32 v31, vcc_lo, s43, v31, vcc_lo
	global_load_b32 v14, v[30:31], off
.LBB16_18:                              ;   in Loop: Header=BB16_16 Depth=2
	s_or_b32 exec_lo, exec_lo, s9
	v_xor_b32_e32 v17, 0x80000000, v1
	s_delay_alu instid0(VALU_DEP_1) | instskip(NEXT) | instid1(VALU_DEP_1)
	v_and_b32_e32 v17, s71, v17
	v_cmp_eq_u32_e32 vcc_lo, s70, v17
	s_cmp_lg_u32 vcc_lo, 0
	s_cselect_b32 s9, -1, 0
	s_delay_alu instid0(SALU_CYCLE_1) | instskip(NEXT) | instid1(SALU_CYCLE_1)
	s_and_b32 s9, s4, s9
	s_and_saveexec_b32 s13, s9
	s_cbranch_execz .LBB16_22
; %bb.19:                               ;   in Loop: Header=BB16_16 Depth=2
	s_mov_b32 s16, exec_lo
	s_bcnt1_i32_b32 s14, vcc_lo
	v_mbcnt_lo_u32_b32 v16, s16, 0
	s_mov_b32 s15, exec_lo
                                        ; implicit-def: $vgpr17
	s_delay_alu instid0(VALU_DEP_1)
	v_cmpx_eq_u32_e32 0, v16
	s_cbranch_execz .LBB16_21
; %bb.20:                               ;   in Loop: Header=BB16_16 Depth=2
	s_bcnt1_i32_b32 s9, s16
	s_delay_alu instid0(SALU_CYCLE_1) | instskip(NEXT) | instid1(SALU_CYCLE_1)
	s_mul_i32 s9, s14, s9
	v_mov_b32_e32 v17, s9
	ds_add_rtn_u32 v17, v7, v17 offset:4104
.LBB16_21:                              ;   in Loop: Header=BB16_16 Depth=2
	s_or_b32 exec_lo, exec_lo, s15
	s_waitcnt lgkmcnt(0)
	v_readfirstlane_b32 s9, v17
	s_delay_alu instid0(VALU_DEP_1)
	v_mad_u32_u24 v16, s14, v16, s9
.LBB16_22:                              ;   in Loop: Header=BB16_16 Depth=2
	s_or_b32 exec_lo, exec_lo, s13
	ds_bpermute_b32 v16, v7, v16
	s_and_saveexec_b32 s9, vcc_lo
	s_cbranch_execz .LBB16_15
; %bb.23:                               ;   in Loop: Header=BB16_16 Depth=2
	v_and_b32_e32 v17, vcc_lo, v23
	s_delay_alu instid0(VALU_DEP_1) | instskip(NEXT) | instid1(VALU_DEP_1)
	v_bcnt_u32_b32 v17, v17, 0
	v_lshlrev_b32_e32 v17, 2, v17
	s_waitcnt lgkmcnt(0)
	s_delay_alu instid0(VALU_DEP_1)
	v_lshl_add_u32 v16, v16, 2, v17
	ds_store_b32 v16, v1
	s_branch .LBB16_15
.LBB16_24:                              ;   in Loop: Header=BB16_8 Depth=1
	s_mov_b32 s10, -1
	s_mov_b32 s9, 0
	s_branch .LBB16_28
.LBB16_25:                              ;   in Loop: Header=BB16_8 Depth=1
	s_or_b32 exec_lo, exec_lo, s11
	s_waitcnt vmcnt(0) lgkmcnt(0)
	s_barrier
	buffer_gl0_inv
	s_and_saveexec_b32 s9, s2
	s_cbranch_execz .LBB16_27
; %bb.26:                               ;   in Loop: Header=BB16_8 Depth=1
	ds_load_b32 v1, v7 offset:4104
	s_waitcnt lgkmcnt(0)
	ds_store_b32 v7, v1 offset:4096
.LBB16_27:                              ;   in Loop: Header=BB16_8 Depth=1
	s_or_b32 exec_lo, exec_lo, s9
	s_waitcnt lgkmcnt(0)
	s_mov_b32 s9, -1
	s_barrier
.LBB16_28:                              ;   in Loop: Header=BB16_8 Depth=1
                                        ; implicit-def: $sgpr72
.LBB16_29:                              ;   in Loop: Header=BB16_8 Depth=1
	s_and_b32 vcc_lo, exec_lo, s10
	s_cbranch_vccz .LBB16_40
; %bb.30:                               ;   in Loop: Header=BB16_8 Depth=1
	v_mov_b32_e32 v1, 0
	s_and_saveexec_b32 s9, s1
	s_cbranch_execz .LBB16_32
; %bb.31:                               ;   in Loop: Header=BB16_8 Depth=1
	global_load_b32 v1, v[8:9], off
.LBB16_32:                              ;   in Loop: Header=BB16_8 Depth=1
	s_or_b32 exec_lo, exec_lo, s9
	s_and_saveexec_b32 s9, s3
	s_cbranch_execz .LBB16_37
; %bb.33:                               ;   in Loop: Header=BB16_8 Depth=1
	global_load_u16 v2, v7, s[40:41]
	v_mov_b32_e32 v16, v0
	s_mov_b32 s10, 0
	s_waitcnt vmcnt(0)
	v_dual_mov_b32 v14, v19 :: v_dual_add_nc_u32 v3, v0, v2
	v_lshlrev_b32_e32 v4, 2, v2
	s_delay_alu instid0(VALU_DEP_2)
	v_mul_lo_u32 v6, s39, v3
	v_mul_lo_u32 v3, s39, v2
	s_branch .LBB16_35
	.p2align	6
.LBB16_34:                              ;   in Loop: Header=BB16_35 Depth=2
	s_or_b32 exec_lo, exec_lo, s11
	v_cmp_le_i32_e32 vcc_lo, s36, v16
	ds_store_b32 v14, v1
	s_waitcnt vmcnt(0)
	v_dual_mov_b32 v1, v17 :: v_dual_add_nc_u32 v14, v14, v4
	v_add_nc_u32_e32 v6, v6, v3
	s_or_b32 s10, vcc_lo, s10
	s_delay_alu instid0(SALU_CYCLE_1)
	s_and_not1_b32 exec_lo, exec_lo, s10
	s_cbranch_execz .LBB16_37
.LBB16_35:                              ;   Parent Loop BB16_8 Depth=1
                                        ; =>  This Inner Loop Header: Depth=2
	v_dual_mov_b32 v17, 0 :: v_dual_add_nc_u32 v16, v16, v2
	s_mov_b32 s11, exec_lo
	s_delay_alu instid0(VALU_DEP_1)
	v_cmpx_gt_u32_e64 s36, v16
	s_cbranch_execz .LBB16_34
; %bb.36:                               ;   in Loop: Header=BB16_35 Depth=2
	s_delay_alu instid0(VALU_DEP_3) | instskip(NEXT) | instid1(VALU_DEP_1)
	v_lshlrev_b64 v[30:31], 2, v[6:7]
	v_add_co_u32 v30, vcc_lo, s42, v30
	s_delay_alu instid0(VALU_DEP_2)
	v_add_co_ci_u32_e32 v31, vcc_lo, s43, v31, vcc_lo
	global_load_b32 v17, v[30:31], off
	s_branch .LBB16_34
.LBB16_37:                              ;   in Loop: Header=BB16_8 Depth=1
	s_or_b32 exec_lo, exec_lo, s9
	s_waitcnt vmcnt(0) lgkmcnt(0)
	s_barrier
	buffer_gl0_inv
	s_and_saveexec_b32 s9, s2
	s_cbranch_execz .LBB16_39
; %bb.38:                               ;   in Loop: Header=BB16_8 Depth=1
	v_mov_b32_e32 v1, s36
	ds_store_b32 v7, v1 offset:4096
.LBB16_39:                              ;   in Loop: Header=BB16_8 Depth=1
	s_or_b32 exec_lo, exec_lo, s9
	s_mov_b32 s9, -1
	s_waitcnt lgkmcnt(0)
	s_barrier
                                        ; implicit-def: $sgpr72
.LBB16_40:                              ;   in Loop: Header=BB16_8 Depth=1
	s_and_b32 vcc_lo, exec_lo, s9
	s_cbranch_vccz .LBB16_42
; %bb.41:                               ;   in Loop: Header=BB16_8 Depth=1
	buffer_gl0_inv
	ds_load_b32 v1, v7 offset:4096
	s_waitcnt lgkmcnt(0)
	v_readfirstlane_b32 s72, v1
.LBB16_42:                              ;   in Loop: Header=BB16_8 Depth=1
	s_delay_alu instid0(VALU_DEP_1)
	s_cmp_lt_i32 s72, 1
	s_cbranch_scc0 .LBB16_46
; %bb.43:                               ;   in Loop: Header=BB16_8 Depth=1
	v_dual_mov_b32 v1, 0 :: v_dual_mov_b32 v2, 0
	v_dual_mov_b32 v3, 0 :: v_dual_mov_b32 v4, 0
	s_mov_b32 s74, 0
	s_and_saveexec_b32 s73, s5
	s_cbranch_execnz .LBB16_47
; %bb.44:                               ;   in Loop: Header=BB16_8 Depth=1
	s_or_b32 exec_lo, exec_lo, s73
	v_mov_b32_e32 v14, 0
	s_and_saveexec_b32 s9, s6
	s_cbranch_execnz .LBB16_50
.LBB16_45:                              ;   in Loop: Header=BB16_8 Depth=1
	s_or_b32 exec_lo, exec_lo, s9
	s_and_saveexec_b32 s13, s7
	s_cbranch_execnz .LBB16_51
	s_branch .LBB16_56
.LBB16_46:                              ;   in Loop: Header=BB16_8 Depth=1
                                        ; implicit-def: $vgpr4
	s_cbranch_execnz .LBB16_57
	s_branch .LBB16_66
.LBB16_47:                              ;   in Loop: Header=BB16_8 Depth=1
	v_mov_b32_e32 v6, v19
	s_and_b32 s75, s65, 0xfe
	s_mov_b32 s76, 0
	s_mov_b32 s77, 0
	s_mov_b32 s78, 0
	s_mov_b32 s79, 0
	s_mov_b32 s80, 0
.LBB16_48:                              ;   Parent Loop BB16_8 Depth=1
                                        ; =>  This Inner Loop Header: Depth=2
	v_add_nc_u32_e32 v1, s76, v26
	v_add_nc_u32_e32 v3, s76, v12
	;; [unrolled: 1-line block ×5, first 2 shown]
	v_ashrrev_i32_e32 v2, 31, v1
	v_ashrrev_i32_e32 v4, 31, v3
	;; [unrolled: 1-line block ×4, first 2 shown]
	s_add_i32 s76, s76, s60
	v_lshlrev_b64 v[1:2], 2, v[1:2]
	v_lshlrev_b64 v[3:4], 2, v[3:4]
	;; [unrolled: 1-line block ×4, first 2 shown]
	s_delay_alu instid0(VALU_DEP_4)
	v_add_co_u32 v1, vcc_lo, s42, v1
	v_add_co_ci_u32_e32 v2, vcc_lo, s43, v2, vcc_lo
	v_add_co_u32 v3, vcc_lo, s42, v3
	v_add_co_ci_u32_e32 v4, vcc_lo, s43, v4, vcc_lo
	;; [unrolled: 2-line block ×4, first 2 shown]
	s_clause 0x3
	global_load_b32 v1, v[1:2], off
	global_load_b32 v2, v[3:4], off
	;; [unrolled: 1-line block ×4, first 2 shown]
	v_cmp_le_i32_e32 vcc_lo, s57, v6
	s_waitcnt vmcnt(3)
	v_xor_b32_e32 v1, 0x80000000, v1
	s_waitcnt vmcnt(2)
	v_xor_b32_e32 v2, 0x80000000, v2
	;; [unrolled: 2-line block ×4, first 2 shown]
	v_and_b32_e32 v14, s71, v1
	v_bfe_u32 v1, v1, s75, 2
	v_and_b32_e32 v16, s71, v2
	v_bfe_u32 v2, v2, s75, 2
	;; [unrolled: 2-line block ×3, first 2 shown]
	v_cmp_eq_u32_e64 s9, s70, v14
	v_cmp_eq_u32_e64 s13, 0, v1
	v_and_b32_e32 v30, s71, v4
	v_bfe_u32 v4, v4, s75, 2
	v_cmp_eq_u32_e64 s10, s70, v16
	v_cmp_eq_u32_e64 s14, 0, v2
	;; [unrolled: 1-line block ×4, first 2 shown]
	s_and_b32 s13, s9, s13
	v_cmp_eq_u32_e64 s12, s70, v30
	v_cmp_eq_u32_e64 s16, 0, v4
	;; [unrolled: 1-line block ×5, first 2 shown]
	v_cndmask_b32_e64 v1, 0, 1, s13
	s_and_b32 s13, s10, s14
	v_cmp_eq_u32_e64 s18, 1, v2
	v_cmp_eq_u32_e64 s22, 2, v2
	v_cmp_eq_u32_e64 s26, 3, v2
	v_cndmask_b32_e64 v2, 0, 1, s13
	s_and_b32 s13, s11, s15
	v_cmp_eq_u32_e64 s19, 1, v3
	v_cmp_eq_u32_e64 s23, 2, v3
	v_cmp_eq_u32_e64 s27, 3, v3
	;; [unrolled: 5-line block ×3, first 2 shown]
	v_cndmask_b32_e64 v4, 0, 1, s13
	s_and_b32 s13, s9, s17
	s_delay_alu instid0(SALU_CYCLE_1) | instskip(SKIP_1) | instid1(SALU_CYCLE_1)
	v_cndmask_b32_e64 v14, 0, 1, s13
	s_and_b32 s13, s10, s18
	v_cndmask_b32_e64 v16, 0, 1, s13
	s_and_b32 s13, s11, s19
	s_delay_alu instid0(SALU_CYCLE_1) | instskip(SKIP_1) | instid1(VALU_DEP_2)
	v_cndmask_b32_e64 v17, 0, 1, s13
	s_and_b32 s13, s12, s20
	v_cmp_ne_u32_e64 s14, 0, v16
	v_cndmask_b32_e64 v30, 0, 1, s13
	s_and_b32 s13, s9, s21
	s_and_b32 s9, s9, s25
	v_cndmask_b32_e64 v31, 0, 1, s13
	s_and_b32 s13, s10, s22
	v_cndmask_b32_e64 v35, 0, 1, s9
	;; [unrolled: 2-line block ×7, first 2 shown]
	v_cndmask_b32_e64 v38, 0, 1, s9
	v_cmp_ne_u32_e64 s9, 0, v1
	v_cmp_ne_u32_e64 s13, 0, v14
	;; [unrolled: 1-line block ×11, first 2 shown]
	s_bcnt1_i32_b32 s9, s9
	s_bcnt1_i32_b32 s13, s13
	;; [unrolled: 1-line block ×4, first 2 shown]
	v_cmp_ne_u32_e64 s12, 0, v4
	v_cmp_ne_u32_e64 s16, 0, v30
	;; [unrolled: 1-line block ×4, first 2 shown]
	s_bcnt1_i32_b32 s10, s10
	s_bcnt1_i32_b32 s14, s14
	s_bcnt1_i32_b32 s18, s18
	s_bcnt1_i32_b32 s22, s22
	s_add_i32 s9, s9, s80
	s_add_i32 s13, s13, s79
	s_add_i32 s17, s17, s78
	s_add_i32 s21, s21, s77
	s_bcnt1_i32_b32 s11, s11
	s_bcnt1_i32_b32 s15, s15
	s_bcnt1_i32_b32 s19, s19
	s_bcnt1_i32_b32 s23, s23
	s_add_i32 s9, s9, s10
	s_add_i32 s10, s13, s14
	s_add_i32 s13, s17, s18
	s_add_i32 s14, s21, s22
	;; [unrolled: 8-line block ×3, first 2 shown]
	s_add_i32 s80, s9, s12
	s_add_i32 s79, s10, s16
	;; [unrolled: 1-line block ×4, first 2 shown]
	v_mov_b32_e32 v3, s78
	v_dual_mov_b32 v1, s80 :: v_dual_mov_b32 v2, s79
	v_mov_b32_e32 v4, s77
	s_or_b32 s74, vcc_lo, s74
	s_delay_alu instid0(SALU_CYCLE_1)
	s_and_not1_b32 exec_lo, exec_lo, s74
	s_cbranch_execnz .LBB16_48
; %bb.49:                               ;   in Loop: Header=BB16_8 Depth=1
	s_or_b32 exec_lo, exec_lo, s74
	s_delay_alu instid0(SALU_CYCLE_1)
	s_or_b32 exec_lo, exec_lo, s73
	v_mov_b32_e32 v14, 0
	s_and_saveexec_b32 s9, s6
	s_cbranch_execz .LBB16_45
.LBB16_50:                              ;   in Loop: Header=BB16_8 Depth=1
	global_load_b32 v14, v[10:11], off
	s_or_b32 exec_lo, exec_lo, s9
	s_and_saveexec_b32 s13, s7
	s_cbranch_execz .LBB16_56
.LBB16_51:                              ;   in Loop: Header=BB16_8 Depth=1
	v_mov_b32_e32 v16, v27
	v_mov_b32_e32 v6, v21
	s_and_b32 s15, s65, 0xfe
	s_mov_b32 s14, 0
	s_branch .LBB16_53
.LBB16_52:                              ;   in Loop: Header=BB16_53 Depth=2
	s_or_b32 exec_lo, exec_lo, s9
	s_waitcnt vmcnt(0)
	v_xor_b32_e32 v14, 0x80000000, v14
	v_add_nc_u32_e32 v16, s48, v16
	s_delay_alu instid0(VALU_DEP_2) | instskip(SKIP_1) | instid1(VALU_DEP_2)
	v_and_b32_e32 v30, s71, v14
	v_bfe_u32 v14, v14, s15, 2
	v_cmp_eq_u32_e32 vcc_lo, s70, v30
	s_delay_alu instid0(VALU_DEP_2) | instskip(SKIP_3) | instid1(VALU_DEP_4)
	v_cmp_eq_u32_e64 s9, 0, v14
	v_cmp_eq_u32_e64 s10, 1, v14
	;; [unrolled: 1-line block ×4, first 2 shown]
	s_and_b32 s9, vcc_lo, s9
	s_delay_alu instid0(SALU_CYCLE_1) | instskip(SKIP_1) | instid1(SALU_CYCLE_1)
	v_cndmask_b32_e64 v14, 0, 1, s9
	s_and_b32 s9, vcc_lo, s10
	v_cndmask_b32_e64 v30, 0, 1, s9
	s_and_b32 s9, vcc_lo, s11
	s_delay_alu instid0(SALU_CYCLE_1)
	v_cndmask_b32_e64 v31, 0, 1, s9
	s_and_b32 s9, vcc_lo, s12
	v_cmp_ne_u32_e32 vcc_lo, 0, v14
	v_cndmask_b32_e64 v32, 0, 1, s9
	v_cmp_ne_u32_e64 s9, 0, v30
	v_cmp_ne_u32_e64 s10, 0, v31
	v_cmp_le_i32_e64 s12, s36, v6
	s_bcnt1_i32_b32 s16, vcc_lo
	v_cmp_ne_u32_e64 s11, 0, v32
	s_bcnt1_i32_b32 s9, s9
	s_bcnt1_i32_b32 s10, s10
	v_dual_mov_b32 v14, v17 :: v_dual_add_nc_u32 v1, s16, v1
	s_delay_alu instid0(VALU_DEP_2) | instskip(SKIP_4) | instid1(SALU_CYCLE_1)
	s_bcnt1_i32_b32 s11, s11
	v_add_nc_u32_e32 v2, s9, v2
	v_add_nc_u32_e32 v3, s10, v3
	;; [unrolled: 1-line block ×3, first 2 shown]
	s_or_b32 s14, s12, s14
	s_and_not1_b32 exec_lo, exec_lo, s14
	s_cbranch_execz .LBB16_55
.LBB16_53:                              ;   Parent Loop BB16_8 Depth=1
                                        ; =>  This Inner Loop Header: Depth=2
	s_delay_alu instid0(VALU_DEP_1) | instskip(SKIP_1) | instid1(VALU_DEP_1)
	v_dual_mov_b32 v17, 0 :: v_dual_add_nc_u32 v6, s44, v6
	s_mov_b32 s9, exec_lo
	v_cmpx_gt_u32_e64 s36, v6
	s_cbranch_execz .LBB16_52
; %bb.54:                               ;   in Loop: Header=BB16_53 Depth=2
	v_ashrrev_i32_e32 v17, 31, v16
	s_delay_alu instid0(VALU_DEP_1) | instskip(NEXT) | instid1(VALU_DEP_1)
	v_lshlrev_b64 v[30:31], 2, v[16:17]
	v_add_co_u32 v30, vcc_lo, s42, v30
	s_delay_alu instid0(VALU_DEP_2)
	v_add_co_ci_u32_e32 v31, vcc_lo, s43, v31, vcc_lo
	global_load_b32 v17, v[30:31], off
	s_branch .LBB16_52
.LBB16_55:                              ;   in Loop: Header=BB16_8 Depth=1
	s_or_b32 exec_lo, exec_lo, s14
.LBB16_56:                              ;   in Loop: Header=BB16_8 Depth=1
	s_delay_alu instid0(SALU_CYCLE_1)
	s_or_b32 exec_lo, exec_lo, s13
	s_branch .LBB16_66
.LBB16_57:                              ;   in Loop: Header=BB16_8 Depth=1
	s_mul_hi_u32 s9, s72, s56
	v_dual_mov_b32 v1, 0 :: v_dual_mov_b32 v2, 0
	s_mul_i32 s9, s9, s46
	v_dual_mov_b32 v3, 0 :: v_dual_mov_b32 v4, 0
	s_sub_i32 s9, s72, s9
	s_mov_b32 s75, 0
	s_sub_i32 s10, s9, s46
	s_cmp_ge_u32 s9, s46
	s_mov_b32 s74, exec_lo
	s_cselect_b32 s9, s10, s9
	s_delay_alu instid0(SALU_CYCLE_1) | instskip(SKIP_2) | instid1(SALU_CYCLE_1)
	s_sub_i32 s10, s9, s46
	s_cmp_ge_u32 s9, s46
	s_cselect_b32 s9, s10, s9
	s_sub_i32 s73, s72, s9
	s_delay_alu instid0(SALU_CYCLE_1)
	v_cmpx_gt_u32_e64 s73, v19
	s_cbranch_execz .LBB16_61
; %bb.58:                               ;   in Loop: Header=BB16_8 Depth=1
	v_mov_b32_e32 v6, v28
	s_waitcnt vmcnt(0)
	v_mov_b32_e32 v14, v19
	s_and_b32 s76, s65, 0xfe
	s_mov_b32 s77, 0
	s_mov_b32 s78, 0
	;; [unrolled: 1-line block ×4, first 2 shown]
.LBB16_59:                              ;   Parent Loop BB16_8 Depth=1
                                        ; =>  This Inner Loop Header: Depth=2
	ds_load_b128 v[1:4], v6
	s_waitcnt lgkmcnt(0)
	v_xor_b32_e32 v1, 0x80000000, v1
	v_xor_b32_e32 v2, 0x80000000, v2
	;; [unrolled: 1-line block ×4, first 2 shown]
	s_delay_alu instid0(VALU_DEP_4)
	v_and_b32_e32 v16, s71, v1
	v_bfe_u32 v1, v1, s76, 2
	v_and_b32_e32 v17, s71, v2
	v_bfe_u32 v2, v2, s76, 2
	;; [unrolled: 2-line block ×3, first 2 shown]
	v_cmp_eq_u32_e64 s9, s70, v16
	v_cmp_eq_u32_e64 s13, 0, v1
	v_and_b32_e32 v31, s71, v4
	v_bfe_u32 v4, v4, s76, 2
	v_cmp_eq_u32_e64 s10, s70, v17
	v_cmp_eq_u32_e64 s14, 0, v2
	;; [unrolled: 1-line block ×4, first 2 shown]
	s_and_b32 s13, s9, s13
	v_cmp_eq_u32_e64 s12, s70, v31
	v_cmp_eq_u32_e64 s16, 0, v4
	;; [unrolled: 1-line block ×5, first 2 shown]
	v_cndmask_b32_e64 v1, 0, 1, s13
	s_and_b32 s13, s10, s14
	v_cmp_eq_u32_e64 s18, 1, v2
	v_cmp_eq_u32_e64 s22, 2, v2
	v_cmp_eq_u32_e64 s26, 3, v2
	v_cndmask_b32_e64 v2, 0, 1, s13
	s_and_b32 s13, s11, s15
	v_cmp_eq_u32_e64 s19, 1, v3
	v_cmp_eq_u32_e64 s23, 2, v3
	v_cmp_eq_u32_e64 s27, 3, v3
	;; [unrolled: 5-line block ×3, first 2 shown]
	v_cndmask_b32_e64 v4, 0, 1, s13
	s_and_b32 s13, s9, s17
	s_delay_alu instid0(SALU_CYCLE_1) | instskip(SKIP_1) | instid1(SALU_CYCLE_1)
	v_cndmask_b32_e64 v16, 0, 1, s13
	s_and_b32 s13, s10, s18
	v_cndmask_b32_e64 v17, 0, 1, s13
	s_and_b32 s13, s11, s19
	s_delay_alu instid0(SALU_CYCLE_1) | instskip(SKIP_1) | instid1(VALU_DEP_2)
	v_cndmask_b32_e64 v30, 0, 1, s13
	s_and_b32 s13, s12, s20
	v_cmp_ne_u32_e64 s14, 0, v17
	v_cndmask_b32_e64 v31, 0, 1, s13
	s_and_b32 s13, s9, s21
	s_and_b32 s9, s9, s25
	v_cndmask_b32_e64 v32, 0, 1, s13
	v_cndmask_b32_e64 v36, 0, 1, s9
	s_and_b32 s9, s10, s26
	s_and_b32 s13, s10, s22
	v_cndmask_b32_e64 v37, 0, 1, s9
	s_and_b32 s9, s11, s27
	v_cndmask_b32_e64 v33, 0, 1, s13
	v_cndmask_b32_e64 v38, 0, 1, s9
	s_and_b32 s9, s12, s28
	s_and_b32 s13, s11, s23
	v_cndmask_b32_e64 v39, 0, 1, s9
	v_cmp_ne_u32_e64 s9, 0, v1
	v_cmp_ne_u32_e64 s10, 0, v2
	v_cndmask_b32_e64 v34, 0, 1, s13
	s_and_b32 s13, s12, s24
	v_cmp_ne_u32_e64 s11, 0, v3
	v_cndmask_b32_e64 v35, 0, 1, s13
	v_cmp_ne_u32_e64 s13, 0, v16
	v_cmp_ne_u32_e64 s17, 0, v32
	;; [unrolled: 1-line block ×3, first 2 shown]
	s_bcnt1_i32_b32 s9, s9
	v_cmp_ne_u32_e64 s12, 0, v4
	v_cmp_ne_u32_e64 s18, 0, v33
	;; [unrolled: 1-line block ×3, first 2 shown]
	s_bcnt1_i32_b32 s10, s10
	s_add_i32 s9, s9, s80
	v_cmp_ne_u32_e64 s15, 0, v30
	v_cmp_ne_u32_e64 s19, 0, v34
	;; [unrolled: 1-line block ×3, first 2 shown]
	s_bcnt1_i32_b32 s11, s11
	s_add_i32 s9, s9, s10
	s_bcnt1_i32_b32 s13, s13
	s_bcnt1_i32_b32 s17, s17
	;; [unrolled: 1-line block ×3, first 2 shown]
	v_cmp_ne_u32_e64 s16, 0, v31
	v_cmp_ne_u32_e64 s20, 0, v35
	;; [unrolled: 1-line block ×3, first 2 shown]
	s_bcnt1_i32_b32 s12, s12
	s_add_i32 s9, s9, s11
	s_bcnt1_i32_b32 s14, s14
	s_bcnt1_i32_b32 s18, s18
	;; [unrolled: 1-line block ×3, first 2 shown]
	s_add_i32 s13, s13, s79
	s_add_i32 s17, s17, s78
	s_add_i32 s21, s21, s77
	s_add_i32 s80, s9, s12
	s_delay_alu instid0(SALU_CYCLE_1)
	v_dual_mov_b32 v1, s80 :: v_dual_add_nc_u32 v14, s46, v14
	s_bcnt1_i32_b32 s15, s15
	s_bcnt1_i32_b32 s19, s19
	;; [unrolled: 1-line block ×3, first 2 shown]
	s_add_i32 s10, s13, s14
	s_add_i32 s13, s17, s18
	;; [unrolled: 1-line block ×3, first 2 shown]
	s_bcnt1_i32_b32 s16, s16
	s_bcnt1_i32_b32 s20, s20
	;; [unrolled: 1-line block ×3, first 2 shown]
	s_add_i32 s10, s10, s15
	s_add_i32 s11, s13, s19
	;; [unrolled: 1-line block ×3, first 2 shown]
	v_cmp_le_i32_e32 vcc_lo, s73, v14
	s_add_i32 s79, s10, s16
	s_add_i32 s78, s11, s20
	;; [unrolled: 1-line block ×3, first 2 shown]
	v_dual_mov_b32 v3, s78 :: v_dual_add_nc_u32 v6, s61, v6
	v_mov_b32_e32 v2, s79
	v_mov_b32_e32 v4, s77
	s_or_b32 s75, vcc_lo, s75
	s_delay_alu instid0(SALU_CYCLE_1)
	s_and_not1_b32 exec_lo, exec_lo, s75
	s_cbranch_execnz .LBB16_59
; %bb.60:                               ;   in Loop: Header=BB16_8 Depth=1
	s_or_b32 exec_lo, exec_lo, s75
.LBB16_61:                              ;   in Loop: Header=BB16_8 Depth=1
	s_delay_alu instid0(SALU_CYCLE_1) | instskip(SKIP_2) | instid1(VALU_DEP_1)
	s_or_b32 exec_lo, exec_lo, s74
	v_add_nc_u32_e32 v6, s73, v0
	s_mov_b32 s14, exec_lo
	v_cmpx_gt_i32_e64 s72, v6
	s_cbranch_execz .LBB16_65
; %bb.62:                               ;   in Loop: Header=BB16_8 Depth=1
	s_waitcnt vmcnt(0)
	v_lshlrev_b32_e32 v14, 2, v6
	s_and_b32 s16, s65, 0xfe
	s_mov_b32 s15, 0
.LBB16_63:                              ;   Parent Loop BB16_8 Depth=1
                                        ; =>  This Inner Loop Header: Depth=2
	ds_load_b32 v16, v14
	v_add_nc_u32_e32 v6, s44, v6
	v_add_nc_u32_e32 v14, s46, v14
	s_delay_alu instid0(VALU_DEP_2) | instskip(SKIP_2) | instid1(VALU_DEP_1)
	v_cmp_le_i32_e32 vcc_lo, s72, v6
	s_waitcnt lgkmcnt(0)
	v_xor_b32_e32 v16, 0x80000000, v16
	v_and_b32_e32 v17, s71, v16
	v_bfe_u32 v16, v16, s16, 2
	s_delay_alu instid0(VALU_DEP_2) | instskip(NEXT) | instid1(VALU_DEP_2)
	v_cmp_eq_u32_e64 s9, s70, v17
	v_cmp_eq_u32_e64 s10, 0, v16
	v_cmp_eq_u32_e64 s11, 1, v16
	v_cmp_eq_u32_e64 s12, 2, v16
	v_cmp_eq_u32_e64 s13, 3, v16
	s_delay_alu instid0(VALU_DEP_4) | instskip(NEXT) | instid1(SALU_CYCLE_1)
	s_and_b32 s10, s9, s10
	v_cndmask_b32_e64 v16, 0, 1, s10
	s_and_b32 s10, s9, s11
	s_delay_alu instid0(SALU_CYCLE_1)
	v_cndmask_b32_e64 v17, 0, 1, s10
	s_and_b32 s10, s9, s12
	s_and_b32 s9, s9, s13
	v_cndmask_b32_e64 v30, 0, 1, s10
	v_cndmask_b32_e64 v31, 0, 1, s9
	v_cmp_ne_u32_e64 s9, 0, v16
	v_cmp_ne_u32_e64 s10, 0, v17
	s_delay_alu instid0(VALU_DEP_4) | instskip(NEXT) | instid1(VALU_DEP_4)
	v_cmp_ne_u32_e64 s11, 0, v30
	v_cmp_ne_u32_e64 s12, 0, v31
	s_delay_alu instid0(VALU_DEP_4) | instskip(NEXT) | instid1(VALU_DEP_3)
	s_bcnt1_i32_b32 s9, s9
	s_bcnt1_i32_b32 s10, s10
	v_add_nc_u32_e32 v1, s9, v1
	s_bcnt1_i32_b32 s11, s11
	s_bcnt1_i32_b32 s12, s12
	v_add_nc_u32_e32 v2, s10, v2
	v_add_nc_u32_e32 v3, s11, v3
	v_add_nc_u32_e32 v4, s12, v4
	s_or_b32 s15, vcc_lo, s15
	s_delay_alu instid0(SALU_CYCLE_1)
	s_and_not1_b32 exec_lo, exec_lo, s15
	s_cbranch_execnz .LBB16_63
; %bb.64:                               ;   in Loop: Header=BB16_8 Depth=1
	s_or_b32 exec_lo, exec_lo, s15
.LBB16_65:                              ;   in Loop: Header=BB16_8 Depth=1
	s_delay_alu instid0(SALU_CYCLE_1)
	s_or_b32 exec_lo, exec_lo, s14
.LBB16_66:                              ;   in Loop: Header=BB16_8 Depth=1
	s_lshl_b32 s9, s68, 7
	s_and_saveexec_b32 s10, s4
	s_cbranch_execz .LBB16_68
; %bb.67:                               ;   in Loop: Header=BB16_8 Depth=1
	v_or_b32_e32 v6, s9, v22
	s_delay_alu instid0(VALU_DEP_1)
	v_lshlrev_b32_e32 v6, 2, v6
	ds_store_b128 v6, v[1:4] offset:3072
.LBB16_68:                              ;   in Loop: Header=BB16_8 Depth=1
	s_or_b32 exec_lo, exec_lo, s10
	s_waitcnt vmcnt(0) lgkmcnt(0)
	s_barrier
	buffer_gl0_inv
	s_and_saveexec_b32 s10, s47
	s_cbranch_execz .LBB16_78
; %bb.69:                               ;   in Loop: Header=BB16_8 Depth=1
	v_mov_b32_e32 v1, 0
	s_and_not1_b32 vcc_lo, exec_lo, s51
	s_cbranch_vccnz .LBB16_77
; %bb.70:                               ;   in Loop: Header=BB16_8 Depth=1
	v_mov_b32_e32 v1, 0
	s_and_not1_b32 vcc_lo, exec_lo, s53
	s_mov_b32 s11, 0
	s_cbranch_vccnz .LBB16_74
; %bb.71:                               ;   in Loop: Header=BB16_8 Depth=1
	v_lshl_add_u32 v2, s68, 9, v29
	v_mov_b32_e32 v1, 0
	.p2align	6
.LBB16_72:                              ;   Parent Loop BB16_8 Depth=1
                                        ; =>  This Inner Loop Header: Depth=2
	ds_load_2addr_b32 v[3:4], v2 offset1:4
	ds_load_2addr_b32 v[16:17], v2 offset0:8 offset1:12
	ds_load_2addr_b32 v[30:31], v2 offset0:16 offset1:20
	;; [unrolled: 1-line block ×3, first 2 shown]
	v_add_nc_u32_e32 v2, 0x80, v2
	s_add_i32 s11, s11, 8
	s_delay_alu instid0(SALU_CYCLE_1) | instskip(SKIP_3) | instid1(VALU_DEP_1)
	s_cmp_eq_u32 s54, s11
	s_waitcnt lgkmcnt(3)
	v_add3_u32 v1, v3, v1, v4
	s_waitcnt lgkmcnt(2)
	v_add3_u32 v1, v16, v1, v17
	s_waitcnt lgkmcnt(1)
	s_delay_alu instid0(VALU_DEP_1) | instskip(SKIP_1) | instid1(VALU_DEP_1)
	v_add3_u32 v1, v30, v1, v31
	s_waitcnt lgkmcnt(0)
	v_add3_u32 v1, v32, v1, v33
	s_cbranch_scc0 .LBB16_72
; %bb.73:                               ;   in Loop: Header=BB16_8 Depth=1
	s_mov_b32 s11, s54
.LBB16_74:                              ;   in Loop: Header=BB16_8 Depth=1
	s_and_not1_b32 vcc_lo, exec_lo, s55
	s_cbranch_vccnz .LBB16_77
; %bb.75:                               ;   in Loop: Header=BB16_8 Depth=1
	s_lshl_b32 s12, s68, 9
	s_lshl_b32 s11, s11, 4
	s_delay_alu instid0(SALU_CYCLE_1)
	v_add3_u32 v2, s12, s11, v29
	s_mov_b32 s11, s52
.LBB16_76:                              ;   Parent Loop BB16_8 Depth=1
                                        ; =>  This Inner Loop Header: Depth=2
	ds_load_b32 v3, v2
	v_add_nc_u32_e32 v2, 16, v2
	s_add_i32 s11, s11, -1
	s_delay_alu instid0(SALU_CYCLE_1)
	s_cmp_lg_u32 s11, 0
	s_waitcnt lgkmcnt(0)
	v_add_nc_u32_e32 v1, v3, v1
	s_cbranch_scc1 .LBB16_76
.LBB16_77:                              ;   in Loop: Header=BB16_8 Depth=1
	v_add_lshl_u32 v2, s9, v18, 2
	ds_store_b32 v2, v1 offset:3072
.LBB16_78:                              ;   in Loop: Header=BB16_8 Depth=1
	s_or_b32 exec_lo, exec_lo, s10
	s_lshl_b32 s9, s9, 2
	s_waitcnt lgkmcnt(0)
	v_mov_b32_e32 v1, s9
	s_barrier
	buffer_gl0_inv
	s_and_b32 s18, s65, 0xfe
	s_mov_b32 s14, -1
	ds_load_b128 v[1:4], v1 offset:3072
	s_lshl_b32 s11, 3, s18
	s_delay_alu instid0(SALU_CYCLE_1) | instskip(SKIP_4) | instid1(VALU_DEP_3)
	s_not_b32 s19, s11
	s_waitcnt lgkmcnt(0)
	v_readfirstlane_b32 s13, v1
	v_readfirstlane_b32 s21, v2
	;; [unrolled: 1-line block ×3, first 2 shown]
	s_cmp_eq_u32 s13, 1
	s_cselect_b32 s9, -1, 0
	s_cmp_eq_u32 s37, 1
	s_cselect_b32 s10, -1, 0
	s_delay_alu instid0(SALU_CYCLE_1)
	s_and_b32 s15, s9, s10
	v_readfirstlane_b32 s10, v4
	s_and_b32 vcc_lo, exec_lo, s15
	s_cbranch_vccz .LBB16_90
; %bb.79:                               ;   in Loop: Header=BB16_8 Depth=1
	ds_load_b32 v1, v7 offset:4096
	s_waitcnt lgkmcnt(0)
	s_barrier
	buffer_gl0_inv
	v_readfirstlane_b32 s12, v1
	s_and_saveexec_b32 s9, s0
	s_cbranch_execz .LBB16_81
; %bb.80:                               ;   in Loop: Header=BB16_8 Depth=1
	ds_store_b32 v20, v7
.LBB16_81:                              ;   in Loop: Header=BB16_8 Depth=1
	s_or_b32 exec_lo, exec_lo, s9
	s_and_b32 s70, s70, s19
	s_or_b32 s71, s71, s11
	s_cmp_lt_i32 s12, 1
	s_waitcnt lgkmcnt(0)
	s_barrier
	buffer_gl0_inv
	s_cbranch_scc0 .LBB16_91
; %bb.82:                               ;   in Loop: Header=BB16_8 Depth=1
	s_mov_b32 s9, 0
                                        ; implicit-def: $vgpr15
	s_and_saveexec_b32 s17, s8
	s_cbranch_execz .LBB16_93
; %bb.83:                               ;   in Loop: Header=BB16_8 Depth=1
	v_mov_b32_e32 v1, v5
	v_mov_b32_e32 v3, v0
	s_mov_b32 s20, 0
                                        ; implicit-def: $sgpr22
	s_set_inst_prefetch_distance 0x1
	s_branch .LBB16_85
	.p2align	6
.LBB16_84:                              ;   in Loop: Header=BB16_85 Depth=2
	s_or_b32 exec_lo, exec_lo, s9
	s_waitcnt vmcnt(0) lgkmcnt(0)
	s_barrier
	buffer_gl0_inv
	ds_load_b64 v[14:15], v7 offset:3072
	v_add_nc_u32_e32 v3, s44, v3
	v_add_nc_u32_e32 v1, s48, v1
	s_waitcnt lgkmcnt(0)
	s_barrier
	buffer_gl0_inv
	v_cmp_le_i32_e32 vcc_lo, s59, v3
	v_readfirstlane_b32 s9, v14
	s_delay_alu instid0(VALU_DEP_1) | instskip(SKIP_1) | instid1(SALU_CYCLE_1)
	s_cmp_lg_u32 s9, 0
	s_cselect_b32 s9, -1, 0
	s_or_b32 s23, vcc_lo, s9
	s_delay_alu instid0(SALU_CYCLE_1) | instskip(NEXT) | instid1(SALU_CYCLE_1)
	s_and_b32 s23, exec_lo, s23
	s_or_b32 s20, s23, s20
	s_and_not1_b32 s22, s22, exec_lo
	s_and_b32 s9, s9, exec_lo
	s_delay_alu instid0(SALU_CYCLE_1)
	s_or_b32 s22, s22, s9
	s_and_not1_b32 exec_lo, exec_lo, s20
	s_cbranch_execz .LBB16_92
.LBB16_85:                              ;   Parent Loop BB16_8 Depth=1
                                        ; =>  This Inner Loop Header: Depth=2
	s_delay_alu instid0(VALU_DEP_1)
	v_cmp_gt_i32_e32 vcc_lo, s36, v3
	v_mov_b32_e32 v14, 0
	s_and_saveexec_b32 s23, vcc_lo
	s_cbranch_execz .LBB16_87
; %bb.86:                               ;   in Loop: Header=BB16_85 Depth=2
	v_ashrrev_i32_e32 v2, 31, v1
	s_delay_alu instid0(VALU_DEP_1) | instskip(NEXT) | instid1(VALU_DEP_1)
	v_lshlrev_b64 v[14:15], 2, v[1:2]
	v_add_co_u32 v14, s9, s42, v14
	s_delay_alu instid0(VALU_DEP_1)
	v_add_co_ci_u32_e64 v15, s9, s43, v15, s9
	global_load_b32 v14, v[14:15], off
.LBB16_87:                              ;   in Loop: Header=BB16_85 Depth=2
	s_or_b32 exec_lo, exec_lo, s23
	s_and_saveexec_b32 s9, vcc_lo
	s_cbranch_execz .LBB16_84
; %bb.88:                               ;   in Loop: Header=BB16_85 Depth=2
	s_waitcnt vmcnt(0)
	v_xor_b32_e32 v2, 0x80000000, v14
	s_delay_alu instid0(VALU_DEP_1) | instskip(NEXT) | instid1(VALU_DEP_1)
	v_and_b32_e32 v2, s71, v2
	v_cmp_eq_u32_e32 vcc_lo, s70, v2
	s_and_b32 exec_lo, exec_lo, vcc_lo
	s_cbranch_execz .LBB16_84
; %bb.89:                               ;   in Loop: Header=BB16_85 Depth=2
	ds_store_b64 v7, v[13:14] offset:3072
	s_branch .LBB16_84
.LBB16_90:                              ;   in Loop: Header=BB16_8 Depth=1
	s_mov_b32 s9, -1
                                        ; implicit-def: $sgpr17
                                        ; implicit-def: $sgpr22
                                        ; implicit-def: $sgpr20
	s_branch .LBB16_104
.LBB16_91:                              ;   in Loop: Header=BB16_8 Depth=1
	s_mov_b32 s17, -1
	s_mov_b32 s9, 0
                                        ; implicit-def: $sgpr20
                                        ; implicit-def: $vgpr15
	s_mov_b32 s22, s17
	s_cbranch_execnz .LBB16_94
	s_branch .LBB16_104
.LBB16_92:                              ;   in Loop: Header=BB16_8 Depth=1
	s_set_inst_prefetch_distance 0x2
	s_or_b32 exec_lo, exec_lo, s20
	s_delay_alu instid0(SALU_CYCLE_1)
	s_and_b32 s9, s22, exec_lo
.LBB16_93:                              ;   in Loop: Header=BB16_8 Depth=1
	s_or_b32 exec_lo, exec_lo, s17
	s_mov_b32 s20, -1
	s_mov_b32 s17, 0
	s_delay_alu instid0(SALU_CYCLE_1)
	s_mov_b32 s22, s17
	s_branch .LBB16_104
.LBB16_94:                              ;   in Loop: Header=BB16_8 Depth=1
	s_add_i32 s20, s12, s49
                                        ; implicit-def: $vgpr15
	s_delay_alu instid0(SALU_CYCLE_1) | instskip(NEXT) | instid1(SALU_CYCLE_1)
	s_abs_i32 s9, s20
	s_mul_hi_u32 s17, s9, s58
	s_delay_alu instid0(SALU_CYCLE_1) | instskip(NEXT) | instid1(SALU_CYCLE_1)
	s_mul_i32 s17, s17, s44
	s_sub_i32 s9, s9, s17
	s_ashr_i32 s17, s20, 31
	s_sub_i32 s22, s9, s44
	s_cmp_ge_u32 s9, s44
	s_cselect_b32 s9, s22, s9
	s_delay_alu instid0(SALU_CYCLE_1) | instskip(SKIP_2) | instid1(SALU_CYCLE_1)
	s_sub_i32 s22, s9, s44
	s_cmp_ge_u32 s9, s44
	s_cselect_b32 s9, s22, s9
	s_xor_b32 s9, s9, s17
	s_delay_alu instid0(SALU_CYCLE_1)
	s_sub_i32 s9, s17, s9
	s_mov_b32 s17, exec_lo
	s_add_i32 s20, s20, s9
	s_mov_b32 s9, 0
	v_cmpx_gt_i32_e64 s20, v0
	s_cbranch_execz .LBB16_103
; %bb.95:                               ;   in Loop: Header=BB16_8 Depth=1
	v_dual_mov_b32 v1, v19 :: v_dual_mov_b32 v2, v0
                                        ; implicit-def: $sgpr22
	s_set_inst_prefetch_distance 0x1
	s_branch .LBB16_97
	.p2align	6
.LBB16_96:                              ;   in Loop: Header=BB16_97 Depth=2
	s_or_b32 exec_lo, exec_lo, s23
	s_waitcnt lgkmcnt(0)
	s_barrier
	buffer_gl0_inv
	ds_load_b64 v[14:15], v7 offset:3072
	v_add_nc_u32_e32 v2, s44, v2
	v_add_nc_u32_e32 v1, s46, v1
	s_waitcnt lgkmcnt(0)
	s_barrier
	buffer_gl0_inv
	v_cmp_le_i32_e32 vcc_lo, s20, v2
	v_readfirstlane_b32 s23, v14
	s_delay_alu instid0(VALU_DEP_1) | instskip(SKIP_1) | instid1(SALU_CYCLE_1)
	s_cmp_lg_u32 s23, 0
	s_cselect_b32 s23, -1, 0
	s_or_b32 s24, vcc_lo, s23
	s_delay_alu instid0(SALU_CYCLE_1) | instskip(NEXT) | instid1(SALU_CYCLE_1)
	s_and_b32 s24, exec_lo, s24
	s_or_b32 s9, s24, s9
	s_and_not1_b32 s22, s22, exec_lo
	s_and_b32 s23, s23, exec_lo
	s_delay_alu instid0(SALU_CYCLE_1)
	s_or_b32 s22, s22, s23
	s_and_not1_b32 exec_lo, exec_lo, s9
	s_cbranch_execz .LBB16_102
.LBB16_97:                              ;   Parent Loop BB16_8 Depth=1
                                        ; =>  This Inner Loop Header: Depth=2
	s_delay_alu instid0(VALU_DEP_1)
	v_cmp_gt_i32_e32 vcc_lo, s12, v2
	v_mov_b32_e32 v14, 0
	s_and_saveexec_b32 s23, vcc_lo
	s_cbranch_execz .LBB16_99
; %bb.98:                               ;   in Loop: Header=BB16_97 Depth=2
	ds_load_b32 v14, v1
.LBB16_99:                              ;   in Loop: Header=BB16_97 Depth=2
	s_or_b32 exec_lo, exec_lo, s23
	s_and_saveexec_b32 s23, vcc_lo
	s_cbranch_execz .LBB16_96
; %bb.100:                              ;   in Loop: Header=BB16_97 Depth=2
	s_waitcnt lgkmcnt(0)
	v_xor_b32_e32 v3, 0x80000000, v14
	s_delay_alu instid0(VALU_DEP_1) | instskip(NEXT) | instid1(VALU_DEP_1)
	v_and_b32_e32 v3, s71, v3
	v_cmp_eq_u32_e32 vcc_lo, s70, v3
	s_and_b32 exec_lo, exec_lo, vcc_lo
	s_cbranch_execz .LBB16_96
; %bb.101:                              ;   in Loop: Header=BB16_97 Depth=2
	ds_store_b64 v7, v[13:14] offset:3072
	s_branch .LBB16_96
.LBB16_102:                             ;   in Loop: Header=BB16_8 Depth=1
	s_set_inst_prefetch_distance 0x2
	s_or_b32 exec_lo, exec_lo, s9
	s_delay_alu instid0(SALU_CYCLE_1)
	s_and_b32 s9, s22, exec_lo
.LBB16_103:                             ;   in Loop: Header=BB16_8 Depth=1
	s_or_b32 exec_lo, exec_lo, s17
	s_mov_b32 s22, -1
	s_mov_b32 s17, 0
	s_mov_b32 s20, 0
.LBB16_104:                             ;   in Loop: Header=BB16_8 Depth=1
	s_and_not1_b32 s12, s66, exec_lo
	s_and_b32 s17, s17, exec_lo
	s_and_b32 s20, s20, exec_lo
	s_or_b32 s66, s12, s17
	s_and_not1_b32 s12, s69, exec_lo
	s_and_b32 s17, s22, exec_lo
	s_and_not1_b32 s22, s67, exec_lo
	s_or_b32 s69, s12, s17
	s_or_b32 s67, s22, s20
	s_and_saveexec_b32 s12, s9
	s_cbranch_execz .LBB16_7
; %bb.105:                              ;   in Loop: Header=BB16_8 Depth=1
	s_xor_b32 s9, s15, -1
	s_mov_b32 s14, 0
	s_and_not1_b32 vcc_lo, exec_lo, s9
	s_mov_b32 s22, 1
	s_cbranch_vccnz .LBB16_116
; %bb.106:                              ;   in Loop: Header=BB16_8 Depth=1
	s_cmp_gt_i32 s37, s13
	s_mov_b32 s14, -1
                                        ; implicit-def: $sgpr9
                                        ; implicit-def: $sgpr15
                                        ; implicit-def: $sgpr17
	s_cbranch_scc1 .LBB16_112
; %bb.107:                              ;   in Loop: Header=BB16_8 Depth=1
	ds_load_b32 v1, v7 offset:4096
	s_waitcnt lgkmcnt(0)
	v_cmp_ne_u32_e32 vcc_lo, 0, v1
	s_cbranch_vccnz .LBB16_111
; %bb.108:                              ;   in Loop: Header=BB16_8 Depth=1
	s_and_saveexec_b32 s9, s2
	s_cbranch_execz .LBB16_110
; %bb.109:                              ;   in Loop: Header=BB16_8 Depth=1
	v_mov_b32_e32 v1, s13
	ds_store_b32 v7, v1 offset:4100
.LBB16_110:                             ;   in Loop: Header=BB16_8 Depth=1
	s_or_b32 exec_lo, exec_lo, s9
	s_waitcnt lgkmcnt(0)
	s_barrier
	buffer_gl0_inv
.LBB16_111:                             ;   in Loop: Header=BB16_8 Depth=1
	s_and_b32 s15, s70, s19
	s_or_b32 s17, s71, s11
	s_mov_b32 s14, 0
	s_mov_b32 s9, 8
.LBB16_112:                             ;   in Loop: Header=BB16_8 Depth=1
	s_and_not1_b32 vcc_lo, exec_lo, s14
	s_cbranch_vccnz .LBB16_114
; %bb.113:                              ;   in Loop: Header=BB16_8 Depth=1
	s_sub_i32 s37, s37, s13
	s_mov_b32 s14, -1
	s_mov_b32 s9, 0
	s_mov_b32 s15, s70
	s_mov_b32 s17, s71
.LBB16_114:                             ;   in Loop: Header=BB16_8 Depth=1
	s_delay_alu instid0(SALU_CYCLE_1)
	s_mov_b32 s71, s17
	s_mov_b32 s70, s15
	;; [unrolled: 1-line block ×3, first 2 shown]
	s_and_b32 vcc_lo, exec_lo, s14
	s_mov_b32 s13, -1
	s_cbranch_vccnz .LBB16_117
.LBB16_115:                             ;   in Loop: Header=BB16_8 Depth=1
	s_mov_b32 s25, -1
                                        ; implicit-def: $sgpr14
                                        ; implicit-def: $sgpr17
                                        ; implicit-def: $sgpr15
	s_delay_alu instid0(SALU_CYCLE_1) | instskip(NEXT) | instid1(SALU_CYCLE_1)
	s_and_saveexec_b32 s10, s25
	s_xor_b32 s10, exec_lo, s10
	s_cbranch_execz .LBB16_6
	s_branch .LBB16_240
.LBB16_116:                             ;   in Loop: Header=BB16_8 Depth=1
	s_mov_b32 s9, 1
	s_and_b32 vcc_lo, exec_lo, s14
	s_mov_b32 s13, -1
	s_cbranch_vccz .LBB16_115
.LBB16_117:                             ;   in Loop: Header=BB16_8 Depth=1
	s_cmp_eq_u32 s21, 1
	s_mov_b32 s24, -1
	s_cselect_b32 s9, -1, 0
	s_cmp_eq_u32 s22, 1
	s_cselect_b32 s14, -1, 0
	s_delay_alu instid0(SALU_CYCLE_1) | instskip(NEXT) | instid1(SALU_CYCLE_1)
	s_and_b32 s23, s9, s14
	s_and_b32 vcc_lo, exec_lo, s23
	s_cbranch_vccz .LBB16_129
; %bb.118:                              ;   in Loop: Header=BB16_8 Depth=1
	ds_load_b32 v1, v7 offset:4096
	s_waitcnt lgkmcnt(0)
	s_barrier
	buffer_gl0_inv
	v_readfirstlane_b32 s20, v1
	s_and_saveexec_b32 s9, s0
	s_cbranch_execz .LBB16_120
; %bb.119:                              ;   in Loop: Header=BB16_8 Depth=1
	ds_store_b32 v20, v7
.LBB16_120:                             ;   in Loop: Header=BB16_8 Depth=1
	s_or_b32 exec_lo, exec_lo, s9
	s_lshl_b32 s9, 1, s18
	s_and_b32 s14, s70, s19
	s_or_b32 s71, s71, s11
	s_or_b32 s70, s14, s9
	s_cmp_gt_i32 s20, 0
	s_waitcnt lgkmcnt(0)
	s_barrier
	buffer_gl0_inv
	s_cbranch_scc1 .LBB16_130
; %bb.121:                              ;   in Loop: Header=BB16_8 Depth=1
	s_mov_b32 s24, 0
                                        ; implicit-def: $vgpr15
	s_and_saveexec_b32 s14, s8
	s_cbranch_execz .LBB16_132
; %bb.122:                              ;   in Loop: Header=BB16_8 Depth=1
	v_mov_b32_e32 v1, v5
	v_mov_b32_e32 v3, v0
	s_mov_b32 s15, 0
                                        ; implicit-def: $sgpr17
	s_set_inst_prefetch_distance 0x1
	s_branch .LBB16_124
	.p2align	6
.LBB16_123:                             ;   in Loop: Header=BB16_124 Depth=2
	s_or_b32 exec_lo, exec_lo, s9
	s_waitcnt vmcnt(0) lgkmcnt(0)
	s_barrier
	buffer_gl0_inv
	ds_load_b64 v[14:15], v7 offset:3072
	v_add_nc_u32_e32 v3, s44, v3
	v_add_nc_u32_e32 v1, s48, v1
	s_waitcnt lgkmcnt(0)
	s_barrier
	buffer_gl0_inv
	v_cmp_le_i32_e32 vcc_lo, s59, v3
	v_readfirstlane_b32 s9, v14
	s_delay_alu instid0(VALU_DEP_1) | instskip(SKIP_1) | instid1(SALU_CYCLE_1)
	s_cmp_lg_u32 s9, 0
	s_cselect_b32 s9, -1, 0
	s_or_b32 s24, vcc_lo, s9
	s_delay_alu instid0(SALU_CYCLE_1) | instskip(NEXT) | instid1(SALU_CYCLE_1)
	s_and_b32 s24, exec_lo, s24
	s_or_b32 s15, s24, s15
	s_and_not1_b32 s17, s17, exec_lo
	s_and_b32 s9, s9, exec_lo
	s_delay_alu instid0(SALU_CYCLE_1)
	s_or_b32 s17, s17, s9
	s_and_not1_b32 exec_lo, exec_lo, s15
	s_cbranch_execz .LBB16_131
.LBB16_124:                             ;   Parent Loop BB16_8 Depth=1
                                        ; =>  This Inner Loop Header: Depth=2
	s_delay_alu instid0(VALU_DEP_1)
	v_cmp_gt_i32_e32 vcc_lo, s36, v3
	v_mov_b32_e32 v14, 0
	s_and_saveexec_b32 s24, vcc_lo
	s_cbranch_execz .LBB16_126
; %bb.125:                              ;   in Loop: Header=BB16_124 Depth=2
	v_ashrrev_i32_e32 v2, 31, v1
	s_delay_alu instid0(VALU_DEP_1) | instskip(NEXT) | instid1(VALU_DEP_1)
	v_lshlrev_b64 v[14:15], 2, v[1:2]
	v_add_co_u32 v14, s9, s42, v14
	s_delay_alu instid0(VALU_DEP_1)
	v_add_co_ci_u32_e64 v15, s9, s43, v15, s9
	global_load_b32 v14, v[14:15], off
.LBB16_126:                             ;   in Loop: Header=BB16_124 Depth=2
	s_or_b32 exec_lo, exec_lo, s24
	s_and_saveexec_b32 s9, vcc_lo
	s_cbranch_execz .LBB16_123
; %bb.127:                              ;   in Loop: Header=BB16_124 Depth=2
	s_waitcnt vmcnt(0)
	v_xor_b32_e32 v2, 0x80000000, v14
	s_delay_alu instid0(VALU_DEP_1) | instskip(NEXT) | instid1(VALU_DEP_1)
	v_and_b32_e32 v2, s71, v2
	v_cmp_eq_u32_e32 vcc_lo, s70, v2
	s_and_b32 exec_lo, exec_lo, vcc_lo
	s_cbranch_execz .LBB16_123
; %bb.128:                              ;   in Loop: Header=BB16_124 Depth=2
	ds_store_b64 v7, v[13:14] offset:3072
	s_branch .LBB16_123
.LBB16_129:                             ;   in Loop: Header=BB16_8 Depth=1
                                        ; implicit-def: $sgpr15
                                        ; implicit-def: $sgpr17
                                        ; implicit-def: $sgpr14
	s_branch .LBB16_143
.LBB16_130:                             ;   in Loop: Header=BB16_8 Depth=1
	s_mov_b32 s15, -1
	s_mov_b32 s24, 0
                                        ; implicit-def: $sgpr14
                                        ; implicit-def: $vgpr15
	s_mov_b32 s17, s15
	s_cbranch_execnz .LBB16_133
	s_branch .LBB16_143
.LBB16_131:                             ;   in Loop: Header=BB16_8 Depth=1
	s_set_inst_prefetch_distance 0x2
	s_or_b32 exec_lo, exec_lo, s15
	s_delay_alu instid0(SALU_CYCLE_1)
	s_and_b32 s24, s17, exec_lo
.LBB16_132:                             ;   in Loop: Header=BB16_8 Depth=1
	s_or_b32 exec_lo, exec_lo, s14
	s_mov_b32 s14, -1
	s_mov_b32 s15, 0
	s_delay_alu instid0(SALU_CYCLE_1)
	s_mov_b32 s17, s15
	s_branch .LBB16_143
.LBB16_133:                             ;   in Loop: Header=BB16_8 Depth=1
	s_add_i32 s14, s20, s49
	s_mov_b32 s24, 0
	s_abs_i32 s9, s14
                                        ; implicit-def: $vgpr15
	s_delay_alu instid0(SALU_CYCLE_1) | instskip(NEXT) | instid1(SALU_CYCLE_1)
	s_mul_hi_u32 s15, s9, s58
	s_mul_i32 s15, s15, s44
	s_delay_alu instid0(SALU_CYCLE_1) | instskip(SKIP_4) | instid1(SALU_CYCLE_1)
	s_sub_i32 s9, s9, s15
	s_ashr_i32 s15, s14, 31
	s_sub_i32 s17, s9, s44
	s_cmp_ge_u32 s9, s44
	s_cselect_b32 s9, s17, s9
	s_sub_i32 s17, s9, s44
	s_cmp_ge_u32 s9, s44
	s_cselect_b32 s9, s17, s9
	s_delay_alu instid0(SALU_CYCLE_1) | instskip(NEXT) | instid1(SALU_CYCLE_1)
	s_xor_b32 s9, s9, s15
	s_sub_i32 s9, s15, s9
	s_delay_alu instid0(SALU_CYCLE_1)
	s_add_i32 s14, s14, s9
	s_mov_b32 s9, exec_lo
	v_cmpx_gt_i32_e64 s14, v0
	s_cbranch_execz .LBB16_142
; %bb.134:                              ;   in Loop: Header=BB16_8 Depth=1
	v_dual_mov_b32 v1, v19 :: v_dual_mov_b32 v2, v0
	s_mov_b32 s15, 0
                                        ; implicit-def: $sgpr17
	s_set_inst_prefetch_distance 0x1
	s_branch .LBB16_136
	.p2align	6
.LBB16_135:                             ;   in Loop: Header=BB16_136 Depth=2
	s_or_b32 exec_lo, exec_lo, s24
	s_waitcnt lgkmcnt(0)
	s_barrier
	buffer_gl0_inv
	ds_load_b64 v[14:15], v7 offset:3072
	v_add_nc_u32_e32 v2, s44, v2
	v_add_nc_u32_e32 v1, s46, v1
	s_waitcnt lgkmcnt(0)
	s_barrier
	buffer_gl0_inv
	v_cmp_le_i32_e32 vcc_lo, s14, v2
	v_readfirstlane_b32 s24, v14
	s_delay_alu instid0(VALU_DEP_1) | instskip(SKIP_1) | instid1(SALU_CYCLE_1)
	s_cmp_lg_u32 s24, 0
	s_cselect_b32 s24, -1, 0
	s_or_b32 s25, vcc_lo, s24
	s_delay_alu instid0(SALU_CYCLE_1) | instskip(NEXT) | instid1(SALU_CYCLE_1)
	s_and_b32 s25, exec_lo, s25
	s_or_b32 s15, s25, s15
	s_and_not1_b32 s17, s17, exec_lo
	s_and_b32 s24, s24, exec_lo
	s_delay_alu instid0(SALU_CYCLE_1)
	s_or_b32 s17, s17, s24
	s_and_not1_b32 exec_lo, exec_lo, s15
	s_cbranch_execz .LBB16_141
.LBB16_136:                             ;   Parent Loop BB16_8 Depth=1
                                        ; =>  This Inner Loop Header: Depth=2
	s_delay_alu instid0(VALU_DEP_1)
	v_cmp_gt_i32_e32 vcc_lo, s20, v2
	v_mov_b32_e32 v14, 0
	s_and_saveexec_b32 s24, vcc_lo
	s_cbranch_execz .LBB16_138
; %bb.137:                              ;   in Loop: Header=BB16_136 Depth=2
	ds_load_b32 v14, v1
.LBB16_138:                             ;   in Loop: Header=BB16_136 Depth=2
	s_or_b32 exec_lo, exec_lo, s24
	s_and_saveexec_b32 s24, vcc_lo
	s_cbranch_execz .LBB16_135
; %bb.139:                              ;   in Loop: Header=BB16_136 Depth=2
	s_waitcnt lgkmcnt(0)
	v_xor_b32_e32 v3, 0x80000000, v14
	s_delay_alu instid0(VALU_DEP_1) | instskip(NEXT) | instid1(VALU_DEP_1)
	v_and_b32_e32 v3, s71, v3
	v_cmp_eq_u32_e32 vcc_lo, s70, v3
	s_and_b32 exec_lo, exec_lo, vcc_lo
	s_cbranch_execz .LBB16_135
; %bb.140:                              ;   in Loop: Header=BB16_136 Depth=2
	ds_store_b64 v7, v[13:14] offset:3072
	s_branch .LBB16_135
.LBB16_141:                             ;   in Loop: Header=BB16_8 Depth=1
	s_set_inst_prefetch_distance 0x2
	s_or_b32 exec_lo, exec_lo, s15
	s_delay_alu instid0(SALU_CYCLE_1)
	s_and_b32 s24, s17, exec_lo
.LBB16_142:                             ;   in Loop: Header=BB16_8 Depth=1
	s_or_b32 exec_lo, exec_lo, s9
	s_mov_b32 s17, -1
	s_mov_b32 s15, 0
	s_mov_b32 s14, 0
.LBB16_143:                             ;   in Loop: Header=BB16_8 Depth=1
	s_mov_b32 s25, 0
                                        ; implicit-def: $sgpr9
	s_and_saveexec_b32 s20, s24
	s_cbranch_execz .LBB16_239
; %bb.144:                              ;   in Loop: Header=BB16_8 Depth=1
	s_xor_b32 s9, s23, -1
	s_mov_b32 s23, 0
	s_and_not1_b32 vcc_lo, exec_lo, s9
	s_mov_b32 s26, 1
	s_cbranch_vccnz .LBB16_155
; %bb.145:                              ;   in Loop: Header=BB16_8 Depth=1
	s_cmp_gt_i32 s22, s21
	s_mov_b32 s23, -1
                                        ; implicit-def: $sgpr9
                                        ; implicit-def: $sgpr24
                                        ; implicit-def: $sgpr25
	s_cbranch_scc1 .LBB16_151
; %bb.146:                              ;   in Loop: Header=BB16_8 Depth=1
	ds_load_b32 v1, v7 offset:4096
	s_waitcnt lgkmcnt(0)
	v_cmp_ne_u32_e32 vcc_lo, 0, v1
	s_cbranch_vccnz .LBB16_150
; %bb.147:                              ;   in Loop: Header=BB16_8 Depth=1
	s_and_saveexec_b32 s9, s2
	s_cbranch_execz .LBB16_149
; %bb.148:                              ;   in Loop: Header=BB16_8 Depth=1
	v_mov_b32_e32 v1, s21
	ds_store_b32 v7, v1 offset:4100
.LBB16_149:                             ;   in Loop: Header=BB16_8 Depth=1
	s_or_b32 exec_lo, exec_lo, s9
	s_waitcnt lgkmcnt(0)
	s_barrier
	buffer_gl0_inv
.LBB16_150:                             ;   in Loop: Header=BB16_8 Depth=1
	s_lshl_b32 s9, 1, s18
	s_and_b32 s23, s70, s19
	s_or_b32 s25, s71, s11
	s_or_b32 s24, s23, s9
	s_mov_b32 s23, 0
	s_mov_b32 s9, 8
.LBB16_151:                             ;   in Loop: Header=BB16_8 Depth=1
	s_and_not1_b32 vcc_lo, exec_lo, s23
	s_cbranch_vccnz .LBB16_153
; %bb.152:                              ;   in Loop: Header=BB16_8 Depth=1
	s_sub_i32 s22, s22, s21
	s_mov_b32 s23, -1
	s_mov_b32 s9, 0
	s_mov_b32 s24, s70
	;; [unrolled: 1-line block ×3, first 2 shown]
.LBB16_153:                             ;   in Loop: Header=BB16_8 Depth=1
	s_delay_alu instid0(SALU_CYCLE_1)
	s_mov_b32 s71, s25
	s_mov_b32 s70, s24
	;; [unrolled: 1-line block ×3, first 2 shown]
	s_and_not1_b32 vcc_lo, exec_lo, s23
	s_mov_b32 s28, -1
	s_cbranch_vccz .LBB16_156
.LBB16_154:                             ;   in Loop: Header=BB16_8 Depth=1
                                        ; implicit-def: $sgpr22
                                        ; implicit-def: $sgpr23
                                        ; implicit-def: $sgpr21
	s_branch .LBB16_238
.LBB16_155:                             ;   in Loop: Header=BB16_8 Depth=1
	s_mov_b32 s9, 1
	s_and_not1_b32 vcc_lo, exec_lo, s23
	s_mov_b32 s28, -1
	s_cbranch_vccnz .LBB16_154
.LBB16_156:                             ;   in Loop: Header=BB16_8 Depth=1
	s_cmp_eq_u32 s16, 1
	s_mov_b32 s27, -1
	s_cselect_b32 s9, -1, 0
	s_cmp_eq_u32 s26, 1
	s_cselect_b32 s21, -1, 0
	s_delay_alu instid0(SALU_CYCLE_1) | instskip(NEXT) | instid1(SALU_CYCLE_1)
	s_and_b32 s25, s9, s21
	s_and_b32 vcc_lo, exec_lo, s25
	s_cbranch_vccz .LBB16_168
; %bb.157:                              ;   in Loop: Header=BB16_8 Depth=1
	ds_load_b32 v1, v7 offset:4096
	s_waitcnt lgkmcnt(0)
	s_barrier
	buffer_gl0_inv
	v_readfirstlane_b32 s24, v1
	s_and_saveexec_b32 s9, s0
	s_cbranch_execz .LBB16_159
; %bb.158:                              ;   in Loop: Header=BB16_8 Depth=1
	ds_store_b32 v20, v7
.LBB16_159:                             ;   in Loop: Header=BB16_8 Depth=1
	s_or_b32 exec_lo, exec_lo, s9
	s_lshl_b32 s9, 2, s18
	s_and_b32 s21, s70, s19
	s_or_b32 s71, s71, s11
	s_or_b32 s70, s21, s9
	s_cmp_gt_i32 s24, 0
	s_waitcnt lgkmcnt(0)
	s_barrier
	buffer_gl0_inv
	s_cbranch_scc1 .LBB16_169
; %bb.160:                              ;   in Loop: Header=BB16_8 Depth=1
	s_mov_b32 s27, 0
                                        ; implicit-def: $vgpr15
	s_and_saveexec_b32 s21, s8
	s_cbranch_execz .LBB16_171
; %bb.161:                              ;   in Loop: Header=BB16_8 Depth=1
	v_mov_b32_e32 v1, v5
	v_mov_b32_e32 v3, v0
	s_mov_b32 s22, 0
                                        ; implicit-def: $sgpr23
	s_set_inst_prefetch_distance 0x1
	s_branch .LBB16_163
	.p2align	6
.LBB16_162:                             ;   in Loop: Header=BB16_163 Depth=2
	s_or_b32 exec_lo, exec_lo, s9
	s_waitcnt vmcnt(0) lgkmcnt(0)
	s_barrier
	buffer_gl0_inv
	ds_load_b64 v[14:15], v7 offset:3072
	v_add_nc_u32_e32 v3, s44, v3
	v_add_nc_u32_e32 v1, s48, v1
	s_waitcnt lgkmcnt(0)
	s_barrier
	buffer_gl0_inv
	v_cmp_le_i32_e32 vcc_lo, s59, v3
	v_readfirstlane_b32 s9, v14
	s_delay_alu instid0(VALU_DEP_1) | instskip(SKIP_1) | instid1(SALU_CYCLE_1)
	s_cmp_lg_u32 s9, 0
	s_cselect_b32 s9, -1, 0
	s_or_b32 s27, vcc_lo, s9
	s_delay_alu instid0(SALU_CYCLE_1) | instskip(NEXT) | instid1(SALU_CYCLE_1)
	s_and_b32 s27, exec_lo, s27
	s_or_b32 s22, s27, s22
	s_and_not1_b32 s23, s23, exec_lo
	s_and_b32 s9, s9, exec_lo
	s_delay_alu instid0(SALU_CYCLE_1)
	s_or_b32 s23, s23, s9
	s_and_not1_b32 exec_lo, exec_lo, s22
	s_cbranch_execz .LBB16_170
.LBB16_163:                             ;   Parent Loop BB16_8 Depth=1
                                        ; =>  This Inner Loop Header: Depth=2
	s_delay_alu instid0(VALU_DEP_1)
	v_cmp_gt_i32_e32 vcc_lo, s36, v3
	v_mov_b32_e32 v14, 0
	s_and_saveexec_b32 s27, vcc_lo
	s_cbranch_execz .LBB16_165
; %bb.164:                              ;   in Loop: Header=BB16_163 Depth=2
	v_ashrrev_i32_e32 v2, 31, v1
	s_delay_alu instid0(VALU_DEP_1) | instskip(NEXT) | instid1(VALU_DEP_1)
	v_lshlrev_b64 v[14:15], 2, v[1:2]
	v_add_co_u32 v14, s9, s42, v14
	s_delay_alu instid0(VALU_DEP_1)
	v_add_co_ci_u32_e64 v15, s9, s43, v15, s9
	global_load_b32 v14, v[14:15], off
.LBB16_165:                             ;   in Loop: Header=BB16_163 Depth=2
	s_or_b32 exec_lo, exec_lo, s27
	s_and_saveexec_b32 s9, vcc_lo
	s_cbranch_execz .LBB16_162
; %bb.166:                              ;   in Loop: Header=BB16_163 Depth=2
	s_waitcnt vmcnt(0)
	v_xor_b32_e32 v2, 0x80000000, v14
	s_delay_alu instid0(VALU_DEP_1) | instskip(NEXT) | instid1(VALU_DEP_1)
	v_and_b32_e32 v2, s71, v2
	v_cmp_eq_u32_e32 vcc_lo, s70, v2
	s_and_b32 exec_lo, exec_lo, vcc_lo
	s_cbranch_execz .LBB16_162
; %bb.167:                              ;   in Loop: Header=BB16_163 Depth=2
	ds_store_b64 v7, v[13:14] offset:3072
	s_branch .LBB16_162
.LBB16_168:                             ;   in Loop: Header=BB16_8 Depth=1
                                        ; implicit-def: $sgpr21
                                        ; implicit-def: $sgpr23
                                        ; implicit-def: $sgpr22
	s_branch .LBB16_182
.LBB16_169:                             ;   in Loop: Header=BB16_8 Depth=1
	s_mov_b32 s21, -1
	s_mov_b32 s27, 0
                                        ; implicit-def: $sgpr22
                                        ; implicit-def: $vgpr15
	s_mov_b32 s23, s21
	s_cbranch_execnz .LBB16_172
	s_branch .LBB16_182
.LBB16_170:                             ;   in Loop: Header=BB16_8 Depth=1
	s_set_inst_prefetch_distance 0x2
	s_or_b32 exec_lo, exec_lo, s22
	s_delay_alu instid0(SALU_CYCLE_1)
	s_and_b32 s27, s23, exec_lo
.LBB16_171:                             ;   in Loop: Header=BB16_8 Depth=1
	s_or_b32 exec_lo, exec_lo, s21
	s_mov_b32 s22, -1
	s_mov_b32 s21, 0
	s_delay_alu instid0(SALU_CYCLE_1)
	s_mov_b32 s23, s21
	s_branch .LBB16_182
.LBB16_172:                             ;   in Loop: Header=BB16_8 Depth=1
	s_add_i32 s21, s24, s49
	s_mov_b32 s27, 0
	s_abs_i32 s9, s21
                                        ; implicit-def: $vgpr15
	s_delay_alu instid0(SALU_CYCLE_1) | instskip(NEXT) | instid1(SALU_CYCLE_1)
	s_mul_hi_u32 s22, s9, s58
	s_mul_i32 s22, s22, s44
	s_delay_alu instid0(SALU_CYCLE_1) | instskip(SKIP_4) | instid1(SALU_CYCLE_1)
	s_sub_i32 s9, s9, s22
	s_ashr_i32 s22, s21, 31
	s_sub_i32 s23, s9, s44
	s_cmp_ge_u32 s9, s44
	s_cselect_b32 s9, s23, s9
	s_sub_i32 s23, s9, s44
	s_cmp_ge_u32 s9, s44
	s_cselect_b32 s9, s23, s9
	s_delay_alu instid0(SALU_CYCLE_1) | instskip(NEXT) | instid1(SALU_CYCLE_1)
	s_xor_b32 s9, s9, s22
	s_sub_i32 s9, s22, s9
	s_delay_alu instid0(SALU_CYCLE_1)
	s_add_i32 s21, s21, s9
	s_mov_b32 s9, exec_lo
	v_cmpx_gt_i32_e64 s21, v0
	s_cbranch_execz .LBB16_181
; %bb.173:                              ;   in Loop: Header=BB16_8 Depth=1
	v_dual_mov_b32 v1, v19 :: v_dual_mov_b32 v2, v0
	s_mov_b32 s22, 0
                                        ; implicit-def: $sgpr23
	s_set_inst_prefetch_distance 0x1
	s_branch .LBB16_175
	.p2align	6
.LBB16_174:                             ;   in Loop: Header=BB16_175 Depth=2
	s_or_b32 exec_lo, exec_lo, s27
	s_waitcnt lgkmcnt(0)
	s_barrier
	buffer_gl0_inv
	ds_load_b64 v[14:15], v7 offset:3072
	v_add_nc_u32_e32 v2, s44, v2
	v_add_nc_u32_e32 v1, s46, v1
	s_waitcnt lgkmcnt(0)
	s_barrier
	buffer_gl0_inv
	v_cmp_le_i32_e32 vcc_lo, s21, v2
	v_readfirstlane_b32 s27, v14
	s_delay_alu instid0(VALU_DEP_1) | instskip(SKIP_1) | instid1(SALU_CYCLE_1)
	s_cmp_lg_u32 s27, 0
	s_cselect_b32 s27, -1, 0
	s_or_b32 s28, vcc_lo, s27
	s_delay_alu instid0(SALU_CYCLE_1) | instskip(NEXT) | instid1(SALU_CYCLE_1)
	s_and_b32 s28, exec_lo, s28
	s_or_b32 s22, s28, s22
	s_and_not1_b32 s23, s23, exec_lo
	s_and_b32 s27, s27, exec_lo
	s_delay_alu instid0(SALU_CYCLE_1)
	s_or_b32 s23, s23, s27
	s_and_not1_b32 exec_lo, exec_lo, s22
	s_cbranch_execz .LBB16_180
.LBB16_175:                             ;   Parent Loop BB16_8 Depth=1
                                        ; =>  This Inner Loop Header: Depth=2
	s_delay_alu instid0(VALU_DEP_1)
	v_cmp_gt_i32_e32 vcc_lo, s24, v2
	v_mov_b32_e32 v14, 0
	s_and_saveexec_b32 s27, vcc_lo
	s_cbranch_execz .LBB16_177
; %bb.176:                              ;   in Loop: Header=BB16_175 Depth=2
	ds_load_b32 v14, v1
.LBB16_177:                             ;   in Loop: Header=BB16_175 Depth=2
	s_or_b32 exec_lo, exec_lo, s27
	s_and_saveexec_b32 s27, vcc_lo
	s_cbranch_execz .LBB16_174
; %bb.178:                              ;   in Loop: Header=BB16_175 Depth=2
	s_waitcnt lgkmcnt(0)
	v_xor_b32_e32 v3, 0x80000000, v14
	s_delay_alu instid0(VALU_DEP_1) | instskip(NEXT) | instid1(VALU_DEP_1)
	v_and_b32_e32 v3, s71, v3
	v_cmp_eq_u32_e32 vcc_lo, s70, v3
	s_and_b32 exec_lo, exec_lo, vcc_lo
	s_cbranch_execz .LBB16_174
; %bb.179:                              ;   in Loop: Header=BB16_175 Depth=2
	ds_store_b64 v7, v[13:14] offset:3072
	s_branch .LBB16_174
.LBB16_180:                             ;   in Loop: Header=BB16_8 Depth=1
	s_set_inst_prefetch_distance 0x2
	s_or_b32 exec_lo, exec_lo, s22
	s_delay_alu instid0(SALU_CYCLE_1)
	s_and_b32 s27, s23, exec_lo
.LBB16_181:                             ;   in Loop: Header=BB16_8 Depth=1
	s_or_b32 exec_lo, exec_lo, s9
	s_mov_b32 s23, -1
	s_mov_b32 s21, 0
	s_mov_b32 s22, 0
.LBB16_182:                             ;   in Loop: Header=BB16_8 Depth=1
	s_mov_b32 s28, 0
                                        ; implicit-def: $sgpr9
	s_and_saveexec_b32 s24, s27
	s_cbranch_execz .LBB16_237
; %bb.183:                              ;   in Loop: Header=BB16_8 Depth=1
	s_xor_b32 s9, s25, -1
	s_mov_b32 s27, 0
	s_and_not1_b32 vcc_lo, exec_lo, s9
	s_mov_b32 s25, 1
	s_cbranch_vccnz .LBB16_194
; %bb.184:                              ;   in Loop: Header=BB16_8 Depth=1
	s_cmp_gt_i32 s26, s16
	s_mov_b32 s27, -1
                                        ; implicit-def: $sgpr9
                                        ; implicit-def: $sgpr25
                                        ; implicit-def: $sgpr28
	s_cbranch_scc1 .LBB16_190
; %bb.185:                              ;   in Loop: Header=BB16_8 Depth=1
	ds_load_b32 v1, v7 offset:4096
	s_waitcnt lgkmcnt(0)
	v_cmp_ne_u32_e32 vcc_lo, 0, v1
	s_cbranch_vccnz .LBB16_189
; %bb.186:                              ;   in Loop: Header=BB16_8 Depth=1
	s_and_saveexec_b32 s9, s2
	s_cbranch_execz .LBB16_188
; %bb.187:                              ;   in Loop: Header=BB16_8 Depth=1
	v_mov_b32_e32 v1, s16
	ds_store_b32 v7, v1 offset:4100
.LBB16_188:                             ;   in Loop: Header=BB16_8 Depth=1
	s_or_b32 exec_lo, exec_lo, s9
	s_waitcnt lgkmcnt(0)
	s_barrier
	buffer_gl0_inv
.LBB16_189:                             ;   in Loop: Header=BB16_8 Depth=1
	s_lshl_b32 s9, 2, s18
	s_and_b32 s18, s70, s19
	s_or_b32 s28, s71, s11
	s_or_b32 s25, s18, s9
	s_mov_b32 s27, 0
	s_mov_b32 s9, 8
.LBB16_190:                             ;   in Loop: Header=BB16_8 Depth=1
	s_and_not1_b32 vcc_lo, exec_lo, s27
	s_cbranch_vccnz .LBB16_192
; %bb.191:                              ;   in Loop: Header=BB16_8 Depth=1
	s_sub_i32 s26, s26, s16
	s_mov_b32 s27, -1
	s_mov_b32 s9, 0
	s_mov_b32 s25, s70
	;; [unrolled: 1-line block ×3, first 2 shown]
.LBB16_192:                             ;   in Loop: Header=BB16_8 Depth=1
	s_delay_alu instid0(SALU_CYCLE_1)
	s_mov_b32 s71, s28
	s_mov_b32 s70, s25
	;; [unrolled: 1-line block ×3, first 2 shown]
	s_and_not1_b32 vcc_lo, exec_lo, s27
	s_mov_b32 s37, -1
	s_cbranch_vccz .LBB16_195
.LBB16_193:                             ;   in Loop: Header=BB16_8 Depth=1
                                        ; implicit-def: $sgpr19
                                        ; implicit-def: $sgpr27
                                        ; implicit-def: $sgpr26
	s_branch .LBB16_236
.LBB16_194:                             ;   in Loop: Header=BB16_8 Depth=1
	s_mov_b32 s9, 1
	s_and_not1_b32 vcc_lo, exec_lo, s27
	s_mov_b32 s37, -1
	s_cbranch_vccnz .LBB16_193
.LBB16_195:                             ;   in Loop: Header=BB16_8 Depth=1
	s_cmp_eq_u32 s10, 1
	s_mov_b32 s28, -1
	s_cselect_b32 s9, -1, 0
	s_cmp_eq_u32 s25, 1
	s_cselect_b32 s16, -1, 0
	s_delay_alu instid0(SALU_CYCLE_1) | instskip(NEXT) | instid1(SALU_CYCLE_1)
	s_and_b32 s16, s9, s16
	s_and_b32 vcc_lo, exec_lo, s16
	s_cbranch_vccz .LBB16_207
; %bb.196:                              ;   in Loop: Header=BB16_8 Depth=1
	ds_load_b32 v1, v7 offset:4096
	s_waitcnt lgkmcnt(0)
	s_barrier
	buffer_gl0_inv
	v_readfirstlane_b32 s18, v1
	s_and_saveexec_b32 s9, s0
	s_cbranch_execz .LBB16_198
; %bb.197:                              ;   in Loop: Header=BB16_8 Depth=1
	ds_store_b32 v20, v7
.LBB16_198:                             ;   in Loop: Header=BB16_8 Depth=1
	s_or_b32 exec_lo, exec_lo, s9
	s_or_b32 s70, s70, s11
	s_or_b32 s71, s71, s11
	s_cmp_gt_i32 s18, 0
	s_waitcnt lgkmcnt(0)
	s_barrier
	buffer_gl0_inv
	s_cbranch_scc1 .LBB16_208
; %bb.199:                              ;   in Loop: Header=BB16_8 Depth=1
	s_mov_b32 s28, 0
                                        ; implicit-def: $vgpr15
	s_and_saveexec_b32 s19, s8
	s_cbranch_execz .LBB16_210
; %bb.200:                              ;   in Loop: Header=BB16_8 Depth=1
	v_mov_b32_e32 v1, v5
	v_mov_b32_e32 v3, v0
	s_mov_b32 s26, 0
                                        ; implicit-def: $sgpr27
	s_set_inst_prefetch_distance 0x1
	s_branch .LBB16_202
	.p2align	6
.LBB16_201:                             ;   in Loop: Header=BB16_202 Depth=2
	s_or_b32 exec_lo, exec_lo, s9
	s_waitcnt vmcnt(0) lgkmcnt(0)
	s_barrier
	buffer_gl0_inv
	ds_load_b64 v[14:15], v7 offset:3072
	v_add_nc_u32_e32 v3, s44, v3
	v_add_nc_u32_e32 v1, s48, v1
	s_waitcnt lgkmcnt(0)
	s_barrier
	buffer_gl0_inv
	v_cmp_le_i32_e32 vcc_lo, s59, v3
	v_readfirstlane_b32 s9, v14
	s_delay_alu instid0(VALU_DEP_1) | instskip(SKIP_1) | instid1(SALU_CYCLE_1)
	s_cmp_lg_u32 s9, 0
	s_cselect_b32 s9, -1, 0
	s_or_b32 s28, vcc_lo, s9
	s_delay_alu instid0(SALU_CYCLE_1) | instskip(NEXT) | instid1(SALU_CYCLE_1)
	s_and_b32 s28, exec_lo, s28
	s_or_b32 s26, s28, s26
	s_and_not1_b32 s27, s27, exec_lo
	s_and_b32 s9, s9, exec_lo
	s_delay_alu instid0(SALU_CYCLE_1)
	s_or_b32 s27, s27, s9
	s_and_not1_b32 exec_lo, exec_lo, s26
	s_cbranch_execz .LBB16_209
.LBB16_202:                             ;   Parent Loop BB16_8 Depth=1
                                        ; =>  This Inner Loop Header: Depth=2
	s_delay_alu instid0(VALU_DEP_1)
	v_cmp_gt_i32_e32 vcc_lo, s36, v3
	v_mov_b32_e32 v14, 0
	s_and_saveexec_b32 s28, vcc_lo
	s_cbranch_execz .LBB16_204
; %bb.203:                              ;   in Loop: Header=BB16_202 Depth=2
	v_ashrrev_i32_e32 v2, 31, v1
	s_delay_alu instid0(VALU_DEP_1) | instskip(NEXT) | instid1(VALU_DEP_1)
	v_lshlrev_b64 v[14:15], 2, v[1:2]
	v_add_co_u32 v14, s9, s42, v14
	s_delay_alu instid0(VALU_DEP_1)
	v_add_co_ci_u32_e64 v15, s9, s43, v15, s9
	global_load_b32 v14, v[14:15], off
.LBB16_204:                             ;   in Loop: Header=BB16_202 Depth=2
	s_or_b32 exec_lo, exec_lo, s28
	s_and_saveexec_b32 s9, vcc_lo
	s_cbranch_execz .LBB16_201
; %bb.205:                              ;   in Loop: Header=BB16_202 Depth=2
	s_waitcnt vmcnt(0)
	v_xor_b32_e32 v2, 0x80000000, v14
	s_delay_alu instid0(VALU_DEP_1) | instskip(NEXT) | instid1(VALU_DEP_1)
	v_and_b32_e32 v2, s71, v2
	v_cmp_eq_u32_e32 vcc_lo, s70, v2
	s_and_b32 exec_lo, exec_lo, vcc_lo
	s_cbranch_execz .LBB16_201
; %bb.206:                              ;   in Loop: Header=BB16_202 Depth=2
	ds_store_b64 v7, v[13:14] offset:3072
	s_branch .LBB16_201
.LBB16_207:                             ;   in Loop: Header=BB16_8 Depth=1
                                        ; implicit-def: $sgpr19
                                        ; implicit-def: $sgpr27
                                        ; implicit-def: $sgpr26
	s_branch .LBB16_221
.LBB16_208:                             ;   in Loop: Header=BB16_8 Depth=1
	s_mov_b32 s19, -1
	s_mov_b32 s28, 0
                                        ; implicit-def: $sgpr26
                                        ; implicit-def: $vgpr15
	s_mov_b32 s27, s19
	s_cbranch_execnz .LBB16_211
	s_branch .LBB16_221
.LBB16_209:                             ;   in Loop: Header=BB16_8 Depth=1
	s_set_inst_prefetch_distance 0x2
	s_or_b32 exec_lo, exec_lo, s26
	s_delay_alu instid0(SALU_CYCLE_1)
	s_and_b32 s28, s27, exec_lo
.LBB16_210:                             ;   in Loop: Header=BB16_8 Depth=1
	s_or_b32 exec_lo, exec_lo, s19
	s_mov_b32 s26, -1
	s_mov_b32 s19, 0
	s_delay_alu instid0(SALU_CYCLE_1)
	s_mov_b32 s27, s19
	s_branch .LBB16_221
.LBB16_211:                             ;   in Loop: Header=BB16_8 Depth=1
	s_add_i32 s19, s18, s49
	s_mov_b32 s28, 0
	s_abs_i32 s9, s19
                                        ; implicit-def: $vgpr15
	s_delay_alu instid0(SALU_CYCLE_1) | instskip(NEXT) | instid1(SALU_CYCLE_1)
	s_mul_hi_u32 s26, s9, s58
	s_mul_i32 s26, s26, s44
	s_delay_alu instid0(SALU_CYCLE_1) | instskip(SKIP_4) | instid1(SALU_CYCLE_1)
	s_sub_i32 s9, s9, s26
	s_ashr_i32 s26, s19, 31
	s_sub_i32 s27, s9, s44
	s_cmp_ge_u32 s9, s44
	s_cselect_b32 s9, s27, s9
	s_sub_i32 s27, s9, s44
	s_cmp_ge_u32 s9, s44
	s_cselect_b32 s9, s27, s9
	s_delay_alu instid0(SALU_CYCLE_1) | instskip(NEXT) | instid1(SALU_CYCLE_1)
	s_xor_b32 s9, s9, s26
	s_sub_i32 s9, s26, s9
	s_delay_alu instid0(SALU_CYCLE_1)
	s_add_i32 s19, s19, s9
	s_mov_b32 s9, exec_lo
	v_cmpx_gt_i32_e64 s19, v0
	s_cbranch_execz .LBB16_220
; %bb.212:                              ;   in Loop: Header=BB16_8 Depth=1
	v_dual_mov_b32 v1, v19 :: v_dual_mov_b32 v2, v0
	s_mov_b32 s26, 0
                                        ; implicit-def: $sgpr27
	s_set_inst_prefetch_distance 0x1
	s_branch .LBB16_214
	.p2align	6
.LBB16_213:                             ;   in Loop: Header=BB16_214 Depth=2
	s_or_b32 exec_lo, exec_lo, s28
	s_waitcnt lgkmcnt(0)
	s_barrier
	buffer_gl0_inv
	ds_load_b64 v[14:15], v7 offset:3072
	v_add_nc_u32_e32 v2, s44, v2
	v_add_nc_u32_e32 v1, s46, v1
	s_waitcnt lgkmcnt(0)
	s_barrier
	buffer_gl0_inv
	v_cmp_le_i32_e32 vcc_lo, s19, v2
	v_readfirstlane_b32 s28, v14
	s_delay_alu instid0(VALU_DEP_1) | instskip(SKIP_1) | instid1(SALU_CYCLE_1)
	s_cmp_lg_u32 s28, 0
	s_cselect_b32 s28, -1, 0
	s_or_b32 s37, vcc_lo, s28
	s_delay_alu instid0(SALU_CYCLE_1) | instskip(NEXT) | instid1(SALU_CYCLE_1)
	s_and_b32 s37, exec_lo, s37
	s_or_b32 s26, s37, s26
	s_and_not1_b32 s27, s27, exec_lo
	s_and_b32 s28, s28, exec_lo
	s_delay_alu instid0(SALU_CYCLE_1)
	s_or_b32 s27, s27, s28
	s_and_not1_b32 exec_lo, exec_lo, s26
	s_cbranch_execz .LBB16_219
.LBB16_214:                             ;   Parent Loop BB16_8 Depth=1
                                        ; =>  This Inner Loop Header: Depth=2
	s_delay_alu instid0(VALU_DEP_1)
	v_cmp_gt_i32_e32 vcc_lo, s18, v2
	v_mov_b32_e32 v14, 0
	s_and_saveexec_b32 s28, vcc_lo
	s_cbranch_execz .LBB16_216
; %bb.215:                              ;   in Loop: Header=BB16_214 Depth=2
	ds_load_b32 v14, v1
.LBB16_216:                             ;   in Loop: Header=BB16_214 Depth=2
	s_or_b32 exec_lo, exec_lo, s28
	s_and_saveexec_b32 s28, vcc_lo
	s_cbranch_execz .LBB16_213
; %bb.217:                              ;   in Loop: Header=BB16_214 Depth=2
	s_waitcnt lgkmcnt(0)
	v_xor_b32_e32 v3, 0x80000000, v14
	s_delay_alu instid0(VALU_DEP_1) | instskip(NEXT) | instid1(VALU_DEP_1)
	v_and_b32_e32 v3, s71, v3
	v_cmp_eq_u32_e32 vcc_lo, s70, v3
	s_and_b32 exec_lo, exec_lo, vcc_lo
	s_cbranch_execz .LBB16_213
; %bb.218:                              ;   in Loop: Header=BB16_214 Depth=2
	ds_store_b64 v7, v[13:14] offset:3072
	s_branch .LBB16_213
.LBB16_219:                             ;   in Loop: Header=BB16_8 Depth=1
	s_set_inst_prefetch_distance 0x2
	s_or_b32 exec_lo, exec_lo, s26
	s_delay_alu instid0(SALU_CYCLE_1)
	s_and_b32 s28, s27, exec_lo
.LBB16_220:                             ;   in Loop: Header=BB16_8 Depth=1
	s_or_b32 exec_lo, exec_lo, s9
	s_mov_b32 s27, -1
	s_mov_b32 s19, 0
	s_mov_b32 s26, 0
.LBB16_221:                             ;   in Loop: Header=BB16_8 Depth=1
	s_mov_b32 s37, 0
                                        ; implicit-def: $sgpr9
	s_and_saveexec_b32 s18, s28
	s_cbranch_execz .LBB16_235
; %bb.222:                              ;   in Loop: Header=BB16_8 Depth=1
	s_xor_b32 s9, s16, -1
	s_delay_alu instid0(SALU_CYCLE_1)
	s_and_not1_b32 vcc_lo, exec_lo, s9
	s_mov_b32 s9, 1
	s_cbranch_vccnz .LBB16_229
; %bb.223:                              ;   in Loop: Header=BB16_8 Depth=1
	s_cmp_gt_i32 s25, s10
	s_cbranch_scc1 .LBB16_230
; %bb.224:                              ;   in Loop: Header=BB16_8 Depth=1
	ds_load_b32 v1, v7 offset:4096
	s_waitcnt lgkmcnt(0)
	v_cmp_ne_u32_e32 vcc_lo, 0, v1
	s_cbranch_vccnz .LBB16_228
; %bb.225:                              ;   in Loop: Header=BB16_8 Depth=1
	s_and_saveexec_b32 s9, s2
	s_cbranch_execz .LBB16_227
; %bb.226:                              ;   in Loop: Header=BB16_8 Depth=1
	v_mov_b32_e32 v1, s10
	ds_store_b32 v7, v1 offset:4100
.LBB16_227:                             ;   in Loop: Header=BB16_8 Depth=1
	s_or_b32 exec_lo, exec_lo, s9
	s_waitcnt lgkmcnt(0)
	s_barrier
	buffer_gl0_inv
.LBB16_228:                             ;   in Loop: Header=BB16_8 Depth=1
	s_or_b32 s16, s70, s11
	s_or_b32 s11, s71, s11
	s_mov_b32 s28, 0
	s_mov_b32 s9, 8
	s_branch .LBB16_231
.LBB16_229:                             ;   in Loop: Header=BB16_8 Depth=1
	s_mov_b32 s25, 1
	s_branch .LBB16_234
.LBB16_230:                             ;   in Loop: Header=BB16_8 Depth=1
	s_mov_b32 s28, -1
                                        ; implicit-def: $sgpr9
                                        ; implicit-def: $sgpr16
                                        ; implicit-def: $sgpr11
.LBB16_231:                             ;   in Loop: Header=BB16_8 Depth=1
	s_delay_alu instid0(SALU_CYCLE_1)
	s_and_not1_b32 vcc_lo, exec_lo, s28
	s_cbranch_vccnz .LBB16_233
; %bb.232:                              ;   in Loop: Header=BB16_8 Depth=1
	s_sub_i32 s25, s25, s10
	s_mov_b32 s9, 8
	s_mov_b32 s16, s70
	s_mov_b32 s11, s71
.LBB16_233:                             ;   in Loop: Header=BB16_8 Depth=1
	s_mov_b32 s70, s16
	s_mov_b32 s71, s11
.LBB16_234:                             ;   in Loop: Header=BB16_8 Depth=1
	s_mov_b32 s37, exec_lo
.LBB16_235:                             ;   in Loop: Header=BB16_8 Depth=1
	s_or_b32 exec_lo, exec_lo, s18
.LBB16_236:                             ;   in Loop: Header=BB16_8 Depth=1
	s_delay_alu instid0(SALU_CYCLE_1)
	s_and_not1_b32 s10, s21, exec_lo
	s_and_b32 s11, s19, exec_lo
	s_and_not1_b32 s16, s22, exec_lo
	s_or_b32 s21, s10, s11
	s_and_not1_b32 s10, s23, exec_lo
	s_and_b32 s11, s27, exec_lo
	s_and_b32 s18, s26, exec_lo
	s_or_b32 s23, s10, s11
	s_or_b32 s22, s16, s18
	s_and_b32 s28, s37, exec_lo
	s_mov_b32 s26, s25
.LBB16_237:                             ;   in Loop: Header=BB16_8 Depth=1
	s_or_b32 exec_lo, exec_lo, s24
.LBB16_238:                             ;   in Loop: Header=BB16_8 Depth=1
	s_delay_alu instid0(SALU_CYCLE_1)
	s_and_not1_b32 s10, s15, exec_lo
	s_and_b32 s11, s21, exec_lo
	s_and_not1_b32 s14, s14, exec_lo
	s_or_b32 s15, s10, s11
	s_and_not1_b32 s10, s17, exec_lo
	s_and_b32 s11, s23, exec_lo
	s_and_b32 s16, s22, exec_lo
	s_or_b32 s17, s10, s11
	s_or_b32 s14, s14, s16
	s_and_b32 s25, s28, exec_lo
	s_mov_b32 s22, s26
.LBB16_239:                             ;   in Loop: Header=BB16_8 Depth=1
	s_or_b32 exec_lo, exec_lo, s20
	s_and_saveexec_b32 s10, s25
	s_delay_alu instid0(SALU_CYCLE_1)
	s_xor_b32 s10, exec_lo, s10
	s_cbranch_execz .LBB16_6
.LBB16_240:                             ;   in Loop: Header=BB16_8 Depth=1
	s_and_b32 s9, s9, -9
	s_delay_alu instid0(SALU_CYCLE_1)
	s_cmp_eq_u32 s9, 0
	s_cbranch_scc1 .LBB16_4
; %bb.241:                              ;   in Loop: Header=BB16_8 Depth=1
	s_mov_b32 s9, -1
	s_mov_b32 s11, -1
                                        ; implicit-def: $sgpr71
                                        ; implicit-def: $sgpr22
                                        ; implicit-def: $sgpr65
                                        ; implicit-def: $sgpr68
	s_branch .LBB16_5
.LBB16_242:
	s_or_b32 exec_lo, exec_lo, s45
	s_xor_b32 s4, s64, -1
	s_xor_b32 s0, s62, -1
	;; [unrolled: 1-line block ×3, first 2 shown]
	s_mov_b32 s1, 0
	s_and_saveexec_b32 s5, s0
	s_delay_alu instid0(SALU_CYCLE_1)
	s_xor_b32 s0, exec_lo, s5
	s_cbranch_execz .LBB16_263
; %bb.243:
	s_and_saveexec_b32 s1, s4
	s_delay_alu instid0(SALU_CYCLE_1)
	s_xor_b32 s1, exec_lo, s1
	s_cbranch_execz .LBB16_261
; %bb.244:
	s_and_saveexec_b32 s4, s3
	s_delay_alu instid0(SALU_CYCLE_1)
	s_xor_b32 s3, exec_lo, s4
; %bb.245:
	v_xor_b32_e32 v15, 0x80000000, v1
; %bb.246:
	s_or_b32 exec_lo, exec_lo, s3
	s_and_saveexec_b32 s3, s2
	s_cbranch_execz .LBB16_248
; %bb.247:
	v_dual_mov_b32 v1, 0 :: v_dual_mov_b32 v2, s36
	ds_store_b32 v1, v2 offset:4108
.LBB16_248:
	s_or_b32 exec_lo, exec_lo, s3
	v_mov_b32_e32 v1, 0
	s_waitcnt lgkmcnt(0)
	s_barrier
	buffer_gl0_inv
	s_mov_b32 s3, exec_lo
	ds_load_b32 v1, v1 offset:4108
	s_waitcnt lgkmcnt(0)
	v_min_i32_e32 v1, s36, v1
	s_delay_alu instid0(VALU_DEP_1)
	v_cmpx_lt_i32_e64 v0, v1
	s_cbranch_execz .LBB16_258
; %bb.249:
	s_mov_b32 s4, 0
                                        ; implicit-def: $sgpr5
                                        ; implicit-def: $sgpr7
                                        ; implicit-def: $sgpr6
	s_set_inst_prefetch_distance 0x1
	s_branch .LBB16_251
	.p2align	6
.LBB16_250:                             ;   in Loop: Header=BB16_251 Depth=1
	s_or_b32 exec_lo, exec_lo, s8
	s_delay_alu instid0(SALU_CYCLE_1) | instskip(NEXT) | instid1(SALU_CYCLE_1)
	s_and_b32 s8, exec_lo, s7
	s_or_b32 s4, s8, s4
	s_and_not1_b32 s5, s5, exec_lo
	s_and_b32 s8, s6, exec_lo
	s_delay_alu instid0(SALU_CYCLE_1)
	s_or_b32 s5, s5, s8
	s_and_not1_b32 exec_lo, exec_lo, s4
	s_cbranch_execz .LBB16_253
.LBB16_251:                             ; =>This Inner Loop Header: Depth=1
	v_ashrrev_i32_e32 v6, 31, v5
	s_or_b32 s6, s6, exec_lo
	s_or_b32 s7, s7, exec_lo
	s_mov_b32 s8, exec_lo
	s_delay_alu instid0(VALU_DEP_1) | instskip(NEXT) | instid1(VALU_DEP_1)
	v_lshlrev_b64 v[2:3], 2, v[5:6]
	v_add_co_u32 v2, vcc_lo, s42, v2
	s_delay_alu instid0(VALU_DEP_2)
	v_add_co_ci_u32_e32 v3, vcc_lo, s43, v3, vcc_lo
	global_load_b32 v3, v[2:3], off
	v_mov_b32_e32 v2, v0
                                        ; implicit-def: $vgpr0
	s_waitcnt vmcnt(0)
	v_cmpx_ne_u32_e64 v3, v15
	s_cbranch_execz .LBB16_250
; %bb.252:                              ;   in Loop: Header=BB16_251 Depth=1
	s_delay_alu instid0(VALU_DEP_2) | instskip(SKIP_3) | instid1(VALU_DEP_2)
	v_add_nc_u32_e32 v0, s44, v2
	s_and_not1_b32 s7, s7, exec_lo
	v_add_nc_u32_e32 v5, s48, v5
	s_and_not1_b32 s6, s6, exec_lo
	v_cmp_ge_i32_e32 vcc_lo, v0, v1
	s_and_b32 s9, vcc_lo, exec_lo
	s_delay_alu instid0(SALU_CYCLE_1)
	s_or_b32 s7, s7, s9
	s_branch .LBB16_250
.LBB16_253:
	s_set_inst_prefetch_distance 0x2
	s_or_b32 exec_lo, exec_lo, s4
	s_and_saveexec_b32 s4, s5
	s_delay_alu instid0(SALU_CYCLE_1)
	s_xor_b32 s4, exec_lo, s4
	s_cbranch_execz .LBB16_258
; %bb.254:
	s_mov_b32 s5, exec_lo
	s_brev_b32 s4, -2
.LBB16_255:                             ; =>This Inner Loop Header: Depth=1
	s_ctz_i32_b32 s6, s5
	s_delay_alu instid0(SALU_CYCLE_1) | instskip(SKIP_1) | instid1(SALU_CYCLE_1)
	v_readlane_b32 s7, v2, s6
	s_lshl_b32 s6, 1, s6
	s_and_not1_b32 s5, s5, s6
	s_delay_alu instid0(VALU_DEP_1)
	s_min_i32 s4, s4, s7
	s_cmp_lg_u32 s5, 0
	s_cbranch_scc1 .LBB16_255
; %bb.256:
	v_mbcnt_lo_u32_b32 v0, exec_lo, 0
	s_mov_b32 s5, exec_lo
	s_delay_alu instid0(VALU_DEP_1)
	v_cmpx_eq_u32_e32 0, v0
	s_xor_b32 s5, exec_lo, s5
	s_cbranch_execz .LBB16_258
; %bb.257:
	v_dual_mov_b32 v0, 0 :: v_dual_mov_b32 v1, s4
	ds_min_i32 v0, v1 offset:4108
.LBB16_258:
	s_or_b32 exec_lo, exec_lo, s3
	s_waitcnt lgkmcnt(0)
	s_barrier
	buffer_gl0_inv
	s_and_saveexec_b32 s3, s2
	s_cbranch_execz .LBB16_260
; %bb.259:
	v_mov_b32_e32 v2, 0
	s_mul_i32 s4, s38, s29
	s_mul_i32 s6, s33, s29
	s_ashr_i32 s5, s4, 31
	s_delay_alu instid0(SALU_CYCLE_1) | instskip(SKIP_4) | instid1(SALU_CYCLE_1)
	s_lshl_b64 s[4:5], s[4:5], 2
	ds_load_b32 v0, v2 offset:4108
	s_add_u32 s4, s34, s4
	s_addc_u32 s5, s35, s5
	s_ashr_i32 s7, s6, 31
	s_lshl_b64 s[6:7], s[6:7], 3
	s_delay_alu instid0(SALU_CYCLE_1)
	s_add_u32 s6, s30, s6
	s_addc_u32 s7, s31, s7
	s_waitcnt lgkmcnt(0)
	v_ashrrev_i32_e32 v1, 31, v0
	s_clause 0x1
	global_store_b64 v2, v[0:1], s[6:7]
	global_store_b32 v2, v15, s[4:5]
.LBB16_260:
	s_or_b32 exec_lo, exec_lo, s3
.LBB16_261:
	s_or_saveexec_b32 s1, s1
	s_mov_b32 s2, 0
	s_xor_b32 exec_lo, exec_lo, s1
	s_cbranch_execnz .LBB16_269
.LBB16_262:
	s_or_b32 exec_lo, exec_lo, s1
	s_delay_alu instid0(SALU_CYCLE_1)
	s_and_b32 s1, s2, exec_lo
.LBB16_263:
	s_and_not1_saveexec_b32 s0, s0
	s_cbranch_execnz .LBB16_267
; %bb.264:
	s_or_b32 exec_lo, exec_lo, s0
	s_and_saveexec_b32 s0, s1
.LBB16_265:
	; divergent unreachable
.LBB16_266:
	s_nop 0
	s_sendmsg sendmsg(MSG_DEALLOC_VGPRS)
	s_endpgm
.LBB16_267:
	s_cbranch_execnz .LBB16_271
; %bb.268:
	s_or_b32 s1, s1, exec_lo
	s_or_b32 exec_lo, exec_lo, s0
	s_and_saveexec_b32 s0, s1
	s_cbranch_execnz .LBB16_265
	s_branch .LBB16_266
.LBB16_269:
	s_cbranch_execnz .LBB16_273
; %bb.270:
	s_mov_b32 s2, exec_lo
	s_branch .LBB16_262
.LBB16_271:
	s_trap 2
	s_sendmsg_rtn_b32 s0, sendmsg(MSG_RTN_GET_DOORBELL)
	s_mov_b32 ttmp2, m0
	s_waitcnt lgkmcnt(0)
	s_and_b32 s0, s0, 0x3ff
	s_delay_alu instid0(SALU_CYCLE_1) | instskip(NEXT) | instid1(SALU_CYCLE_1)
	s_bitset1_b32 s0, 10
	s_mov_b32 m0, s0
	s_sendmsg sendmsg(MSG_INTERRUPT)
	s_mov_b32 m0, ttmp2
.LBB16_272:                             ; =>This Inner Loop Header: Depth=1
	s_sethalt 5
	s_branch .LBB16_272
.LBB16_273:
	s_trap 2
	s_sendmsg_rtn_b32 s0, sendmsg(MSG_RTN_GET_DOORBELL)
	s_mov_b32 ttmp2, m0
	s_waitcnt lgkmcnt(0)
	s_and_b32 s0, s0, 0x3ff
	s_delay_alu instid0(SALU_CYCLE_1) | instskip(NEXT) | instid1(SALU_CYCLE_1)
	s_bitset1_b32 s0, 10
	s_mov_b32 m0, s0
	s_sendmsg sendmsg(MSG_INTERRUPT)
	s_mov_b32 m0, ttmp2
.LBB16_274:                             ; =>This Inner Loop Header: Depth=1
	s_sethalt 5
	s_branch .LBB16_274
	.section	.rodata,"a",@progbits
	.p2align	6, 0x0
	.amdhsa_kernel _ZN2at6native12_GLOBAL__N_114gatherKthValueIiiLi1EEEvNS_4cuda6detail10TensorInfoIKT_T0_EES8_S8_S8_S8_NS5_IS6_S8_EENS5_IlS8_EE
		.amdhsa_group_segment_fixed_size 4112
		.amdhsa_private_segment_fixed_size 0
		.amdhsa_kernarg_size 920
		.amdhsa_user_sgpr_count 13
		.amdhsa_user_sgpr_dispatch_ptr 0
		.amdhsa_user_sgpr_queue_ptr 0
		.amdhsa_user_sgpr_kernarg_segment_ptr 1
		.amdhsa_user_sgpr_dispatch_id 0
		.amdhsa_user_sgpr_private_segment_size 0
		.amdhsa_wavefront_size32 1
		.amdhsa_uses_dynamic_stack 0
		.amdhsa_enable_private_segment 0
		.amdhsa_system_sgpr_workgroup_id_x 1
		.amdhsa_system_sgpr_workgroup_id_y 1
		.amdhsa_system_sgpr_workgroup_id_z 1
		.amdhsa_system_sgpr_workgroup_info 0
		.amdhsa_system_vgpr_workitem_id 0
		.amdhsa_next_free_vgpr 40
		.amdhsa_next_free_sgpr 81
		.amdhsa_reserve_vcc 1
		.amdhsa_float_round_mode_32 0
		.amdhsa_float_round_mode_16_64 0
		.amdhsa_float_denorm_mode_32 3
		.amdhsa_float_denorm_mode_16_64 3
		.amdhsa_dx10_clamp 1
		.amdhsa_ieee_mode 1
		.amdhsa_fp16_overflow 0
		.amdhsa_workgroup_processor_mode 1
		.amdhsa_memory_ordered 1
		.amdhsa_forward_progress 0
		.amdhsa_shared_vgpr_count 0
		.amdhsa_exception_fp_ieee_invalid_op 0
		.amdhsa_exception_fp_denorm_src 0
		.amdhsa_exception_fp_ieee_div_zero 0
		.amdhsa_exception_fp_ieee_overflow 0
		.amdhsa_exception_fp_ieee_underflow 0
		.amdhsa_exception_fp_ieee_inexact 0
		.amdhsa_exception_int_div_zero 0
	.end_amdhsa_kernel
	.section	.text._ZN2at6native12_GLOBAL__N_114gatherKthValueIiiLi1EEEvNS_4cuda6detail10TensorInfoIKT_T0_EES8_S8_S8_S8_NS5_IS6_S8_EENS5_IlS8_EE,"axG",@progbits,_ZN2at6native12_GLOBAL__N_114gatherKthValueIiiLi1EEEvNS_4cuda6detail10TensorInfoIKT_T0_EES8_S8_S8_S8_NS5_IS6_S8_EENS5_IlS8_EE,comdat
.Lfunc_end16:
	.size	_ZN2at6native12_GLOBAL__N_114gatherKthValueIiiLi1EEEvNS_4cuda6detail10TensorInfoIKT_T0_EES8_S8_S8_S8_NS5_IS6_S8_EENS5_IlS8_EE, .Lfunc_end16-_ZN2at6native12_GLOBAL__N_114gatherKthValueIiiLi1EEEvNS_4cuda6detail10TensorInfoIKT_T0_EES8_S8_S8_S8_NS5_IS6_S8_EENS5_IlS8_EE
                                        ; -- End function
	.section	.AMDGPU.csdata,"",@progbits
; Kernel info:
; codeLenInByte = 9640
; NumSgprs: 83
; NumVgprs: 40
; ScratchSize: 0
; MemoryBound: 0
; FloatMode: 240
; IeeeMode: 1
; LDSByteSize: 4112 bytes/workgroup (compile time only)
; SGPRBlocks: 10
; VGPRBlocks: 4
; NumSGPRsForWavesPerEU: 83
; NumVGPRsForWavesPerEU: 40
; Occupancy: 16
; WaveLimiterHint : 1
; COMPUTE_PGM_RSRC2:SCRATCH_EN: 0
; COMPUTE_PGM_RSRC2:USER_SGPR: 13
; COMPUTE_PGM_RSRC2:TRAP_HANDLER: 0
; COMPUTE_PGM_RSRC2:TGID_X_EN: 1
; COMPUTE_PGM_RSRC2:TGID_Y_EN: 1
; COMPUTE_PGM_RSRC2:TGID_Z_EN: 1
; COMPUTE_PGM_RSRC2:TIDIG_COMP_CNT: 0
	.section	.text._ZN2at6native12_GLOBAL__N_114gatherKthValueIiiLi2EEEvNS_4cuda6detail10TensorInfoIKT_T0_EES8_S8_S8_S8_NS5_IS6_S8_EENS5_IlS8_EE,"axG",@progbits,_ZN2at6native12_GLOBAL__N_114gatherKthValueIiiLi2EEEvNS_4cuda6detail10TensorInfoIKT_T0_EES8_S8_S8_S8_NS5_IS6_S8_EENS5_IlS8_EE,comdat
	.globl	_ZN2at6native12_GLOBAL__N_114gatherKthValueIiiLi2EEEvNS_4cuda6detail10TensorInfoIKT_T0_EES8_S8_S8_S8_NS5_IS6_S8_EENS5_IlS8_EE ; -- Begin function _ZN2at6native12_GLOBAL__N_114gatherKthValueIiiLi2EEEvNS_4cuda6detail10TensorInfoIKT_T0_EES8_S8_S8_S8_NS5_IS6_S8_EENS5_IlS8_EE
	.p2align	8
	.type	_ZN2at6native12_GLOBAL__N_114gatherKthValueIiiLi2EEEvNS_4cuda6detail10TensorInfoIKT_T0_EES8_S8_S8_S8_NS5_IS6_S8_EENS5_IlS8_EE,@function
_ZN2at6native12_GLOBAL__N_114gatherKthValueIiiLi2EEEvNS_4cuda6detail10TensorInfoIKT_T0_EES8_S8_S8_S8_NS5_IS6_S8_EENS5_IlS8_EE: ; @_ZN2at6native12_GLOBAL__N_114gatherKthValueIiiLi2EEEvNS_4cuda6detail10TensorInfoIKT_T0_EES8_S8_S8_S8_NS5_IS6_S8_EENS5_IlS8_EE
; %bb.0:
	s_clause 0x1
	s_load_b64 s[4:5], s[0:1], 0x298
	s_load_b128 s[36:39], s[0:1], 0xd8
	s_add_u32 s2, s0, 0x298
	s_addc_u32 s3, s1, 0
	s_waitcnt lgkmcnt(0)
	s_mul_i32 s5, s5, s15
	s_delay_alu instid0(SALU_CYCLE_1) | instskip(NEXT) | instid1(SALU_CYCLE_1)
	s_add_i32 s5, s5, s14
	s_mul_i32 s29, s5, s4
	s_delay_alu instid0(SALU_CYCLE_1) | instskip(NEXT) | instid1(SALU_CYCLE_1)
	s_add_i32 s29, s29, s13
	s_cmp_ge_i32 s29, s38
	s_cbranch_scc1 .LBB17_266
; %bb.1:
	s_clause 0x8
	s_load_b32 s5, s[0:1], 0xc
	s_load_b32 s38, s[0:1], 0xf4
	;; [unrolled: 1-line block ×3, first 2 shown]
	s_load_b64 s[42:43], s[0:1], 0x154
	s_load_b64 s[34:35], s[0:1], 0xe8
	;; [unrolled: 1-line block ×6, first 2 shown]
	v_cmp_eq_u32_e64 s0, 0, v0
	s_abs_i32 s47, s29
	s_ashr_i32 s48, s29, 31
	s_mov_b32 s57, 0
	s_waitcnt lgkmcnt(0)
	s_abs_i32 s10, s5
	s_abs_i32 s49, s38
	;; [unrolled: 1-line block ×3, first 2 shown]
	v_cvt_f32_u32_e32 v1, s10
	v_cvt_f32_u32_e32 v2, s49
	;; [unrolled: 1-line block ×3, first 2 shown]
	s_sub_i32 s11, 0, s10
	s_sub_i32 s16, 0, s49
	v_rcp_iflag_f32_e32 v1, v1
	v_rcp_iflag_f32_e32 v2, v2
	;; [unrolled: 1-line block ×3, first 2 shown]
	s_sub_i32 s17, 0, s46
	s_ashr_i32 s1, s5, 31
	s_waitcnt_depctr 0xfff
	v_dual_mul_f32 v1, 0x4f7ffffe, v1 :: v_dual_mul_f32 v2, 0x4f7ffffe, v2
	v_mul_f32_e32 v3, 0x4f7ffffe, v3
	s_delay_alu instid0(VALU_DEP_2) | instskip(NEXT) | instid1(VALU_DEP_3)
	v_cvt_u32_f32_e32 v1, v1
	v_cvt_u32_f32_e32 v2, v2
	s_delay_alu instid0(VALU_DEP_3) | instskip(NEXT) | instid1(VALU_DEP_3)
	v_cvt_u32_f32_e32 v3, v3
	v_readfirstlane_b32 s12, v1
	s_delay_alu instid0(VALU_DEP_3) | instskip(NEXT) | instid1(VALU_DEP_3)
	v_readfirstlane_b32 s14, v2
	v_readfirstlane_b32 s15, v3
	s_delay_alu instid0(VALU_DEP_3) | instskip(NEXT) | instid1(VALU_DEP_2)
	s_mul_i32 s11, s11, s12
	s_mul_i32 s16, s16, s14
	s_delay_alu instid0(VALU_DEP_1)
	s_mul_i32 s17, s17, s15
	s_mul_hi_u32 s11, s12, s11
	s_mul_hi_u32 s16, s14, s16
	;; [unrolled: 1-line block ×3, first 2 shown]
	s_add_i32 s12, s12, s11
	s_add_i32 s14, s14, s16
	;; [unrolled: 1-line block ×3, first 2 shown]
	s_mul_hi_u32 s11, s47, s12
	s_mul_hi_u32 s52, s47, s14
	s_mul_hi_u32 s50, s47, s15
	s_and_saveexec_b32 s12, s0
	s_cbranch_execz .LBB17_3
; %bb.2:
	v_dual_mov_b32 v1, 0 :: v_dual_mov_b32 v2, s36
	s_delay_alu instid0(VALU_DEP_1)
	v_mov_b32_e32 v3, v1
	ds_store_b96 v1, v[1:3] offset:4096
.LBB17_3:
	s_or_b32 exec_lo, exec_lo, s12
	s_mul_i32 s12, s11, s10
	s_ashr_i32 s53, s38, 31
	s_sub_i32 s12, s47, s12
	s_ashr_i32 s51, s33, 31
	s_xor_b32 s1, s48, s1
	s_add_i32 s14, s11, 1
	s_sub_i32 s15, s12, s10
	s_cmp_ge_u32 s12, s10
	s_waitcnt lgkmcnt(0)
	s_cselect_b32 s11, s14, s11
	s_cselect_b32 s12, s15, s12
	s_add_i32 s14, s11, 1
	s_cmp_ge_u32 s12, s10
	s_barrier
	s_cselect_b32 s10, s14, s11
	buffer_gl0_inv
	s_load_b32 s11, s[2:3], 0xc
	s_xor_b32 s10, s10, s1
	v_mbcnt_lo_u32_b32 v18, -1, 0
	s_sub_i32 s1, s10, s1
	v_cmp_gt_u32_e32 vcc_lo, 32, v0
	s_mul_i32 s5, s1, s5
	s_mul_i32 s1, s1, s8
	s_sub_i32 s5, s29, s5
	v_mov_b32_e32 v7, 0
	s_mul_i32 s5, s5, s9
	v_mul_lo_u32 v5, v0, s39
	s_add_i32 s8, s1, s5
	v_cmp_gt_i32_e64 s1, 4, v18
	s_ashr_i32 s9, s8, 31
	v_dual_mov_b32 v6, v7 :: v_dual_lshlrev_b32 v19, 2, v0
	s_lshl_b64 s[8:9], s[8:9], 2
	s_mov_b32 s10, s39
	s_add_u32 s54, s6, s8
	s_addc_u32 s55, s7, s9
	s_waitcnt lgkmcnt(0)
	s_and_b32 s56, s11, 0xffff
	s_bfe_u32 s5, s11, 0xb0005
	s_lshl_b32 s58, s56, 2
	s_add_i32 s60, s56, -1
	v_cvt_f32_u32_e32 v1, s58
	s_and_b32 s61, vcc_lo, s1
	s_add_i32 s71, s60, s36
	s_cmpk_gt_i32 s36, 0x300
	v_mad_u64_u32 v[12:13], null, s39, v19, s[10:11]
	v_rcp_iflag_f32_e32 v1, v1
	s_cselect_b32 s62, -1, 0
	s_cmp_gt_u32 s56, 31
	v_cmp_gt_u32_e64 s1, 2, v0
	s_cselect_b32 s63, -1, 0
	s_cmp_lt_u32 s13, s4
	v_lshlrev_b32_e32 v28, 4, v0
	s_cselect_b32 s4, 12, 18
	v_add_nc_u32_e32 v20, 0xc00, v19
	s_add_u32 s44, s2, s4
	s_waitcnt_depctr 0xfff
	v_mul_f32_e32 v1, 0x4f7ffffe, v1
	s_addc_u32 s45, s3, 0
	s_add_i32 s2, s5, -1
	s_bfe_u32 s64, s56, 0x30005
	s_cmp_gt_u32 s2, 6
	v_cvt_u32_f32_e32 v1, v1
	s_cselect_b32 s65, -1, 0
	s_and_b32 s66, s5, 0x7f8
	s_cmp_lg_u32 s64, 0
	v_cmp_gt_u32_e64 s2, s36, v0
	v_readfirstlane_b32 s3, v1
	s_cselect_b32 s67, -1, 0
	s_sub_i32 s4, 0, s58
	v_cvt_f32_u32_e32 v1, s56
	v_dual_mov_b32 v15, 0 :: v_dual_lshlrev_b32 v26, 2, v5
	s_mul_i32 s4, s4, s3
	v_lshl_or_b32 v29, v18, 2, 0xc00
	s_mul_hi_u32 s4, s3, s4
	v_rcp_iflag_f32_e32 v1, v1
	s_add_i32 s68, s3, s4
	v_cmp_eq_u32_e64 s3, 0, v18
	s_mul_hi_u32 s4, s36, s68
	s_mul_i32 s59, s39, s56
	s_mul_i32 s4, s4, s58
	s_mov_b32 s77, 30
	s_sub_i32 s4, s36, s4
	s_mov_b32 s80, 0
	s_sub_i32 s5, s4, s58
	s_cmp_ge_u32 s4, s58
	s_waitcnt_depctr 0xfff
	v_mul_f32_e32 v3, 0x4f7ffffe, v1
	s_cselect_b32 s4, s5, s4
	v_lshlrev_b64 v[1:2], 2, v[5:6]
	s_sub_i32 s5, s4, s58
	s_cmp_ge_u32 s4, s58
	v_cvt_u32_f32_e32 v3, v3
	s_cselect_b32 s9, s5, s4
	s_sub_i32 s6, 0, s56
	s_sub_i32 s69, s36, s9
	v_add_co_u32 v8, vcc_lo, s54, v1
	v_add_nc_u32_e32 v21, s69, v0
	v_readfirstlane_b32 s5, v3
	v_add_co_ci_u32_e32 v9, vcc_lo, s55, v2, vcc_lo
	v_lshrrev_b32_e32 v2, 3, v0
	s_delay_alu instid0(VALU_DEP_4) | instskip(NEXT) | instid1(VALU_DEP_4)
	v_mul_lo_u32 v1, v21, s39
	s_mul_i32 s6, s6, s5
	s_abs_i32 s7, s71
	s_mul_hi_u32 s6, s5, s6
	v_dual_mov_b32 v13, 1 :: v_dual_and_b32 v22, 0x7c, v2
	s_add_i32 s70, s5, s6
	v_lshlrev_b64 v[3:4], v18, -1
	s_delay_alu instid0(VALU_DEP_3)
	v_ashrrev_i32_e32 v2, 31, v1
	s_mul_hi_u32 s5, s7, s70
	v_cmp_gt_i32_e64 s4, s36, v0
	s_mul_i32 s5, s5, s56
	s_mov_b32 s82, 0
	v_lshlrev_b64 v[1:2], 2, v[1:2]
	s_sub_i32 s5, s7, s5
	s_ashr_i32 s7, s71, 31
	s_sub_i32 s6, s5, s56
	s_cmp_ge_u32 s5, s56
	v_not_b32_e32 v23, v3
	s_cselect_b32 s5, s6, s5
	v_add_co_u32 v10, vcc_lo, s54, v1
	v_add3_u32 v1, s56, s36, v0
	s_sub_i32 s6, s5, s56
	s_cmp_ge_u32 s5, s56
	v_add_co_ci_u32_e32 v11, vcc_lo, s55, v2, vcc_lo
	s_cselect_b32 s6, s6, s5
	v_or_b32_e32 v2, 2, v19
	v_or_b32_e32 v3, 3, v19
	v_subrev_nc_u32_e32 v1, s9, v1
	s_xor_b32 s8, s6, s7
	v_cmp_gt_i32_e64 s5, s69, v19
	s_sub_i32 s7, s7, s8
	v_mul_lo_u32 v24, s39, v2
	v_mul_lo_u32 v25, s39, v3
	;; [unrolled: 1-line block ×3, first 2 shown]
	s_add_i32 s71, s71, s7
	v_cmp_gt_u32_e64 s6, s36, v21
	v_cmp_gt_i32_e64 s7, s36, v21
	v_cmp_gt_i32_e64 s8, s71, v0
	s_lshl_b32 s72, s59, 2
	s_lshl_b32 s73, s56, 4
	s_mov_b32 s83, 0
                                        ; implicit-def: $sgpr74
                                        ; implicit-def: $sgpr76
                                        ; implicit-def: $sgpr75
                                        ; implicit-def: $sgpr79
                                        ; implicit-def: $sgpr81
                                        ; implicit-def: $sgpr78
	s_branch .LBB17_8
.LBB17_4:                               ;   in Loop: Header=BB17_8 Depth=1
	s_xor_b32 s80, s80, 1
	s_add_i32 s13, s77, -2
	s_cmp_eq_u32 s77, 0
	s_mov_b32 s9, 0
	s_cselect_b32 s11, -1, 0
	s_mov_b32 s77, s13
.LBB17_5:                               ;   in Loop: Header=BB17_8 Depth=1
	s_and_not1_b32 s13, s15, exec_lo
	s_and_b32 s9, s9, exec_lo
	s_and_not1_b32 s17, s17, exec_lo
	s_or_b32 s15, s13, s9
	s_and_not1_b32 s14, s14, exec_lo
	s_or_not1_b32 s13, s11, exec_lo
	s_mov_b32 s37, s22
.LBB17_6:                               ;   in Loop: Header=BB17_8 Depth=1
	s_or_b32 exec_lo, exec_lo, s10
	s_delay_alu instid0(SALU_CYCLE_1)
	s_and_not1_b32 s9, s78, exec_lo
	s_and_b32 s10, s15, exec_lo
	s_and_not1_b32 s11, s79, exec_lo
	s_or_b32 s78, s9, s10
	s_and_not1_b32 s9, s81, exec_lo
	s_and_b32 s10, s17, exec_lo
	s_and_b32 s14, s14, exec_lo
	s_or_b32 s81, s9, s10
	s_or_b32 s79, s11, s14
	s_or_not1_b32 s14, s13, exec_lo
.LBB17_7:                               ;   in Loop: Header=BB17_8 Depth=1
	s_or_b32 exec_lo, exec_lo, s12
	s_delay_alu instid0(SALU_CYCLE_1)
	s_and_b32 s9, exec_lo, s14
	v_mov_b32_e32 v1, s82
	s_or_b32 s57, s9, s57
	s_and_not1_b32 s9, s75, exec_lo
	s_and_b32 s10, s78, exec_lo
	s_and_not1_b32 s11, s74, exec_lo
	s_or_b32 s75, s9, s10
	s_and_not1_b32 s9, s76, exec_lo
	s_and_b32 s10, s81, exec_lo
	s_and_b32 s12, s79, exec_lo
	s_or_b32 s76, s9, s10
	s_or_b32 s74, s11, s12
	s_and_not1_b32 exec_lo, exec_lo, s57
	s_cbranch_execz .LBB17_242
.LBB17_8:                               ; =>This Loop Header: Depth=1
                                        ;     Child Loop BB17_16 Depth 2
                                        ;     Child Loop BB17_35 Depth 2
                                        ;     Child Loop BB17_59 Depth 2
                                        ;     Child Loop BB17_63 Depth 2
                                        ;     Child Loop BB17_48 Depth 2
                                        ;     Child Loop BB17_53 Depth 2
                                        ;     Child Loop BB17_72 Depth 2
                                        ;     Child Loop BB17_76 Depth 2
                                        ;     Child Loop BB17_97 Depth 2
                                        ;     Child Loop BB17_85 Depth 2
                                        ;     Child Loop BB17_136 Depth 2
                                        ;     Child Loop BB17_124 Depth 2
                                        ;     Child Loop BB17_175 Depth 2
                                        ;     Child Loop BB17_163 Depth 2
                                        ;     Child Loop BB17_214 Depth 2
                                        ;     Child Loop BB17_202 Depth 2
	ds_load_b64 v[1:2], v7 offset:4096
	s_waitcnt lgkmcnt(0)
	v_readfirstlane_b32 s84, v1
	s_delay_alu instid0(VALU_DEP_1)
	s_cmp_gt_i32 s84, 0
	s_cbranch_scc1 .LBB17_42
; %bb.9:                                ;   in Loop: Header=BB17_8 Depth=1
	s_and_b32 vcc_lo, exec_lo, s62
	s_cbranch_vccz .LBB17_24
; %bb.10:                               ;   in Loop: Header=BB17_8 Depth=1
	v_cmp_gt_i32_e32 vcc_lo, 0x301, v2
	s_mov_b32 s10, 0
	s_mov_b32 s9, 0
	s_cbranch_vccz .LBB17_29
; %bb.11:                               ;   in Loop: Header=BB17_8 Depth=1
	v_mov_b32_e32 v1, 0
	s_and_saveexec_b32 s9, s2
	s_cbranch_execz .LBB17_13
; %bb.12:                               ;   in Loop: Header=BB17_8 Depth=1
	global_load_b32 v1, v[8:9], off
.LBB17_13:                              ;   in Loop: Header=BB17_8 Depth=1
	s_or_b32 exec_lo, exec_lo, s9
	s_and_saveexec_b32 s11, s2
	s_cbranch_execz .LBB17_25
; %bb.14:                               ;   in Loop: Header=BB17_8 Depth=1
	global_load_u16 v2, v7, s[44:45]
	v_mov_b32_e32 v4, v0
	s_mov_b32 s12, 0
	s_waitcnt vmcnt(0)
	v_add_nc_u32_e32 v3, v0, v2
	s_delay_alu instid0(VALU_DEP_1)
	v_mul_lo_u32 v6, s39, v3
	v_mul_lo_u32 v3, s39, v2
	s_branch .LBB17_16
.LBB17_15:                              ;   in Loop: Header=BB17_16 Depth=2
	s_or_b32 exec_lo, exec_lo, s9
	v_cmp_le_i32_e32 vcc_lo, s36, v4
	v_add_nc_u32_e32 v6, v6, v3
	s_waitcnt vmcnt(0)
	v_mov_b32_e32 v1, v14
	s_or_b32 s12, vcc_lo, s12
	s_delay_alu instid0(SALU_CYCLE_1)
	s_and_not1_b32 exec_lo, exec_lo, s12
	s_cbranch_execz .LBB17_25
.LBB17_16:                              ;   Parent Loop BB17_8 Depth=1
                                        ; =>  This Inner Loop Header: Depth=2
	v_add_nc_u32_e32 v4, v4, v2
	s_waitcnt lgkmcnt(0)
	v_mov_b32_e32 v16, 0
	v_mov_b32_e32 v14, 0
	s_mov_b32 s9, exec_lo
	v_cmpx_gt_u32_e64 s36, v4
	s_cbranch_execz .LBB17_18
; %bb.17:                               ;   in Loop: Header=BB17_16 Depth=2
	v_lshlrev_b64 v[30:31], 2, v[6:7]
	s_delay_alu instid0(VALU_DEP_1) | instskip(NEXT) | instid1(VALU_DEP_2)
	v_add_co_u32 v30, vcc_lo, s54, v30
	v_add_co_ci_u32_e32 v31, vcc_lo, s55, v31, vcc_lo
	global_load_b32 v14, v[30:31], off
.LBB17_18:                              ;   in Loop: Header=BB17_16 Depth=2
	s_or_b32 exec_lo, exec_lo, s9
	v_xor_b32_e32 v17, 0x80000000, v1
	s_delay_alu instid0(VALU_DEP_1) | instskip(NEXT) | instid1(VALU_DEP_1)
	v_and_b32_e32 v17, s83, v17
	v_cmp_eq_u32_e32 vcc_lo, s82, v17
	s_cmp_lg_u32 vcc_lo, 0
	s_cselect_b32 s9, -1, 0
	s_delay_alu instid0(SALU_CYCLE_1) | instskip(NEXT) | instid1(SALU_CYCLE_1)
	s_and_b32 s9, s3, s9
	s_and_saveexec_b32 s13, s9
	s_cbranch_execz .LBB17_22
; %bb.19:                               ;   in Loop: Header=BB17_16 Depth=2
	s_mov_b32 s16, exec_lo
	s_bcnt1_i32_b32 s14, vcc_lo
	v_mbcnt_lo_u32_b32 v16, s16, 0
	s_mov_b32 s15, exec_lo
                                        ; implicit-def: $vgpr17
	s_delay_alu instid0(VALU_DEP_1)
	v_cmpx_eq_u32_e32 0, v16
	s_cbranch_execz .LBB17_21
; %bb.20:                               ;   in Loop: Header=BB17_16 Depth=2
	s_bcnt1_i32_b32 s9, s16
	s_delay_alu instid0(SALU_CYCLE_1) | instskip(NEXT) | instid1(SALU_CYCLE_1)
	s_mul_i32 s9, s14, s9
	v_mov_b32_e32 v17, s9
	ds_add_rtn_u32 v17, v7, v17 offset:4104
.LBB17_21:                              ;   in Loop: Header=BB17_16 Depth=2
	s_or_b32 exec_lo, exec_lo, s15
	s_waitcnt lgkmcnt(0)
	v_readfirstlane_b32 s9, v17
	s_delay_alu instid0(VALU_DEP_1)
	v_mad_u32_u24 v16, s14, v16, s9
.LBB17_22:                              ;   in Loop: Header=BB17_16 Depth=2
	s_or_b32 exec_lo, exec_lo, s13
	ds_bpermute_b32 v16, v7, v16
	s_and_saveexec_b32 s9, vcc_lo
	s_cbranch_execz .LBB17_15
; %bb.23:                               ;   in Loop: Header=BB17_16 Depth=2
	v_and_b32_e32 v17, vcc_lo, v23
	s_delay_alu instid0(VALU_DEP_1) | instskip(NEXT) | instid1(VALU_DEP_1)
	v_bcnt_u32_b32 v17, v17, 0
	v_lshlrev_b32_e32 v17, 2, v17
	s_waitcnt lgkmcnt(0)
	s_delay_alu instid0(VALU_DEP_1)
	v_lshl_add_u32 v16, v16, 2, v17
	ds_store_b32 v16, v1
	s_branch .LBB17_15
.LBB17_24:                              ;   in Loop: Header=BB17_8 Depth=1
	s_mov_b32 s10, -1
	s_mov_b32 s9, 0
	s_branch .LBB17_28
.LBB17_25:                              ;   in Loop: Header=BB17_8 Depth=1
	s_or_b32 exec_lo, exec_lo, s11
	s_waitcnt vmcnt(0) lgkmcnt(0)
	s_barrier
	buffer_gl0_inv
	s_and_saveexec_b32 s9, s0
	s_cbranch_execz .LBB17_27
; %bb.26:                               ;   in Loop: Header=BB17_8 Depth=1
	ds_load_b32 v1, v7 offset:4104
	s_waitcnt lgkmcnt(0)
	ds_store_b32 v7, v1 offset:4096
.LBB17_27:                              ;   in Loop: Header=BB17_8 Depth=1
	s_or_b32 exec_lo, exec_lo, s9
	s_waitcnt lgkmcnt(0)
	s_mov_b32 s9, -1
	s_barrier
.LBB17_28:                              ;   in Loop: Header=BB17_8 Depth=1
                                        ; implicit-def: $sgpr84
.LBB17_29:                              ;   in Loop: Header=BB17_8 Depth=1
	s_and_b32 vcc_lo, exec_lo, s10
	s_cbranch_vccz .LBB17_40
; %bb.30:                               ;   in Loop: Header=BB17_8 Depth=1
	v_mov_b32_e32 v1, 0
	s_and_saveexec_b32 s9, s2
	s_cbranch_execz .LBB17_32
; %bb.31:                               ;   in Loop: Header=BB17_8 Depth=1
	global_load_b32 v1, v[8:9], off
.LBB17_32:                              ;   in Loop: Header=BB17_8 Depth=1
	s_or_b32 exec_lo, exec_lo, s9
	s_and_saveexec_b32 s9, s4
	s_cbranch_execz .LBB17_37
; %bb.33:                               ;   in Loop: Header=BB17_8 Depth=1
	global_load_u16 v2, v7, s[44:45]
	v_mov_b32_e32 v16, v0
	s_mov_b32 s10, 0
	s_waitcnt vmcnt(0)
	v_dual_mov_b32 v14, v19 :: v_dual_add_nc_u32 v3, v0, v2
	v_lshlrev_b32_e32 v4, 2, v2
	s_delay_alu instid0(VALU_DEP_2)
	v_mul_lo_u32 v6, s39, v3
	v_mul_lo_u32 v3, s39, v2
	s_branch .LBB17_35
	.p2align	6
.LBB17_34:                              ;   in Loop: Header=BB17_35 Depth=2
	s_or_b32 exec_lo, exec_lo, s11
	v_cmp_le_i32_e32 vcc_lo, s36, v16
	ds_store_b32 v14, v1
	s_waitcnt vmcnt(0)
	v_dual_mov_b32 v1, v17 :: v_dual_add_nc_u32 v14, v14, v4
	v_add_nc_u32_e32 v6, v6, v3
	s_or_b32 s10, vcc_lo, s10
	s_delay_alu instid0(SALU_CYCLE_1)
	s_and_not1_b32 exec_lo, exec_lo, s10
	s_cbranch_execz .LBB17_37
.LBB17_35:                              ;   Parent Loop BB17_8 Depth=1
                                        ; =>  This Inner Loop Header: Depth=2
	v_dual_mov_b32 v17, 0 :: v_dual_add_nc_u32 v16, v16, v2
	s_mov_b32 s11, exec_lo
	s_delay_alu instid0(VALU_DEP_1)
	v_cmpx_gt_u32_e64 s36, v16
	s_cbranch_execz .LBB17_34
; %bb.36:                               ;   in Loop: Header=BB17_35 Depth=2
	s_delay_alu instid0(VALU_DEP_3) | instskip(NEXT) | instid1(VALU_DEP_1)
	v_lshlrev_b64 v[30:31], 2, v[6:7]
	v_add_co_u32 v30, vcc_lo, s54, v30
	s_delay_alu instid0(VALU_DEP_2)
	v_add_co_ci_u32_e32 v31, vcc_lo, s55, v31, vcc_lo
	global_load_b32 v17, v[30:31], off
	s_branch .LBB17_34
.LBB17_37:                              ;   in Loop: Header=BB17_8 Depth=1
	s_or_b32 exec_lo, exec_lo, s9
	s_waitcnt vmcnt(0) lgkmcnt(0)
	s_barrier
	buffer_gl0_inv
	s_and_saveexec_b32 s9, s0
	s_cbranch_execz .LBB17_39
; %bb.38:                               ;   in Loop: Header=BB17_8 Depth=1
	v_mov_b32_e32 v1, s36
	ds_store_b32 v7, v1 offset:4096
.LBB17_39:                              ;   in Loop: Header=BB17_8 Depth=1
	s_or_b32 exec_lo, exec_lo, s9
	s_mov_b32 s9, -1
	s_waitcnt lgkmcnt(0)
	s_barrier
                                        ; implicit-def: $sgpr84
.LBB17_40:                              ;   in Loop: Header=BB17_8 Depth=1
	s_and_b32 vcc_lo, exec_lo, s9
	s_cbranch_vccz .LBB17_42
; %bb.41:                               ;   in Loop: Header=BB17_8 Depth=1
	buffer_gl0_inv
	ds_load_b32 v1, v7 offset:4096
	s_waitcnt lgkmcnt(0)
	v_readfirstlane_b32 s84, v1
.LBB17_42:                              ;   in Loop: Header=BB17_8 Depth=1
	s_delay_alu instid0(VALU_DEP_1)
	s_cmp_lt_i32 s84, 1
	s_cbranch_scc0 .LBB17_46
; %bb.43:                               ;   in Loop: Header=BB17_8 Depth=1
	v_dual_mov_b32 v1, 0 :: v_dual_mov_b32 v2, 0
	v_dual_mov_b32 v3, 0 :: v_dual_mov_b32 v4, 0
	s_mov_b32 s86, 0
	s_and_saveexec_b32 s85, s5
	s_cbranch_execnz .LBB17_47
; %bb.44:                               ;   in Loop: Header=BB17_8 Depth=1
	s_or_b32 exec_lo, exec_lo, s85
	v_mov_b32_e32 v14, 0
	s_and_saveexec_b32 s9, s6
	s_cbranch_execnz .LBB17_50
.LBB17_45:                              ;   in Loop: Header=BB17_8 Depth=1
	s_or_b32 exec_lo, exec_lo, s9
	s_and_saveexec_b32 s13, s7
	s_cbranch_execnz .LBB17_51
	s_branch .LBB17_56
.LBB17_46:                              ;   in Loop: Header=BB17_8 Depth=1
                                        ; implicit-def: $vgpr4
	s_cbranch_execnz .LBB17_57
	s_branch .LBB17_66
.LBB17_47:                              ;   in Loop: Header=BB17_8 Depth=1
	v_mov_b32_e32 v6, v19
	s_and_b32 s87, s77, 0xfe
	s_mov_b32 s88, 0
	s_mov_b32 s89, 0
	;; [unrolled: 1-line block ×5, first 2 shown]
.LBB17_48:                              ;   Parent Loop BB17_8 Depth=1
                                        ; =>  This Inner Loop Header: Depth=2
	v_add_nc_u32_e32 v1, s88, v26
	v_add_nc_u32_e32 v3, s88, v12
	;; [unrolled: 1-line block ×5, first 2 shown]
	v_ashrrev_i32_e32 v2, 31, v1
	v_ashrrev_i32_e32 v4, 31, v3
	;; [unrolled: 1-line block ×4, first 2 shown]
	s_add_i32 s88, s88, s72
	v_lshlrev_b64 v[1:2], 2, v[1:2]
	v_lshlrev_b64 v[3:4], 2, v[3:4]
	;; [unrolled: 1-line block ×4, first 2 shown]
	s_delay_alu instid0(VALU_DEP_4)
	v_add_co_u32 v1, vcc_lo, s54, v1
	v_add_co_ci_u32_e32 v2, vcc_lo, s55, v2, vcc_lo
	v_add_co_u32 v3, vcc_lo, s54, v3
	v_add_co_ci_u32_e32 v4, vcc_lo, s55, v4, vcc_lo
	v_add_co_u32 v16, vcc_lo, s54, v16
	v_add_co_ci_u32_e32 v17, vcc_lo, s55, v17, vcc_lo
	v_add_co_u32 v30, vcc_lo, s54, v30
	v_add_co_ci_u32_e32 v31, vcc_lo, s55, v31, vcc_lo
	s_clause 0x3
	global_load_b32 v1, v[1:2], off
	global_load_b32 v2, v[3:4], off
	;; [unrolled: 1-line block ×4, first 2 shown]
	v_cmp_le_i32_e32 vcc_lo, s69, v6
	s_waitcnt vmcnt(3)
	v_xor_b32_e32 v1, 0x80000000, v1
	s_waitcnt vmcnt(2)
	v_xor_b32_e32 v2, 0x80000000, v2
	;; [unrolled: 2-line block ×4, first 2 shown]
	v_and_b32_e32 v14, s83, v1
	v_bfe_u32 v1, v1, s87, 2
	v_and_b32_e32 v16, s83, v2
	v_bfe_u32 v2, v2, s87, 2
	;; [unrolled: 2-line block ×3, first 2 shown]
	v_cmp_eq_u32_e64 s9, s82, v14
	v_cmp_eq_u32_e64 s13, 0, v1
	v_and_b32_e32 v30, s83, v4
	v_bfe_u32 v4, v4, s87, 2
	v_cmp_eq_u32_e64 s10, s82, v16
	v_cmp_eq_u32_e64 s14, 0, v2
	v_cmp_eq_u32_e64 s11, s82, v17
	v_cmp_eq_u32_e64 s15, 0, v3
	s_and_b32 s13, s9, s13
	v_cmp_eq_u32_e64 s12, s82, v30
	v_cmp_eq_u32_e64 s16, 0, v4
	;; [unrolled: 1-line block ×5, first 2 shown]
	v_cndmask_b32_e64 v1, 0, 1, s13
	s_and_b32 s13, s10, s14
	v_cmp_eq_u32_e64 s18, 1, v2
	v_cmp_eq_u32_e64 s22, 2, v2
	v_cmp_eq_u32_e64 s26, 3, v2
	v_cndmask_b32_e64 v2, 0, 1, s13
	s_and_b32 s13, s11, s15
	v_cmp_eq_u32_e64 s19, 1, v3
	v_cmp_eq_u32_e64 s23, 2, v3
	v_cmp_eq_u32_e64 s27, 3, v3
	;; [unrolled: 5-line block ×3, first 2 shown]
	v_cndmask_b32_e64 v4, 0, 1, s13
	s_and_b32 s13, s9, s17
	s_delay_alu instid0(SALU_CYCLE_1) | instskip(SKIP_1) | instid1(SALU_CYCLE_1)
	v_cndmask_b32_e64 v14, 0, 1, s13
	s_and_b32 s13, s10, s18
	v_cndmask_b32_e64 v16, 0, 1, s13
	s_and_b32 s13, s11, s19
	s_delay_alu instid0(SALU_CYCLE_1) | instskip(SKIP_1) | instid1(VALU_DEP_2)
	v_cndmask_b32_e64 v17, 0, 1, s13
	s_and_b32 s13, s12, s20
	v_cmp_ne_u32_e64 s14, 0, v16
	v_cndmask_b32_e64 v30, 0, 1, s13
	s_and_b32 s13, s9, s21
	s_and_b32 s9, s9, s25
	v_cndmask_b32_e64 v31, 0, 1, s13
	s_and_b32 s13, s10, s22
	v_cndmask_b32_e64 v35, 0, 1, s9
	;; [unrolled: 2-line block ×7, first 2 shown]
	v_cndmask_b32_e64 v38, 0, 1, s9
	v_cmp_ne_u32_e64 s9, 0, v1
	v_cmp_ne_u32_e64 s13, 0, v14
	;; [unrolled: 1-line block ×11, first 2 shown]
	s_bcnt1_i32_b32 s9, s9
	s_bcnt1_i32_b32 s13, s13
	;; [unrolled: 1-line block ×4, first 2 shown]
	v_cmp_ne_u32_e64 s12, 0, v4
	v_cmp_ne_u32_e64 s16, 0, v30
	v_cmp_ne_u32_e64 s20, 0, v34
	v_cmp_ne_u32_e64 s24, 0, v38
	s_bcnt1_i32_b32 s10, s10
	s_bcnt1_i32_b32 s14, s14
	s_bcnt1_i32_b32 s18, s18
	s_bcnt1_i32_b32 s22, s22
	s_add_i32 s9, s9, s92
	s_add_i32 s13, s13, s91
	s_add_i32 s17, s17, s90
	s_add_i32 s21, s21, s89
	s_bcnt1_i32_b32 s11, s11
	s_bcnt1_i32_b32 s15, s15
	s_bcnt1_i32_b32 s19, s19
	s_bcnt1_i32_b32 s23, s23
	s_add_i32 s9, s9, s10
	s_add_i32 s10, s13, s14
	s_add_i32 s13, s17, s18
	s_add_i32 s14, s21, s22
	;; [unrolled: 8-line block ×3, first 2 shown]
	s_add_i32 s92, s9, s12
	s_add_i32 s91, s10, s16
	;; [unrolled: 1-line block ×4, first 2 shown]
	v_mov_b32_e32 v3, s90
	v_dual_mov_b32 v1, s92 :: v_dual_mov_b32 v2, s91
	v_mov_b32_e32 v4, s89
	s_or_b32 s86, vcc_lo, s86
	s_delay_alu instid0(SALU_CYCLE_1)
	s_and_not1_b32 exec_lo, exec_lo, s86
	s_cbranch_execnz .LBB17_48
; %bb.49:                               ;   in Loop: Header=BB17_8 Depth=1
	s_or_b32 exec_lo, exec_lo, s86
	s_delay_alu instid0(SALU_CYCLE_1)
	s_or_b32 exec_lo, exec_lo, s85
	v_mov_b32_e32 v14, 0
	s_and_saveexec_b32 s9, s6
	s_cbranch_execz .LBB17_45
.LBB17_50:                              ;   in Loop: Header=BB17_8 Depth=1
	global_load_b32 v14, v[10:11], off
	s_or_b32 exec_lo, exec_lo, s9
	s_and_saveexec_b32 s13, s7
	s_cbranch_execz .LBB17_56
.LBB17_51:                              ;   in Loop: Header=BB17_8 Depth=1
	v_mov_b32_e32 v16, v27
	v_mov_b32_e32 v6, v21
	s_and_b32 s15, s77, 0xfe
	s_mov_b32 s14, 0
	s_branch .LBB17_53
.LBB17_52:                              ;   in Loop: Header=BB17_53 Depth=2
	s_or_b32 exec_lo, exec_lo, s9
	s_waitcnt vmcnt(0)
	v_xor_b32_e32 v14, 0x80000000, v14
	v_add_nc_u32_e32 v16, s59, v16
	s_delay_alu instid0(VALU_DEP_2) | instskip(SKIP_1) | instid1(VALU_DEP_2)
	v_and_b32_e32 v30, s83, v14
	v_bfe_u32 v14, v14, s15, 2
	v_cmp_eq_u32_e32 vcc_lo, s82, v30
	s_delay_alu instid0(VALU_DEP_2) | instskip(SKIP_3) | instid1(VALU_DEP_4)
	v_cmp_eq_u32_e64 s9, 0, v14
	v_cmp_eq_u32_e64 s10, 1, v14
	;; [unrolled: 1-line block ×4, first 2 shown]
	s_and_b32 s9, vcc_lo, s9
	s_delay_alu instid0(SALU_CYCLE_1) | instskip(SKIP_1) | instid1(SALU_CYCLE_1)
	v_cndmask_b32_e64 v14, 0, 1, s9
	s_and_b32 s9, vcc_lo, s10
	v_cndmask_b32_e64 v30, 0, 1, s9
	s_and_b32 s9, vcc_lo, s11
	s_delay_alu instid0(SALU_CYCLE_1)
	v_cndmask_b32_e64 v31, 0, 1, s9
	s_and_b32 s9, vcc_lo, s12
	v_cmp_ne_u32_e32 vcc_lo, 0, v14
	v_cndmask_b32_e64 v32, 0, 1, s9
	v_cmp_ne_u32_e64 s9, 0, v30
	v_cmp_ne_u32_e64 s10, 0, v31
	v_cmp_le_i32_e64 s12, s36, v6
	s_bcnt1_i32_b32 s16, vcc_lo
	v_cmp_ne_u32_e64 s11, 0, v32
	s_bcnt1_i32_b32 s9, s9
	s_bcnt1_i32_b32 s10, s10
	v_dual_mov_b32 v14, v17 :: v_dual_add_nc_u32 v1, s16, v1
	s_delay_alu instid0(VALU_DEP_2) | instskip(SKIP_4) | instid1(SALU_CYCLE_1)
	s_bcnt1_i32_b32 s11, s11
	v_add_nc_u32_e32 v2, s9, v2
	v_add_nc_u32_e32 v3, s10, v3
	;; [unrolled: 1-line block ×3, first 2 shown]
	s_or_b32 s14, s12, s14
	s_and_not1_b32 exec_lo, exec_lo, s14
	s_cbranch_execz .LBB17_55
.LBB17_53:                              ;   Parent Loop BB17_8 Depth=1
                                        ; =>  This Inner Loop Header: Depth=2
	s_delay_alu instid0(VALU_DEP_1) | instskip(SKIP_1) | instid1(VALU_DEP_1)
	v_dual_mov_b32 v17, 0 :: v_dual_add_nc_u32 v6, s56, v6
	s_mov_b32 s9, exec_lo
	v_cmpx_gt_u32_e64 s36, v6
	s_cbranch_execz .LBB17_52
; %bb.54:                               ;   in Loop: Header=BB17_53 Depth=2
	v_ashrrev_i32_e32 v17, 31, v16
	s_delay_alu instid0(VALU_DEP_1) | instskip(NEXT) | instid1(VALU_DEP_1)
	v_lshlrev_b64 v[30:31], 2, v[16:17]
	v_add_co_u32 v30, vcc_lo, s54, v30
	s_delay_alu instid0(VALU_DEP_2)
	v_add_co_ci_u32_e32 v31, vcc_lo, s55, v31, vcc_lo
	global_load_b32 v17, v[30:31], off
	s_branch .LBB17_52
.LBB17_55:                              ;   in Loop: Header=BB17_8 Depth=1
	s_or_b32 exec_lo, exec_lo, s14
.LBB17_56:                              ;   in Loop: Header=BB17_8 Depth=1
	s_delay_alu instid0(SALU_CYCLE_1)
	s_or_b32 exec_lo, exec_lo, s13
	s_branch .LBB17_66
.LBB17_57:                              ;   in Loop: Header=BB17_8 Depth=1
	s_mul_hi_u32 s9, s84, s68
	v_dual_mov_b32 v1, 0 :: v_dual_mov_b32 v2, 0
	s_mul_i32 s9, s9, s58
	v_dual_mov_b32 v3, 0 :: v_dual_mov_b32 v4, 0
	s_sub_i32 s9, s84, s9
	s_mov_b32 s87, 0
	s_sub_i32 s10, s9, s58
	s_cmp_ge_u32 s9, s58
	s_mov_b32 s86, exec_lo
	s_cselect_b32 s9, s10, s9
	s_delay_alu instid0(SALU_CYCLE_1) | instskip(SKIP_2) | instid1(SALU_CYCLE_1)
	s_sub_i32 s10, s9, s58
	s_cmp_ge_u32 s9, s58
	s_cselect_b32 s9, s10, s9
	s_sub_i32 s85, s84, s9
	s_delay_alu instid0(SALU_CYCLE_1)
	v_cmpx_gt_u32_e64 s85, v19
	s_cbranch_execz .LBB17_61
; %bb.58:                               ;   in Loop: Header=BB17_8 Depth=1
	v_mov_b32_e32 v6, v28
	s_waitcnt vmcnt(0)
	v_mov_b32_e32 v14, v19
	s_and_b32 s88, s77, 0xfe
	s_mov_b32 s89, 0
	s_mov_b32 s90, 0
	;; [unrolled: 1-line block ×4, first 2 shown]
.LBB17_59:                              ;   Parent Loop BB17_8 Depth=1
                                        ; =>  This Inner Loop Header: Depth=2
	ds_load_b128 v[1:4], v6
	s_waitcnt lgkmcnt(0)
	v_xor_b32_e32 v1, 0x80000000, v1
	v_xor_b32_e32 v2, 0x80000000, v2
	;; [unrolled: 1-line block ×4, first 2 shown]
	s_delay_alu instid0(VALU_DEP_4)
	v_and_b32_e32 v16, s83, v1
	v_bfe_u32 v1, v1, s88, 2
	v_and_b32_e32 v17, s83, v2
	v_bfe_u32 v2, v2, s88, 2
	;; [unrolled: 2-line block ×3, first 2 shown]
	v_cmp_eq_u32_e64 s9, s82, v16
	v_cmp_eq_u32_e64 s13, 0, v1
	v_and_b32_e32 v31, s83, v4
	v_bfe_u32 v4, v4, s88, 2
	v_cmp_eq_u32_e64 s10, s82, v17
	v_cmp_eq_u32_e64 s14, 0, v2
	;; [unrolled: 1-line block ×4, first 2 shown]
	s_and_b32 s13, s9, s13
	v_cmp_eq_u32_e64 s12, s82, v31
	v_cmp_eq_u32_e64 s16, 0, v4
	;; [unrolled: 1-line block ×5, first 2 shown]
	v_cndmask_b32_e64 v1, 0, 1, s13
	s_and_b32 s13, s10, s14
	v_cmp_eq_u32_e64 s18, 1, v2
	v_cmp_eq_u32_e64 s22, 2, v2
	v_cmp_eq_u32_e64 s26, 3, v2
	v_cndmask_b32_e64 v2, 0, 1, s13
	s_and_b32 s13, s11, s15
	v_cmp_eq_u32_e64 s19, 1, v3
	v_cmp_eq_u32_e64 s23, 2, v3
	v_cmp_eq_u32_e64 s27, 3, v3
	;; [unrolled: 5-line block ×3, first 2 shown]
	v_cndmask_b32_e64 v4, 0, 1, s13
	s_and_b32 s13, s9, s17
	s_delay_alu instid0(SALU_CYCLE_1) | instskip(SKIP_1) | instid1(SALU_CYCLE_1)
	v_cndmask_b32_e64 v16, 0, 1, s13
	s_and_b32 s13, s10, s18
	v_cndmask_b32_e64 v17, 0, 1, s13
	s_and_b32 s13, s11, s19
	s_delay_alu instid0(SALU_CYCLE_1) | instskip(SKIP_1) | instid1(VALU_DEP_2)
	v_cndmask_b32_e64 v30, 0, 1, s13
	s_and_b32 s13, s12, s20
	v_cmp_ne_u32_e64 s14, 0, v17
	v_cndmask_b32_e64 v31, 0, 1, s13
	s_and_b32 s13, s9, s21
	s_and_b32 s9, s9, s25
	v_cndmask_b32_e64 v32, 0, 1, s13
	v_cndmask_b32_e64 v36, 0, 1, s9
	s_and_b32 s9, s10, s26
	s_and_b32 s13, s10, s22
	v_cndmask_b32_e64 v37, 0, 1, s9
	s_and_b32 s9, s11, s27
	v_cndmask_b32_e64 v33, 0, 1, s13
	v_cndmask_b32_e64 v38, 0, 1, s9
	s_and_b32 s9, s12, s28
	s_and_b32 s13, s11, s23
	v_cndmask_b32_e64 v39, 0, 1, s9
	v_cmp_ne_u32_e64 s9, 0, v1
	v_cmp_ne_u32_e64 s10, 0, v2
	v_cndmask_b32_e64 v34, 0, 1, s13
	s_and_b32 s13, s12, s24
	v_cmp_ne_u32_e64 s11, 0, v3
	v_cndmask_b32_e64 v35, 0, 1, s13
	v_cmp_ne_u32_e64 s13, 0, v16
	v_cmp_ne_u32_e64 s17, 0, v32
	;; [unrolled: 1-line block ×3, first 2 shown]
	s_bcnt1_i32_b32 s9, s9
	v_cmp_ne_u32_e64 s12, 0, v4
	v_cmp_ne_u32_e64 s18, 0, v33
	;; [unrolled: 1-line block ×3, first 2 shown]
	s_bcnt1_i32_b32 s10, s10
	s_add_i32 s9, s9, s92
	v_cmp_ne_u32_e64 s15, 0, v30
	v_cmp_ne_u32_e64 s19, 0, v34
	;; [unrolled: 1-line block ×3, first 2 shown]
	s_bcnt1_i32_b32 s11, s11
	s_add_i32 s9, s9, s10
	s_bcnt1_i32_b32 s13, s13
	s_bcnt1_i32_b32 s17, s17
	;; [unrolled: 1-line block ×3, first 2 shown]
	v_cmp_ne_u32_e64 s16, 0, v31
	v_cmp_ne_u32_e64 s20, 0, v35
	v_cmp_ne_u32_e64 s24, 0, v39
	s_bcnt1_i32_b32 s12, s12
	s_add_i32 s9, s9, s11
	s_bcnt1_i32_b32 s14, s14
	s_bcnt1_i32_b32 s18, s18
	s_bcnt1_i32_b32 s22, s22
	s_add_i32 s13, s13, s91
	s_add_i32 s17, s17, s90
	;; [unrolled: 1-line block ×4, first 2 shown]
	s_delay_alu instid0(SALU_CYCLE_1)
	v_dual_mov_b32 v1, s92 :: v_dual_add_nc_u32 v14, s58, v14
	s_bcnt1_i32_b32 s15, s15
	s_bcnt1_i32_b32 s19, s19
	;; [unrolled: 1-line block ×3, first 2 shown]
	s_add_i32 s10, s13, s14
	s_add_i32 s13, s17, s18
	;; [unrolled: 1-line block ×3, first 2 shown]
	s_bcnt1_i32_b32 s16, s16
	s_bcnt1_i32_b32 s20, s20
	;; [unrolled: 1-line block ×3, first 2 shown]
	s_add_i32 s10, s10, s15
	s_add_i32 s11, s13, s19
	;; [unrolled: 1-line block ×3, first 2 shown]
	v_cmp_le_i32_e32 vcc_lo, s85, v14
	s_add_i32 s91, s10, s16
	s_add_i32 s90, s11, s20
	;; [unrolled: 1-line block ×3, first 2 shown]
	v_dual_mov_b32 v3, s90 :: v_dual_add_nc_u32 v6, s73, v6
	v_mov_b32_e32 v2, s91
	v_mov_b32_e32 v4, s89
	s_or_b32 s87, vcc_lo, s87
	s_delay_alu instid0(SALU_CYCLE_1)
	s_and_not1_b32 exec_lo, exec_lo, s87
	s_cbranch_execnz .LBB17_59
; %bb.60:                               ;   in Loop: Header=BB17_8 Depth=1
	s_or_b32 exec_lo, exec_lo, s87
.LBB17_61:                              ;   in Loop: Header=BB17_8 Depth=1
	s_delay_alu instid0(SALU_CYCLE_1) | instskip(SKIP_2) | instid1(VALU_DEP_1)
	s_or_b32 exec_lo, exec_lo, s86
	v_add_nc_u32_e32 v6, s85, v0
	s_mov_b32 s14, exec_lo
	v_cmpx_gt_i32_e64 s84, v6
	s_cbranch_execz .LBB17_65
; %bb.62:                               ;   in Loop: Header=BB17_8 Depth=1
	s_waitcnt vmcnt(0)
	v_lshlrev_b32_e32 v14, 2, v6
	s_and_b32 s16, s77, 0xfe
	s_mov_b32 s15, 0
.LBB17_63:                              ;   Parent Loop BB17_8 Depth=1
                                        ; =>  This Inner Loop Header: Depth=2
	ds_load_b32 v16, v14
	v_add_nc_u32_e32 v6, s56, v6
	v_add_nc_u32_e32 v14, s58, v14
	s_delay_alu instid0(VALU_DEP_2) | instskip(SKIP_2) | instid1(VALU_DEP_1)
	v_cmp_le_i32_e32 vcc_lo, s84, v6
	s_waitcnt lgkmcnt(0)
	v_xor_b32_e32 v16, 0x80000000, v16
	v_and_b32_e32 v17, s83, v16
	v_bfe_u32 v16, v16, s16, 2
	s_delay_alu instid0(VALU_DEP_2) | instskip(NEXT) | instid1(VALU_DEP_2)
	v_cmp_eq_u32_e64 s9, s82, v17
	v_cmp_eq_u32_e64 s10, 0, v16
	;; [unrolled: 1-line block ×5, first 2 shown]
	s_delay_alu instid0(VALU_DEP_4) | instskip(NEXT) | instid1(SALU_CYCLE_1)
	s_and_b32 s10, s9, s10
	v_cndmask_b32_e64 v16, 0, 1, s10
	s_and_b32 s10, s9, s11
	s_delay_alu instid0(SALU_CYCLE_1)
	v_cndmask_b32_e64 v17, 0, 1, s10
	s_and_b32 s10, s9, s12
	s_and_b32 s9, s9, s13
	v_cndmask_b32_e64 v30, 0, 1, s10
	v_cndmask_b32_e64 v31, 0, 1, s9
	v_cmp_ne_u32_e64 s9, 0, v16
	v_cmp_ne_u32_e64 s10, 0, v17
	s_delay_alu instid0(VALU_DEP_4) | instskip(NEXT) | instid1(VALU_DEP_4)
	v_cmp_ne_u32_e64 s11, 0, v30
	v_cmp_ne_u32_e64 s12, 0, v31
	s_delay_alu instid0(VALU_DEP_4) | instskip(NEXT) | instid1(VALU_DEP_3)
	s_bcnt1_i32_b32 s9, s9
	s_bcnt1_i32_b32 s10, s10
	v_add_nc_u32_e32 v1, s9, v1
	s_bcnt1_i32_b32 s11, s11
	s_bcnt1_i32_b32 s12, s12
	v_add_nc_u32_e32 v2, s10, v2
	v_add_nc_u32_e32 v3, s11, v3
	;; [unrolled: 1-line block ×3, first 2 shown]
	s_or_b32 s15, vcc_lo, s15
	s_delay_alu instid0(SALU_CYCLE_1)
	s_and_not1_b32 exec_lo, exec_lo, s15
	s_cbranch_execnz .LBB17_63
; %bb.64:                               ;   in Loop: Header=BB17_8 Depth=1
	s_or_b32 exec_lo, exec_lo, s15
.LBB17_65:                              ;   in Loop: Header=BB17_8 Depth=1
	s_delay_alu instid0(SALU_CYCLE_1)
	s_or_b32 exec_lo, exec_lo, s14
.LBB17_66:                              ;   in Loop: Header=BB17_8 Depth=1
	s_lshl_b32 s9, s80, 7
	s_and_saveexec_b32 s10, s3
	s_cbranch_execz .LBB17_68
; %bb.67:                               ;   in Loop: Header=BB17_8 Depth=1
	v_or_b32_e32 v6, s9, v22
	s_delay_alu instid0(VALU_DEP_1)
	v_lshlrev_b32_e32 v6, 2, v6
	ds_store_b128 v6, v[1:4] offset:3072
.LBB17_68:                              ;   in Loop: Header=BB17_8 Depth=1
	s_or_b32 exec_lo, exec_lo, s10
	s_waitcnt vmcnt(0) lgkmcnt(0)
	s_barrier
	buffer_gl0_inv
	s_and_saveexec_b32 s10, s61
	s_cbranch_execz .LBB17_78
; %bb.69:                               ;   in Loop: Header=BB17_8 Depth=1
	v_mov_b32_e32 v1, 0
	s_and_not1_b32 vcc_lo, exec_lo, s63
	s_cbranch_vccnz .LBB17_77
; %bb.70:                               ;   in Loop: Header=BB17_8 Depth=1
	v_mov_b32_e32 v1, 0
	s_and_not1_b32 vcc_lo, exec_lo, s65
	s_mov_b32 s11, 0
	s_cbranch_vccnz .LBB17_74
; %bb.71:                               ;   in Loop: Header=BB17_8 Depth=1
	v_lshl_add_u32 v2, s80, 9, v29
	v_mov_b32_e32 v1, 0
	.p2align	6
.LBB17_72:                              ;   Parent Loop BB17_8 Depth=1
                                        ; =>  This Inner Loop Header: Depth=2
	ds_load_2addr_b32 v[3:4], v2 offset1:4
	ds_load_2addr_b32 v[16:17], v2 offset0:8 offset1:12
	ds_load_2addr_b32 v[30:31], v2 offset0:16 offset1:20
	;; [unrolled: 1-line block ×3, first 2 shown]
	v_add_nc_u32_e32 v2, 0x80, v2
	s_add_i32 s11, s11, 8
	s_delay_alu instid0(SALU_CYCLE_1) | instskip(SKIP_3) | instid1(VALU_DEP_1)
	s_cmp_eq_u32 s66, s11
	s_waitcnt lgkmcnt(3)
	v_add3_u32 v1, v3, v1, v4
	s_waitcnt lgkmcnt(2)
	v_add3_u32 v1, v16, v1, v17
	s_waitcnt lgkmcnt(1)
	s_delay_alu instid0(VALU_DEP_1) | instskip(SKIP_1) | instid1(VALU_DEP_1)
	v_add3_u32 v1, v30, v1, v31
	s_waitcnt lgkmcnt(0)
	v_add3_u32 v1, v32, v1, v33
	s_cbranch_scc0 .LBB17_72
; %bb.73:                               ;   in Loop: Header=BB17_8 Depth=1
	s_mov_b32 s11, s66
.LBB17_74:                              ;   in Loop: Header=BB17_8 Depth=1
	s_and_not1_b32 vcc_lo, exec_lo, s67
	s_cbranch_vccnz .LBB17_77
; %bb.75:                               ;   in Loop: Header=BB17_8 Depth=1
	s_lshl_b32 s12, s80, 9
	s_lshl_b32 s11, s11, 4
	s_delay_alu instid0(SALU_CYCLE_1)
	v_add3_u32 v2, s12, s11, v29
	s_mov_b32 s11, s64
.LBB17_76:                              ;   Parent Loop BB17_8 Depth=1
                                        ; =>  This Inner Loop Header: Depth=2
	ds_load_b32 v3, v2
	v_add_nc_u32_e32 v2, 16, v2
	s_add_i32 s11, s11, -1
	s_delay_alu instid0(SALU_CYCLE_1)
	s_cmp_lg_u32 s11, 0
	s_waitcnt lgkmcnt(0)
	v_add_nc_u32_e32 v1, v3, v1
	s_cbranch_scc1 .LBB17_76
.LBB17_77:                              ;   in Loop: Header=BB17_8 Depth=1
	v_add_lshl_u32 v2, s9, v18, 2
	ds_store_b32 v2, v1 offset:3072
.LBB17_78:                              ;   in Loop: Header=BB17_8 Depth=1
	s_or_b32 exec_lo, exec_lo, s10
	s_lshl_b32 s9, s9, 2
	s_waitcnt lgkmcnt(0)
	v_mov_b32_e32 v1, s9
	s_barrier
	buffer_gl0_inv
	s_and_b32 s18, s77, 0xfe
	s_mov_b32 s14, -1
	ds_load_b128 v[1:4], v1 offset:3072
	s_lshl_b32 s11, 3, s18
	s_delay_alu instid0(SALU_CYCLE_1) | instskip(SKIP_4) | instid1(VALU_DEP_3)
	s_not_b32 s19, s11
	s_waitcnt lgkmcnt(0)
	v_readfirstlane_b32 s13, v1
	v_readfirstlane_b32 s21, v2
	;; [unrolled: 1-line block ×3, first 2 shown]
	s_cmp_eq_u32 s13, 1
	s_cselect_b32 s9, -1, 0
	s_cmp_eq_u32 s37, 1
	s_cselect_b32 s10, -1, 0
	s_delay_alu instid0(SALU_CYCLE_1)
	s_and_b32 s15, s9, s10
	v_readfirstlane_b32 s10, v4
	s_and_b32 vcc_lo, exec_lo, s15
	s_cbranch_vccz .LBB17_90
; %bb.79:                               ;   in Loop: Header=BB17_8 Depth=1
	ds_load_b32 v1, v7 offset:4096
	s_waitcnt lgkmcnt(0)
	s_barrier
	buffer_gl0_inv
	v_readfirstlane_b32 s12, v1
	s_and_saveexec_b32 s9, s1
	s_cbranch_execz .LBB17_81
; %bb.80:                               ;   in Loop: Header=BB17_8 Depth=1
	ds_store_b32 v20, v7
.LBB17_81:                              ;   in Loop: Header=BB17_8 Depth=1
	s_or_b32 exec_lo, exec_lo, s9
	s_and_b32 s82, s82, s19
	s_or_b32 s83, s83, s11
	s_cmp_lt_i32 s12, 1
	s_waitcnt lgkmcnt(0)
	s_barrier
	buffer_gl0_inv
	s_cbranch_scc0 .LBB17_91
; %bb.82:                               ;   in Loop: Header=BB17_8 Depth=1
	s_mov_b32 s9, 0
                                        ; implicit-def: $vgpr15
	s_and_saveexec_b32 s17, s8
	s_cbranch_execz .LBB17_93
; %bb.83:                               ;   in Loop: Header=BB17_8 Depth=1
	v_mov_b32_e32 v1, v5
	v_mov_b32_e32 v3, v0
	s_mov_b32 s20, 0
                                        ; implicit-def: $sgpr22
	s_set_inst_prefetch_distance 0x1
	s_branch .LBB17_85
	.p2align	6
.LBB17_84:                              ;   in Loop: Header=BB17_85 Depth=2
	s_or_b32 exec_lo, exec_lo, s9
	s_waitcnt vmcnt(0) lgkmcnt(0)
	s_barrier
	buffer_gl0_inv
	ds_load_b64 v[14:15], v7 offset:3072
	v_add_nc_u32_e32 v3, s56, v3
	v_add_nc_u32_e32 v1, s59, v1
	s_waitcnt lgkmcnt(0)
	s_barrier
	buffer_gl0_inv
	v_cmp_le_i32_e32 vcc_lo, s71, v3
	v_readfirstlane_b32 s9, v14
	s_delay_alu instid0(VALU_DEP_1) | instskip(SKIP_1) | instid1(SALU_CYCLE_1)
	s_cmp_lg_u32 s9, 0
	s_cselect_b32 s9, -1, 0
	s_or_b32 s23, vcc_lo, s9
	s_delay_alu instid0(SALU_CYCLE_1) | instskip(NEXT) | instid1(SALU_CYCLE_1)
	s_and_b32 s23, exec_lo, s23
	s_or_b32 s20, s23, s20
	s_and_not1_b32 s22, s22, exec_lo
	s_and_b32 s9, s9, exec_lo
	s_delay_alu instid0(SALU_CYCLE_1)
	s_or_b32 s22, s22, s9
	s_and_not1_b32 exec_lo, exec_lo, s20
	s_cbranch_execz .LBB17_92
.LBB17_85:                              ;   Parent Loop BB17_8 Depth=1
                                        ; =>  This Inner Loop Header: Depth=2
	s_delay_alu instid0(VALU_DEP_1)
	v_cmp_gt_i32_e32 vcc_lo, s36, v3
	v_mov_b32_e32 v14, 0
	s_and_saveexec_b32 s23, vcc_lo
	s_cbranch_execz .LBB17_87
; %bb.86:                               ;   in Loop: Header=BB17_85 Depth=2
	v_ashrrev_i32_e32 v2, 31, v1
	s_delay_alu instid0(VALU_DEP_1) | instskip(NEXT) | instid1(VALU_DEP_1)
	v_lshlrev_b64 v[14:15], 2, v[1:2]
	v_add_co_u32 v14, s9, s54, v14
	s_delay_alu instid0(VALU_DEP_1)
	v_add_co_ci_u32_e64 v15, s9, s55, v15, s9
	global_load_b32 v14, v[14:15], off
.LBB17_87:                              ;   in Loop: Header=BB17_85 Depth=2
	s_or_b32 exec_lo, exec_lo, s23
	s_and_saveexec_b32 s9, vcc_lo
	s_cbranch_execz .LBB17_84
; %bb.88:                               ;   in Loop: Header=BB17_85 Depth=2
	s_waitcnt vmcnt(0)
	v_xor_b32_e32 v2, 0x80000000, v14
	s_delay_alu instid0(VALU_DEP_1) | instskip(NEXT) | instid1(VALU_DEP_1)
	v_and_b32_e32 v2, s83, v2
	v_cmp_eq_u32_e32 vcc_lo, s82, v2
	s_and_b32 exec_lo, exec_lo, vcc_lo
	s_cbranch_execz .LBB17_84
; %bb.89:                               ;   in Loop: Header=BB17_85 Depth=2
	ds_store_b64 v7, v[13:14] offset:3072
	s_branch .LBB17_84
.LBB17_90:                              ;   in Loop: Header=BB17_8 Depth=1
	s_mov_b32 s9, -1
                                        ; implicit-def: $sgpr17
                                        ; implicit-def: $sgpr22
                                        ; implicit-def: $sgpr20
	s_branch .LBB17_104
.LBB17_91:                              ;   in Loop: Header=BB17_8 Depth=1
	s_mov_b32 s17, -1
	s_mov_b32 s9, 0
                                        ; implicit-def: $sgpr20
                                        ; implicit-def: $vgpr15
	s_mov_b32 s22, s17
	s_cbranch_execnz .LBB17_94
	s_branch .LBB17_104
.LBB17_92:                              ;   in Loop: Header=BB17_8 Depth=1
	s_set_inst_prefetch_distance 0x2
	s_or_b32 exec_lo, exec_lo, s20
	s_delay_alu instid0(SALU_CYCLE_1)
	s_and_b32 s9, s22, exec_lo
.LBB17_93:                              ;   in Loop: Header=BB17_8 Depth=1
	s_or_b32 exec_lo, exec_lo, s17
	s_mov_b32 s20, -1
	s_mov_b32 s17, 0
	s_delay_alu instid0(SALU_CYCLE_1)
	s_mov_b32 s22, s17
	s_branch .LBB17_104
.LBB17_94:                              ;   in Loop: Header=BB17_8 Depth=1
	s_add_i32 s20, s12, s60
                                        ; implicit-def: $vgpr15
	s_delay_alu instid0(SALU_CYCLE_1) | instskip(NEXT) | instid1(SALU_CYCLE_1)
	s_abs_i32 s9, s20
	s_mul_hi_u32 s17, s9, s70
	s_delay_alu instid0(SALU_CYCLE_1) | instskip(NEXT) | instid1(SALU_CYCLE_1)
	s_mul_i32 s17, s17, s56
	s_sub_i32 s9, s9, s17
	s_ashr_i32 s17, s20, 31
	s_sub_i32 s22, s9, s56
	s_cmp_ge_u32 s9, s56
	s_cselect_b32 s9, s22, s9
	s_delay_alu instid0(SALU_CYCLE_1) | instskip(SKIP_2) | instid1(SALU_CYCLE_1)
	s_sub_i32 s22, s9, s56
	s_cmp_ge_u32 s9, s56
	s_cselect_b32 s9, s22, s9
	s_xor_b32 s9, s9, s17
	s_delay_alu instid0(SALU_CYCLE_1)
	s_sub_i32 s9, s17, s9
	s_mov_b32 s17, exec_lo
	s_add_i32 s20, s20, s9
	s_mov_b32 s9, 0
	v_cmpx_gt_i32_e64 s20, v0
	s_cbranch_execz .LBB17_103
; %bb.95:                               ;   in Loop: Header=BB17_8 Depth=1
	v_dual_mov_b32 v1, v19 :: v_dual_mov_b32 v2, v0
                                        ; implicit-def: $sgpr22
	s_set_inst_prefetch_distance 0x1
	s_branch .LBB17_97
	.p2align	6
.LBB17_96:                              ;   in Loop: Header=BB17_97 Depth=2
	s_or_b32 exec_lo, exec_lo, s23
	s_waitcnt lgkmcnt(0)
	s_barrier
	buffer_gl0_inv
	ds_load_b64 v[14:15], v7 offset:3072
	v_add_nc_u32_e32 v2, s56, v2
	v_add_nc_u32_e32 v1, s58, v1
	s_waitcnt lgkmcnt(0)
	s_barrier
	buffer_gl0_inv
	v_cmp_le_i32_e32 vcc_lo, s20, v2
	v_readfirstlane_b32 s23, v14
	s_delay_alu instid0(VALU_DEP_1) | instskip(SKIP_1) | instid1(SALU_CYCLE_1)
	s_cmp_lg_u32 s23, 0
	s_cselect_b32 s23, -1, 0
	s_or_b32 s24, vcc_lo, s23
	s_delay_alu instid0(SALU_CYCLE_1) | instskip(NEXT) | instid1(SALU_CYCLE_1)
	s_and_b32 s24, exec_lo, s24
	s_or_b32 s9, s24, s9
	s_and_not1_b32 s22, s22, exec_lo
	s_and_b32 s23, s23, exec_lo
	s_delay_alu instid0(SALU_CYCLE_1)
	s_or_b32 s22, s22, s23
	s_and_not1_b32 exec_lo, exec_lo, s9
	s_cbranch_execz .LBB17_102
.LBB17_97:                              ;   Parent Loop BB17_8 Depth=1
                                        ; =>  This Inner Loop Header: Depth=2
	s_delay_alu instid0(VALU_DEP_1)
	v_cmp_gt_i32_e32 vcc_lo, s12, v2
	v_mov_b32_e32 v14, 0
	s_and_saveexec_b32 s23, vcc_lo
	s_cbranch_execz .LBB17_99
; %bb.98:                               ;   in Loop: Header=BB17_97 Depth=2
	ds_load_b32 v14, v1
.LBB17_99:                              ;   in Loop: Header=BB17_97 Depth=2
	s_or_b32 exec_lo, exec_lo, s23
	s_and_saveexec_b32 s23, vcc_lo
	s_cbranch_execz .LBB17_96
; %bb.100:                              ;   in Loop: Header=BB17_97 Depth=2
	s_waitcnt lgkmcnt(0)
	v_xor_b32_e32 v3, 0x80000000, v14
	s_delay_alu instid0(VALU_DEP_1) | instskip(NEXT) | instid1(VALU_DEP_1)
	v_and_b32_e32 v3, s83, v3
	v_cmp_eq_u32_e32 vcc_lo, s82, v3
	s_and_b32 exec_lo, exec_lo, vcc_lo
	s_cbranch_execz .LBB17_96
; %bb.101:                              ;   in Loop: Header=BB17_97 Depth=2
	ds_store_b64 v7, v[13:14] offset:3072
	s_branch .LBB17_96
.LBB17_102:                             ;   in Loop: Header=BB17_8 Depth=1
	s_set_inst_prefetch_distance 0x2
	s_or_b32 exec_lo, exec_lo, s9
	s_delay_alu instid0(SALU_CYCLE_1)
	s_and_b32 s9, s22, exec_lo
.LBB17_103:                             ;   in Loop: Header=BB17_8 Depth=1
	s_or_b32 exec_lo, exec_lo, s17
	s_mov_b32 s22, -1
	s_mov_b32 s17, 0
	s_mov_b32 s20, 0
.LBB17_104:                             ;   in Loop: Header=BB17_8 Depth=1
	s_and_not1_b32 s12, s78, exec_lo
	s_and_b32 s17, s17, exec_lo
	s_and_b32 s20, s20, exec_lo
	s_or_b32 s78, s12, s17
	s_and_not1_b32 s12, s81, exec_lo
	s_and_b32 s17, s22, exec_lo
	s_and_not1_b32 s22, s79, exec_lo
	s_or_b32 s81, s12, s17
	s_or_b32 s79, s22, s20
	s_and_saveexec_b32 s12, s9
	s_cbranch_execz .LBB17_7
; %bb.105:                              ;   in Loop: Header=BB17_8 Depth=1
	s_xor_b32 s9, s15, -1
	s_mov_b32 s14, 0
	s_and_not1_b32 vcc_lo, exec_lo, s9
	s_mov_b32 s22, 1
	s_cbranch_vccnz .LBB17_116
; %bb.106:                              ;   in Loop: Header=BB17_8 Depth=1
	s_cmp_gt_i32 s37, s13
	s_mov_b32 s14, -1
                                        ; implicit-def: $sgpr9
                                        ; implicit-def: $sgpr15
                                        ; implicit-def: $sgpr17
	s_cbranch_scc1 .LBB17_112
; %bb.107:                              ;   in Loop: Header=BB17_8 Depth=1
	ds_load_b32 v1, v7 offset:4096
	s_waitcnt lgkmcnt(0)
	v_cmp_ne_u32_e32 vcc_lo, 0, v1
	s_cbranch_vccnz .LBB17_111
; %bb.108:                              ;   in Loop: Header=BB17_8 Depth=1
	s_and_saveexec_b32 s9, s0
	s_cbranch_execz .LBB17_110
; %bb.109:                              ;   in Loop: Header=BB17_8 Depth=1
	v_mov_b32_e32 v1, s13
	ds_store_b32 v7, v1 offset:4100
.LBB17_110:                             ;   in Loop: Header=BB17_8 Depth=1
	s_or_b32 exec_lo, exec_lo, s9
	s_waitcnt lgkmcnt(0)
	s_barrier
	buffer_gl0_inv
.LBB17_111:                             ;   in Loop: Header=BB17_8 Depth=1
	s_and_b32 s15, s82, s19
	s_or_b32 s17, s83, s11
	s_mov_b32 s14, 0
	s_mov_b32 s9, 8
.LBB17_112:                             ;   in Loop: Header=BB17_8 Depth=1
	s_and_not1_b32 vcc_lo, exec_lo, s14
	s_cbranch_vccnz .LBB17_114
; %bb.113:                              ;   in Loop: Header=BB17_8 Depth=1
	s_sub_i32 s37, s37, s13
	s_mov_b32 s14, -1
	s_mov_b32 s9, 0
	s_mov_b32 s15, s82
	;; [unrolled: 1-line block ×3, first 2 shown]
.LBB17_114:                             ;   in Loop: Header=BB17_8 Depth=1
	s_delay_alu instid0(SALU_CYCLE_1)
	s_mov_b32 s83, s17
	s_mov_b32 s82, s15
	;; [unrolled: 1-line block ×3, first 2 shown]
	s_and_b32 vcc_lo, exec_lo, s14
	s_mov_b32 s13, -1
	s_cbranch_vccnz .LBB17_117
.LBB17_115:                             ;   in Loop: Header=BB17_8 Depth=1
	s_mov_b32 s25, -1
                                        ; implicit-def: $sgpr14
                                        ; implicit-def: $sgpr17
                                        ; implicit-def: $sgpr15
	s_delay_alu instid0(SALU_CYCLE_1) | instskip(NEXT) | instid1(SALU_CYCLE_1)
	s_and_saveexec_b32 s10, s25
	s_xor_b32 s10, exec_lo, s10
	s_cbranch_execz .LBB17_6
	s_branch .LBB17_240
.LBB17_116:                             ;   in Loop: Header=BB17_8 Depth=1
	s_mov_b32 s9, 1
	s_and_b32 vcc_lo, exec_lo, s14
	s_mov_b32 s13, -1
	s_cbranch_vccz .LBB17_115
.LBB17_117:                             ;   in Loop: Header=BB17_8 Depth=1
	s_cmp_eq_u32 s21, 1
	s_mov_b32 s24, -1
	s_cselect_b32 s9, -1, 0
	s_cmp_eq_u32 s22, 1
	s_cselect_b32 s14, -1, 0
	s_delay_alu instid0(SALU_CYCLE_1) | instskip(NEXT) | instid1(SALU_CYCLE_1)
	s_and_b32 s23, s9, s14
	s_and_b32 vcc_lo, exec_lo, s23
	s_cbranch_vccz .LBB17_129
; %bb.118:                              ;   in Loop: Header=BB17_8 Depth=1
	ds_load_b32 v1, v7 offset:4096
	s_waitcnt lgkmcnt(0)
	s_barrier
	buffer_gl0_inv
	v_readfirstlane_b32 s20, v1
	s_and_saveexec_b32 s9, s1
	s_cbranch_execz .LBB17_120
; %bb.119:                              ;   in Loop: Header=BB17_8 Depth=1
	ds_store_b32 v20, v7
.LBB17_120:                             ;   in Loop: Header=BB17_8 Depth=1
	s_or_b32 exec_lo, exec_lo, s9
	s_lshl_b32 s9, 1, s18
	s_and_b32 s14, s82, s19
	s_or_b32 s83, s83, s11
	s_or_b32 s82, s14, s9
	s_cmp_gt_i32 s20, 0
	s_waitcnt lgkmcnt(0)
	s_barrier
	buffer_gl0_inv
	s_cbranch_scc1 .LBB17_130
; %bb.121:                              ;   in Loop: Header=BB17_8 Depth=1
	s_mov_b32 s24, 0
                                        ; implicit-def: $vgpr15
	s_and_saveexec_b32 s14, s8
	s_cbranch_execz .LBB17_132
; %bb.122:                              ;   in Loop: Header=BB17_8 Depth=1
	v_mov_b32_e32 v1, v5
	v_mov_b32_e32 v3, v0
	s_mov_b32 s15, 0
                                        ; implicit-def: $sgpr17
	s_set_inst_prefetch_distance 0x1
	s_branch .LBB17_124
	.p2align	6
.LBB17_123:                             ;   in Loop: Header=BB17_124 Depth=2
	s_or_b32 exec_lo, exec_lo, s9
	s_waitcnt vmcnt(0) lgkmcnt(0)
	s_barrier
	buffer_gl0_inv
	ds_load_b64 v[14:15], v7 offset:3072
	v_add_nc_u32_e32 v3, s56, v3
	v_add_nc_u32_e32 v1, s59, v1
	s_waitcnt lgkmcnt(0)
	s_barrier
	buffer_gl0_inv
	v_cmp_le_i32_e32 vcc_lo, s71, v3
	v_readfirstlane_b32 s9, v14
	s_delay_alu instid0(VALU_DEP_1) | instskip(SKIP_1) | instid1(SALU_CYCLE_1)
	s_cmp_lg_u32 s9, 0
	s_cselect_b32 s9, -1, 0
	s_or_b32 s24, vcc_lo, s9
	s_delay_alu instid0(SALU_CYCLE_1) | instskip(NEXT) | instid1(SALU_CYCLE_1)
	s_and_b32 s24, exec_lo, s24
	s_or_b32 s15, s24, s15
	s_and_not1_b32 s17, s17, exec_lo
	s_and_b32 s9, s9, exec_lo
	s_delay_alu instid0(SALU_CYCLE_1)
	s_or_b32 s17, s17, s9
	s_and_not1_b32 exec_lo, exec_lo, s15
	s_cbranch_execz .LBB17_131
.LBB17_124:                             ;   Parent Loop BB17_8 Depth=1
                                        ; =>  This Inner Loop Header: Depth=2
	s_delay_alu instid0(VALU_DEP_1)
	v_cmp_gt_i32_e32 vcc_lo, s36, v3
	v_mov_b32_e32 v14, 0
	s_and_saveexec_b32 s24, vcc_lo
	s_cbranch_execz .LBB17_126
; %bb.125:                              ;   in Loop: Header=BB17_124 Depth=2
	v_ashrrev_i32_e32 v2, 31, v1
	s_delay_alu instid0(VALU_DEP_1) | instskip(NEXT) | instid1(VALU_DEP_1)
	v_lshlrev_b64 v[14:15], 2, v[1:2]
	v_add_co_u32 v14, s9, s54, v14
	s_delay_alu instid0(VALU_DEP_1)
	v_add_co_ci_u32_e64 v15, s9, s55, v15, s9
	global_load_b32 v14, v[14:15], off
.LBB17_126:                             ;   in Loop: Header=BB17_124 Depth=2
	s_or_b32 exec_lo, exec_lo, s24
	s_and_saveexec_b32 s9, vcc_lo
	s_cbranch_execz .LBB17_123
; %bb.127:                              ;   in Loop: Header=BB17_124 Depth=2
	s_waitcnt vmcnt(0)
	v_xor_b32_e32 v2, 0x80000000, v14
	s_delay_alu instid0(VALU_DEP_1) | instskip(NEXT) | instid1(VALU_DEP_1)
	v_and_b32_e32 v2, s83, v2
	v_cmp_eq_u32_e32 vcc_lo, s82, v2
	s_and_b32 exec_lo, exec_lo, vcc_lo
	s_cbranch_execz .LBB17_123
; %bb.128:                              ;   in Loop: Header=BB17_124 Depth=2
	ds_store_b64 v7, v[13:14] offset:3072
	s_branch .LBB17_123
.LBB17_129:                             ;   in Loop: Header=BB17_8 Depth=1
                                        ; implicit-def: $sgpr15
                                        ; implicit-def: $sgpr17
                                        ; implicit-def: $sgpr14
	s_branch .LBB17_143
.LBB17_130:                             ;   in Loop: Header=BB17_8 Depth=1
	s_mov_b32 s15, -1
	s_mov_b32 s24, 0
                                        ; implicit-def: $sgpr14
                                        ; implicit-def: $vgpr15
	s_mov_b32 s17, s15
	s_cbranch_execnz .LBB17_133
	s_branch .LBB17_143
.LBB17_131:                             ;   in Loop: Header=BB17_8 Depth=1
	s_set_inst_prefetch_distance 0x2
	s_or_b32 exec_lo, exec_lo, s15
	s_delay_alu instid0(SALU_CYCLE_1)
	s_and_b32 s24, s17, exec_lo
.LBB17_132:                             ;   in Loop: Header=BB17_8 Depth=1
	s_or_b32 exec_lo, exec_lo, s14
	s_mov_b32 s14, -1
	s_mov_b32 s15, 0
	s_delay_alu instid0(SALU_CYCLE_1)
	s_mov_b32 s17, s15
	s_branch .LBB17_143
.LBB17_133:                             ;   in Loop: Header=BB17_8 Depth=1
	s_add_i32 s14, s20, s60
	s_mov_b32 s24, 0
	s_abs_i32 s9, s14
                                        ; implicit-def: $vgpr15
	s_delay_alu instid0(SALU_CYCLE_1) | instskip(NEXT) | instid1(SALU_CYCLE_1)
	s_mul_hi_u32 s15, s9, s70
	s_mul_i32 s15, s15, s56
	s_delay_alu instid0(SALU_CYCLE_1) | instskip(SKIP_4) | instid1(SALU_CYCLE_1)
	s_sub_i32 s9, s9, s15
	s_ashr_i32 s15, s14, 31
	s_sub_i32 s17, s9, s56
	s_cmp_ge_u32 s9, s56
	s_cselect_b32 s9, s17, s9
	s_sub_i32 s17, s9, s56
	s_cmp_ge_u32 s9, s56
	s_cselect_b32 s9, s17, s9
	s_delay_alu instid0(SALU_CYCLE_1) | instskip(NEXT) | instid1(SALU_CYCLE_1)
	s_xor_b32 s9, s9, s15
	s_sub_i32 s9, s15, s9
	s_delay_alu instid0(SALU_CYCLE_1)
	s_add_i32 s14, s14, s9
	s_mov_b32 s9, exec_lo
	v_cmpx_gt_i32_e64 s14, v0
	s_cbranch_execz .LBB17_142
; %bb.134:                              ;   in Loop: Header=BB17_8 Depth=1
	v_dual_mov_b32 v1, v19 :: v_dual_mov_b32 v2, v0
	s_mov_b32 s15, 0
                                        ; implicit-def: $sgpr17
	s_set_inst_prefetch_distance 0x1
	s_branch .LBB17_136
	.p2align	6
.LBB17_135:                             ;   in Loop: Header=BB17_136 Depth=2
	s_or_b32 exec_lo, exec_lo, s24
	s_waitcnt lgkmcnt(0)
	s_barrier
	buffer_gl0_inv
	ds_load_b64 v[14:15], v7 offset:3072
	v_add_nc_u32_e32 v2, s56, v2
	v_add_nc_u32_e32 v1, s58, v1
	s_waitcnt lgkmcnt(0)
	s_barrier
	buffer_gl0_inv
	v_cmp_le_i32_e32 vcc_lo, s14, v2
	v_readfirstlane_b32 s24, v14
	s_delay_alu instid0(VALU_DEP_1) | instskip(SKIP_1) | instid1(SALU_CYCLE_1)
	s_cmp_lg_u32 s24, 0
	s_cselect_b32 s24, -1, 0
	s_or_b32 s25, vcc_lo, s24
	s_delay_alu instid0(SALU_CYCLE_1) | instskip(NEXT) | instid1(SALU_CYCLE_1)
	s_and_b32 s25, exec_lo, s25
	s_or_b32 s15, s25, s15
	s_and_not1_b32 s17, s17, exec_lo
	s_and_b32 s24, s24, exec_lo
	s_delay_alu instid0(SALU_CYCLE_1)
	s_or_b32 s17, s17, s24
	s_and_not1_b32 exec_lo, exec_lo, s15
	s_cbranch_execz .LBB17_141
.LBB17_136:                             ;   Parent Loop BB17_8 Depth=1
                                        ; =>  This Inner Loop Header: Depth=2
	s_delay_alu instid0(VALU_DEP_1)
	v_cmp_gt_i32_e32 vcc_lo, s20, v2
	v_mov_b32_e32 v14, 0
	s_and_saveexec_b32 s24, vcc_lo
	s_cbranch_execz .LBB17_138
; %bb.137:                              ;   in Loop: Header=BB17_136 Depth=2
	ds_load_b32 v14, v1
.LBB17_138:                             ;   in Loop: Header=BB17_136 Depth=2
	s_or_b32 exec_lo, exec_lo, s24
	s_and_saveexec_b32 s24, vcc_lo
	s_cbranch_execz .LBB17_135
; %bb.139:                              ;   in Loop: Header=BB17_136 Depth=2
	s_waitcnt lgkmcnt(0)
	v_xor_b32_e32 v3, 0x80000000, v14
	s_delay_alu instid0(VALU_DEP_1) | instskip(NEXT) | instid1(VALU_DEP_1)
	v_and_b32_e32 v3, s83, v3
	v_cmp_eq_u32_e32 vcc_lo, s82, v3
	s_and_b32 exec_lo, exec_lo, vcc_lo
	s_cbranch_execz .LBB17_135
; %bb.140:                              ;   in Loop: Header=BB17_136 Depth=2
	ds_store_b64 v7, v[13:14] offset:3072
	s_branch .LBB17_135
.LBB17_141:                             ;   in Loop: Header=BB17_8 Depth=1
	s_set_inst_prefetch_distance 0x2
	s_or_b32 exec_lo, exec_lo, s15
	s_delay_alu instid0(SALU_CYCLE_1)
	s_and_b32 s24, s17, exec_lo
.LBB17_142:                             ;   in Loop: Header=BB17_8 Depth=1
	s_or_b32 exec_lo, exec_lo, s9
	s_mov_b32 s17, -1
	s_mov_b32 s15, 0
	s_mov_b32 s14, 0
.LBB17_143:                             ;   in Loop: Header=BB17_8 Depth=1
	s_mov_b32 s25, 0
                                        ; implicit-def: $sgpr9
	s_and_saveexec_b32 s20, s24
	s_cbranch_execz .LBB17_239
; %bb.144:                              ;   in Loop: Header=BB17_8 Depth=1
	s_xor_b32 s9, s23, -1
	s_mov_b32 s23, 0
	s_and_not1_b32 vcc_lo, exec_lo, s9
	s_mov_b32 s26, 1
	s_cbranch_vccnz .LBB17_155
; %bb.145:                              ;   in Loop: Header=BB17_8 Depth=1
	s_cmp_gt_i32 s22, s21
	s_mov_b32 s23, -1
                                        ; implicit-def: $sgpr9
                                        ; implicit-def: $sgpr24
                                        ; implicit-def: $sgpr25
	s_cbranch_scc1 .LBB17_151
; %bb.146:                              ;   in Loop: Header=BB17_8 Depth=1
	ds_load_b32 v1, v7 offset:4096
	s_waitcnt lgkmcnt(0)
	v_cmp_ne_u32_e32 vcc_lo, 0, v1
	s_cbranch_vccnz .LBB17_150
; %bb.147:                              ;   in Loop: Header=BB17_8 Depth=1
	s_and_saveexec_b32 s9, s0
	s_cbranch_execz .LBB17_149
; %bb.148:                              ;   in Loop: Header=BB17_8 Depth=1
	v_mov_b32_e32 v1, s21
	ds_store_b32 v7, v1 offset:4100
.LBB17_149:                             ;   in Loop: Header=BB17_8 Depth=1
	s_or_b32 exec_lo, exec_lo, s9
	s_waitcnt lgkmcnt(0)
	s_barrier
	buffer_gl0_inv
.LBB17_150:                             ;   in Loop: Header=BB17_8 Depth=1
	s_lshl_b32 s9, 1, s18
	s_and_b32 s23, s82, s19
	s_or_b32 s25, s83, s11
	s_or_b32 s24, s23, s9
	s_mov_b32 s23, 0
	s_mov_b32 s9, 8
.LBB17_151:                             ;   in Loop: Header=BB17_8 Depth=1
	s_and_not1_b32 vcc_lo, exec_lo, s23
	s_cbranch_vccnz .LBB17_153
; %bb.152:                              ;   in Loop: Header=BB17_8 Depth=1
	s_sub_i32 s22, s22, s21
	s_mov_b32 s23, -1
	s_mov_b32 s9, 0
	s_mov_b32 s24, s82
	;; [unrolled: 1-line block ×3, first 2 shown]
.LBB17_153:                             ;   in Loop: Header=BB17_8 Depth=1
	s_delay_alu instid0(SALU_CYCLE_1)
	s_mov_b32 s83, s25
	s_mov_b32 s82, s24
	s_mov_b32 s26, s22
	s_and_not1_b32 vcc_lo, exec_lo, s23
	s_mov_b32 s28, -1
	s_cbranch_vccz .LBB17_156
.LBB17_154:                             ;   in Loop: Header=BB17_8 Depth=1
                                        ; implicit-def: $sgpr22
                                        ; implicit-def: $sgpr23
                                        ; implicit-def: $sgpr21
	s_branch .LBB17_238
.LBB17_155:                             ;   in Loop: Header=BB17_8 Depth=1
	s_mov_b32 s9, 1
	s_and_not1_b32 vcc_lo, exec_lo, s23
	s_mov_b32 s28, -1
	s_cbranch_vccnz .LBB17_154
.LBB17_156:                             ;   in Loop: Header=BB17_8 Depth=1
	s_cmp_eq_u32 s16, 1
	s_mov_b32 s27, -1
	s_cselect_b32 s9, -1, 0
	s_cmp_eq_u32 s26, 1
	s_cselect_b32 s21, -1, 0
	s_delay_alu instid0(SALU_CYCLE_1) | instskip(NEXT) | instid1(SALU_CYCLE_1)
	s_and_b32 s25, s9, s21
	s_and_b32 vcc_lo, exec_lo, s25
	s_cbranch_vccz .LBB17_168
; %bb.157:                              ;   in Loop: Header=BB17_8 Depth=1
	ds_load_b32 v1, v7 offset:4096
	s_waitcnt lgkmcnt(0)
	s_barrier
	buffer_gl0_inv
	v_readfirstlane_b32 s24, v1
	s_and_saveexec_b32 s9, s1
	s_cbranch_execz .LBB17_159
; %bb.158:                              ;   in Loop: Header=BB17_8 Depth=1
	ds_store_b32 v20, v7
.LBB17_159:                             ;   in Loop: Header=BB17_8 Depth=1
	s_or_b32 exec_lo, exec_lo, s9
	s_lshl_b32 s9, 2, s18
	s_and_b32 s21, s82, s19
	s_or_b32 s83, s83, s11
	s_or_b32 s82, s21, s9
	s_cmp_gt_i32 s24, 0
	s_waitcnt lgkmcnt(0)
	s_barrier
	buffer_gl0_inv
	s_cbranch_scc1 .LBB17_169
; %bb.160:                              ;   in Loop: Header=BB17_8 Depth=1
	s_mov_b32 s27, 0
                                        ; implicit-def: $vgpr15
	s_and_saveexec_b32 s21, s8
	s_cbranch_execz .LBB17_171
; %bb.161:                              ;   in Loop: Header=BB17_8 Depth=1
	v_mov_b32_e32 v1, v5
	v_mov_b32_e32 v3, v0
	s_mov_b32 s22, 0
                                        ; implicit-def: $sgpr23
	s_set_inst_prefetch_distance 0x1
	s_branch .LBB17_163
	.p2align	6
.LBB17_162:                             ;   in Loop: Header=BB17_163 Depth=2
	s_or_b32 exec_lo, exec_lo, s9
	s_waitcnt vmcnt(0) lgkmcnt(0)
	s_barrier
	buffer_gl0_inv
	ds_load_b64 v[14:15], v7 offset:3072
	v_add_nc_u32_e32 v3, s56, v3
	v_add_nc_u32_e32 v1, s59, v1
	s_waitcnt lgkmcnt(0)
	s_barrier
	buffer_gl0_inv
	v_cmp_le_i32_e32 vcc_lo, s71, v3
	v_readfirstlane_b32 s9, v14
	s_delay_alu instid0(VALU_DEP_1) | instskip(SKIP_1) | instid1(SALU_CYCLE_1)
	s_cmp_lg_u32 s9, 0
	s_cselect_b32 s9, -1, 0
	s_or_b32 s27, vcc_lo, s9
	s_delay_alu instid0(SALU_CYCLE_1) | instskip(NEXT) | instid1(SALU_CYCLE_1)
	s_and_b32 s27, exec_lo, s27
	s_or_b32 s22, s27, s22
	s_and_not1_b32 s23, s23, exec_lo
	s_and_b32 s9, s9, exec_lo
	s_delay_alu instid0(SALU_CYCLE_1)
	s_or_b32 s23, s23, s9
	s_and_not1_b32 exec_lo, exec_lo, s22
	s_cbranch_execz .LBB17_170
.LBB17_163:                             ;   Parent Loop BB17_8 Depth=1
                                        ; =>  This Inner Loop Header: Depth=2
	s_delay_alu instid0(VALU_DEP_1)
	v_cmp_gt_i32_e32 vcc_lo, s36, v3
	v_mov_b32_e32 v14, 0
	s_and_saveexec_b32 s27, vcc_lo
	s_cbranch_execz .LBB17_165
; %bb.164:                              ;   in Loop: Header=BB17_163 Depth=2
	v_ashrrev_i32_e32 v2, 31, v1
	s_delay_alu instid0(VALU_DEP_1) | instskip(NEXT) | instid1(VALU_DEP_1)
	v_lshlrev_b64 v[14:15], 2, v[1:2]
	v_add_co_u32 v14, s9, s54, v14
	s_delay_alu instid0(VALU_DEP_1)
	v_add_co_ci_u32_e64 v15, s9, s55, v15, s9
	global_load_b32 v14, v[14:15], off
.LBB17_165:                             ;   in Loop: Header=BB17_163 Depth=2
	s_or_b32 exec_lo, exec_lo, s27
	s_and_saveexec_b32 s9, vcc_lo
	s_cbranch_execz .LBB17_162
; %bb.166:                              ;   in Loop: Header=BB17_163 Depth=2
	s_waitcnt vmcnt(0)
	v_xor_b32_e32 v2, 0x80000000, v14
	s_delay_alu instid0(VALU_DEP_1) | instskip(NEXT) | instid1(VALU_DEP_1)
	v_and_b32_e32 v2, s83, v2
	v_cmp_eq_u32_e32 vcc_lo, s82, v2
	s_and_b32 exec_lo, exec_lo, vcc_lo
	s_cbranch_execz .LBB17_162
; %bb.167:                              ;   in Loop: Header=BB17_163 Depth=2
	ds_store_b64 v7, v[13:14] offset:3072
	s_branch .LBB17_162
.LBB17_168:                             ;   in Loop: Header=BB17_8 Depth=1
                                        ; implicit-def: $sgpr21
                                        ; implicit-def: $sgpr23
                                        ; implicit-def: $sgpr22
	s_branch .LBB17_182
.LBB17_169:                             ;   in Loop: Header=BB17_8 Depth=1
	s_mov_b32 s21, -1
	s_mov_b32 s27, 0
                                        ; implicit-def: $sgpr22
                                        ; implicit-def: $vgpr15
	s_mov_b32 s23, s21
	s_cbranch_execnz .LBB17_172
	s_branch .LBB17_182
.LBB17_170:                             ;   in Loop: Header=BB17_8 Depth=1
	s_set_inst_prefetch_distance 0x2
	s_or_b32 exec_lo, exec_lo, s22
	s_delay_alu instid0(SALU_CYCLE_1)
	s_and_b32 s27, s23, exec_lo
.LBB17_171:                             ;   in Loop: Header=BB17_8 Depth=1
	s_or_b32 exec_lo, exec_lo, s21
	s_mov_b32 s22, -1
	s_mov_b32 s21, 0
	s_delay_alu instid0(SALU_CYCLE_1)
	s_mov_b32 s23, s21
	s_branch .LBB17_182
.LBB17_172:                             ;   in Loop: Header=BB17_8 Depth=1
	s_add_i32 s21, s24, s60
	s_mov_b32 s27, 0
	s_abs_i32 s9, s21
                                        ; implicit-def: $vgpr15
	s_delay_alu instid0(SALU_CYCLE_1) | instskip(NEXT) | instid1(SALU_CYCLE_1)
	s_mul_hi_u32 s22, s9, s70
	s_mul_i32 s22, s22, s56
	s_delay_alu instid0(SALU_CYCLE_1) | instskip(SKIP_4) | instid1(SALU_CYCLE_1)
	s_sub_i32 s9, s9, s22
	s_ashr_i32 s22, s21, 31
	s_sub_i32 s23, s9, s56
	s_cmp_ge_u32 s9, s56
	s_cselect_b32 s9, s23, s9
	s_sub_i32 s23, s9, s56
	s_cmp_ge_u32 s9, s56
	s_cselect_b32 s9, s23, s9
	s_delay_alu instid0(SALU_CYCLE_1) | instskip(NEXT) | instid1(SALU_CYCLE_1)
	s_xor_b32 s9, s9, s22
	s_sub_i32 s9, s22, s9
	s_delay_alu instid0(SALU_CYCLE_1)
	s_add_i32 s21, s21, s9
	s_mov_b32 s9, exec_lo
	v_cmpx_gt_i32_e64 s21, v0
	s_cbranch_execz .LBB17_181
; %bb.173:                              ;   in Loop: Header=BB17_8 Depth=1
	v_dual_mov_b32 v1, v19 :: v_dual_mov_b32 v2, v0
	s_mov_b32 s22, 0
                                        ; implicit-def: $sgpr23
	s_set_inst_prefetch_distance 0x1
	s_branch .LBB17_175
	.p2align	6
.LBB17_174:                             ;   in Loop: Header=BB17_175 Depth=2
	s_or_b32 exec_lo, exec_lo, s27
	s_waitcnt lgkmcnt(0)
	s_barrier
	buffer_gl0_inv
	ds_load_b64 v[14:15], v7 offset:3072
	v_add_nc_u32_e32 v2, s56, v2
	v_add_nc_u32_e32 v1, s58, v1
	s_waitcnt lgkmcnt(0)
	s_barrier
	buffer_gl0_inv
	v_cmp_le_i32_e32 vcc_lo, s21, v2
	v_readfirstlane_b32 s27, v14
	s_delay_alu instid0(VALU_DEP_1) | instskip(SKIP_1) | instid1(SALU_CYCLE_1)
	s_cmp_lg_u32 s27, 0
	s_cselect_b32 s27, -1, 0
	s_or_b32 s28, vcc_lo, s27
	s_delay_alu instid0(SALU_CYCLE_1) | instskip(NEXT) | instid1(SALU_CYCLE_1)
	s_and_b32 s28, exec_lo, s28
	s_or_b32 s22, s28, s22
	s_and_not1_b32 s23, s23, exec_lo
	s_and_b32 s27, s27, exec_lo
	s_delay_alu instid0(SALU_CYCLE_1)
	s_or_b32 s23, s23, s27
	s_and_not1_b32 exec_lo, exec_lo, s22
	s_cbranch_execz .LBB17_180
.LBB17_175:                             ;   Parent Loop BB17_8 Depth=1
                                        ; =>  This Inner Loop Header: Depth=2
	s_delay_alu instid0(VALU_DEP_1)
	v_cmp_gt_i32_e32 vcc_lo, s24, v2
	v_mov_b32_e32 v14, 0
	s_and_saveexec_b32 s27, vcc_lo
	s_cbranch_execz .LBB17_177
; %bb.176:                              ;   in Loop: Header=BB17_175 Depth=2
	ds_load_b32 v14, v1
.LBB17_177:                             ;   in Loop: Header=BB17_175 Depth=2
	s_or_b32 exec_lo, exec_lo, s27
	s_and_saveexec_b32 s27, vcc_lo
	s_cbranch_execz .LBB17_174
; %bb.178:                              ;   in Loop: Header=BB17_175 Depth=2
	s_waitcnt lgkmcnt(0)
	v_xor_b32_e32 v3, 0x80000000, v14
	s_delay_alu instid0(VALU_DEP_1) | instskip(NEXT) | instid1(VALU_DEP_1)
	v_and_b32_e32 v3, s83, v3
	v_cmp_eq_u32_e32 vcc_lo, s82, v3
	s_and_b32 exec_lo, exec_lo, vcc_lo
	s_cbranch_execz .LBB17_174
; %bb.179:                              ;   in Loop: Header=BB17_175 Depth=2
	ds_store_b64 v7, v[13:14] offset:3072
	s_branch .LBB17_174
.LBB17_180:                             ;   in Loop: Header=BB17_8 Depth=1
	s_set_inst_prefetch_distance 0x2
	s_or_b32 exec_lo, exec_lo, s22
	s_delay_alu instid0(SALU_CYCLE_1)
	s_and_b32 s27, s23, exec_lo
.LBB17_181:                             ;   in Loop: Header=BB17_8 Depth=1
	s_or_b32 exec_lo, exec_lo, s9
	s_mov_b32 s23, -1
	s_mov_b32 s21, 0
	s_mov_b32 s22, 0
.LBB17_182:                             ;   in Loop: Header=BB17_8 Depth=1
	s_mov_b32 s28, 0
                                        ; implicit-def: $sgpr9
	s_and_saveexec_b32 s24, s27
	s_cbranch_execz .LBB17_237
; %bb.183:                              ;   in Loop: Header=BB17_8 Depth=1
	s_xor_b32 s9, s25, -1
	s_mov_b32 s27, 0
	s_and_not1_b32 vcc_lo, exec_lo, s9
	s_mov_b32 s25, 1
	s_cbranch_vccnz .LBB17_194
; %bb.184:                              ;   in Loop: Header=BB17_8 Depth=1
	s_cmp_gt_i32 s26, s16
	s_mov_b32 s27, -1
                                        ; implicit-def: $sgpr9
                                        ; implicit-def: $sgpr25
                                        ; implicit-def: $sgpr28
	s_cbranch_scc1 .LBB17_190
; %bb.185:                              ;   in Loop: Header=BB17_8 Depth=1
	ds_load_b32 v1, v7 offset:4096
	s_waitcnt lgkmcnt(0)
	v_cmp_ne_u32_e32 vcc_lo, 0, v1
	s_cbranch_vccnz .LBB17_189
; %bb.186:                              ;   in Loop: Header=BB17_8 Depth=1
	s_and_saveexec_b32 s9, s0
	s_cbranch_execz .LBB17_188
; %bb.187:                              ;   in Loop: Header=BB17_8 Depth=1
	v_mov_b32_e32 v1, s16
	ds_store_b32 v7, v1 offset:4100
.LBB17_188:                             ;   in Loop: Header=BB17_8 Depth=1
	s_or_b32 exec_lo, exec_lo, s9
	s_waitcnt lgkmcnt(0)
	s_barrier
	buffer_gl0_inv
.LBB17_189:                             ;   in Loop: Header=BB17_8 Depth=1
	s_lshl_b32 s9, 2, s18
	s_and_b32 s18, s82, s19
	s_or_b32 s28, s83, s11
	s_or_b32 s25, s18, s9
	s_mov_b32 s27, 0
	s_mov_b32 s9, 8
.LBB17_190:                             ;   in Loop: Header=BB17_8 Depth=1
	s_and_not1_b32 vcc_lo, exec_lo, s27
	s_cbranch_vccnz .LBB17_192
; %bb.191:                              ;   in Loop: Header=BB17_8 Depth=1
	s_sub_i32 s26, s26, s16
	s_mov_b32 s27, -1
	s_mov_b32 s9, 0
	s_mov_b32 s25, s82
	;; [unrolled: 1-line block ×3, first 2 shown]
.LBB17_192:                             ;   in Loop: Header=BB17_8 Depth=1
	s_delay_alu instid0(SALU_CYCLE_1)
	s_mov_b32 s83, s28
	s_mov_b32 s82, s25
	;; [unrolled: 1-line block ×3, first 2 shown]
	s_and_not1_b32 vcc_lo, exec_lo, s27
	s_mov_b32 s37, -1
	s_cbranch_vccz .LBB17_195
.LBB17_193:                             ;   in Loop: Header=BB17_8 Depth=1
                                        ; implicit-def: $sgpr19
                                        ; implicit-def: $sgpr27
                                        ; implicit-def: $sgpr26
	s_branch .LBB17_236
.LBB17_194:                             ;   in Loop: Header=BB17_8 Depth=1
	s_mov_b32 s9, 1
	s_and_not1_b32 vcc_lo, exec_lo, s27
	s_mov_b32 s37, -1
	s_cbranch_vccnz .LBB17_193
.LBB17_195:                             ;   in Loop: Header=BB17_8 Depth=1
	s_cmp_eq_u32 s10, 1
	s_mov_b32 s28, -1
	s_cselect_b32 s9, -1, 0
	s_cmp_eq_u32 s25, 1
	s_cselect_b32 s16, -1, 0
	s_delay_alu instid0(SALU_CYCLE_1) | instskip(NEXT) | instid1(SALU_CYCLE_1)
	s_and_b32 s16, s9, s16
	s_and_b32 vcc_lo, exec_lo, s16
	s_cbranch_vccz .LBB17_207
; %bb.196:                              ;   in Loop: Header=BB17_8 Depth=1
	ds_load_b32 v1, v7 offset:4096
	s_waitcnt lgkmcnt(0)
	s_barrier
	buffer_gl0_inv
	v_readfirstlane_b32 s18, v1
	s_and_saveexec_b32 s9, s1
	s_cbranch_execz .LBB17_198
; %bb.197:                              ;   in Loop: Header=BB17_8 Depth=1
	ds_store_b32 v20, v7
.LBB17_198:                             ;   in Loop: Header=BB17_8 Depth=1
	s_or_b32 exec_lo, exec_lo, s9
	s_or_b32 s82, s82, s11
	s_or_b32 s83, s83, s11
	s_cmp_gt_i32 s18, 0
	s_waitcnt lgkmcnt(0)
	s_barrier
	buffer_gl0_inv
	s_cbranch_scc1 .LBB17_208
; %bb.199:                              ;   in Loop: Header=BB17_8 Depth=1
	s_mov_b32 s28, 0
                                        ; implicit-def: $vgpr15
	s_and_saveexec_b32 s19, s8
	s_cbranch_execz .LBB17_210
; %bb.200:                              ;   in Loop: Header=BB17_8 Depth=1
	v_mov_b32_e32 v1, v5
	v_mov_b32_e32 v3, v0
	s_mov_b32 s26, 0
                                        ; implicit-def: $sgpr27
	s_set_inst_prefetch_distance 0x1
	s_branch .LBB17_202
	.p2align	6
.LBB17_201:                             ;   in Loop: Header=BB17_202 Depth=2
	s_or_b32 exec_lo, exec_lo, s9
	s_waitcnt vmcnt(0) lgkmcnt(0)
	s_barrier
	buffer_gl0_inv
	ds_load_b64 v[14:15], v7 offset:3072
	v_add_nc_u32_e32 v3, s56, v3
	v_add_nc_u32_e32 v1, s59, v1
	s_waitcnt lgkmcnt(0)
	s_barrier
	buffer_gl0_inv
	v_cmp_le_i32_e32 vcc_lo, s71, v3
	v_readfirstlane_b32 s9, v14
	s_delay_alu instid0(VALU_DEP_1) | instskip(SKIP_1) | instid1(SALU_CYCLE_1)
	s_cmp_lg_u32 s9, 0
	s_cselect_b32 s9, -1, 0
	s_or_b32 s28, vcc_lo, s9
	s_delay_alu instid0(SALU_CYCLE_1) | instskip(NEXT) | instid1(SALU_CYCLE_1)
	s_and_b32 s28, exec_lo, s28
	s_or_b32 s26, s28, s26
	s_and_not1_b32 s27, s27, exec_lo
	s_and_b32 s9, s9, exec_lo
	s_delay_alu instid0(SALU_CYCLE_1)
	s_or_b32 s27, s27, s9
	s_and_not1_b32 exec_lo, exec_lo, s26
	s_cbranch_execz .LBB17_209
.LBB17_202:                             ;   Parent Loop BB17_8 Depth=1
                                        ; =>  This Inner Loop Header: Depth=2
	s_delay_alu instid0(VALU_DEP_1)
	v_cmp_gt_i32_e32 vcc_lo, s36, v3
	v_mov_b32_e32 v14, 0
	s_and_saveexec_b32 s28, vcc_lo
	s_cbranch_execz .LBB17_204
; %bb.203:                              ;   in Loop: Header=BB17_202 Depth=2
	v_ashrrev_i32_e32 v2, 31, v1
	s_delay_alu instid0(VALU_DEP_1) | instskip(NEXT) | instid1(VALU_DEP_1)
	v_lshlrev_b64 v[14:15], 2, v[1:2]
	v_add_co_u32 v14, s9, s54, v14
	s_delay_alu instid0(VALU_DEP_1)
	v_add_co_ci_u32_e64 v15, s9, s55, v15, s9
	global_load_b32 v14, v[14:15], off
.LBB17_204:                             ;   in Loop: Header=BB17_202 Depth=2
	s_or_b32 exec_lo, exec_lo, s28
	s_and_saveexec_b32 s9, vcc_lo
	s_cbranch_execz .LBB17_201
; %bb.205:                              ;   in Loop: Header=BB17_202 Depth=2
	s_waitcnt vmcnt(0)
	v_xor_b32_e32 v2, 0x80000000, v14
	s_delay_alu instid0(VALU_DEP_1) | instskip(NEXT) | instid1(VALU_DEP_1)
	v_and_b32_e32 v2, s83, v2
	v_cmp_eq_u32_e32 vcc_lo, s82, v2
	s_and_b32 exec_lo, exec_lo, vcc_lo
	s_cbranch_execz .LBB17_201
; %bb.206:                              ;   in Loop: Header=BB17_202 Depth=2
	ds_store_b64 v7, v[13:14] offset:3072
	s_branch .LBB17_201
.LBB17_207:                             ;   in Loop: Header=BB17_8 Depth=1
                                        ; implicit-def: $sgpr19
                                        ; implicit-def: $sgpr27
                                        ; implicit-def: $sgpr26
	s_branch .LBB17_221
.LBB17_208:                             ;   in Loop: Header=BB17_8 Depth=1
	s_mov_b32 s19, -1
	s_mov_b32 s28, 0
                                        ; implicit-def: $sgpr26
                                        ; implicit-def: $vgpr15
	s_mov_b32 s27, s19
	s_cbranch_execnz .LBB17_211
	s_branch .LBB17_221
.LBB17_209:                             ;   in Loop: Header=BB17_8 Depth=1
	s_set_inst_prefetch_distance 0x2
	s_or_b32 exec_lo, exec_lo, s26
	s_delay_alu instid0(SALU_CYCLE_1)
	s_and_b32 s28, s27, exec_lo
.LBB17_210:                             ;   in Loop: Header=BB17_8 Depth=1
	s_or_b32 exec_lo, exec_lo, s19
	s_mov_b32 s26, -1
	s_mov_b32 s19, 0
	s_delay_alu instid0(SALU_CYCLE_1)
	s_mov_b32 s27, s19
	s_branch .LBB17_221
.LBB17_211:                             ;   in Loop: Header=BB17_8 Depth=1
	s_add_i32 s19, s18, s60
	s_mov_b32 s28, 0
	s_abs_i32 s9, s19
                                        ; implicit-def: $vgpr15
	s_delay_alu instid0(SALU_CYCLE_1) | instskip(NEXT) | instid1(SALU_CYCLE_1)
	s_mul_hi_u32 s26, s9, s70
	s_mul_i32 s26, s26, s56
	s_delay_alu instid0(SALU_CYCLE_1) | instskip(SKIP_4) | instid1(SALU_CYCLE_1)
	s_sub_i32 s9, s9, s26
	s_ashr_i32 s26, s19, 31
	s_sub_i32 s27, s9, s56
	s_cmp_ge_u32 s9, s56
	s_cselect_b32 s9, s27, s9
	s_sub_i32 s27, s9, s56
	s_cmp_ge_u32 s9, s56
	s_cselect_b32 s9, s27, s9
	s_delay_alu instid0(SALU_CYCLE_1) | instskip(NEXT) | instid1(SALU_CYCLE_1)
	s_xor_b32 s9, s9, s26
	s_sub_i32 s9, s26, s9
	s_delay_alu instid0(SALU_CYCLE_1)
	s_add_i32 s19, s19, s9
	s_mov_b32 s9, exec_lo
	v_cmpx_gt_i32_e64 s19, v0
	s_cbranch_execz .LBB17_220
; %bb.212:                              ;   in Loop: Header=BB17_8 Depth=1
	v_dual_mov_b32 v1, v19 :: v_dual_mov_b32 v2, v0
	s_mov_b32 s26, 0
                                        ; implicit-def: $sgpr27
	s_set_inst_prefetch_distance 0x1
	s_branch .LBB17_214
	.p2align	6
.LBB17_213:                             ;   in Loop: Header=BB17_214 Depth=2
	s_or_b32 exec_lo, exec_lo, s28
	s_waitcnt lgkmcnt(0)
	s_barrier
	buffer_gl0_inv
	ds_load_b64 v[14:15], v7 offset:3072
	v_add_nc_u32_e32 v2, s56, v2
	v_add_nc_u32_e32 v1, s58, v1
	s_waitcnt lgkmcnt(0)
	s_barrier
	buffer_gl0_inv
	v_cmp_le_i32_e32 vcc_lo, s19, v2
	v_readfirstlane_b32 s28, v14
	s_delay_alu instid0(VALU_DEP_1) | instskip(SKIP_1) | instid1(SALU_CYCLE_1)
	s_cmp_lg_u32 s28, 0
	s_cselect_b32 s28, -1, 0
	s_or_b32 s37, vcc_lo, s28
	s_delay_alu instid0(SALU_CYCLE_1) | instskip(NEXT) | instid1(SALU_CYCLE_1)
	s_and_b32 s37, exec_lo, s37
	s_or_b32 s26, s37, s26
	s_and_not1_b32 s27, s27, exec_lo
	s_and_b32 s28, s28, exec_lo
	s_delay_alu instid0(SALU_CYCLE_1)
	s_or_b32 s27, s27, s28
	s_and_not1_b32 exec_lo, exec_lo, s26
	s_cbranch_execz .LBB17_219
.LBB17_214:                             ;   Parent Loop BB17_8 Depth=1
                                        ; =>  This Inner Loop Header: Depth=2
	s_delay_alu instid0(VALU_DEP_1)
	v_cmp_gt_i32_e32 vcc_lo, s18, v2
	v_mov_b32_e32 v14, 0
	s_and_saveexec_b32 s28, vcc_lo
	s_cbranch_execz .LBB17_216
; %bb.215:                              ;   in Loop: Header=BB17_214 Depth=2
	ds_load_b32 v14, v1
.LBB17_216:                             ;   in Loop: Header=BB17_214 Depth=2
	s_or_b32 exec_lo, exec_lo, s28
	s_and_saveexec_b32 s28, vcc_lo
	s_cbranch_execz .LBB17_213
; %bb.217:                              ;   in Loop: Header=BB17_214 Depth=2
	s_waitcnt lgkmcnt(0)
	v_xor_b32_e32 v3, 0x80000000, v14
	s_delay_alu instid0(VALU_DEP_1) | instskip(NEXT) | instid1(VALU_DEP_1)
	v_and_b32_e32 v3, s83, v3
	v_cmp_eq_u32_e32 vcc_lo, s82, v3
	s_and_b32 exec_lo, exec_lo, vcc_lo
	s_cbranch_execz .LBB17_213
; %bb.218:                              ;   in Loop: Header=BB17_214 Depth=2
	ds_store_b64 v7, v[13:14] offset:3072
	s_branch .LBB17_213
.LBB17_219:                             ;   in Loop: Header=BB17_8 Depth=1
	s_set_inst_prefetch_distance 0x2
	s_or_b32 exec_lo, exec_lo, s26
	s_delay_alu instid0(SALU_CYCLE_1)
	s_and_b32 s28, s27, exec_lo
.LBB17_220:                             ;   in Loop: Header=BB17_8 Depth=1
	s_or_b32 exec_lo, exec_lo, s9
	s_mov_b32 s27, -1
	s_mov_b32 s19, 0
	s_mov_b32 s26, 0
.LBB17_221:                             ;   in Loop: Header=BB17_8 Depth=1
	s_mov_b32 s37, 0
                                        ; implicit-def: $sgpr9
	s_and_saveexec_b32 s18, s28
	s_cbranch_execz .LBB17_235
; %bb.222:                              ;   in Loop: Header=BB17_8 Depth=1
	s_xor_b32 s9, s16, -1
	s_delay_alu instid0(SALU_CYCLE_1)
	s_and_not1_b32 vcc_lo, exec_lo, s9
	s_mov_b32 s9, 1
	s_cbranch_vccnz .LBB17_229
; %bb.223:                              ;   in Loop: Header=BB17_8 Depth=1
	s_cmp_gt_i32 s25, s10
	s_cbranch_scc1 .LBB17_230
; %bb.224:                              ;   in Loop: Header=BB17_8 Depth=1
	ds_load_b32 v1, v7 offset:4096
	s_waitcnt lgkmcnt(0)
	v_cmp_ne_u32_e32 vcc_lo, 0, v1
	s_cbranch_vccnz .LBB17_228
; %bb.225:                              ;   in Loop: Header=BB17_8 Depth=1
	s_and_saveexec_b32 s9, s0
	s_cbranch_execz .LBB17_227
; %bb.226:                              ;   in Loop: Header=BB17_8 Depth=1
	v_mov_b32_e32 v1, s10
	ds_store_b32 v7, v1 offset:4100
.LBB17_227:                             ;   in Loop: Header=BB17_8 Depth=1
	s_or_b32 exec_lo, exec_lo, s9
	s_waitcnt lgkmcnt(0)
	s_barrier
	buffer_gl0_inv
.LBB17_228:                             ;   in Loop: Header=BB17_8 Depth=1
	s_or_b32 s16, s82, s11
	s_or_b32 s11, s83, s11
	s_mov_b32 s28, 0
	s_mov_b32 s9, 8
	s_branch .LBB17_231
.LBB17_229:                             ;   in Loop: Header=BB17_8 Depth=1
	s_mov_b32 s25, 1
	s_branch .LBB17_234
.LBB17_230:                             ;   in Loop: Header=BB17_8 Depth=1
	s_mov_b32 s28, -1
                                        ; implicit-def: $sgpr9
                                        ; implicit-def: $sgpr16
                                        ; implicit-def: $sgpr11
.LBB17_231:                             ;   in Loop: Header=BB17_8 Depth=1
	s_delay_alu instid0(SALU_CYCLE_1)
	s_and_not1_b32 vcc_lo, exec_lo, s28
	s_cbranch_vccnz .LBB17_233
; %bb.232:                              ;   in Loop: Header=BB17_8 Depth=1
	s_sub_i32 s25, s25, s10
	s_mov_b32 s9, 8
	s_mov_b32 s16, s82
	;; [unrolled: 1-line block ×3, first 2 shown]
.LBB17_233:                             ;   in Loop: Header=BB17_8 Depth=1
	s_mov_b32 s82, s16
	s_mov_b32 s83, s11
.LBB17_234:                             ;   in Loop: Header=BB17_8 Depth=1
	s_mov_b32 s37, exec_lo
.LBB17_235:                             ;   in Loop: Header=BB17_8 Depth=1
	s_or_b32 exec_lo, exec_lo, s18
.LBB17_236:                             ;   in Loop: Header=BB17_8 Depth=1
	s_delay_alu instid0(SALU_CYCLE_1)
	s_and_not1_b32 s10, s21, exec_lo
	s_and_b32 s11, s19, exec_lo
	s_and_not1_b32 s16, s22, exec_lo
	s_or_b32 s21, s10, s11
	s_and_not1_b32 s10, s23, exec_lo
	s_and_b32 s11, s27, exec_lo
	s_and_b32 s18, s26, exec_lo
	s_or_b32 s23, s10, s11
	s_or_b32 s22, s16, s18
	s_and_b32 s28, s37, exec_lo
	s_mov_b32 s26, s25
.LBB17_237:                             ;   in Loop: Header=BB17_8 Depth=1
	s_or_b32 exec_lo, exec_lo, s24
.LBB17_238:                             ;   in Loop: Header=BB17_8 Depth=1
	s_delay_alu instid0(SALU_CYCLE_1)
	s_and_not1_b32 s10, s15, exec_lo
	s_and_b32 s11, s21, exec_lo
	s_and_not1_b32 s14, s14, exec_lo
	s_or_b32 s15, s10, s11
	s_and_not1_b32 s10, s17, exec_lo
	s_and_b32 s11, s23, exec_lo
	s_and_b32 s16, s22, exec_lo
	s_or_b32 s17, s10, s11
	s_or_b32 s14, s14, s16
	s_and_b32 s25, s28, exec_lo
	s_mov_b32 s22, s26
.LBB17_239:                             ;   in Loop: Header=BB17_8 Depth=1
	s_or_b32 exec_lo, exec_lo, s20
	s_and_saveexec_b32 s10, s25
	s_delay_alu instid0(SALU_CYCLE_1)
	s_xor_b32 s10, exec_lo, s10
	s_cbranch_execz .LBB17_6
.LBB17_240:                             ;   in Loop: Header=BB17_8 Depth=1
	s_and_b32 s9, s9, -9
	s_delay_alu instid0(SALU_CYCLE_1)
	s_cmp_eq_u32 s9, 0
	s_cbranch_scc1 .LBB17_4
; %bb.241:                              ;   in Loop: Header=BB17_8 Depth=1
	s_mov_b32 s9, -1
	s_mov_b32 s11, -1
                                        ; implicit-def: $sgpr83
                                        ; implicit-def: $sgpr22
                                        ; implicit-def: $sgpr77
                                        ; implicit-def: $sgpr80
	s_branch .LBB17_5
.LBB17_242:
	s_or_b32 exec_lo, exec_lo, s57
	s_xor_b32 s4, s76, -1
	s_xor_b32 s1, s74, -1
	;; [unrolled: 1-line block ×3, first 2 shown]
	s_mov_b32 s2, 0
	s_and_saveexec_b32 s5, s1
	s_delay_alu instid0(SALU_CYCLE_1)
	s_xor_b32 s1, exec_lo, s5
	s_cbranch_execz .LBB17_263
; %bb.243:
	s_and_saveexec_b32 s2, s4
	s_delay_alu instid0(SALU_CYCLE_1)
	s_xor_b32 s2, exec_lo, s2
	s_cbranch_execz .LBB17_261
; %bb.244:
	s_and_saveexec_b32 s4, s3
	s_delay_alu instid0(SALU_CYCLE_1)
	s_xor_b32 s3, exec_lo, s4
; %bb.245:
	v_xor_b32_e32 v15, 0x80000000, v1
; %bb.246:
	s_or_b32 exec_lo, exec_lo, s3
	s_and_saveexec_b32 s3, s0
	s_cbranch_execz .LBB17_248
; %bb.247:
	v_dual_mov_b32 v1, 0 :: v_dual_mov_b32 v2, s36
	ds_store_b32 v1, v2 offset:4108
.LBB17_248:
	s_or_b32 exec_lo, exec_lo, s3
	v_mov_b32_e32 v1, 0
	s_waitcnt lgkmcnt(0)
	s_barrier
	buffer_gl0_inv
	s_mov_b32 s3, exec_lo
	ds_load_b32 v1, v1 offset:4108
	s_waitcnt lgkmcnt(0)
	v_min_i32_e32 v1, s36, v1
	s_delay_alu instid0(VALU_DEP_1)
	v_cmpx_lt_i32_e64 v0, v1
	s_cbranch_execz .LBB17_258
; %bb.249:
	s_mov_b32 s4, 0
                                        ; implicit-def: $sgpr5
                                        ; implicit-def: $sgpr7
                                        ; implicit-def: $sgpr6
	s_set_inst_prefetch_distance 0x1
	s_branch .LBB17_251
	.p2align	6
.LBB17_250:                             ;   in Loop: Header=BB17_251 Depth=1
	s_or_b32 exec_lo, exec_lo, s8
	s_delay_alu instid0(SALU_CYCLE_1) | instskip(NEXT) | instid1(SALU_CYCLE_1)
	s_and_b32 s8, exec_lo, s7
	s_or_b32 s4, s8, s4
	s_and_not1_b32 s5, s5, exec_lo
	s_and_b32 s8, s6, exec_lo
	s_delay_alu instid0(SALU_CYCLE_1)
	s_or_b32 s5, s5, s8
	s_and_not1_b32 exec_lo, exec_lo, s4
	s_cbranch_execz .LBB17_253
.LBB17_251:                             ; =>This Inner Loop Header: Depth=1
	v_ashrrev_i32_e32 v6, 31, v5
	s_or_b32 s6, s6, exec_lo
	s_or_b32 s7, s7, exec_lo
	s_mov_b32 s8, exec_lo
	s_delay_alu instid0(VALU_DEP_1) | instskip(NEXT) | instid1(VALU_DEP_1)
	v_lshlrev_b64 v[2:3], 2, v[5:6]
	v_add_co_u32 v2, vcc_lo, s54, v2
	s_delay_alu instid0(VALU_DEP_2)
	v_add_co_ci_u32_e32 v3, vcc_lo, s55, v3, vcc_lo
	global_load_b32 v3, v[2:3], off
	v_mov_b32_e32 v2, v0
                                        ; implicit-def: $vgpr0
	s_waitcnt vmcnt(0)
	v_cmpx_ne_u32_e64 v3, v15
	s_cbranch_execz .LBB17_250
; %bb.252:                              ;   in Loop: Header=BB17_251 Depth=1
	s_delay_alu instid0(VALU_DEP_2) | instskip(SKIP_3) | instid1(VALU_DEP_2)
	v_add_nc_u32_e32 v0, s56, v2
	s_and_not1_b32 s7, s7, exec_lo
	v_add_nc_u32_e32 v5, s59, v5
	s_and_not1_b32 s6, s6, exec_lo
	v_cmp_ge_i32_e32 vcc_lo, v0, v1
	s_and_b32 s9, vcc_lo, exec_lo
	s_delay_alu instid0(SALU_CYCLE_1)
	s_or_b32 s7, s7, s9
	s_branch .LBB17_250
.LBB17_253:
	s_set_inst_prefetch_distance 0x2
	s_or_b32 exec_lo, exec_lo, s4
	s_and_saveexec_b32 s4, s5
	s_delay_alu instid0(SALU_CYCLE_1)
	s_xor_b32 s4, exec_lo, s4
	s_cbranch_execz .LBB17_258
; %bb.254:
	s_mov_b32 s5, exec_lo
	s_brev_b32 s4, -2
.LBB17_255:                             ; =>This Inner Loop Header: Depth=1
	s_ctz_i32_b32 s6, s5
	s_delay_alu instid0(SALU_CYCLE_1) | instskip(SKIP_1) | instid1(SALU_CYCLE_1)
	v_readlane_b32 s7, v2, s6
	s_lshl_b32 s6, 1, s6
	s_and_not1_b32 s5, s5, s6
	s_delay_alu instid0(VALU_DEP_1)
	s_min_i32 s4, s4, s7
	s_cmp_lg_u32 s5, 0
	s_cbranch_scc1 .LBB17_255
; %bb.256:
	v_mbcnt_lo_u32_b32 v0, exec_lo, 0
	s_mov_b32 s5, exec_lo
	s_delay_alu instid0(VALU_DEP_1)
	v_cmpx_eq_u32_e32 0, v0
	s_xor_b32 s5, exec_lo, s5
	s_cbranch_execz .LBB17_258
; %bb.257:
	v_dual_mov_b32 v0, 0 :: v_dual_mov_b32 v1, s4
	ds_min_i32 v0, v1 offset:4108
.LBB17_258:
	s_or_b32 exec_lo, exec_lo, s3
	s_waitcnt lgkmcnt(0)
	s_barrier
	buffer_gl0_inv
	s_and_saveexec_b32 s3, s0
	s_cbranch_execz .LBB17_260
; %bb.259:
	s_mul_i32 s0, s52, s49
	s_xor_b32 s4, s48, s53
	s_sub_i32 s0, s47, s0
	s_add_i32 s5, s52, 1
	s_sub_i32 s6, s0, s49
	s_cmp_ge_u32 s0, s49
	v_mov_b32_e32 v2, 0
	s_cselect_b32 s5, s5, s52
	s_cselect_b32 s0, s6, s0
	s_add_i32 s6, s5, 1
	s_cmp_ge_u32 s0, s49
	s_mul_i32 s0, s50, s46
	s_cselect_b32 s5, s6, s5
	s_sub_i32 s0, s47, s0
	s_xor_b32 s5, s5, s4
	s_xor_b32 s6, s48, s51
	s_sub_i32 s4, s5, s4
	s_add_i32 s7, s50, 1
	s_mul_i32 s5, s4, s38
	s_mul_i32 s4, s4, s42
	s_sub_i32 s5, s29, s5
	s_sub_i32 s8, s0, s46
	s_mul_i32 s5, s5, s43
	ds_load_b32 v0, v2 offset:4108
	s_add_i32 s4, s4, s5
	s_cmp_ge_u32 s0, s46
	s_cselect_b32 s5, s7, s50
	s_cselect_b32 s0, s8, s0
	s_add_i32 s7, s5, 1
	s_cmp_ge_u32 s0, s46
	s_cselect_b32 s0, s7, s5
	s_ashr_i32 s5, s4, 31
	s_xor_b32 s0, s0, s6
	s_lshl_b64 s[4:5], s[4:5], 2
	s_sub_i32 s0, s0, s6
	s_delay_alu instid0(SALU_CYCLE_1) | instskip(SKIP_2) | instid1(SALU_CYCLE_1)
	s_mul_i32 s6, s0, s33
	s_mul_i32 s0, s0, s40
	s_sub_i32 s6, s29, s6
	s_mul_i32 s6, s6, s41
	s_waitcnt lgkmcnt(0)
	v_ashrrev_i32_e32 v1, 31, v0
	s_add_i32 s6, s0, s6
	s_add_u32 s4, s34, s4
	s_addc_u32 s5, s35, s5
	s_ashr_i32 s7, s6, 31
	s_delay_alu instid0(SALU_CYCLE_1) | instskip(NEXT) | instid1(SALU_CYCLE_1)
	s_lshl_b64 s[6:7], s[6:7], 3
	s_add_u32 s6, s30, s6
	s_addc_u32 s7, s31, s7
	s_clause 0x1
	global_store_b64 v2, v[0:1], s[6:7]
	global_store_b32 v2, v15, s[4:5]
.LBB17_260:
	s_or_b32 exec_lo, exec_lo, s3
.LBB17_261:
	s_or_saveexec_b32 s0, s2
	s_mov_b32 s2, 0
	s_xor_b32 exec_lo, exec_lo, s0
	s_cbranch_execnz .LBB17_269
.LBB17_262:
	s_or_b32 exec_lo, exec_lo, s0
	s_delay_alu instid0(SALU_CYCLE_1)
	s_and_b32 s2, s2, exec_lo
.LBB17_263:
	s_and_not1_saveexec_b32 s0, s1
	s_cbranch_execnz .LBB17_267
; %bb.264:
	s_or_b32 exec_lo, exec_lo, s0
	s_and_saveexec_b32 s0, s2
.LBB17_265:
	; divergent unreachable
.LBB17_266:
	s_nop 0
	s_sendmsg sendmsg(MSG_DEALLOC_VGPRS)
	s_endpgm
.LBB17_267:
	s_cbranch_execnz .LBB17_271
; %bb.268:
	s_or_b32 s2, s2, exec_lo
	s_or_b32 exec_lo, exec_lo, s0
	s_and_saveexec_b32 s0, s2
	s_cbranch_execnz .LBB17_265
	s_branch .LBB17_266
.LBB17_269:
	s_cbranch_execnz .LBB17_273
; %bb.270:
	s_mov_b32 s2, exec_lo
	s_branch .LBB17_262
.LBB17_271:
	s_trap 2
	s_sendmsg_rtn_b32 s0, sendmsg(MSG_RTN_GET_DOORBELL)
	s_mov_b32 ttmp2, m0
	s_waitcnt lgkmcnt(0)
	s_and_b32 s0, s0, 0x3ff
	s_delay_alu instid0(SALU_CYCLE_1) | instskip(NEXT) | instid1(SALU_CYCLE_1)
	s_bitset1_b32 s0, 10
	s_mov_b32 m0, s0
	s_sendmsg sendmsg(MSG_INTERRUPT)
	s_mov_b32 m0, ttmp2
.LBB17_272:                             ; =>This Inner Loop Header: Depth=1
	s_sethalt 5
	s_branch .LBB17_272
.LBB17_273:
	s_trap 2
	s_sendmsg_rtn_b32 s0, sendmsg(MSG_RTN_GET_DOORBELL)
	s_mov_b32 ttmp2, m0
	s_waitcnt lgkmcnt(0)
	s_and_b32 s0, s0, 0x3ff
	s_delay_alu instid0(SALU_CYCLE_1) | instskip(NEXT) | instid1(SALU_CYCLE_1)
	s_bitset1_b32 s0, 10
	s_mov_b32 m0, s0
	s_sendmsg sendmsg(MSG_INTERRUPT)
	s_mov_b32 m0, ttmp2
.LBB17_274:                             ; =>This Inner Loop Header: Depth=1
	s_sethalt 5
	s_branch .LBB17_274
	.section	.rodata,"a",@progbits
	.p2align	6, 0x0
	.amdhsa_kernel _ZN2at6native12_GLOBAL__N_114gatherKthValueIiiLi2EEEvNS_4cuda6detail10TensorInfoIKT_T0_EES8_S8_S8_S8_NS5_IS6_S8_EENS5_IlS8_EE
		.amdhsa_group_segment_fixed_size 4112
		.amdhsa_private_segment_fixed_size 0
		.amdhsa_kernarg_size 920
		.amdhsa_user_sgpr_count 13
		.amdhsa_user_sgpr_dispatch_ptr 0
		.amdhsa_user_sgpr_queue_ptr 0
		.amdhsa_user_sgpr_kernarg_segment_ptr 1
		.amdhsa_user_sgpr_dispatch_id 0
		.amdhsa_user_sgpr_private_segment_size 0
		.amdhsa_wavefront_size32 1
		.amdhsa_uses_dynamic_stack 0
		.amdhsa_enable_private_segment 0
		.amdhsa_system_sgpr_workgroup_id_x 1
		.amdhsa_system_sgpr_workgroup_id_y 1
		.amdhsa_system_sgpr_workgroup_id_z 1
		.amdhsa_system_sgpr_workgroup_info 0
		.amdhsa_system_vgpr_workitem_id 0
		.amdhsa_next_free_vgpr 40
		.amdhsa_next_free_sgpr 93
		.amdhsa_reserve_vcc 1
		.amdhsa_float_round_mode_32 0
		.amdhsa_float_round_mode_16_64 0
		.amdhsa_float_denorm_mode_32 3
		.amdhsa_float_denorm_mode_16_64 3
		.amdhsa_dx10_clamp 1
		.amdhsa_ieee_mode 1
		.amdhsa_fp16_overflow 0
		.amdhsa_workgroup_processor_mode 1
		.amdhsa_memory_ordered 1
		.amdhsa_forward_progress 0
		.amdhsa_shared_vgpr_count 0
		.amdhsa_exception_fp_ieee_invalid_op 0
		.amdhsa_exception_fp_denorm_src 0
		.amdhsa_exception_fp_ieee_div_zero 0
		.amdhsa_exception_fp_ieee_overflow 0
		.amdhsa_exception_fp_ieee_underflow 0
		.amdhsa_exception_fp_ieee_inexact 0
		.amdhsa_exception_int_div_zero 0
	.end_amdhsa_kernel
	.section	.text._ZN2at6native12_GLOBAL__N_114gatherKthValueIiiLi2EEEvNS_4cuda6detail10TensorInfoIKT_T0_EES8_S8_S8_S8_NS5_IS6_S8_EENS5_IlS8_EE,"axG",@progbits,_ZN2at6native12_GLOBAL__N_114gatherKthValueIiiLi2EEEvNS_4cuda6detail10TensorInfoIKT_T0_EES8_S8_S8_S8_NS5_IS6_S8_EENS5_IlS8_EE,comdat
.Lfunc_end17:
	.size	_ZN2at6native12_GLOBAL__N_114gatherKthValueIiiLi2EEEvNS_4cuda6detail10TensorInfoIKT_T0_EES8_S8_S8_S8_NS5_IS6_S8_EENS5_IlS8_EE, .Lfunc_end17-_ZN2at6native12_GLOBAL__N_114gatherKthValueIiiLi2EEEvNS_4cuda6detail10TensorInfoIKT_T0_EES8_S8_S8_S8_NS5_IS6_S8_EENS5_IlS8_EE
                                        ; -- End function
	.section	.AMDGPU.csdata,"",@progbits
; Kernel info:
; codeLenInByte = 10056
; NumSgprs: 95
; NumVgprs: 40
; ScratchSize: 0
; MemoryBound: 0
; FloatMode: 240
; IeeeMode: 1
; LDSByteSize: 4112 bytes/workgroup (compile time only)
; SGPRBlocks: 11
; VGPRBlocks: 4
; NumSGPRsForWavesPerEU: 95
; NumVGPRsForWavesPerEU: 40
; Occupancy: 16
; WaveLimiterHint : 1
; COMPUTE_PGM_RSRC2:SCRATCH_EN: 0
; COMPUTE_PGM_RSRC2:USER_SGPR: 13
; COMPUTE_PGM_RSRC2:TRAP_HANDLER: 0
; COMPUTE_PGM_RSRC2:TGID_X_EN: 1
; COMPUTE_PGM_RSRC2:TGID_Y_EN: 1
; COMPUTE_PGM_RSRC2:TGID_Z_EN: 1
; COMPUTE_PGM_RSRC2:TIDIG_COMP_CNT: 0
	.section	.text._ZN2at6native12_GLOBAL__N_114gatherKthValueIiiLi3EEEvNS_4cuda6detail10TensorInfoIKT_T0_EES8_S8_S8_S8_NS5_IS6_S8_EENS5_IlS8_EE,"axG",@progbits,_ZN2at6native12_GLOBAL__N_114gatherKthValueIiiLi3EEEvNS_4cuda6detail10TensorInfoIKT_T0_EES8_S8_S8_S8_NS5_IS6_S8_EENS5_IlS8_EE,comdat
	.globl	_ZN2at6native12_GLOBAL__N_114gatherKthValueIiiLi3EEEvNS_4cuda6detail10TensorInfoIKT_T0_EES8_S8_S8_S8_NS5_IS6_S8_EENS5_IlS8_EE ; -- Begin function _ZN2at6native12_GLOBAL__N_114gatherKthValueIiiLi3EEEvNS_4cuda6detail10TensorInfoIKT_T0_EES8_S8_S8_S8_NS5_IS6_S8_EENS5_IlS8_EE
	.p2align	8
	.type	_ZN2at6native12_GLOBAL__N_114gatherKthValueIiiLi3EEEvNS_4cuda6detail10TensorInfoIKT_T0_EES8_S8_S8_S8_NS5_IS6_S8_EENS5_IlS8_EE,@function
_ZN2at6native12_GLOBAL__N_114gatherKthValueIiiLi3EEEvNS_4cuda6detail10TensorInfoIKT_T0_EES8_S8_S8_S8_NS5_IS6_S8_EENS5_IlS8_EE: ; @_ZN2at6native12_GLOBAL__N_114gatherKthValueIiiLi3EEEvNS_4cuda6detail10TensorInfoIKT_T0_EES8_S8_S8_S8_NS5_IS6_S8_EENS5_IlS8_EE
; %bb.0:
	s_clause 0x1
	s_load_b64 s[8:9], s[0:1], 0x298
	s_load_b128 s[44:47], s[0:1], 0xd8
	s_add_u32 s2, s0, 0x298
	s_addc_u32 s3, s1, 0
	s_waitcnt lgkmcnt(0)
	s_mul_i32 s4, s9, s15
	s_delay_alu instid0(SALU_CYCLE_1) | instskip(NEXT) | instid1(SALU_CYCLE_1)
	s_add_i32 s4, s4, s14
	s_mul_i32 s29, s4, s8
	s_delay_alu instid0(SALU_CYCLE_1) | instskip(NEXT) | instid1(SALU_CYCLE_1)
	s_add_i32 s29, s29, s13
	s_cmp_ge_i32 s29, s46
	s_cbranch_scc1 .LBB18_266
; %bb.1:
	s_clause 0x3
	s_load_b64 s[10:11], s[0:1], 0xc
	s_load_b64 s[30:31], s[0:1], 0xf4
	;; [unrolled: 1-line block ×4, first 2 shown]
	s_abs_i32 s14, s29
	s_mov_b32 s65, 0
	s_waitcnt lgkmcnt(0)
	s_ashr_i32 s4, s11, 31
	s_delay_alu instid0(SALU_CYCLE_1) | instskip(NEXT) | instid1(SALU_CYCLE_1)
	s_add_i32 s5, s11, s4
	s_xor_b32 s5, s5, s4
	s_delay_alu instid0(SALU_CYCLE_1) | instskip(SKIP_1) | instid1(VALU_DEP_1)
	v_cvt_f32_u32_e32 v1, s5
	s_sub_i32 s7, 0, s5
	v_rcp_iflag_f32_e32 v1, v1
	s_waitcnt_depctr 0xfff
	v_mul_f32_e32 v1, 0x4f7ffffe, v1
	s_delay_alu instid0(VALU_DEP_1) | instskip(NEXT) | instid1(VALU_DEP_1)
	v_cvt_u32_f32_e32 v1, v1
	v_readfirstlane_b32 s6, v1
	s_delay_alu instid0(VALU_DEP_1) | instskip(NEXT) | instid1(SALU_CYCLE_1)
	s_mul_i32 s7, s7, s6
	s_mul_hi_u32 s7, s6, s7
	s_delay_alu instid0(SALU_CYCLE_1)
	s_add_i32 s6, s6, s7
	s_ashr_i32 s7, s29, 31
	s_mul_hi_u32 s6, s14, s6
	s_xor_b32 s4, s7, s4
	s_mul_i32 s9, s6, s5
	s_add_i32 s12, s6, 1
	s_sub_i32 s9, s14, s9
	s_delay_alu instid0(SALU_CYCLE_1)
	s_sub_i32 s15, s9, s5
	s_cmp_ge_u32 s9, s5
	s_cselect_b32 s6, s12, s6
	s_cselect_b32 s9, s15, s9
	s_add_i32 s12, s6, 1
	s_cmp_ge_u32 s9, s5
	s_cselect_b32 s5, s12, s6
	s_ashr_i32 s6, s31, 31
	s_abs_i32 s12, s10
	s_add_i32 s9, s31, s6
	v_cvt_f32_u32_e32 v2, s12
	s_xor_b32 s15, s9, s6
	s_xor_b32 s5, s5, s4
	v_cvt_f32_u32_e32 v1, s15
	s_sub_i32 s9, s5, s4
	v_rcp_iflag_f32_e32 v2, v2
	s_xor_b32 s5, s7, s6
	s_sub_i32 s6, 0, s15
	v_rcp_iflag_f32_e32 v1, v1
	s_sub_i32 s19, 0, s12
	s_ashr_i32 s16, s10, 31
	s_ashr_i32 s17, s9, 31
	s_abs_i32 s18, s9
	s_waitcnt_depctr 0xfff
	v_dual_mul_f32 v2, 0x4f7ffffe, v2 :: v_dual_mul_f32 v1, 0x4f7ffffe, v1
	s_delay_alu instid0(VALU_DEP_1) | instskip(NEXT) | instid1(VALU_DEP_2)
	v_cvt_u32_f32_e32 v2, v2
	v_cvt_u32_f32_e32 v1, v1
	s_delay_alu instid0(VALU_DEP_2) | instskip(NEXT) | instid1(VALU_DEP_2)
	v_readfirstlane_b32 s20, v2
	v_readfirstlane_b32 s4, v1
	s_delay_alu instid0(VALU_DEP_2) | instskip(NEXT) | instid1(VALU_DEP_1)
	s_mul_i32 s19, s19, s20
	s_mul_i32 s6, s6, s4
	s_delay_alu instid0(SALU_CYCLE_1) | instskip(NEXT) | instid1(SALU_CYCLE_1)
	s_mul_hi_u32 s6, s4, s6
	s_add_i32 s4, s4, s6
	s_mul_hi_u32 s6, s20, s19
	s_mul_hi_u32 s4, s14, s4
	s_add_i32 s20, s20, s6
	s_mul_i32 s19, s4, s15
	s_delay_alu instid0(SALU_CYCLE_1)
	s_sub_i32 s6, s14, s19
	s_add_i32 s19, s4, 1
	s_sub_i32 s21, s6, s15
	s_cmp_ge_u32 s6, s15
	s_cselect_b32 s4, s19, s4
	s_cselect_b32 s6, s21, s6
	s_add_i32 s19, s4, 1
	s_cmp_ge_u32 s6, s15
	s_cselect_b32 s4, s19, s4
	s_ashr_i32 s6, s35, 31
	s_abs_i32 s54, s30
	s_add_i32 s15, s35, s6
	v_cvt_f32_u32_e32 v2, s54
	s_xor_b32 s15, s15, s6
	s_xor_b32 s22, s7, s6
	v_cvt_f32_u32_e32 v1, s15
	s_sub_i32 s6, 0, s15
	v_rcp_iflag_f32_e32 v2, v2
	s_xor_b32 s4, s4, s5
	s_sub_i32 s21, 0, s54
	v_rcp_iflag_f32_e32 v1, v1
	s_sub_i32 s46, s4, s5
	s_delay_alu instid0(SALU_CYCLE_1) | instskip(SKIP_2) | instid1(VALU_DEP_1)
	s_abs_i32 s55, s46
	s_waitcnt_depctr 0xfff
	v_dual_mul_f32 v2, 0x4f7ffffe, v2 :: v_dual_mul_f32 v1, 0x4f7ffffe, v1
	v_cvt_u32_f32_e32 v2, v2
	s_delay_alu instid0(VALU_DEP_2) | instskip(NEXT) | instid1(VALU_DEP_2)
	v_cvt_u32_f32_e32 v1, v1
	v_readfirstlane_b32 s7, v2
	s_delay_alu instid0(VALU_DEP_2) | instskip(NEXT) | instid1(VALU_DEP_2)
	v_readfirstlane_b32 s19, v1
	s_mul_i32 s21, s21, s7
	s_delay_alu instid0(SALU_CYCLE_1) | instskip(NEXT) | instid1(VALU_DEP_1)
	s_mul_hi_u32 s5, s7, s21
	s_mul_i32 s6, s6, s19
	s_delay_alu instid0(SALU_CYCLE_1) | instskip(NEXT) | instid1(SALU_CYCLE_1)
	s_mul_hi_u32 s4, s19, s6
	s_add_i32 s19, s19, s4
	s_delay_alu instid0(SALU_CYCLE_1)
	s_mul_hi_u32 s4, s14, s19
	s_add_i32 s19, s7, s5
	s_mul_i32 s6, s4, s15
	s_mul_hi_u32 s59, s55, s19
	s_sub_i32 s5, s14, s6
	s_add_i32 s6, s4, 1
	s_sub_i32 s7, s5, s15
	s_cmp_ge_u32 s5, s15
	s_cselect_b32 s4, s6, s4
	s_cselect_b32 s5, s7, s5
	s_add_i32 s6, s4, 1
	s_cmp_ge_u32 s5, s15
	s_clause 0x1
	s_load_b128 s[40:43], s[0:1], 0x154
	s_load_b64 s[14:15], s[0:1], 0x0
	s_cselect_b32 s21, s6, s4
	s_abs_i32 s33, s34
	s_clause 0x2
	s_load_b128 s[36:39], s[0:1], 0x22c
	s_load_b64 s[50:51], s[0:1], 0xe8
	s_load_b128 s[4:7], s[0:1], 0x6c
	v_cvt_f32_u32_e32 v1, s33
	s_mul_hi_u32 s1, s18, s20
	s_sub_i32 s20, 0, s33
	s_xor_b32 s0, s21, s22
	s_delay_alu instid0(VALU_DEP_1)
	v_rcp_iflag_f32_e32 v1, v1
	s_waitcnt lgkmcnt(0)
	s_sub_i32 s39, s0, s22
	v_cmp_eq_u32_e64 s0, 0, v0
	s_abs_i32 s56, s39
	s_waitcnt_depctr 0xfff
	v_mul_f32_e32 v1, 0x4f7ffffe, v1
	s_delay_alu instid0(VALU_DEP_1) | instskip(NEXT) | instid1(VALU_DEP_1)
	v_cvt_u32_f32_e32 v1, v1
	v_readfirstlane_b32 s7, v1
	s_delay_alu instid0(VALU_DEP_1) | instskip(NEXT) | instid1(SALU_CYCLE_1)
	s_mul_i32 s20, s20, s7
	s_mul_hi_u32 s20, s7, s20
	s_delay_alu instid0(SALU_CYCLE_1) | instskip(NEXT) | instid1(SALU_CYCLE_1)
	s_add_i32 s7, s7, s20
	s_mul_hi_u32 s43, s56, s7
	s_and_saveexec_b32 s7, s0
	s_cbranch_execz .LBB18_3
; %bb.2:
	v_dual_mov_b32 v1, 0 :: v_dual_mov_b32 v2, s44
	s_delay_alu instid0(VALU_DEP_1)
	v_mov_b32_e32 v3, v1
	ds_store_b96 v1, v[1:3] offset:4096
.LBB18_3:
	s_or_b32 exec_lo, exec_lo, s7
	s_mul_i32 s7, s9, s11
	s_mul_i32 s11, s1, s12
	s_ashr_i32 s60, s46, 31
	s_sub_i32 s11, s18, s11
	s_ashr_i32 s61, s30, 31
	s_ashr_i32 s57, s39, 31
	;; [unrolled: 1-line block ×3, first 2 shown]
	s_sub_i32 s7, s29, s7
	s_xor_b32 s16, s17, s16
	s_add_i32 s17, s1, 1
	s_sub_i32 s18, s11, s12
	s_cmp_ge_u32 s11, s12
	s_waitcnt lgkmcnt(0)
	s_cselect_b32 s1, s17, s1
	s_cselect_b32 s11, s18, s11
	s_add_i32 s17, s1, 1
	s_cmp_ge_u32 s11, s12
	s_barrier
	s_cselect_b32 s1, s17, s1
	buffer_gl0_inv
	s_load_b32 s11, s[2:3], 0xc
	s_xor_b32 s1, s1, s16
	s_mul_i32 s7, s7, s6
	s_sub_i32 s1, s1, s16
	v_mbcnt_lo_u32_b32 v18, -1, 0
	s_mul_i32 s10, s1, s10
	s_mul_i32 s1, s1, s4
	s_sub_i32 s9, s9, s10
	v_cmp_gt_u32_e32 vcc_lo, 32, v0
	s_mul_i32 s5, s9, s5
	v_lshlrev_b32_e32 v19, 2, v0
	s_add_i32 s5, s5, s7
	v_mov_b32_e32 v7, 0
	s_add_i32 s4, s5, s1
	v_cmp_gt_i32_e64 s1, 4, v18
	v_add_nc_u32_e32 v20, 0xc00, v19
	s_ashr_i32 s5, s4, 31
	v_mul_lo_u32 v5, v0, s47
	s_lshl_b64 s[4:5], s[4:5], 2
	s_mov_b32 s10, s47
	s_add_u32 s62, s14, s4
	s_addc_u32 s63, s15, s5
	s_waitcnt lgkmcnt(0)
	s_and_b32 s64, s11, 0xffff
	s_bfe_u32 s4, s11, 0xb0005
	s_lshl_b32 s66, s64, 2
	s_add_i32 s68, s64, -1
	v_cvt_f32_u32_e32 v1, s66
	s_and_b32 s69, vcc_lo, s1
	s_add_i32 s79, s68, s44
	s_cmpk_gt_i32 s44, 0x300
	v_mad_u64_u32 v[12:13], null, s47, v19, s[10:11]
	v_rcp_iflag_f32_e32 v1, v1
	s_cselect_b32 s70, -1, 0
	s_cmp_gt_u32 s64, 31
	v_mov_b32_e32 v6, v7
	s_cselect_b32 s71, -1, 0
	s_cmp_lt_u32 s13, s8
	v_dual_mov_b32 v15, 0 :: v_dual_lshlrev_b32 v28, 4, v0
	s_cselect_b32 s1, 12, 18
	v_lshl_or_b32 v29, v18, 2, 0xc00
	s_waitcnt_depctr 0xfff
	v_mul_f32_e32 v1, 0x4f7ffffe, v1
	s_add_u32 s52, s2, s1
	s_addc_u32 s53, s3, 0
	s_add_i32 s1, s4, -1
	s_bfe_u32 s72, s64, 0x30005
	v_cvt_u32_f32_e32 v1, v1
	s_cmp_gt_u32 s1, 6
	s_mul_i32 s67, s47, s64
	s_cselect_b32 s73, -1, 0
	s_and_b32 s74, s4, 0x7f8
	v_readfirstlane_b32 s2, v1
	s_cmp_lg_u32 s72, 0
	v_cvt_f32_u32_e32 v1, s64
	s_cselect_b32 s75, -1, 0
	s_sub_i32 s1, 0, s66
	v_lshlrev_b32_e32 v26, 2, v5
	s_mul_i32 s1, s1, s2
	v_rcp_iflag_f32_e32 v3, v1
	s_mul_hi_u32 s3, s2, s1
	v_lshlrev_b64 v[1:2], 2, v[5:6]
	s_add_i32 s76, s2, s3
	v_cmp_eq_u32_e64 s1, 0, v18
	s_mul_hi_u32 s3, s44, s76
	v_cmp_gt_u32_e64 s2, 2, v0
	s_mul_i32 s3, s3, s66
	v_add_co_u32 v8, vcc_lo, s62, v1
	s_sub_i32 s3, s44, s3
	s_waitcnt_depctr 0xfff
	v_mul_f32_e32 v3, 0x4f7ffffe, v3
	s_sub_i32 s4, s3, s66
	s_cmp_ge_u32 s3, s66
	v_add_co_ci_u32_e32 v9, vcc_lo, s63, v2, vcc_lo
	s_cselect_b32 s4, s4, s3
	v_cvt_u32_f32_e32 v3, v3
	s_sub_i32 s5, s4, s66
	s_cmp_ge_u32 s4, s66
	v_lshrrev_b32_e32 v2, 3, v0
	s_cselect_b32 s9, s5, s4
	v_readfirstlane_b32 s5, v3
	s_sub_i32 s77, s44, s9
	s_sub_i32 s6, 0, s64
	v_add_nc_u32_e32 v21, s77, v0
	s_abs_i32 s7, s79
	s_mul_i32 s6, s6, s5
	v_dual_mov_b32 v13, 1 :: v_dual_and_b32 v22, 0x7c, v2
	s_delay_alu instid0(VALU_DEP_2)
	v_mul_lo_u32 v1, v21, s47
	s_mul_hi_u32 s6, s5, s6
	v_lshlrev_b64 v[3:4], v18, -1
	s_add_i32 s78, s5, s6
	v_cmp_gt_u32_e64 s3, s44, v0
	s_mul_hi_u32 s5, s7, s78
	v_cmp_gt_i32_e64 s4, s44, v0
	s_mul_i32 s5, s5, s64
	v_ashrrev_i32_e32 v2, 31, v1
	s_sub_i32 s5, s7, s5
	s_ashr_i32 s7, s79, 31
	s_sub_i32 s6, s5, s64
	s_cmp_ge_u32 s5, s64
	v_lshlrev_b64 v[1:2], 2, v[1:2]
	s_cselect_b32 s5, s6, s5
	v_not_b32_e32 v23, v3
	s_sub_i32 s6, s5, s64
	s_cmp_ge_u32 s5, s64
	v_or_b32_e32 v3, 3, v19
	v_add_co_u32 v10, vcc_lo, s62, v1
	v_add3_u32 v1, s64, s44, v0
	s_cselect_b32 s6, s6, s5
	v_add_co_ci_u32_e32 v11, vcc_lo, s63, v2, vcc_lo
	v_or_b32_e32 v2, 2, v19
	s_delay_alu instid0(VALU_DEP_3)
	v_subrev_nc_u32_e32 v1, s9, v1
	s_xor_b32 s8, s6, s7
	v_mul_lo_u32 v25, s47, v3
	s_sub_i32 s7, s7, s8
	v_mul_lo_u32 v24, s47, v2
	v_mul_lo_u32 v27, s47, v1
	s_add_i32 s79, s79, s7
	v_cmp_gt_i32_e64 s5, s77, v19
	v_cmp_gt_u32_e64 s6, s44, v21
	v_cmp_gt_i32_e64 s7, s44, v21
	v_cmp_gt_i32_e64 s8, s79, v0
	s_lshl_b32 s80, s67, 2
	s_lshl_b32 s81, s64, 4
	s_mov_b32 s85, 30
	s_mov_b32 s88, 0
	;; [unrolled: 1-line block ×4, first 2 shown]
                                        ; implicit-def: $sgpr82
                                        ; implicit-def: $sgpr84
                                        ; implicit-def: $sgpr83
                                        ; implicit-def: $sgpr87
                                        ; implicit-def: $sgpr89
                                        ; implicit-def: $sgpr86
	s_branch .LBB18_8
.LBB18_4:                               ;   in Loop: Header=BB18_8 Depth=1
	s_xor_b32 s88, s88, 1
	s_add_i32 s13, s85, -2
	s_cmp_eq_u32 s85, 0
	s_mov_b32 s9, 0
	s_cselect_b32 s11, -1, 0
	s_mov_b32 s85, s13
.LBB18_5:                               ;   in Loop: Header=BB18_8 Depth=1
	s_and_not1_b32 s13, s15, exec_lo
	s_and_b32 s9, s9, exec_lo
	s_and_not1_b32 s17, s17, exec_lo
	s_or_b32 s15, s13, s9
	s_and_not1_b32 s14, s14, exec_lo
	s_or_not1_b32 s13, s11, exec_lo
	s_mov_b32 s45, s22
.LBB18_6:                               ;   in Loop: Header=BB18_8 Depth=1
	s_or_b32 exec_lo, exec_lo, s10
	s_delay_alu instid0(SALU_CYCLE_1)
	s_and_not1_b32 s9, s86, exec_lo
	s_and_b32 s10, s15, exec_lo
	s_and_not1_b32 s11, s87, exec_lo
	s_or_b32 s86, s9, s10
	s_and_not1_b32 s9, s89, exec_lo
	s_and_b32 s10, s17, exec_lo
	s_and_b32 s14, s14, exec_lo
	s_or_b32 s89, s9, s10
	s_or_b32 s87, s11, s14
	s_or_not1_b32 s14, s13, exec_lo
.LBB18_7:                               ;   in Loop: Header=BB18_8 Depth=1
	s_or_b32 exec_lo, exec_lo, s12
	s_delay_alu instid0(SALU_CYCLE_1)
	s_and_b32 s9, exec_lo, s14
	v_mov_b32_e32 v1, s90
	s_or_b32 s65, s9, s65
	s_and_not1_b32 s9, s83, exec_lo
	s_and_b32 s10, s86, exec_lo
	s_and_not1_b32 s11, s82, exec_lo
	s_or_b32 s83, s9, s10
	s_and_not1_b32 s9, s84, exec_lo
	s_and_b32 s10, s89, exec_lo
	s_and_b32 s12, s87, exec_lo
	s_or_b32 s84, s9, s10
	s_or_b32 s82, s11, s12
	s_and_not1_b32 exec_lo, exec_lo, s65
	s_cbranch_execz .LBB18_242
.LBB18_8:                               ; =>This Loop Header: Depth=1
                                        ;     Child Loop BB18_16 Depth 2
                                        ;     Child Loop BB18_35 Depth 2
	;; [unrolled: 1-line block ×16, first 2 shown]
	ds_load_b64 v[1:2], v7 offset:4096
	s_waitcnt lgkmcnt(0)
	v_readfirstlane_b32 s92, v1
	s_delay_alu instid0(VALU_DEP_1)
	s_cmp_gt_i32 s92, 0
	s_cbranch_scc1 .LBB18_42
; %bb.9:                                ;   in Loop: Header=BB18_8 Depth=1
	s_and_b32 vcc_lo, exec_lo, s70
	s_cbranch_vccz .LBB18_24
; %bb.10:                               ;   in Loop: Header=BB18_8 Depth=1
	v_cmp_gt_i32_e32 vcc_lo, 0x301, v2
	s_mov_b32 s10, 0
	s_mov_b32 s9, 0
	s_cbranch_vccz .LBB18_29
; %bb.11:                               ;   in Loop: Header=BB18_8 Depth=1
	v_mov_b32_e32 v1, 0
	s_and_saveexec_b32 s9, s3
	s_cbranch_execz .LBB18_13
; %bb.12:                               ;   in Loop: Header=BB18_8 Depth=1
	global_load_b32 v1, v[8:9], off
.LBB18_13:                              ;   in Loop: Header=BB18_8 Depth=1
	s_or_b32 exec_lo, exec_lo, s9
	s_and_saveexec_b32 s11, s3
	s_cbranch_execz .LBB18_25
; %bb.14:                               ;   in Loop: Header=BB18_8 Depth=1
	global_load_u16 v2, v7, s[52:53]
	v_mov_b32_e32 v4, v0
	s_mov_b32 s12, 0
	s_waitcnt vmcnt(0)
	v_add_nc_u32_e32 v3, v0, v2
	s_delay_alu instid0(VALU_DEP_1)
	v_mul_lo_u32 v6, s47, v3
	v_mul_lo_u32 v3, s47, v2
	s_branch .LBB18_16
.LBB18_15:                              ;   in Loop: Header=BB18_16 Depth=2
	s_or_b32 exec_lo, exec_lo, s9
	v_cmp_le_i32_e32 vcc_lo, s44, v4
	v_add_nc_u32_e32 v6, v6, v3
	s_waitcnt vmcnt(0)
	v_mov_b32_e32 v1, v14
	s_or_b32 s12, vcc_lo, s12
	s_delay_alu instid0(SALU_CYCLE_1)
	s_and_not1_b32 exec_lo, exec_lo, s12
	s_cbranch_execz .LBB18_25
.LBB18_16:                              ;   Parent Loop BB18_8 Depth=1
                                        ; =>  This Inner Loop Header: Depth=2
	v_add_nc_u32_e32 v4, v4, v2
	s_waitcnt lgkmcnt(0)
	v_mov_b32_e32 v16, 0
	v_mov_b32_e32 v14, 0
	s_mov_b32 s9, exec_lo
	v_cmpx_gt_u32_e64 s44, v4
	s_cbranch_execz .LBB18_18
; %bb.17:                               ;   in Loop: Header=BB18_16 Depth=2
	v_lshlrev_b64 v[30:31], 2, v[6:7]
	s_delay_alu instid0(VALU_DEP_1) | instskip(NEXT) | instid1(VALU_DEP_2)
	v_add_co_u32 v30, vcc_lo, s62, v30
	v_add_co_ci_u32_e32 v31, vcc_lo, s63, v31, vcc_lo
	global_load_b32 v14, v[30:31], off
.LBB18_18:                              ;   in Loop: Header=BB18_16 Depth=2
	s_or_b32 exec_lo, exec_lo, s9
	v_xor_b32_e32 v17, 0x80000000, v1
	s_delay_alu instid0(VALU_DEP_1) | instskip(NEXT) | instid1(VALU_DEP_1)
	v_and_b32_e32 v17, s91, v17
	v_cmp_eq_u32_e32 vcc_lo, s90, v17
	s_cmp_lg_u32 vcc_lo, 0
	s_cselect_b32 s9, -1, 0
	s_delay_alu instid0(SALU_CYCLE_1) | instskip(NEXT) | instid1(SALU_CYCLE_1)
	s_and_b32 s9, s1, s9
	s_and_saveexec_b32 s13, s9
	s_cbranch_execz .LBB18_22
; %bb.19:                               ;   in Loop: Header=BB18_16 Depth=2
	s_mov_b32 s16, exec_lo
	s_bcnt1_i32_b32 s14, vcc_lo
	v_mbcnt_lo_u32_b32 v16, s16, 0
	s_mov_b32 s15, exec_lo
                                        ; implicit-def: $vgpr17
	s_delay_alu instid0(VALU_DEP_1)
	v_cmpx_eq_u32_e32 0, v16
	s_cbranch_execz .LBB18_21
; %bb.20:                               ;   in Loop: Header=BB18_16 Depth=2
	s_bcnt1_i32_b32 s9, s16
	s_delay_alu instid0(SALU_CYCLE_1) | instskip(NEXT) | instid1(SALU_CYCLE_1)
	s_mul_i32 s9, s14, s9
	v_mov_b32_e32 v17, s9
	ds_add_rtn_u32 v17, v7, v17 offset:4104
.LBB18_21:                              ;   in Loop: Header=BB18_16 Depth=2
	s_or_b32 exec_lo, exec_lo, s15
	s_waitcnt lgkmcnt(0)
	v_readfirstlane_b32 s9, v17
	s_delay_alu instid0(VALU_DEP_1)
	v_mad_u32_u24 v16, s14, v16, s9
.LBB18_22:                              ;   in Loop: Header=BB18_16 Depth=2
	s_or_b32 exec_lo, exec_lo, s13
	ds_bpermute_b32 v16, v7, v16
	s_and_saveexec_b32 s9, vcc_lo
	s_cbranch_execz .LBB18_15
; %bb.23:                               ;   in Loop: Header=BB18_16 Depth=2
	v_and_b32_e32 v17, vcc_lo, v23
	s_delay_alu instid0(VALU_DEP_1) | instskip(NEXT) | instid1(VALU_DEP_1)
	v_bcnt_u32_b32 v17, v17, 0
	v_lshlrev_b32_e32 v17, 2, v17
	s_waitcnt lgkmcnt(0)
	s_delay_alu instid0(VALU_DEP_1)
	v_lshl_add_u32 v16, v16, 2, v17
	ds_store_b32 v16, v1
	s_branch .LBB18_15
.LBB18_24:                              ;   in Loop: Header=BB18_8 Depth=1
	s_mov_b32 s10, -1
	s_mov_b32 s9, 0
	s_branch .LBB18_28
.LBB18_25:                              ;   in Loop: Header=BB18_8 Depth=1
	s_or_b32 exec_lo, exec_lo, s11
	s_waitcnt vmcnt(0) lgkmcnt(0)
	s_barrier
	buffer_gl0_inv
	s_and_saveexec_b32 s9, s0
	s_cbranch_execz .LBB18_27
; %bb.26:                               ;   in Loop: Header=BB18_8 Depth=1
	ds_load_b32 v1, v7 offset:4104
	s_waitcnt lgkmcnt(0)
	ds_store_b32 v7, v1 offset:4096
.LBB18_27:                              ;   in Loop: Header=BB18_8 Depth=1
	s_or_b32 exec_lo, exec_lo, s9
	s_waitcnt lgkmcnt(0)
	s_mov_b32 s9, -1
	s_barrier
.LBB18_28:                              ;   in Loop: Header=BB18_8 Depth=1
                                        ; implicit-def: $sgpr92
.LBB18_29:                              ;   in Loop: Header=BB18_8 Depth=1
	s_and_b32 vcc_lo, exec_lo, s10
	s_cbranch_vccz .LBB18_40
; %bb.30:                               ;   in Loop: Header=BB18_8 Depth=1
	v_mov_b32_e32 v1, 0
	s_and_saveexec_b32 s9, s3
	s_cbranch_execz .LBB18_32
; %bb.31:                               ;   in Loop: Header=BB18_8 Depth=1
	global_load_b32 v1, v[8:9], off
.LBB18_32:                              ;   in Loop: Header=BB18_8 Depth=1
	s_or_b32 exec_lo, exec_lo, s9
	s_and_saveexec_b32 s9, s4
	s_cbranch_execz .LBB18_37
; %bb.33:                               ;   in Loop: Header=BB18_8 Depth=1
	global_load_u16 v2, v7, s[52:53]
	v_mov_b32_e32 v16, v0
	s_mov_b32 s10, 0
	s_waitcnt vmcnt(0)
	v_dual_mov_b32 v14, v19 :: v_dual_add_nc_u32 v3, v0, v2
	v_lshlrev_b32_e32 v4, 2, v2
	s_delay_alu instid0(VALU_DEP_2)
	v_mul_lo_u32 v6, s47, v3
	v_mul_lo_u32 v3, s47, v2
	s_branch .LBB18_35
	.p2align	6
.LBB18_34:                              ;   in Loop: Header=BB18_35 Depth=2
	s_or_b32 exec_lo, exec_lo, s11
	v_cmp_le_i32_e32 vcc_lo, s44, v16
	ds_store_b32 v14, v1
	s_waitcnt vmcnt(0)
	v_dual_mov_b32 v1, v17 :: v_dual_add_nc_u32 v14, v14, v4
	v_add_nc_u32_e32 v6, v6, v3
	s_or_b32 s10, vcc_lo, s10
	s_delay_alu instid0(SALU_CYCLE_1)
	s_and_not1_b32 exec_lo, exec_lo, s10
	s_cbranch_execz .LBB18_37
.LBB18_35:                              ;   Parent Loop BB18_8 Depth=1
                                        ; =>  This Inner Loop Header: Depth=2
	v_dual_mov_b32 v17, 0 :: v_dual_add_nc_u32 v16, v16, v2
	s_mov_b32 s11, exec_lo
	s_delay_alu instid0(VALU_DEP_1)
	v_cmpx_gt_u32_e64 s44, v16
	s_cbranch_execz .LBB18_34
; %bb.36:                               ;   in Loop: Header=BB18_35 Depth=2
	s_delay_alu instid0(VALU_DEP_3) | instskip(NEXT) | instid1(VALU_DEP_1)
	v_lshlrev_b64 v[30:31], 2, v[6:7]
	v_add_co_u32 v30, vcc_lo, s62, v30
	s_delay_alu instid0(VALU_DEP_2)
	v_add_co_ci_u32_e32 v31, vcc_lo, s63, v31, vcc_lo
	global_load_b32 v17, v[30:31], off
	s_branch .LBB18_34
.LBB18_37:                              ;   in Loop: Header=BB18_8 Depth=1
	s_or_b32 exec_lo, exec_lo, s9
	s_waitcnt vmcnt(0) lgkmcnt(0)
	s_barrier
	buffer_gl0_inv
	s_and_saveexec_b32 s9, s0
	s_cbranch_execz .LBB18_39
; %bb.38:                               ;   in Loop: Header=BB18_8 Depth=1
	v_mov_b32_e32 v1, s44
	ds_store_b32 v7, v1 offset:4096
.LBB18_39:                              ;   in Loop: Header=BB18_8 Depth=1
	s_or_b32 exec_lo, exec_lo, s9
	s_mov_b32 s9, -1
	s_waitcnt lgkmcnt(0)
	s_barrier
                                        ; implicit-def: $sgpr92
.LBB18_40:                              ;   in Loop: Header=BB18_8 Depth=1
	s_and_b32 vcc_lo, exec_lo, s9
	s_cbranch_vccz .LBB18_42
; %bb.41:                               ;   in Loop: Header=BB18_8 Depth=1
	buffer_gl0_inv
	ds_load_b32 v1, v7 offset:4096
	s_waitcnt lgkmcnt(0)
	v_readfirstlane_b32 s92, v1
.LBB18_42:                              ;   in Loop: Header=BB18_8 Depth=1
	s_delay_alu instid0(VALU_DEP_1)
	s_cmp_lt_i32 s92, 1
	s_cbranch_scc0 .LBB18_46
; %bb.43:                               ;   in Loop: Header=BB18_8 Depth=1
	v_dual_mov_b32 v1, 0 :: v_dual_mov_b32 v2, 0
	v_dual_mov_b32 v3, 0 :: v_dual_mov_b32 v4, 0
	s_mov_b32 s94, 0
	s_and_saveexec_b32 s93, s5
	s_cbranch_execnz .LBB18_47
; %bb.44:                               ;   in Loop: Header=BB18_8 Depth=1
	s_or_b32 exec_lo, exec_lo, s93
	v_mov_b32_e32 v14, 0
	s_and_saveexec_b32 s9, s6
	s_cbranch_execnz .LBB18_50
.LBB18_45:                              ;   in Loop: Header=BB18_8 Depth=1
	s_or_b32 exec_lo, exec_lo, s9
	s_and_saveexec_b32 s13, s7
	s_cbranch_execnz .LBB18_51
	s_branch .LBB18_56
.LBB18_46:                              ;   in Loop: Header=BB18_8 Depth=1
                                        ; implicit-def: $vgpr4
	s_cbranch_execnz .LBB18_57
	s_branch .LBB18_66
.LBB18_47:                              ;   in Loop: Header=BB18_8 Depth=1
	v_mov_b32_e32 v6, v19
	s_and_b32 s95, s85, 0xfe
	s_mov_b32 s96, 0
	s_mov_b32 s97, 0
	;; [unrolled: 1-line block ×5, first 2 shown]
.LBB18_48:                              ;   Parent Loop BB18_8 Depth=1
                                        ; =>  This Inner Loop Header: Depth=2
	v_add_nc_u32_e32 v1, s96, v26
	v_add_nc_u32_e32 v3, s96, v12
	;; [unrolled: 1-line block ×5, first 2 shown]
	v_ashrrev_i32_e32 v2, 31, v1
	v_ashrrev_i32_e32 v4, 31, v3
	;; [unrolled: 1-line block ×4, first 2 shown]
	s_add_i32 s96, s96, s80
	v_lshlrev_b64 v[1:2], 2, v[1:2]
	v_lshlrev_b64 v[3:4], 2, v[3:4]
	;; [unrolled: 1-line block ×4, first 2 shown]
	s_delay_alu instid0(VALU_DEP_4)
	v_add_co_u32 v1, vcc_lo, s62, v1
	v_add_co_ci_u32_e32 v2, vcc_lo, s63, v2, vcc_lo
	v_add_co_u32 v3, vcc_lo, s62, v3
	v_add_co_ci_u32_e32 v4, vcc_lo, s63, v4, vcc_lo
	;; [unrolled: 2-line block ×4, first 2 shown]
	s_clause 0x3
	global_load_b32 v1, v[1:2], off
	global_load_b32 v2, v[3:4], off
	;; [unrolled: 1-line block ×4, first 2 shown]
	v_cmp_le_i32_e32 vcc_lo, s77, v6
	s_waitcnt vmcnt(3)
	v_xor_b32_e32 v1, 0x80000000, v1
	s_waitcnt vmcnt(2)
	v_xor_b32_e32 v2, 0x80000000, v2
	s_waitcnt vmcnt(1)
	v_xor_b32_e32 v3, 0x80000000, v3
	s_waitcnt vmcnt(0)
	v_xor_b32_e32 v4, 0x80000000, v4
	v_and_b32_e32 v14, s91, v1
	v_bfe_u32 v1, v1, s95, 2
	v_and_b32_e32 v16, s91, v2
	v_bfe_u32 v2, v2, s95, 2
	;; [unrolled: 2-line block ×3, first 2 shown]
	v_cmp_eq_u32_e64 s9, s90, v14
	v_cmp_eq_u32_e64 s13, 0, v1
	v_and_b32_e32 v30, s91, v4
	v_bfe_u32 v4, v4, s95, 2
	v_cmp_eq_u32_e64 s10, s90, v16
	v_cmp_eq_u32_e64 s14, 0, v2
	;; [unrolled: 1-line block ×4, first 2 shown]
	s_and_b32 s13, s9, s13
	v_cmp_eq_u32_e64 s12, s90, v30
	v_cmp_eq_u32_e64 s16, 0, v4
	;; [unrolled: 1-line block ×5, first 2 shown]
	v_cndmask_b32_e64 v1, 0, 1, s13
	s_and_b32 s13, s10, s14
	v_cmp_eq_u32_e64 s18, 1, v2
	v_cmp_eq_u32_e64 s22, 2, v2
	v_cmp_eq_u32_e64 s26, 3, v2
	v_cndmask_b32_e64 v2, 0, 1, s13
	s_and_b32 s13, s11, s15
	v_cmp_eq_u32_e64 s19, 1, v3
	v_cmp_eq_u32_e64 s23, 2, v3
	v_cmp_eq_u32_e64 s27, 3, v3
	;; [unrolled: 5-line block ×3, first 2 shown]
	v_cndmask_b32_e64 v4, 0, 1, s13
	s_and_b32 s13, s9, s17
	s_delay_alu instid0(SALU_CYCLE_1) | instskip(SKIP_1) | instid1(SALU_CYCLE_1)
	v_cndmask_b32_e64 v14, 0, 1, s13
	s_and_b32 s13, s10, s18
	v_cndmask_b32_e64 v16, 0, 1, s13
	s_and_b32 s13, s11, s19
	s_delay_alu instid0(SALU_CYCLE_1) | instskip(SKIP_1) | instid1(VALU_DEP_2)
	v_cndmask_b32_e64 v17, 0, 1, s13
	s_and_b32 s13, s12, s20
	v_cmp_ne_u32_e64 s14, 0, v16
	v_cndmask_b32_e64 v30, 0, 1, s13
	s_and_b32 s13, s9, s21
	s_and_b32 s9, s9, s25
	v_cndmask_b32_e64 v31, 0, 1, s13
	s_and_b32 s13, s10, s22
	v_cndmask_b32_e64 v35, 0, 1, s9
	;; [unrolled: 2-line block ×7, first 2 shown]
	v_cndmask_b32_e64 v38, 0, 1, s9
	v_cmp_ne_u32_e64 s9, 0, v1
	v_cmp_ne_u32_e64 s13, 0, v14
	;; [unrolled: 1-line block ×11, first 2 shown]
	s_bcnt1_i32_b32 s9, s9
	s_bcnt1_i32_b32 s13, s13
	;; [unrolled: 1-line block ×4, first 2 shown]
	v_cmp_ne_u32_e64 s12, 0, v4
	v_cmp_ne_u32_e64 s16, 0, v30
	;; [unrolled: 1-line block ×4, first 2 shown]
	s_bcnt1_i32_b32 s10, s10
	s_bcnt1_i32_b32 s14, s14
	s_bcnt1_i32_b32 s18, s18
	s_bcnt1_i32_b32 s22, s22
	s_add_i32 s9, s9, s100
	s_add_i32 s13, s13, s99
	s_add_i32 s17, s17, s98
	s_add_i32 s21, s21, s97
	s_bcnt1_i32_b32 s11, s11
	s_bcnt1_i32_b32 s15, s15
	s_bcnt1_i32_b32 s19, s19
	s_bcnt1_i32_b32 s23, s23
	s_add_i32 s9, s9, s10
	s_add_i32 s10, s13, s14
	s_add_i32 s13, s17, s18
	s_add_i32 s14, s21, s22
	;; [unrolled: 8-line block ×3, first 2 shown]
	s_add_i32 s100, s9, s12
	s_add_i32 s99, s10, s16
	;; [unrolled: 1-line block ×4, first 2 shown]
	v_mov_b32_e32 v3, s98
	v_dual_mov_b32 v1, s100 :: v_dual_mov_b32 v2, s99
	v_mov_b32_e32 v4, s97
	s_or_b32 s94, vcc_lo, s94
	s_delay_alu instid0(SALU_CYCLE_1)
	s_and_not1_b32 exec_lo, exec_lo, s94
	s_cbranch_execnz .LBB18_48
; %bb.49:                               ;   in Loop: Header=BB18_8 Depth=1
	s_or_b32 exec_lo, exec_lo, s94
	s_delay_alu instid0(SALU_CYCLE_1)
	s_or_b32 exec_lo, exec_lo, s93
	v_mov_b32_e32 v14, 0
	s_and_saveexec_b32 s9, s6
	s_cbranch_execz .LBB18_45
.LBB18_50:                              ;   in Loop: Header=BB18_8 Depth=1
	global_load_b32 v14, v[10:11], off
	s_or_b32 exec_lo, exec_lo, s9
	s_and_saveexec_b32 s13, s7
	s_cbranch_execz .LBB18_56
.LBB18_51:                              ;   in Loop: Header=BB18_8 Depth=1
	v_mov_b32_e32 v16, v27
	v_mov_b32_e32 v6, v21
	s_and_b32 s15, s85, 0xfe
	s_mov_b32 s14, 0
	s_branch .LBB18_53
.LBB18_52:                              ;   in Loop: Header=BB18_53 Depth=2
	s_or_b32 exec_lo, exec_lo, s9
	s_waitcnt vmcnt(0)
	v_xor_b32_e32 v14, 0x80000000, v14
	v_add_nc_u32_e32 v16, s67, v16
	s_delay_alu instid0(VALU_DEP_2) | instskip(SKIP_1) | instid1(VALU_DEP_2)
	v_and_b32_e32 v30, s91, v14
	v_bfe_u32 v14, v14, s15, 2
	v_cmp_eq_u32_e32 vcc_lo, s90, v30
	s_delay_alu instid0(VALU_DEP_2) | instskip(SKIP_3) | instid1(VALU_DEP_4)
	v_cmp_eq_u32_e64 s9, 0, v14
	v_cmp_eq_u32_e64 s10, 1, v14
	;; [unrolled: 1-line block ×4, first 2 shown]
	s_and_b32 s9, vcc_lo, s9
	s_delay_alu instid0(SALU_CYCLE_1) | instskip(SKIP_1) | instid1(SALU_CYCLE_1)
	v_cndmask_b32_e64 v14, 0, 1, s9
	s_and_b32 s9, vcc_lo, s10
	v_cndmask_b32_e64 v30, 0, 1, s9
	s_and_b32 s9, vcc_lo, s11
	s_delay_alu instid0(SALU_CYCLE_1)
	v_cndmask_b32_e64 v31, 0, 1, s9
	s_and_b32 s9, vcc_lo, s12
	v_cmp_ne_u32_e32 vcc_lo, 0, v14
	v_cndmask_b32_e64 v32, 0, 1, s9
	v_cmp_ne_u32_e64 s9, 0, v30
	v_cmp_ne_u32_e64 s10, 0, v31
	v_cmp_le_i32_e64 s12, s44, v6
	s_bcnt1_i32_b32 s16, vcc_lo
	v_cmp_ne_u32_e64 s11, 0, v32
	s_bcnt1_i32_b32 s9, s9
	s_bcnt1_i32_b32 s10, s10
	v_dual_mov_b32 v14, v17 :: v_dual_add_nc_u32 v1, s16, v1
	s_delay_alu instid0(VALU_DEP_2) | instskip(SKIP_4) | instid1(SALU_CYCLE_1)
	s_bcnt1_i32_b32 s11, s11
	v_add_nc_u32_e32 v2, s9, v2
	v_add_nc_u32_e32 v3, s10, v3
	;; [unrolled: 1-line block ×3, first 2 shown]
	s_or_b32 s14, s12, s14
	s_and_not1_b32 exec_lo, exec_lo, s14
	s_cbranch_execz .LBB18_55
.LBB18_53:                              ;   Parent Loop BB18_8 Depth=1
                                        ; =>  This Inner Loop Header: Depth=2
	s_delay_alu instid0(VALU_DEP_1) | instskip(SKIP_1) | instid1(VALU_DEP_1)
	v_dual_mov_b32 v17, 0 :: v_dual_add_nc_u32 v6, s64, v6
	s_mov_b32 s9, exec_lo
	v_cmpx_gt_u32_e64 s44, v6
	s_cbranch_execz .LBB18_52
; %bb.54:                               ;   in Loop: Header=BB18_53 Depth=2
	v_ashrrev_i32_e32 v17, 31, v16
	s_delay_alu instid0(VALU_DEP_1) | instskip(NEXT) | instid1(VALU_DEP_1)
	v_lshlrev_b64 v[30:31], 2, v[16:17]
	v_add_co_u32 v30, vcc_lo, s62, v30
	s_delay_alu instid0(VALU_DEP_2)
	v_add_co_ci_u32_e32 v31, vcc_lo, s63, v31, vcc_lo
	global_load_b32 v17, v[30:31], off
	s_branch .LBB18_52
.LBB18_55:                              ;   in Loop: Header=BB18_8 Depth=1
	s_or_b32 exec_lo, exec_lo, s14
.LBB18_56:                              ;   in Loop: Header=BB18_8 Depth=1
	s_delay_alu instid0(SALU_CYCLE_1)
	s_or_b32 exec_lo, exec_lo, s13
	s_branch .LBB18_66
.LBB18_57:                              ;   in Loop: Header=BB18_8 Depth=1
	s_mul_hi_u32 s9, s92, s76
	v_dual_mov_b32 v1, 0 :: v_dual_mov_b32 v2, 0
	s_mul_i32 s9, s9, s66
	v_dual_mov_b32 v3, 0 :: v_dual_mov_b32 v4, 0
	s_sub_i32 s9, s92, s9
	s_mov_b32 s95, 0
	s_sub_i32 s10, s9, s66
	s_cmp_ge_u32 s9, s66
	s_mov_b32 s94, exec_lo
	s_cselect_b32 s9, s10, s9
	s_delay_alu instid0(SALU_CYCLE_1) | instskip(SKIP_2) | instid1(SALU_CYCLE_1)
	s_sub_i32 s10, s9, s66
	s_cmp_ge_u32 s9, s66
	s_cselect_b32 s9, s10, s9
	s_sub_i32 s93, s92, s9
	s_delay_alu instid0(SALU_CYCLE_1)
	v_cmpx_gt_u32_e64 s93, v19
	s_cbranch_execz .LBB18_61
; %bb.58:                               ;   in Loop: Header=BB18_8 Depth=1
	v_mov_b32_e32 v6, v28
	s_waitcnt vmcnt(0)
	v_mov_b32_e32 v14, v19
	s_and_b32 s96, s85, 0xfe
	s_mov_b32 s97, 0
	s_mov_b32 s98, 0
	;; [unrolled: 1-line block ×4, first 2 shown]
.LBB18_59:                              ;   Parent Loop BB18_8 Depth=1
                                        ; =>  This Inner Loop Header: Depth=2
	ds_load_b128 v[1:4], v6
	s_waitcnt lgkmcnt(0)
	v_xor_b32_e32 v1, 0x80000000, v1
	v_xor_b32_e32 v2, 0x80000000, v2
	;; [unrolled: 1-line block ×4, first 2 shown]
	s_delay_alu instid0(VALU_DEP_4)
	v_and_b32_e32 v16, s91, v1
	v_bfe_u32 v1, v1, s96, 2
	v_and_b32_e32 v17, s91, v2
	v_bfe_u32 v2, v2, s96, 2
	;; [unrolled: 2-line block ×3, first 2 shown]
	v_cmp_eq_u32_e64 s9, s90, v16
	v_cmp_eq_u32_e64 s13, 0, v1
	v_and_b32_e32 v31, s91, v4
	v_bfe_u32 v4, v4, s96, 2
	v_cmp_eq_u32_e64 s10, s90, v17
	v_cmp_eq_u32_e64 s14, 0, v2
	v_cmp_eq_u32_e64 s11, s90, v30
	v_cmp_eq_u32_e64 s15, 0, v3
	s_and_b32 s13, s9, s13
	v_cmp_eq_u32_e64 s12, s90, v31
	v_cmp_eq_u32_e64 s16, 0, v4
	;; [unrolled: 1-line block ×5, first 2 shown]
	v_cndmask_b32_e64 v1, 0, 1, s13
	s_and_b32 s13, s10, s14
	v_cmp_eq_u32_e64 s18, 1, v2
	v_cmp_eq_u32_e64 s22, 2, v2
	v_cmp_eq_u32_e64 s26, 3, v2
	v_cndmask_b32_e64 v2, 0, 1, s13
	s_and_b32 s13, s11, s15
	v_cmp_eq_u32_e64 s19, 1, v3
	v_cmp_eq_u32_e64 s23, 2, v3
	v_cmp_eq_u32_e64 s27, 3, v3
	;; [unrolled: 5-line block ×3, first 2 shown]
	v_cndmask_b32_e64 v4, 0, 1, s13
	s_and_b32 s13, s9, s17
	s_delay_alu instid0(SALU_CYCLE_1) | instskip(SKIP_1) | instid1(SALU_CYCLE_1)
	v_cndmask_b32_e64 v16, 0, 1, s13
	s_and_b32 s13, s10, s18
	v_cndmask_b32_e64 v17, 0, 1, s13
	s_and_b32 s13, s11, s19
	s_delay_alu instid0(SALU_CYCLE_1) | instskip(SKIP_1) | instid1(VALU_DEP_2)
	v_cndmask_b32_e64 v30, 0, 1, s13
	s_and_b32 s13, s12, s20
	v_cmp_ne_u32_e64 s14, 0, v17
	v_cndmask_b32_e64 v31, 0, 1, s13
	s_and_b32 s13, s9, s21
	s_and_b32 s9, s9, s25
	v_cndmask_b32_e64 v32, 0, 1, s13
	v_cndmask_b32_e64 v36, 0, 1, s9
	s_and_b32 s9, s10, s26
	s_and_b32 s13, s10, s22
	v_cndmask_b32_e64 v37, 0, 1, s9
	s_and_b32 s9, s11, s27
	v_cndmask_b32_e64 v33, 0, 1, s13
	v_cndmask_b32_e64 v38, 0, 1, s9
	s_and_b32 s9, s12, s28
	s_and_b32 s13, s11, s23
	v_cndmask_b32_e64 v39, 0, 1, s9
	v_cmp_ne_u32_e64 s9, 0, v1
	v_cmp_ne_u32_e64 s10, 0, v2
	v_cndmask_b32_e64 v34, 0, 1, s13
	s_and_b32 s13, s12, s24
	v_cmp_ne_u32_e64 s11, 0, v3
	v_cndmask_b32_e64 v35, 0, 1, s13
	v_cmp_ne_u32_e64 s13, 0, v16
	v_cmp_ne_u32_e64 s17, 0, v32
	;; [unrolled: 1-line block ×3, first 2 shown]
	s_bcnt1_i32_b32 s9, s9
	v_cmp_ne_u32_e64 s12, 0, v4
	v_cmp_ne_u32_e64 s18, 0, v33
	;; [unrolled: 1-line block ×3, first 2 shown]
	s_bcnt1_i32_b32 s10, s10
	s_add_i32 s9, s9, s100
	v_cmp_ne_u32_e64 s15, 0, v30
	v_cmp_ne_u32_e64 s19, 0, v34
	;; [unrolled: 1-line block ×3, first 2 shown]
	s_bcnt1_i32_b32 s11, s11
	s_add_i32 s9, s9, s10
	s_bcnt1_i32_b32 s13, s13
	s_bcnt1_i32_b32 s17, s17
	;; [unrolled: 1-line block ×3, first 2 shown]
	v_cmp_ne_u32_e64 s16, 0, v31
	v_cmp_ne_u32_e64 s20, 0, v35
	;; [unrolled: 1-line block ×3, first 2 shown]
	s_bcnt1_i32_b32 s12, s12
	s_add_i32 s9, s9, s11
	s_bcnt1_i32_b32 s14, s14
	s_bcnt1_i32_b32 s18, s18
	;; [unrolled: 1-line block ×3, first 2 shown]
	s_add_i32 s13, s13, s99
	s_add_i32 s17, s17, s98
	s_add_i32 s21, s21, s97
	s_add_i32 s100, s9, s12
	s_delay_alu instid0(SALU_CYCLE_1)
	v_dual_mov_b32 v1, s100 :: v_dual_add_nc_u32 v14, s66, v14
	s_bcnt1_i32_b32 s15, s15
	s_bcnt1_i32_b32 s19, s19
	;; [unrolled: 1-line block ×3, first 2 shown]
	s_add_i32 s10, s13, s14
	s_add_i32 s13, s17, s18
	;; [unrolled: 1-line block ×3, first 2 shown]
	s_bcnt1_i32_b32 s16, s16
	s_bcnt1_i32_b32 s20, s20
	;; [unrolled: 1-line block ×3, first 2 shown]
	s_add_i32 s10, s10, s15
	s_add_i32 s11, s13, s19
	;; [unrolled: 1-line block ×3, first 2 shown]
	v_cmp_le_i32_e32 vcc_lo, s93, v14
	s_add_i32 s99, s10, s16
	s_add_i32 s98, s11, s20
	;; [unrolled: 1-line block ×3, first 2 shown]
	v_dual_mov_b32 v3, s98 :: v_dual_add_nc_u32 v6, s81, v6
	v_mov_b32_e32 v2, s99
	v_mov_b32_e32 v4, s97
	s_or_b32 s95, vcc_lo, s95
	s_delay_alu instid0(SALU_CYCLE_1)
	s_and_not1_b32 exec_lo, exec_lo, s95
	s_cbranch_execnz .LBB18_59
; %bb.60:                               ;   in Loop: Header=BB18_8 Depth=1
	s_or_b32 exec_lo, exec_lo, s95
.LBB18_61:                              ;   in Loop: Header=BB18_8 Depth=1
	s_delay_alu instid0(SALU_CYCLE_1) | instskip(SKIP_2) | instid1(VALU_DEP_1)
	s_or_b32 exec_lo, exec_lo, s94
	v_add_nc_u32_e32 v6, s93, v0
	s_mov_b32 s14, exec_lo
	v_cmpx_gt_i32_e64 s92, v6
	s_cbranch_execz .LBB18_65
; %bb.62:                               ;   in Loop: Header=BB18_8 Depth=1
	s_waitcnt vmcnt(0)
	v_lshlrev_b32_e32 v14, 2, v6
	s_and_b32 s16, s85, 0xfe
	s_mov_b32 s15, 0
.LBB18_63:                              ;   Parent Loop BB18_8 Depth=1
                                        ; =>  This Inner Loop Header: Depth=2
	ds_load_b32 v16, v14
	v_add_nc_u32_e32 v6, s64, v6
	v_add_nc_u32_e32 v14, s66, v14
	s_delay_alu instid0(VALU_DEP_2) | instskip(SKIP_2) | instid1(VALU_DEP_1)
	v_cmp_le_i32_e32 vcc_lo, s92, v6
	s_waitcnt lgkmcnt(0)
	v_xor_b32_e32 v16, 0x80000000, v16
	v_and_b32_e32 v17, s91, v16
	v_bfe_u32 v16, v16, s16, 2
	s_delay_alu instid0(VALU_DEP_2) | instskip(NEXT) | instid1(VALU_DEP_2)
	v_cmp_eq_u32_e64 s9, s90, v17
	v_cmp_eq_u32_e64 s10, 0, v16
	v_cmp_eq_u32_e64 s11, 1, v16
	v_cmp_eq_u32_e64 s12, 2, v16
	v_cmp_eq_u32_e64 s13, 3, v16
	s_delay_alu instid0(VALU_DEP_4) | instskip(NEXT) | instid1(SALU_CYCLE_1)
	s_and_b32 s10, s9, s10
	v_cndmask_b32_e64 v16, 0, 1, s10
	s_and_b32 s10, s9, s11
	s_delay_alu instid0(SALU_CYCLE_1)
	v_cndmask_b32_e64 v17, 0, 1, s10
	s_and_b32 s10, s9, s12
	s_and_b32 s9, s9, s13
	v_cndmask_b32_e64 v30, 0, 1, s10
	v_cndmask_b32_e64 v31, 0, 1, s9
	v_cmp_ne_u32_e64 s9, 0, v16
	v_cmp_ne_u32_e64 s10, 0, v17
	s_delay_alu instid0(VALU_DEP_4) | instskip(NEXT) | instid1(VALU_DEP_4)
	v_cmp_ne_u32_e64 s11, 0, v30
	v_cmp_ne_u32_e64 s12, 0, v31
	s_delay_alu instid0(VALU_DEP_4) | instskip(NEXT) | instid1(VALU_DEP_3)
	s_bcnt1_i32_b32 s9, s9
	s_bcnt1_i32_b32 s10, s10
	v_add_nc_u32_e32 v1, s9, v1
	s_bcnt1_i32_b32 s11, s11
	s_bcnt1_i32_b32 s12, s12
	v_add_nc_u32_e32 v2, s10, v2
	v_add_nc_u32_e32 v3, s11, v3
	;; [unrolled: 1-line block ×3, first 2 shown]
	s_or_b32 s15, vcc_lo, s15
	s_delay_alu instid0(SALU_CYCLE_1)
	s_and_not1_b32 exec_lo, exec_lo, s15
	s_cbranch_execnz .LBB18_63
; %bb.64:                               ;   in Loop: Header=BB18_8 Depth=1
	s_or_b32 exec_lo, exec_lo, s15
.LBB18_65:                              ;   in Loop: Header=BB18_8 Depth=1
	s_delay_alu instid0(SALU_CYCLE_1)
	s_or_b32 exec_lo, exec_lo, s14
.LBB18_66:                              ;   in Loop: Header=BB18_8 Depth=1
	s_lshl_b32 s9, s88, 7
	s_and_saveexec_b32 s10, s1
	s_cbranch_execz .LBB18_68
; %bb.67:                               ;   in Loop: Header=BB18_8 Depth=1
	v_or_b32_e32 v6, s9, v22
	s_delay_alu instid0(VALU_DEP_1)
	v_lshlrev_b32_e32 v6, 2, v6
	ds_store_b128 v6, v[1:4] offset:3072
.LBB18_68:                              ;   in Loop: Header=BB18_8 Depth=1
	s_or_b32 exec_lo, exec_lo, s10
	s_waitcnt vmcnt(0) lgkmcnt(0)
	s_barrier
	buffer_gl0_inv
	s_and_saveexec_b32 s10, s69
	s_cbranch_execz .LBB18_78
; %bb.69:                               ;   in Loop: Header=BB18_8 Depth=1
	v_mov_b32_e32 v1, 0
	s_and_not1_b32 vcc_lo, exec_lo, s71
	s_cbranch_vccnz .LBB18_77
; %bb.70:                               ;   in Loop: Header=BB18_8 Depth=1
	v_mov_b32_e32 v1, 0
	s_and_not1_b32 vcc_lo, exec_lo, s73
	s_mov_b32 s11, 0
	s_cbranch_vccnz .LBB18_74
; %bb.71:                               ;   in Loop: Header=BB18_8 Depth=1
	v_lshl_add_u32 v2, s88, 9, v29
	v_mov_b32_e32 v1, 0
	.p2align	6
.LBB18_72:                              ;   Parent Loop BB18_8 Depth=1
                                        ; =>  This Inner Loop Header: Depth=2
	ds_load_2addr_b32 v[3:4], v2 offset1:4
	ds_load_2addr_b32 v[16:17], v2 offset0:8 offset1:12
	ds_load_2addr_b32 v[30:31], v2 offset0:16 offset1:20
	;; [unrolled: 1-line block ×3, first 2 shown]
	v_add_nc_u32_e32 v2, 0x80, v2
	s_add_i32 s11, s11, 8
	s_delay_alu instid0(SALU_CYCLE_1) | instskip(SKIP_3) | instid1(VALU_DEP_1)
	s_cmp_eq_u32 s74, s11
	s_waitcnt lgkmcnt(3)
	v_add3_u32 v1, v3, v1, v4
	s_waitcnt lgkmcnt(2)
	v_add3_u32 v1, v16, v1, v17
	s_waitcnt lgkmcnt(1)
	s_delay_alu instid0(VALU_DEP_1) | instskip(SKIP_1) | instid1(VALU_DEP_1)
	v_add3_u32 v1, v30, v1, v31
	s_waitcnt lgkmcnt(0)
	v_add3_u32 v1, v32, v1, v33
	s_cbranch_scc0 .LBB18_72
; %bb.73:                               ;   in Loop: Header=BB18_8 Depth=1
	s_mov_b32 s11, s74
.LBB18_74:                              ;   in Loop: Header=BB18_8 Depth=1
	s_and_not1_b32 vcc_lo, exec_lo, s75
	s_cbranch_vccnz .LBB18_77
; %bb.75:                               ;   in Loop: Header=BB18_8 Depth=1
	s_lshl_b32 s12, s88, 9
	s_lshl_b32 s11, s11, 4
	s_delay_alu instid0(SALU_CYCLE_1)
	v_add3_u32 v2, s12, s11, v29
	s_mov_b32 s11, s72
.LBB18_76:                              ;   Parent Loop BB18_8 Depth=1
                                        ; =>  This Inner Loop Header: Depth=2
	ds_load_b32 v3, v2
	v_add_nc_u32_e32 v2, 16, v2
	s_add_i32 s11, s11, -1
	s_delay_alu instid0(SALU_CYCLE_1)
	s_cmp_lg_u32 s11, 0
	s_waitcnt lgkmcnt(0)
	v_add_nc_u32_e32 v1, v3, v1
	s_cbranch_scc1 .LBB18_76
.LBB18_77:                              ;   in Loop: Header=BB18_8 Depth=1
	v_add_lshl_u32 v2, s9, v18, 2
	ds_store_b32 v2, v1 offset:3072
.LBB18_78:                              ;   in Loop: Header=BB18_8 Depth=1
	s_or_b32 exec_lo, exec_lo, s10
	s_lshl_b32 s9, s9, 2
	s_waitcnt lgkmcnt(0)
	v_mov_b32_e32 v1, s9
	s_barrier
	buffer_gl0_inv
	s_and_b32 s18, s85, 0xfe
	s_mov_b32 s14, -1
	ds_load_b128 v[1:4], v1 offset:3072
	s_lshl_b32 s11, 3, s18
	s_delay_alu instid0(SALU_CYCLE_1) | instskip(SKIP_4) | instid1(VALU_DEP_3)
	s_not_b32 s19, s11
	s_waitcnt lgkmcnt(0)
	v_readfirstlane_b32 s13, v1
	v_readfirstlane_b32 s21, v2
	;; [unrolled: 1-line block ×3, first 2 shown]
	s_cmp_eq_u32 s13, 1
	s_cselect_b32 s9, -1, 0
	s_cmp_eq_u32 s45, 1
	s_cselect_b32 s10, -1, 0
	s_delay_alu instid0(SALU_CYCLE_1)
	s_and_b32 s15, s9, s10
	v_readfirstlane_b32 s10, v4
	s_and_b32 vcc_lo, exec_lo, s15
	s_cbranch_vccz .LBB18_90
; %bb.79:                               ;   in Loop: Header=BB18_8 Depth=1
	ds_load_b32 v1, v7 offset:4096
	s_waitcnt lgkmcnt(0)
	s_barrier
	buffer_gl0_inv
	v_readfirstlane_b32 s12, v1
	s_and_saveexec_b32 s9, s2
	s_cbranch_execz .LBB18_81
; %bb.80:                               ;   in Loop: Header=BB18_8 Depth=1
	ds_store_b32 v20, v7
.LBB18_81:                              ;   in Loop: Header=BB18_8 Depth=1
	s_or_b32 exec_lo, exec_lo, s9
	s_and_b32 s90, s90, s19
	s_or_b32 s91, s91, s11
	s_cmp_lt_i32 s12, 1
	s_waitcnt lgkmcnt(0)
	s_barrier
	buffer_gl0_inv
	s_cbranch_scc0 .LBB18_91
; %bb.82:                               ;   in Loop: Header=BB18_8 Depth=1
	s_mov_b32 s9, 0
                                        ; implicit-def: $vgpr15
	s_and_saveexec_b32 s17, s8
	s_cbranch_execz .LBB18_93
; %bb.83:                               ;   in Loop: Header=BB18_8 Depth=1
	v_mov_b32_e32 v1, v5
	v_mov_b32_e32 v3, v0
	s_mov_b32 s20, 0
                                        ; implicit-def: $sgpr22
	s_set_inst_prefetch_distance 0x1
	s_branch .LBB18_85
	.p2align	6
.LBB18_84:                              ;   in Loop: Header=BB18_85 Depth=2
	s_or_b32 exec_lo, exec_lo, s9
	s_waitcnt vmcnt(0) lgkmcnt(0)
	s_barrier
	buffer_gl0_inv
	ds_load_b64 v[14:15], v7 offset:3072
	v_add_nc_u32_e32 v3, s64, v3
	v_add_nc_u32_e32 v1, s67, v1
	s_waitcnt lgkmcnt(0)
	s_barrier
	buffer_gl0_inv
	v_cmp_le_i32_e32 vcc_lo, s79, v3
	v_readfirstlane_b32 s9, v14
	s_delay_alu instid0(VALU_DEP_1) | instskip(SKIP_1) | instid1(SALU_CYCLE_1)
	s_cmp_lg_u32 s9, 0
	s_cselect_b32 s9, -1, 0
	s_or_b32 s23, vcc_lo, s9
	s_delay_alu instid0(SALU_CYCLE_1) | instskip(NEXT) | instid1(SALU_CYCLE_1)
	s_and_b32 s23, exec_lo, s23
	s_or_b32 s20, s23, s20
	s_and_not1_b32 s22, s22, exec_lo
	s_and_b32 s9, s9, exec_lo
	s_delay_alu instid0(SALU_CYCLE_1)
	s_or_b32 s22, s22, s9
	s_and_not1_b32 exec_lo, exec_lo, s20
	s_cbranch_execz .LBB18_92
.LBB18_85:                              ;   Parent Loop BB18_8 Depth=1
                                        ; =>  This Inner Loop Header: Depth=2
	s_delay_alu instid0(VALU_DEP_1)
	v_cmp_gt_i32_e32 vcc_lo, s44, v3
	v_mov_b32_e32 v14, 0
	s_and_saveexec_b32 s23, vcc_lo
	s_cbranch_execz .LBB18_87
; %bb.86:                               ;   in Loop: Header=BB18_85 Depth=2
	v_ashrrev_i32_e32 v2, 31, v1
	s_delay_alu instid0(VALU_DEP_1) | instskip(NEXT) | instid1(VALU_DEP_1)
	v_lshlrev_b64 v[14:15], 2, v[1:2]
	v_add_co_u32 v14, s9, s62, v14
	s_delay_alu instid0(VALU_DEP_1)
	v_add_co_ci_u32_e64 v15, s9, s63, v15, s9
	global_load_b32 v14, v[14:15], off
.LBB18_87:                              ;   in Loop: Header=BB18_85 Depth=2
	s_or_b32 exec_lo, exec_lo, s23
	s_and_saveexec_b32 s9, vcc_lo
	s_cbranch_execz .LBB18_84
; %bb.88:                               ;   in Loop: Header=BB18_85 Depth=2
	s_waitcnt vmcnt(0)
	v_xor_b32_e32 v2, 0x80000000, v14
	s_delay_alu instid0(VALU_DEP_1) | instskip(NEXT) | instid1(VALU_DEP_1)
	v_and_b32_e32 v2, s91, v2
	v_cmp_eq_u32_e32 vcc_lo, s90, v2
	s_and_b32 exec_lo, exec_lo, vcc_lo
	s_cbranch_execz .LBB18_84
; %bb.89:                               ;   in Loop: Header=BB18_85 Depth=2
	ds_store_b64 v7, v[13:14] offset:3072
	s_branch .LBB18_84
.LBB18_90:                              ;   in Loop: Header=BB18_8 Depth=1
	s_mov_b32 s9, -1
                                        ; implicit-def: $sgpr17
                                        ; implicit-def: $sgpr22
                                        ; implicit-def: $sgpr20
	s_branch .LBB18_104
.LBB18_91:                              ;   in Loop: Header=BB18_8 Depth=1
	s_mov_b32 s17, -1
	s_mov_b32 s9, 0
                                        ; implicit-def: $sgpr20
                                        ; implicit-def: $vgpr15
	s_mov_b32 s22, s17
	s_cbranch_execnz .LBB18_94
	s_branch .LBB18_104
.LBB18_92:                              ;   in Loop: Header=BB18_8 Depth=1
	s_set_inst_prefetch_distance 0x2
	s_or_b32 exec_lo, exec_lo, s20
	s_delay_alu instid0(SALU_CYCLE_1)
	s_and_b32 s9, s22, exec_lo
.LBB18_93:                              ;   in Loop: Header=BB18_8 Depth=1
	s_or_b32 exec_lo, exec_lo, s17
	s_mov_b32 s20, -1
	s_mov_b32 s17, 0
	s_delay_alu instid0(SALU_CYCLE_1)
	s_mov_b32 s22, s17
	s_branch .LBB18_104
.LBB18_94:                              ;   in Loop: Header=BB18_8 Depth=1
	s_add_i32 s20, s12, s68
                                        ; implicit-def: $vgpr15
	s_delay_alu instid0(SALU_CYCLE_1) | instskip(NEXT) | instid1(SALU_CYCLE_1)
	s_abs_i32 s9, s20
	s_mul_hi_u32 s17, s9, s78
	s_delay_alu instid0(SALU_CYCLE_1) | instskip(NEXT) | instid1(SALU_CYCLE_1)
	s_mul_i32 s17, s17, s64
	s_sub_i32 s9, s9, s17
	s_ashr_i32 s17, s20, 31
	s_sub_i32 s22, s9, s64
	s_cmp_ge_u32 s9, s64
	s_cselect_b32 s9, s22, s9
	s_delay_alu instid0(SALU_CYCLE_1) | instskip(SKIP_2) | instid1(SALU_CYCLE_1)
	s_sub_i32 s22, s9, s64
	s_cmp_ge_u32 s9, s64
	s_cselect_b32 s9, s22, s9
	s_xor_b32 s9, s9, s17
	s_delay_alu instid0(SALU_CYCLE_1)
	s_sub_i32 s9, s17, s9
	s_mov_b32 s17, exec_lo
	s_add_i32 s20, s20, s9
	s_mov_b32 s9, 0
	v_cmpx_gt_i32_e64 s20, v0
	s_cbranch_execz .LBB18_103
; %bb.95:                               ;   in Loop: Header=BB18_8 Depth=1
	v_dual_mov_b32 v1, v19 :: v_dual_mov_b32 v2, v0
                                        ; implicit-def: $sgpr22
	s_set_inst_prefetch_distance 0x1
	s_branch .LBB18_97
	.p2align	6
.LBB18_96:                              ;   in Loop: Header=BB18_97 Depth=2
	s_or_b32 exec_lo, exec_lo, s23
	s_waitcnt lgkmcnt(0)
	s_barrier
	buffer_gl0_inv
	ds_load_b64 v[14:15], v7 offset:3072
	v_add_nc_u32_e32 v2, s64, v2
	v_add_nc_u32_e32 v1, s66, v1
	s_waitcnt lgkmcnt(0)
	s_barrier
	buffer_gl0_inv
	v_cmp_le_i32_e32 vcc_lo, s20, v2
	v_readfirstlane_b32 s23, v14
	s_delay_alu instid0(VALU_DEP_1) | instskip(SKIP_1) | instid1(SALU_CYCLE_1)
	s_cmp_lg_u32 s23, 0
	s_cselect_b32 s23, -1, 0
	s_or_b32 s24, vcc_lo, s23
	s_delay_alu instid0(SALU_CYCLE_1) | instskip(NEXT) | instid1(SALU_CYCLE_1)
	s_and_b32 s24, exec_lo, s24
	s_or_b32 s9, s24, s9
	s_and_not1_b32 s22, s22, exec_lo
	s_and_b32 s23, s23, exec_lo
	s_delay_alu instid0(SALU_CYCLE_1)
	s_or_b32 s22, s22, s23
	s_and_not1_b32 exec_lo, exec_lo, s9
	s_cbranch_execz .LBB18_102
.LBB18_97:                              ;   Parent Loop BB18_8 Depth=1
                                        ; =>  This Inner Loop Header: Depth=2
	s_delay_alu instid0(VALU_DEP_1)
	v_cmp_gt_i32_e32 vcc_lo, s12, v2
	v_mov_b32_e32 v14, 0
	s_and_saveexec_b32 s23, vcc_lo
	s_cbranch_execz .LBB18_99
; %bb.98:                               ;   in Loop: Header=BB18_97 Depth=2
	ds_load_b32 v14, v1
.LBB18_99:                              ;   in Loop: Header=BB18_97 Depth=2
	s_or_b32 exec_lo, exec_lo, s23
	s_and_saveexec_b32 s23, vcc_lo
	s_cbranch_execz .LBB18_96
; %bb.100:                              ;   in Loop: Header=BB18_97 Depth=2
	s_waitcnt lgkmcnt(0)
	v_xor_b32_e32 v3, 0x80000000, v14
	s_delay_alu instid0(VALU_DEP_1) | instskip(NEXT) | instid1(VALU_DEP_1)
	v_and_b32_e32 v3, s91, v3
	v_cmp_eq_u32_e32 vcc_lo, s90, v3
	s_and_b32 exec_lo, exec_lo, vcc_lo
	s_cbranch_execz .LBB18_96
; %bb.101:                              ;   in Loop: Header=BB18_97 Depth=2
	ds_store_b64 v7, v[13:14] offset:3072
	s_branch .LBB18_96
.LBB18_102:                             ;   in Loop: Header=BB18_8 Depth=1
	s_set_inst_prefetch_distance 0x2
	s_or_b32 exec_lo, exec_lo, s9
	s_delay_alu instid0(SALU_CYCLE_1)
	s_and_b32 s9, s22, exec_lo
.LBB18_103:                             ;   in Loop: Header=BB18_8 Depth=1
	s_or_b32 exec_lo, exec_lo, s17
	s_mov_b32 s22, -1
	s_mov_b32 s17, 0
	s_mov_b32 s20, 0
.LBB18_104:                             ;   in Loop: Header=BB18_8 Depth=1
	s_and_not1_b32 s12, s86, exec_lo
	s_and_b32 s17, s17, exec_lo
	s_and_b32 s20, s20, exec_lo
	s_or_b32 s86, s12, s17
	s_and_not1_b32 s12, s89, exec_lo
	s_and_b32 s17, s22, exec_lo
	s_and_not1_b32 s22, s87, exec_lo
	s_or_b32 s89, s12, s17
	s_or_b32 s87, s22, s20
	s_and_saveexec_b32 s12, s9
	s_cbranch_execz .LBB18_7
; %bb.105:                              ;   in Loop: Header=BB18_8 Depth=1
	s_xor_b32 s9, s15, -1
	s_mov_b32 s14, 0
	s_and_not1_b32 vcc_lo, exec_lo, s9
	s_mov_b32 s22, 1
	s_cbranch_vccnz .LBB18_116
; %bb.106:                              ;   in Loop: Header=BB18_8 Depth=1
	s_cmp_gt_i32 s45, s13
	s_mov_b32 s14, -1
                                        ; implicit-def: $sgpr9
                                        ; implicit-def: $sgpr15
                                        ; implicit-def: $sgpr17
	s_cbranch_scc1 .LBB18_112
; %bb.107:                              ;   in Loop: Header=BB18_8 Depth=1
	ds_load_b32 v1, v7 offset:4096
	s_waitcnt lgkmcnt(0)
	v_cmp_ne_u32_e32 vcc_lo, 0, v1
	s_cbranch_vccnz .LBB18_111
; %bb.108:                              ;   in Loop: Header=BB18_8 Depth=1
	s_and_saveexec_b32 s9, s0
	s_cbranch_execz .LBB18_110
; %bb.109:                              ;   in Loop: Header=BB18_8 Depth=1
	v_mov_b32_e32 v1, s13
	ds_store_b32 v7, v1 offset:4100
.LBB18_110:                             ;   in Loop: Header=BB18_8 Depth=1
	s_or_b32 exec_lo, exec_lo, s9
	s_waitcnt lgkmcnt(0)
	s_barrier
	buffer_gl0_inv
.LBB18_111:                             ;   in Loop: Header=BB18_8 Depth=1
	s_and_b32 s15, s90, s19
	s_or_b32 s17, s91, s11
	s_mov_b32 s14, 0
	s_mov_b32 s9, 8
.LBB18_112:                             ;   in Loop: Header=BB18_8 Depth=1
	s_and_not1_b32 vcc_lo, exec_lo, s14
	s_cbranch_vccnz .LBB18_114
; %bb.113:                              ;   in Loop: Header=BB18_8 Depth=1
	s_sub_i32 s45, s45, s13
	s_mov_b32 s14, -1
	s_mov_b32 s9, 0
	s_mov_b32 s15, s90
	;; [unrolled: 1-line block ×3, first 2 shown]
.LBB18_114:                             ;   in Loop: Header=BB18_8 Depth=1
	s_delay_alu instid0(SALU_CYCLE_1)
	s_mov_b32 s91, s17
	s_mov_b32 s90, s15
	;; [unrolled: 1-line block ×3, first 2 shown]
	s_and_b32 vcc_lo, exec_lo, s14
	s_mov_b32 s13, -1
	s_cbranch_vccnz .LBB18_117
.LBB18_115:                             ;   in Loop: Header=BB18_8 Depth=1
	s_mov_b32 s25, -1
                                        ; implicit-def: $sgpr14
                                        ; implicit-def: $sgpr17
                                        ; implicit-def: $sgpr15
	s_delay_alu instid0(SALU_CYCLE_1) | instskip(NEXT) | instid1(SALU_CYCLE_1)
	s_and_saveexec_b32 s10, s25
	s_xor_b32 s10, exec_lo, s10
	s_cbranch_execz .LBB18_6
	s_branch .LBB18_240
.LBB18_116:                             ;   in Loop: Header=BB18_8 Depth=1
	s_mov_b32 s9, 1
	s_and_b32 vcc_lo, exec_lo, s14
	s_mov_b32 s13, -1
	s_cbranch_vccz .LBB18_115
.LBB18_117:                             ;   in Loop: Header=BB18_8 Depth=1
	s_cmp_eq_u32 s21, 1
	s_mov_b32 s24, -1
	s_cselect_b32 s9, -1, 0
	s_cmp_eq_u32 s22, 1
	s_cselect_b32 s14, -1, 0
	s_delay_alu instid0(SALU_CYCLE_1) | instskip(NEXT) | instid1(SALU_CYCLE_1)
	s_and_b32 s23, s9, s14
	s_and_b32 vcc_lo, exec_lo, s23
	s_cbranch_vccz .LBB18_129
; %bb.118:                              ;   in Loop: Header=BB18_8 Depth=1
	ds_load_b32 v1, v7 offset:4096
	s_waitcnt lgkmcnt(0)
	s_barrier
	buffer_gl0_inv
	v_readfirstlane_b32 s20, v1
	s_and_saveexec_b32 s9, s2
	s_cbranch_execz .LBB18_120
; %bb.119:                              ;   in Loop: Header=BB18_8 Depth=1
	ds_store_b32 v20, v7
.LBB18_120:                             ;   in Loop: Header=BB18_8 Depth=1
	s_or_b32 exec_lo, exec_lo, s9
	s_lshl_b32 s9, 1, s18
	s_and_b32 s14, s90, s19
	s_or_b32 s91, s91, s11
	s_or_b32 s90, s14, s9
	s_cmp_gt_i32 s20, 0
	s_waitcnt lgkmcnt(0)
	s_barrier
	buffer_gl0_inv
	s_cbranch_scc1 .LBB18_130
; %bb.121:                              ;   in Loop: Header=BB18_8 Depth=1
	s_mov_b32 s24, 0
                                        ; implicit-def: $vgpr15
	s_and_saveexec_b32 s14, s8
	s_cbranch_execz .LBB18_132
; %bb.122:                              ;   in Loop: Header=BB18_8 Depth=1
	v_mov_b32_e32 v1, v5
	v_mov_b32_e32 v3, v0
	s_mov_b32 s15, 0
                                        ; implicit-def: $sgpr17
	s_set_inst_prefetch_distance 0x1
	s_branch .LBB18_124
	.p2align	6
.LBB18_123:                             ;   in Loop: Header=BB18_124 Depth=2
	s_or_b32 exec_lo, exec_lo, s9
	s_waitcnt vmcnt(0) lgkmcnt(0)
	s_barrier
	buffer_gl0_inv
	ds_load_b64 v[14:15], v7 offset:3072
	v_add_nc_u32_e32 v3, s64, v3
	v_add_nc_u32_e32 v1, s67, v1
	s_waitcnt lgkmcnt(0)
	s_barrier
	buffer_gl0_inv
	v_cmp_le_i32_e32 vcc_lo, s79, v3
	v_readfirstlane_b32 s9, v14
	s_delay_alu instid0(VALU_DEP_1) | instskip(SKIP_1) | instid1(SALU_CYCLE_1)
	s_cmp_lg_u32 s9, 0
	s_cselect_b32 s9, -1, 0
	s_or_b32 s24, vcc_lo, s9
	s_delay_alu instid0(SALU_CYCLE_1) | instskip(NEXT) | instid1(SALU_CYCLE_1)
	s_and_b32 s24, exec_lo, s24
	s_or_b32 s15, s24, s15
	s_and_not1_b32 s17, s17, exec_lo
	s_and_b32 s9, s9, exec_lo
	s_delay_alu instid0(SALU_CYCLE_1)
	s_or_b32 s17, s17, s9
	s_and_not1_b32 exec_lo, exec_lo, s15
	s_cbranch_execz .LBB18_131
.LBB18_124:                             ;   Parent Loop BB18_8 Depth=1
                                        ; =>  This Inner Loop Header: Depth=2
	s_delay_alu instid0(VALU_DEP_1)
	v_cmp_gt_i32_e32 vcc_lo, s44, v3
	v_mov_b32_e32 v14, 0
	s_and_saveexec_b32 s24, vcc_lo
	s_cbranch_execz .LBB18_126
; %bb.125:                              ;   in Loop: Header=BB18_124 Depth=2
	v_ashrrev_i32_e32 v2, 31, v1
	s_delay_alu instid0(VALU_DEP_1) | instskip(NEXT) | instid1(VALU_DEP_1)
	v_lshlrev_b64 v[14:15], 2, v[1:2]
	v_add_co_u32 v14, s9, s62, v14
	s_delay_alu instid0(VALU_DEP_1)
	v_add_co_ci_u32_e64 v15, s9, s63, v15, s9
	global_load_b32 v14, v[14:15], off
.LBB18_126:                             ;   in Loop: Header=BB18_124 Depth=2
	s_or_b32 exec_lo, exec_lo, s24
	s_and_saveexec_b32 s9, vcc_lo
	s_cbranch_execz .LBB18_123
; %bb.127:                              ;   in Loop: Header=BB18_124 Depth=2
	s_waitcnt vmcnt(0)
	v_xor_b32_e32 v2, 0x80000000, v14
	s_delay_alu instid0(VALU_DEP_1) | instskip(NEXT) | instid1(VALU_DEP_1)
	v_and_b32_e32 v2, s91, v2
	v_cmp_eq_u32_e32 vcc_lo, s90, v2
	s_and_b32 exec_lo, exec_lo, vcc_lo
	s_cbranch_execz .LBB18_123
; %bb.128:                              ;   in Loop: Header=BB18_124 Depth=2
	ds_store_b64 v7, v[13:14] offset:3072
	s_branch .LBB18_123
.LBB18_129:                             ;   in Loop: Header=BB18_8 Depth=1
                                        ; implicit-def: $sgpr15
                                        ; implicit-def: $sgpr17
                                        ; implicit-def: $sgpr14
	s_branch .LBB18_143
.LBB18_130:                             ;   in Loop: Header=BB18_8 Depth=1
	s_mov_b32 s15, -1
	s_mov_b32 s24, 0
                                        ; implicit-def: $sgpr14
                                        ; implicit-def: $vgpr15
	s_mov_b32 s17, s15
	s_cbranch_execnz .LBB18_133
	s_branch .LBB18_143
.LBB18_131:                             ;   in Loop: Header=BB18_8 Depth=1
	s_set_inst_prefetch_distance 0x2
	s_or_b32 exec_lo, exec_lo, s15
	s_delay_alu instid0(SALU_CYCLE_1)
	s_and_b32 s24, s17, exec_lo
.LBB18_132:                             ;   in Loop: Header=BB18_8 Depth=1
	s_or_b32 exec_lo, exec_lo, s14
	s_mov_b32 s14, -1
	s_mov_b32 s15, 0
	s_delay_alu instid0(SALU_CYCLE_1)
	s_mov_b32 s17, s15
	s_branch .LBB18_143
.LBB18_133:                             ;   in Loop: Header=BB18_8 Depth=1
	s_add_i32 s14, s20, s68
	s_mov_b32 s24, 0
	s_abs_i32 s9, s14
                                        ; implicit-def: $vgpr15
	s_delay_alu instid0(SALU_CYCLE_1) | instskip(NEXT) | instid1(SALU_CYCLE_1)
	s_mul_hi_u32 s15, s9, s78
	s_mul_i32 s15, s15, s64
	s_delay_alu instid0(SALU_CYCLE_1) | instskip(SKIP_4) | instid1(SALU_CYCLE_1)
	s_sub_i32 s9, s9, s15
	s_ashr_i32 s15, s14, 31
	s_sub_i32 s17, s9, s64
	s_cmp_ge_u32 s9, s64
	s_cselect_b32 s9, s17, s9
	s_sub_i32 s17, s9, s64
	s_cmp_ge_u32 s9, s64
	s_cselect_b32 s9, s17, s9
	s_delay_alu instid0(SALU_CYCLE_1) | instskip(NEXT) | instid1(SALU_CYCLE_1)
	s_xor_b32 s9, s9, s15
	s_sub_i32 s9, s15, s9
	s_delay_alu instid0(SALU_CYCLE_1)
	s_add_i32 s14, s14, s9
	s_mov_b32 s9, exec_lo
	v_cmpx_gt_i32_e64 s14, v0
	s_cbranch_execz .LBB18_142
; %bb.134:                              ;   in Loop: Header=BB18_8 Depth=1
	v_dual_mov_b32 v1, v19 :: v_dual_mov_b32 v2, v0
	s_mov_b32 s15, 0
                                        ; implicit-def: $sgpr17
	s_set_inst_prefetch_distance 0x1
	s_branch .LBB18_136
	.p2align	6
.LBB18_135:                             ;   in Loop: Header=BB18_136 Depth=2
	s_or_b32 exec_lo, exec_lo, s24
	s_waitcnt lgkmcnt(0)
	s_barrier
	buffer_gl0_inv
	ds_load_b64 v[14:15], v7 offset:3072
	v_add_nc_u32_e32 v2, s64, v2
	v_add_nc_u32_e32 v1, s66, v1
	s_waitcnt lgkmcnt(0)
	s_barrier
	buffer_gl0_inv
	v_cmp_le_i32_e32 vcc_lo, s14, v2
	v_readfirstlane_b32 s24, v14
	s_delay_alu instid0(VALU_DEP_1) | instskip(SKIP_1) | instid1(SALU_CYCLE_1)
	s_cmp_lg_u32 s24, 0
	s_cselect_b32 s24, -1, 0
	s_or_b32 s25, vcc_lo, s24
	s_delay_alu instid0(SALU_CYCLE_1) | instskip(NEXT) | instid1(SALU_CYCLE_1)
	s_and_b32 s25, exec_lo, s25
	s_or_b32 s15, s25, s15
	s_and_not1_b32 s17, s17, exec_lo
	s_and_b32 s24, s24, exec_lo
	s_delay_alu instid0(SALU_CYCLE_1)
	s_or_b32 s17, s17, s24
	s_and_not1_b32 exec_lo, exec_lo, s15
	s_cbranch_execz .LBB18_141
.LBB18_136:                             ;   Parent Loop BB18_8 Depth=1
                                        ; =>  This Inner Loop Header: Depth=2
	s_delay_alu instid0(VALU_DEP_1)
	v_cmp_gt_i32_e32 vcc_lo, s20, v2
	v_mov_b32_e32 v14, 0
	s_and_saveexec_b32 s24, vcc_lo
	s_cbranch_execz .LBB18_138
; %bb.137:                              ;   in Loop: Header=BB18_136 Depth=2
	ds_load_b32 v14, v1
.LBB18_138:                             ;   in Loop: Header=BB18_136 Depth=2
	s_or_b32 exec_lo, exec_lo, s24
	s_and_saveexec_b32 s24, vcc_lo
	s_cbranch_execz .LBB18_135
; %bb.139:                              ;   in Loop: Header=BB18_136 Depth=2
	s_waitcnt lgkmcnt(0)
	v_xor_b32_e32 v3, 0x80000000, v14
	s_delay_alu instid0(VALU_DEP_1) | instskip(NEXT) | instid1(VALU_DEP_1)
	v_and_b32_e32 v3, s91, v3
	v_cmp_eq_u32_e32 vcc_lo, s90, v3
	s_and_b32 exec_lo, exec_lo, vcc_lo
	s_cbranch_execz .LBB18_135
; %bb.140:                              ;   in Loop: Header=BB18_136 Depth=2
	ds_store_b64 v7, v[13:14] offset:3072
	s_branch .LBB18_135
.LBB18_141:                             ;   in Loop: Header=BB18_8 Depth=1
	s_set_inst_prefetch_distance 0x2
	s_or_b32 exec_lo, exec_lo, s15
	s_delay_alu instid0(SALU_CYCLE_1)
	s_and_b32 s24, s17, exec_lo
.LBB18_142:                             ;   in Loop: Header=BB18_8 Depth=1
	s_or_b32 exec_lo, exec_lo, s9
	s_mov_b32 s17, -1
	s_mov_b32 s15, 0
	s_mov_b32 s14, 0
.LBB18_143:                             ;   in Loop: Header=BB18_8 Depth=1
	s_mov_b32 s25, 0
                                        ; implicit-def: $sgpr9
	s_and_saveexec_b32 s20, s24
	s_cbranch_execz .LBB18_239
; %bb.144:                              ;   in Loop: Header=BB18_8 Depth=1
	s_xor_b32 s9, s23, -1
	s_mov_b32 s23, 0
	s_and_not1_b32 vcc_lo, exec_lo, s9
	s_mov_b32 s26, 1
	s_cbranch_vccnz .LBB18_155
; %bb.145:                              ;   in Loop: Header=BB18_8 Depth=1
	s_cmp_gt_i32 s22, s21
	s_mov_b32 s23, -1
                                        ; implicit-def: $sgpr9
                                        ; implicit-def: $sgpr24
                                        ; implicit-def: $sgpr25
	s_cbranch_scc1 .LBB18_151
; %bb.146:                              ;   in Loop: Header=BB18_8 Depth=1
	ds_load_b32 v1, v7 offset:4096
	s_waitcnt lgkmcnt(0)
	v_cmp_ne_u32_e32 vcc_lo, 0, v1
	s_cbranch_vccnz .LBB18_150
; %bb.147:                              ;   in Loop: Header=BB18_8 Depth=1
	s_and_saveexec_b32 s9, s0
	s_cbranch_execz .LBB18_149
; %bb.148:                              ;   in Loop: Header=BB18_8 Depth=1
	v_mov_b32_e32 v1, s21
	ds_store_b32 v7, v1 offset:4100
.LBB18_149:                             ;   in Loop: Header=BB18_8 Depth=1
	s_or_b32 exec_lo, exec_lo, s9
	s_waitcnt lgkmcnt(0)
	s_barrier
	buffer_gl0_inv
.LBB18_150:                             ;   in Loop: Header=BB18_8 Depth=1
	s_lshl_b32 s9, 1, s18
	s_and_b32 s23, s90, s19
	s_or_b32 s25, s91, s11
	s_or_b32 s24, s23, s9
	s_mov_b32 s23, 0
	s_mov_b32 s9, 8
.LBB18_151:                             ;   in Loop: Header=BB18_8 Depth=1
	s_and_not1_b32 vcc_lo, exec_lo, s23
	s_cbranch_vccnz .LBB18_153
; %bb.152:                              ;   in Loop: Header=BB18_8 Depth=1
	s_sub_i32 s22, s22, s21
	s_mov_b32 s23, -1
	s_mov_b32 s9, 0
	s_mov_b32 s24, s90
	;; [unrolled: 1-line block ×3, first 2 shown]
.LBB18_153:                             ;   in Loop: Header=BB18_8 Depth=1
	s_delay_alu instid0(SALU_CYCLE_1)
	s_mov_b32 s91, s25
	s_mov_b32 s90, s24
	;; [unrolled: 1-line block ×3, first 2 shown]
	s_and_not1_b32 vcc_lo, exec_lo, s23
	s_mov_b32 s28, -1
	s_cbranch_vccz .LBB18_156
.LBB18_154:                             ;   in Loop: Header=BB18_8 Depth=1
                                        ; implicit-def: $sgpr22
                                        ; implicit-def: $sgpr23
                                        ; implicit-def: $sgpr21
	s_branch .LBB18_238
.LBB18_155:                             ;   in Loop: Header=BB18_8 Depth=1
	s_mov_b32 s9, 1
	s_and_not1_b32 vcc_lo, exec_lo, s23
	s_mov_b32 s28, -1
	s_cbranch_vccnz .LBB18_154
.LBB18_156:                             ;   in Loop: Header=BB18_8 Depth=1
	s_cmp_eq_u32 s16, 1
	s_mov_b32 s27, -1
	s_cselect_b32 s9, -1, 0
	s_cmp_eq_u32 s26, 1
	s_cselect_b32 s21, -1, 0
	s_delay_alu instid0(SALU_CYCLE_1) | instskip(NEXT) | instid1(SALU_CYCLE_1)
	s_and_b32 s25, s9, s21
	s_and_b32 vcc_lo, exec_lo, s25
	s_cbranch_vccz .LBB18_168
; %bb.157:                              ;   in Loop: Header=BB18_8 Depth=1
	ds_load_b32 v1, v7 offset:4096
	s_waitcnt lgkmcnt(0)
	s_barrier
	buffer_gl0_inv
	v_readfirstlane_b32 s24, v1
	s_and_saveexec_b32 s9, s2
	s_cbranch_execz .LBB18_159
; %bb.158:                              ;   in Loop: Header=BB18_8 Depth=1
	ds_store_b32 v20, v7
.LBB18_159:                             ;   in Loop: Header=BB18_8 Depth=1
	s_or_b32 exec_lo, exec_lo, s9
	s_lshl_b32 s9, 2, s18
	s_and_b32 s21, s90, s19
	s_or_b32 s91, s91, s11
	s_or_b32 s90, s21, s9
	s_cmp_gt_i32 s24, 0
	s_waitcnt lgkmcnt(0)
	s_barrier
	buffer_gl0_inv
	s_cbranch_scc1 .LBB18_169
; %bb.160:                              ;   in Loop: Header=BB18_8 Depth=1
	s_mov_b32 s27, 0
                                        ; implicit-def: $vgpr15
	s_and_saveexec_b32 s21, s8
	s_cbranch_execz .LBB18_171
; %bb.161:                              ;   in Loop: Header=BB18_8 Depth=1
	v_mov_b32_e32 v1, v5
	v_mov_b32_e32 v3, v0
	s_mov_b32 s22, 0
                                        ; implicit-def: $sgpr23
	s_set_inst_prefetch_distance 0x1
	s_branch .LBB18_163
	.p2align	6
.LBB18_162:                             ;   in Loop: Header=BB18_163 Depth=2
	s_or_b32 exec_lo, exec_lo, s9
	s_waitcnt vmcnt(0) lgkmcnt(0)
	s_barrier
	buffer_gl0_inv
	ds_load_b64 v[14:15], v7 offset:3072
	v_add_nc_u32_e32 v3, s64, v3
	v_add_nc_u32_e32 v1, s67, v1
	s_waitcnt lgkmcnt(0)
	s_barrier
	buffer_gl0_inv
	v_cmp_le_i32_e32 vcc_lo, s79, v3
	v_readfirstlane_b32 s9, v14
	s_delay_alu instid0(VALU_DEP_1) | instskip(SKIP_1) | instid1(SALU_CYCLE_1)
	s_cmp_lg_u32 s9, 0
	s_cselect_b32 s9, -1, 0
	s_or_b32 s27, vcc_lo, s9
	s_delay_alu instid0(SALU_CYCLE_1) | instskip(NEXT) | instid1(SALU_CYCLE_1)
	s_and_b32 s27, exec_lo, s27
	s_or_b32 s22, s27, s22
	s_and_not1_b32 s23, s23, exec_lo
	s_and_b32 s9, s9, exec_lo
	s_delay_alu instid0(SALU_CYCLE_1)
	s_or_b32 s23, s23, s9
	s_and_not1_b32 exec_lo, exec_lo, s22
	s_cbranch_execz .LBB18_170
.LBB18_163:                             ;   Parent Loop BB18_8 Depth=1
                                        ; =>  This Inner Loop Header: Depth=2
	s_delay_alu instid0(VALU_DEP_1)
	v_cmp_gt_i32_e32 vcc_lo, s44, v3
	v_mov_b32_e32 v14, 0
	s_and_saveexec_b32 s27, vcc_lo
	s_cbranch_execz .LBB18_165
; %bb.164:                              ;   in Loop: Header=BB18_163 Depth=2
	v_ashrrev_i32_e32 v2, 31, v1
	s_delay_alu instid0(VALU_DEP_1) | instskip(NEXT) | instid1(VALU_DEP_1)
	v_lshlrev_b64 v[14:15], 2, v[1:2]
	v_add_co_u32 v14, s9, s62, v14
	s_delay_alu instid0(VALU_DEP_1)
	v_add_co_ci_u32_e64 v15, s9, s63, v15, s9
	global_load_b32 v14, v[14:15], off
.LBB18_165:                             ;   in Loop: Header=BB18_163 Depth=2
	s_or_b32 exec_lo, exec_lo, s27
	s_and_saveexec_b32 s9, vcc_lo
	s_cbranch_execz .LBB18_162
; %bb.166:                              ;   in Loop: Header=BB18_163 Depth=2
	s_waitcnt vmcnt(0)
	v_xor_b32_e32 v2, 0x80000000, v14
	s_delay_alu instid0(VALU_DEP_1) | instskip(NEXT) | instid1(VALU_DEP_1)
	v_and_b32_e32 v2, s91, v2
	v_cmp_eq_u32_e32 vcc_lo, s90, v2
	s_and_b32 exec_lo, exec_lo, vcc_lo
	s_cbranch_execz .LBB18_162
; %bb.167:                              ;   in Loop: Header=BB18_163 Depth=2
	ds_store_b64 v7, v[13:14] offset:3072
	s_branch .LBB18_162
.LBB18_168:                             ;   in Loop: Header=BB18_8 Depth=1
                                        ; implicit-def: $sgpr21
                                        ; implicit-def: $sgpr23
                                        ; implicit-def: $sgpr22
	s_branch .LBB18_182
.LBB18_169:                             ;   in Loop: Header=BB18_8 Depth=1
	s_mov_b32 s21, -1
	s_mov_b32 s27, 0
                                        ; implicit-def: $sgpr22
                                        ; implicit-def: $vgpr15
	s_mov_b32 s23, s21
	s_cbranch_execnz .LBB18_172
	s_branch .LBB18_182
.LBB18_170:                             ;   in Loop: Header=BB18_8 Depth=1
	s_set_inst_prefetch_distance 0x2
	s_or_b32 exec_lo, exec_lo, s22
	s_delay_alu instid0(SALU_CYCLE_1)
	s_and_b32 s27, s23, exec_lo
.LBB18_171:                             ;   in Loop: Header=BB18_8 Depth=1
	s_or_b32 exec_lo, exec_lo, s21
	s_mov_b32 s22, -1
	s_mov_b32 s21, 0
	s_delay_alu instid0(SALU_CYCLE_1)
	s_mov_b32 s23, s21
	s_branch .LBB18_182
.LBB18_172:                             ;   in Loop: Header=BB18_8 Depth=1
	s_add_i32 s21, s24, s68
	s_mov_b32 s27, 0
	s_abs_i32 s9, s21
                                        ; implicit-def: $vgpr15
	s_delay_alu instid0(SALU_CYCLE_1) | instskip(NEXT) | instid1(SALU_CYCLE_1)
	s_mul_hi_u32 s22, s9, s78
	s_mul_i32 s22, s22, s64
	s_delay_alu instid0(SALU_CYCLE_1) | instskip(SKIP_4) | instid1(SALU_CYCLE_1)
	s_sub_i32 s9, s9, s22
	s_ashr_i32 s22, s21, 31
	s_sub_i32 s23, s9, s64
	s_cmp_ge_u32 s9, s64
	s_cselect_b32 s9, s23, s9
	s_sub_i32 s23, s9, s64
	s_cmp_ge_u32 s9, s64
	s_cselect_b32 s9, s23, s9
	s_delay_alu instid0(SALU_CYCLE_1) | instskip(NEXT) | instid1(SALU_CYCLE_1)
	s_xor_b32 s9, s9, s22
	s_sub_i32 s9, s22, s9
	s_delay_alu instid0(SALU_CYCLE_1)
	s_add_i32 s21, s21, s9
	s_mov_b32 s9, exec_lo
	v_cmpx_gt_i32_e64 s21, v0
	s_cbranch_execz .LBB18_181
; %bb.173:                              ;   in Loop: Header=BB18_8 Depth=1
	v_dual_mov_b32 v1, v19 :: v_dual_mov_b32 v2, v0
	s_mov_b32 s22, 0
                                        ; implicit-def: $sgpr23
	s_set_inst_prefetch_distance 0x1
	s_branch .LBB18_175
	.p2align	6
.LBB18_174:                             ;   in Loop: Header=BB18_175 Depth=2
	s_or_b32 exec_lo, exec_lo, s27
	s_waitcnt lgkmcnt(0)
	s_barrier
	buffer_gl0_inv
	ds_load_b64 v[14:15], v7 offset:3072
	v_add_nc_u32_e32 v2, s64, v2
	v_add_nc_u32_e32 v1, s66, v1
	s_waitcnt lgkmcnt(0)
	s_barrier
	buffer_gl0_inv
	v_cmp_le_i32_e32 vcc_lo, s21, v2
	v_readfirstlane_b32 s27, v14
	s_delay_alu instid0(VALU_DEP_1) | instskip(SKIP_1) | instid1(SALU_CYCLE_1)
	s_cmp_lg_u32 s27, 0
	s_cselect_b32 s27, -1, 0
	s_or_b32 s28, vcc_lo, s27
	s_delay_alu instid0(SALU_CYCLE_1) | instskip(NEXT) | instid1(SALU_CYCLE_1)
	s_and_b32 s28, exec_lo, s28
	s_or_b32 s22, s28, s22
	s_and_not1_b32 s23, s23, exec_lo
	s_and_b32 s27, s27, exec_lo
	s_delay_alu instid0(SALU_CYCLE_1)
	s_or_b32 s23, s23, s27
	s_and_not1_b32 exec_lo, exec_lo, s22
	s_cbranch_execz .LBB18_180
.LBB18_175:                             ;   Parent Loop BB18_8 Depth=1
                                        ; =>  This Inner Loop Header: Depth=2
	s_delay_alu instid0(VALU_DEP_1)
	v_cmp_gt_i32_e32 vcc_lo, s24, v2
	v_mov_b32_e32 v14, 0
	s_and_saveexec_b32 s27, vcc_lo
	s_cbranch_execz .LBB18_177
; %bb.176:                              ;   in Loop: Header=BB18_175 Depth=2
	ds_load_b32 v14, v1
.LBB18_177:                             ;   in Loop: Header=BB18_175 Depth=2
	s_or_b32 exec_lo, exec_lo, s27
	s_and_saveexec_b32 s27, vcc_lo
	s_cbranch_execz .LBB18_174
; %bb.178:                              ;   in Loop: Header=BB18_175 Depth=2
	s_waitcnt lgkmcnt(0)
	v_xor_b32_e32 v3, 0x80000000, v14
	s_delay_alu instid0(VALU_DEP_1) | instskip(NEXT) | instid1(VALU_DEP_1)
	v_and_b32_e32 v3, s91, v3
	v_cmp_eq_u32_e32 vcc_lo, s90, v3
	s_and_b32 exec_lo, exec_lo, vcc_lo
	s_cbranch_execz .LBB18_174
; %bb.179:                              ;   in Loop: Header=BB18_175 Depth=2
	ds_store_b64 v7, v[13:14] offset:3072
	s_branch .LBB18_174
.LBB18_180:                             ;   in Loop: Header=BB18_8 Depth=1
	s_set_inst_prefetch_distance 0x2
	s_or_b32 exec_lo, exec_lo, s22
	s_delay_alu instid0(SALU_CYCLE_1)
	s_and_b32 s27, s23, exec_lo
.LBB18_181:                             ;   in Loop: Header=BB18_8 Depth=1
	s_or_b32 exec_lo, exec_lo, s9
	s_mov_b32 s23, -1
	s_mov_b32 s21, 0
	s_mov_b32 s22, 0
.LBB18_182:                             ;   in Loop: Header=BB18_8 Depth=1
	s_mov_b32 s28, 0
                                        ; implicit-def: $sgpr9
	s_and_saveexec_b32 s24, s27
	s_cbranch_execz .LBB18_237
; %bb.183:                              ;   in Loop: Header=BB18_8 Depth=1
	s_xor_b32 s9, s25, -1
	s_mov_b32 s27, 0
	s_and_not1_b32 vcc_lo, exec_lo, s9
	s_mov_b32 s25, 1
	s_cbranch_vccnz .LBB18_194
; %bb.184:                              ;   in Loop: Header=BB18_8 Depth=1
	s_cmp_gt_i32 s26, s16
	s_mov_b32 s27, -1
                                        ; implicit-def: $sgpr9
                                        ; implicit-def: $sgpr25
                                        ; implicit-def: $sgpr28
	s_cbranch_scc1 .LBB18_190
; %bb.185:                              ;   in Loop: Header=BB18_8 Depth=1
	ds_load_b32 v1, v7 offset:4096
	s_waitcnt lgkmcnt(0)
	v_cmp_ne_u32_e32 vcc_lo, 0, v1
	s_cbranch_vccnz .LBB18_189
; %bb.186:                              ;   in Loop: Header=BB18_8 Depth=1
	s_and_saveexec_b32 s9, s0
	s_cbranch_execz .LBB18_188
; %bb.187:                              ;   in Loop: Header=BB18_8 Depth=1
	v_mov_b32_e32 v1, s16
	ds_store_b32 v7, v1 offset:4100
.LBB18_188:                             ;   in Loop: Header=BB18_8 Depth=1
	s_or_b32 exec_lo, exec_lo, s9
	s_waitcnt lgkmcnt(0)
	s_barrier
	buffer_gl0_inv
.LBB18_189:                             ;   in Loop: Header=BB18_8 Depth=1
	s_lshl_b32 s9, 2, s18
	s_and_b32 s18, s90, s19
	s_or_b32 s28, s91, s11
	s_or_b32 s25, s18, s9
	s_mov_b32 s27, 0
	s_mov_b32 s9, 8
.LBB18_190:                             ;   in Loop: Header=BB18_8 Depth=1
	s_and_not1_b32 vcc_lo, exec_lo, s27
	s_cbranch_vccnz .LBB18_192
; %bb.191:                              ;   in Loop: Header=BB18_8 Depth=1
	s_sub_i32 s26, s26, s16
	s_mov_b32 s27, -1
	s_mov_b32 s9, 0
	s_mov_b32 s25, s90
	;; [unrolled: 1-line block ×3, first 2 shown]
.LBB18_192:                             ;   in Loop: Header=BB18_8 Depth=1
	s_delay_alu instid0(SALU_CYCLE_1)
	s_mov_b32 s91, s28
	s_mov_b32 s90, s25
	;; [unrolled: 1-line block ×3, first 2 shown]
	s_and_not1_b32 vcc_lo, exec_lo, s27
	s_mov_b32 s45, -1
	s_cbranch_vccz .LBB18_195
.LBB18_193:                             ;   in Loop: Header=BB18_8 Depth=1
                                        ; implicit-def: $sgpr19
                                        ; implicit-def: $sgpr27
                                        ; implicit-def: $sgpr26
	s_branch .LBB18_236
.LBB18_194:                             ;   in Loop: Header=BB18_8 Depth=1
	s_mov_b32 s9, 1
	s_and_not1_b32 vcc_lo, exec_lo, s27
	s_mov_b32 s45, -1
	s_cbranch_vccnz .LBB18_193
.LBB18_195:                             ;   in Loop: Header=BB18_8 Depth=1
	s_cmp_eq_u32 s10, 1
	s_mov_b32 s28, -1
	s_cselect_b32 s9, -1, 0
	s_cmp_eq_u32 s25, 1
	s_cselect_b32 s16, -1, 0
	s_delay_alu instid0(SALU_CYCLE_1) | instskip(NEXT) | instid1(SALU_CYCLE_1)
	s_and_b32 s16, s9, s16
	s_and_b32 vcc_lo, exec_lo, s16
	s_cbranch_vccz .LBB18_207
; %bb.196:                              ;   in Loop: Header=BB18_8 Depth=1
	ds_load_b32 v1, v7 offset:4096
	s_waitcnt lgkmcnt(0)
	s_barrier
	buffer_gl0_inv
	v_readfirstlane_b32 s18, v1
	s_and_saveexec_b32 s9, s2
	s_cbranch_execz .LBB18_198
; %bb.197:                              ;   in Loop: Header=BB18_8 Depth=1
	ds_store_b32 v20, v7
.LBB18_198:                             ;   in Loop: Header=BB18_8 Depth=1
	s_or_b32 exec_lo, exec_lo, s9
	s_or_b32 s90, s90, s11
	s_or_b32 s91, s91, s11
	s_cmp_gt_i32 s18, 0
	s_waitcnt lgkmcnt(0)
	s_barrier
	buffer_gl0_inv
	s_cbranch_scc1 .LBB18_208
; %bb.199:                              ;   in Loop: Header=BB18_8 Depth=1
	s_mov_b32 s28, 0
                                        ; implicit-def: $vgpr15
	s_and_saveexec_b32 s19, s8
	s_cbranch_execz .LBB18_210
; %bb.200:                              ;   in Loop: Header=BB18_8 Depth=1
	v_mov_b32_e32 v1, v5
	v_mov_b32_e32 v3, v0
	s_mov_b32 s26, 0
                                        ; implicit-def: $sgpr27
	s_set_inst_prefetch_distance 0x1
	s_branch .LBB18_202
	.p2align	6
.LBB18_201:                             ;   in Loop: Header=BB18_202 Depth=2
	s_or_b32 exec_lo, exec_lo, s9
	s_waitcnt vmcnt(0) lgkmcnt(0)
	s_barrier
	buffer_gl0_inv
	ds_load_b64 v[14:15], v7 offset:3072
	v_add_nc_u32_e32 v3, s64, v3
	v_add_nc_u32_e32 v1, s67, v1
	s_waitcnt lgkmcnt(0)
	s_barrier
	buffer_gl0_inv
	v_cmp_le_i32_e32 vcc_lo, s79, v3
	v_readfirstlane_b32 s9, v14
	s_delay_alu instid0(VALU_DEP_1) | instskip(SKIP_1) | instid1(SALU_CYCLE_1)
	s_cmp_lg_u32 s9, 0
	s_cselect_b32 s9, -1, 0
	s_or_b32 s28, vcc_lo, s9
	s_delay_alu instid0(SALU_CYCLE_1) | instskip(NEXT) | instid1(SALU_CYCLE_1)
	s_and_b32 s28, exec_lo, s28
	s_or_b32 s26, s28, s26
	s_and_not1_b32 s27, s27, exec_lo
	s_and_b32 s9, s9, exec_lo
	s_delay_alu instid0(SALU_CYCLE_1)
	s_or_b32 s27, s27, s9
	s_and_not1_b32 exec_lo, exec_lo, s26
	s_cbranch_execz .LBB18_209
.LBB18_202:                             ;   Parent Loop BB18_8 Depth=1
                                        ; =>  This Inner Loop Header: Depth=2
	s_delay_alu instid0(VALU_DEP_1)
	v_cmp_gt_i32_e32 vcc_lo, s44, v3
	v_mov_b32_e32 v14, 0
	s_and_saveexec_b32 s28, vcc_lo
	s_cbranch_execz .LBB18_204
; %bb.203:                              ;   in Loop: Header=BB18_202 Depth=2
	v_ashrrev_i32_e32 v2, 31, v1
	s_delay_alu instid0(VALU_DEP_1) | instskip(NEXT) | instid1(VALU_DEP_1)
	v_lshlrev_b64 v[14:15], 2, v[1:2]
	v_add_co_u32 v14, s9, s62, v14
	s_delay_alu instid0(VALU_DEP_1)
	v_add_co_ci_u32_e64 v15, s9, s63, v15, s9
	global_load_b32 v14, v[14:15], off
.LBB18_204:                             ;   in Loop: Header=BB18_202 Depth=2
	s_or_b32 exec_lo, exec_lo, s28
	s_and_saveexec_b32 s9, vcc_lo
	s_cbranch_execz .LBB18_201
; %bb.205:                              ;   in Loop: Header=BB18_202 Depth=2
	s_waitcnt vmcnt(0)
	v_xor_b32_e32 v2, 0x80000000, v14
	s_delay_alu instid0(VALU_DEP_1) | instskip(NEXT) | instid1(VALU_DEP_1)
	v_and_b32_e32 v2, s91, v2
	v_cmp_eq_u32_e32 vcc_lo, s90, v2
	s_and_b32 exec_lo, exec_lo, vcc_lo
	s_cbranch_execz .LBB18_201
; %bb.206:                              ;   in Loop: Header=BB18_202 Depth=2
	ds_store_b64 v7, v[13:14] offset:3072
	s_branch .LBB18_201
.LBB18_207:                             ;   in Loop: Header=BB18_8 Depth=1
                                        ; implicit-def: $sgpr19
                                        ; implicit-def: $sgpr27
                                        ; implicit-def: $sgpr26
	s_branch .LBB18_221
.LBB18_208:                             ;   in Loop: Header=BB18_8 Depth=1
	s_mov_b32 s19, -1
	s_mov_b32 s28, 0
                                        ; implicit-def: $sgpr26
                                        ; implicit-def: $vgpr15
	s_mov_b32 s27, s19
	s_cbranch_execnz .LBB18_211
	s_branch .LBB18_221
.LBB18_209:                             ;   in Loop: Header=BB18_8 Depth=1
	s_set_inst_prefetch_distance 0x2
	s_or_b32 exec_lo, exec_lo, s26
	s_delay_alu instid0(SALU_CYCLE_1)
	s_and_b32 s28, s27, exec_lo
.LBB18_210:                             ;   in Loop: Header=BB18_8 Depth=1
	s_or_b32 exec_lo, exec_lo, s19
	s_mov_b32 s26, -1
	s_mov_b32 s19, 0
	s_delay_alu instid0(SALU_CYCLE_1)
	s_mov_b32 s27, s19
	s_branch .LBB18_221
.LBB18_211:                             ;   in Loop: Header=BB18_8 Depth=1
	s_add_i32 s19, s18, s68
	s_mov_b32 s28, 0
	s_abs_i32 s9, s19
                                        ; implicit-def: $vgpr15
	s_delay_alu instid0(SALU_CYCLE_1) | instskip(NEXT) | instid1(SALU_CYCLE_1)
	s_mul_hi_u32 s26, s9, s78
	s_mul_i32 s26, s26, s64
	s_delay_alu instid0(SALU_CYCLE_1) | instskip(SKIP_4) | instid1(SALU_CYCLE_1)
	s_sub_i32 s9, s9, s26
	s_ashr_i32 s26, s19, 31
	s_sub_i32 s27, s9, s64
	s_cmp_ge_u32 s9, s64
	s_cselect_b32 s9, s27, s9
	s_sub_i32 s27, s9, s64
	s_cmp_ge_u32 s9, s64
	s_cselect_b32 s9, s27, s9
	s_delay_alu instid0(SALU_CYCLE_1) | instskip(NEXT) | instid1(SALU_CYCLE_1)
	s_xor_b32 s9, s9, s26
	s_sub_i32 s9, s26, s9
	s_delay_alu instid0(SALU_CYCLE_1)
	s_add_i32 s19, s19, s9
	s_mov_b32 s9, exec_lo
	v_cmpx_gt_i32_e64 s19, v0
	s_cbranch_execz .LBB18_220
; %bb.212:                              ;   in Loop: Header=BB18_8 Depth=1
	v_dual_mov_b32 v1, v19 :: v_dual_mov_b32 v2, v0
	s_mov_b32 s26, 0
                                        ; implicit-def: $sgpr27
	s_set_inst_prefetch_distance 0x1
	s_branch .LBB18_214
	.p2align	6
.LBB18_213:                             ;   in Loop: Header=BB18_214 Depth=2
	s_or_b32 exec_lo, exec_lo, s28
	s_waitcnt lgkmcnt(0)
	s_barrier
	buffer_gl0_inv
	ds_load_b64 v[14:15], v7 offset:3072
	v_add_nc_u32_e32 v2, s64, v2
	v_add_nc_u32_e32 v1, s66, v1
	s_waitcnt lgkmcnt(0)
	s_barrier
	buffer_gl0_inv
	v_cmp_le_i32_e32 vcc_lo, s19, v2
	v_readfirstlane_b32 s28, v14
	s_delay_alu instid0(VALU_DEP_1) | instskip(SKIP_1) | instid1(SALU_CYCLE_1)
	s_cmp_lg_u32 s28, 0
	s_cselect_b32 s28, -1, 0
	s_or_b32 s45, vcc_lo, s28
	s_delay_alu instid0(SALU_CYCLE_1) | instskip(NEXT) | instid1(SALU_CYCLE_1)
	s_and_b32 s45, exec_lo, s45
	s_or_b32 s26, s45, s26
	s_and_not1_b32 s27, s27, exec_lo
	s_and_b32 s28, s28, exec_lo
	s_delay_alu instid0(SALU_CYCLE_1)
	s_or_b32 s27, s27, s28
	s_and_not1_b32 exec_lo, exec_lo, s26
	s_cbranch_execz .LBB18_219
.LBB18_214:                             ;   Parent Loop BB18_8 Depth=1
                                        ; =>  This Inner Loop Header: Depth=2
	s_delay_alu instid0(VALU_DEP_1)
	v_cmp_gt_i32_e32 vcc_lo, s18, v2
	v_mov_b32_e32 v14, 0
	s_and_saveexec_b32 s28, vcc_lo
	s_cbranch_execz .LBB18_216
; %bb.215:                              ;   in Loop: Header=BB18_214 Depth=2
	ds_load_b32 v14, v1
.LBB18_216:                             ;   in Loop: Header=BB18_214 Depth=2
	s_or_b32 exec_lo, exec_lo, s28
	s_and_saveexec_b32 s28, vcc_lo
	s_cbranch_execz .LBB18_213
; %bb.217:                              ;   in Loop: Header=BB18_214 Depth=2
	s_waitcnt lgkmcnt(0)
	v_xor_b32_e32 v3, 0x80000000, v14
	s_delay_alu instid0(VALU_DEP_1) | instskip(NEXT) | instid1(VALU_DEP_1)
	v_and_b32_e32 v3, s91, v3
	v_cmp_eq_u32_e32 vcc_lo, s90, v3
	s_and_b32 exec_lo, exec_lo, vcc_lo
	s_cbranch_execz .LBB18_213
; %bb.218:                              ;   in Loop: Header=BB18_214 Depth=2
	ds_store_b64 v7, v[13:14] offset:3072
	s_branch .LBB18_213
.LBB18_219:                             ;   in Loop: Header=BB18_8 Depth=1
	s_set_inst_prefetch_distance 0x2
	s_or_b32 exec_lo, exec_lo, s26
	s_delay_alu instid0(SALU_CYCLE_1)
	s_and_b32 s28, s27, exec_lo
.LBB18_220:                             ;   in Loop: Header=BB18_8 Depth=1
	s_or_b32 exec_lo, exec_lo, s9
	s_mov_b32 s27, -1
	s_mov_b32 s19, 0
	s_mov_b32 s26, 0
.LBB18_221:                             ;   in Loop: Header=BB18_8 Depth=1
	s_mov_b32 s45, 0
                                        ; implicit-def: $sgpr9
	s_and_saveexec_b32 s18, s28
	s_cbranch_execz .LBB18_235
; %bb.222:                              ;   in Loop: Header=BB18_8 Depth=1
	s_xor_b32 s9, s16, -1
	s_delay_alu instid0(SALU_CYCLE_1)
	s_and_not1_b32 vcc_lo, exec_lo, s9
	s_mov_b32 s9, 1
	s_cbranch_vccnz .LBB18_229
; %bb.223:                              ;   in Loop: Header=BB18_8 Depth=1
	s_cmp_gt_i32 s25, s10
	s_cbranch_scc1 .LBB18_230
; %bb.224:                              ;   in Loop: Header=BB18_8 Depth=1
	ds_load_b32 v1, v7 offset:4096
	s_waitcnt lgkmcnt(0)
	v_cmp_ne_u32_e32 vcc_lo, 0, v1
	s_cbranch_vccnz .LBB18_228
; %bb.225:                              ;   in Loop: Header=BB18_8 Depth=1
	s_and_saveexec_b32 s9, s0
	s_cbranch_execz .LBB18_227
; %bb.226:                              ;   in Loop: Header=BB18_8 Depth=1
	v_mov_b32_e32 v1, s10
	ds_store_b32 v7, v1 offset:4100
.LBB18_227:                             ;   in Loop: Header=BB18_8 Depth=1
	s_or_b32 exec_lo, exec_lo, s9
	s_waitcnt lgkmcnt(0)
	s_barrier
	buffer_gl0_inv
.LBB18_228:                             ;   in Loop: Header=BB18_8 Depth=1
	s_or_b32 s16, s90, s11
	s_or_b32 s11, s91, s11
	s_mov_b32 s28, 0
	s_mov_b32 s9, 8
	s_branch .LBB18_231
.LBB18_229:                             ;   in Loop: Header=BB18_8 Depth=1
	s_mov_b32 s25, 1
	s_branch .LBB18_234
.LBB18_230:                             ;   in Loop: Header=BB18_8 Depth=1
	s_mov_b32 s28, -1
                                        ; implicit-def: $sgpr9
                                        ; implicit-def: $sgpr16
                                        ; implicit-def: $sgpr11
.LBB18_231:                             ;   in Loop: Header=BB18_8 Depth=1
	s_delay_alu instid0(SALU_CYCLE_1)
	s_and_not1_b32 vcc_lo, exec_lo, s28
	s_cbranch_vccnz .LBB18_233
; %bb.232:                              ;   in Loop: Header=BB18_8 Depth=1
	s_sub_i32 s25, s25, s10
	s_mov_b32 s9, 8
	s_mov_b32 s16, s90
	;; [unrolled: 1-line block ×3, first 2 shown]
.LBB18_233:                             ;   in Loop: Header=BB18_8 Depth=1
	s_mov_b32 s90, s16
	s_mov_b32 s91, s11
.LBB18_234:                             ;   in Loop: Header=BB18_8 Depth=1
	s_mov_b32 s45, exec_lo
.LBB18_235:                             ;   in Loop: Header=BB18_8 Depth=1
	s_or_b32 exec_lo, exec_lo, s18
.LBB18_236:                             ;   in Loop: Header=BB18_8 Depth=1
	s_delay_alu instid0(SALU_CYCLE_1)
	s_and_not1_b32 s10, s21, exec_lo
	s_and_b32 s11, s19, exec_lo
	s_and_not1_b32 s16, s22, exec_lo
	s_or_b32 s21, s10, s11
	s_and_not1_b32 s10, s23, exec_lo
	s_and_b32 s11, s27, exec_lo
	s_and_b32 s18, s26, exec_lo
	s_or_b32 s23, s10, s11
	s_or_b32 s22, s16, s18
	s_and_b32 s28, s45, exec_lo
	s_mov_b32 s26, s25
.LBB18_237:                             ;   in Loop: Header=BB18_8 Depth=1
	s_or_b32 exec_lo, exec_lo, s24
.LBB18_238:                             ;   in Loop: Header=BB18_8 Depth=1
	s_delay_alu instid0(SALU_CYCLE_1)
	s_and_not1_b32 s10, s15, exec_lo
	s_and_b32 s11, s21, exec_lo
	s_and_not1_b32 s14, s14, exec_lo
	s_or_b32 s15, s10, s11
	s_and_not1_b32 s10, s17, exec_lo
	s_and_b32 s11, s23, exec_lo
	s_and_b32 s16, s22, exec_lo
	s_or_b32 s17, s10, s11
	s_or_b32 s14, s14, s16
	s_and_b32 s25, s28, exec_lo
	s_mov_b32 s22, s26
.LBB18_239:                             ;   in Loop: Header=BB18_8 Depth=1
	s_or_b32 exec_lo, exec_lo, s20
	s_and_saveexec_b32 s10, s25
	s_delay_alu instid0(SALU_CYCLE_1)
	s_xor_b32 s10, exec_lo, s10
	s_cbranch_execz .LBB18_6
.LBB18_240:                             ;   in Loop: Header=BB18_8 Depth=1
	s_and_b32 s9, s9, -9
	s_delay_alu instid0(SALU_CYCLE_1)
	s_cmp_eq_u32 s9, 0
	s_cbranch_scc1 .LBB18_4
; %bb.241:                              ;   in Loop: Header=BB18_8 Depth=1
	s_mov_b32 s9, -1
	s_mov_b32 s11, -1
                                        ; implicit-def: $sgpr91
                                        ; implicit-def: $sgpr22
                                        ; implicit-def: $sgpr85
                                        ; implicit-def: $sgpr88
	s_branch .LBB18_5
.LBB18_242:
	s_or_b32 exec_lo, exec_lo, s65
	s_xor_b32 s4, s84, -1
	s_xor_b32 s1, s82, -1
	;; [unrolled: 1-line block ×3, first 2 shown]
	s_mov_b32 s2, 0
	s_and_saveexec_b32 s5, s1
	s_delay_alu instid0(SALU_CYCLE_1)
	s_xor_b32 s1, exec_lo, s5
	s_cbranch_execz .LBB18_263
; %bb.243:
	s_and_saveexec_b32 s2, s4
	s_delay_alu instid0(SALU_CYCLE_1)
	s_xor_b32 s2, exec_lo, s2
	s_cbranch_execz .LBB18_261
; %bb.244:
	s_and_saveexec_b32 s4, s3
	s_delay_alu instid0(SALU_CYCLE_1)
	s_xor_b32 s3, exec_lo, s4
; %bb.245:
	v_xor_b32_e32 v15, 0x80000000, v1
; %bb.246:
	s_or_b32 exec_lo, exec_lo, s3
	s_and_saveexec_b32 s3, s0
	s_cbranch_execz .LBB18_248
; %bb.247:
	v_dual_mov_b32 v1, 0 :: v_dual_mov_b32 v2, s44
	ds_store_b32 v1, v2 offset:4108
.LBB18_248:
	s_or_b32 exec_lo, exec_lo, s3
	v_mov_b32_e32 v1, 0
	s_waitcnt lgkmcnt(0)
	s_barrier
	buffer_gl0_inv
	s_mov_b32 s3, exec_lo
	ds_load_b32 v1, v1 offset:4108
	s_waitcnt lgkmcnt(0)
	v_min_i32_e32 v1, s44, v1
	s_delay_alu instid0(VALU_DEP_1)
	v_cmpx_lt_i32_e64 v0, v1
	s_cbranch_execz .LBB18_258
; %bb.249:
	s_mov_b32 s4, 0
                                        ; implicit-def: $sgpr5
                                        ; implicit-def: $sgpr7
                                        ; implicit-def: $sgpr6
	s_set_inst_prefetch_distance 0x1
	s_branch .LBB18_251
	.p2align	6
.LBB18_250:                             ;   in Loop: Header=BB18_251 Depth=1
	s_or_b32 exec_lo, exec_lo, s8
	s_delay_alu instid0(SALU_CYCLE_1) | instskip(NEXT) | instid1(SALU_CYCLE_1)
	s_and_b32 s8, exec_lo, s7
	s_or_b32 s4, s8, s4
	s_and_not1_b32 s5, s5, exec_lo
	s_and_b32 s8, s6, exec_lo
	s_delay_alu instid0(SALU_CYCLE_1)
	s_or_b32 s5, s5, s8
	s_and_not1_b32 exec_lo, exec_lo, s4
	s_cbranch_execz .LBB18_253
.LBB18_251:                             ; =>This Inner Loop Header: Depth=1
	v_ashrrev_i32_e32 v6, 31, v5
	s_or_b32 s6, s6, exec_lo
	s_or_b32 s7, s7, exec_lo
	s_mov_b32 s8, exec_lo
	s_delay_alu instid0(VALU_DEP_1) | instskip(NEXT) | instid1(VALU_DEP_1)
	v_lshlrev_b64 v[2:3], 2, v[5:6]
	v_add_co_u32 v2, vcc_lo, s62, v2
	s_delay_alu instid0(VALU_DEP_2)
	v_add_co_ci_u32_e32 v3, vcc_lo, s63, v3, vcc_lo
	global_load_b32 v3, v[2:3], off
	v_mov_b32_e32 v2, v0
                                        ; implicit-def: $vgpr0
	s_waitcnt vmcnt(0)
	v_cmpx_ne_u32_e64 v3, v15
	s_cbranch_execz .LBB18_250
; %bb.252:                              ;   in Loop: Header=BB18_251 Depth=1
	s_delay_alu instid0(VALU_DEP_2) | instskip(SKIP_3) | instid1(VALU_DEP_2)
	v_add_nc_u32_e32 v0, s64, v2
	s_and_not1_b32 s7, s7, exec_lo
	v_add_nc_u32_e32 v5, s67, v5
	s_and_not1_b32 s6, s6, exec_lo
	v_cmp_ge_i32_e32 vcc_lo, v0, v1
	s_and_b32 s9, vcc_lo, exec_lo
	s_delay_alu instid0(SALU_CYCLE_1)
	s_or_b32 s7, s7, s9
	s_branch .LBB18_250
.LBB18_253:
	s_set_inst_prefetch_distance 0x2
	s_or_b32 exec_lo, exec_lo, s4
	s_and_saveexec_b32 s4, s5
	s_delay_alu instid0(SALU_CYCLE_1)
	s_xor_b32 s4, exec_lo, s4
	s_cbranch_execz .LBB18_258
; %bb.254:
	s_mov_b32 s5, exec_lo
	s_brev_b32 s4, -2
.LBB18_255:                             ; =>This Inner Loop Header: Depth=1
	s_ctz_i32_b32 s6, s5
	s_delay_alu instid0(SALU_CYCLE_1) | instskip(SKIP_1) | instid1(SALU_CYCLE_1)
	v_readlane_b32 s7, v2, s6
	s_lshl_b32 s6, 1, s6
	s_and_not1_b32 s5, s5, s6
	s_delay_alu instid0(VALU_DEP_1)
	s_min_i32 s4, s4, s7
	s_cmp_lg_u32 s5, 0
	s_cbranch_scc1 .LBB18_255
; %bb.256:
	v_mbcnt_lo_u32_b32 v0, exec_lo, 0
	s_mov_b32 s5, exec_lo
	s_delay_alu instid0(VALU_DEP_1)
	v_cmpx_eq_u32_e32 0, v0
	s_xor_b32 s5, exec_lo, s5
	s_cbranch_execz .LBB18_258
; %bb.257:
	v_dual_mov_b32 v0, 0 :: v_dual_mov_b32 v1, s4
	ds_min_i32 v0, v1 offset:4108
.LBB18_258:
	s_or_b32 exec_lo, exec_lo, s3
	s_waitcnt lgkmcnt(0)
	s_barrier
	buffer_gl0_inv
	s_and_saveexec_b32 s3, s0
	s_cbranch_execz .LBB18_260
; %bb.259:
	s_mul_i32 s4, s59, s54
	s_mul_i32 s0, s46, s31
	s_sub_i32 s4, s55, s4
	s_sub_i32 s0, s29, s0
	s_xor_b32 s5, s60, s61
	s_add_i32 s6, s59, 1
	s_sub_i32 s7, s4, s54
	s_cmp_ge_u32 s4, s54
	s_mul_i32 s0, s0, s42
	s_cselect_b32 s6, s6, s59
	s_cselect_b32 s4, s7, s4
	s_add_i32 s7, s6, 1
	s_cmp_ge_u32 s4, s54
	v_mov_b32_e32 v2, 0
	s_cselect_b32 s4, s7, s6
	s_mul_i32 s7, s43, s33
	s_xor_b32 s4, s4, s5
	s_mul_i32 s6, s39, s35
	s_sub_i32 s4, s4, s5
	s_sub_i32 s6, s29, s6
	s_mul_i32 s5, s4, s30
	s_mul_i32 s4, s4, s40
	s_sub_i32 s5, s46, s5
	s_xor_b32 s8, s57, s58
	s_mul_i32 s5, s5, s41
	ds_load_b32 v0, v2 offset:4108
	s_add_i32 s0, s5, s0
	s_sub_i32 s5, s56, s7
	s_add_i32 s4, s0, s4
	s_add_i32 s0, s43, 1
	s_sub_i32 s7, s5, s33
	s_cmp_ge_u32 s5, s33
	s_mul_i32 s6, s6, s38
	s_cselect_b32 s0, s0, s43
	s_cselect_b32 s5, s7, s5
	s_add_i32 s7, s0, 1
	s_cmp_ge_u32 s5, s33
	s_cselect_b32 s0, s7, s0
	s_delay_alu instid0(SALU_CYCLE_1) | instskip(NEXT) | instid1(SALU_CYCLE_1)
	s_xor_b32 s0, s0, s8
	s_sub_i32 s0, s0, s8
	s_delay_alu instid0(SALU_CYCLE_1)
	s_mul_i32 s5, s0, s34
	s_mul_i32 s0, s0, s36
	s_sub_i32 s7, s39, s5
	s_ashr_i32 s5, s4, 31
	s_mul_i32 s7, s7, s37
	s_lshl_b64 s[4:5], s[4:5], 2
	s_add_i32 s6, s7, s6
	s_waitcnt lgkmcnt(0)
	v_ashrrev_i32_e32 v1, 31, v0
	s_add_i32 s6, s6, s0
	s_add_u32 s4, s50, s4
	s_addc_u32 s5, s51, s5
	s_ashr_i32 s7, s6, 31
	s_delay_alu instid0(SALU_CYCLE_1) | instskip(NEXT) | instid1(SALU_CYCLE_1)
	s_lshl_b64 s[6:7], s[6:7], 3
	s_add_u32 s6, s48, s6
	s_addc_u32 s7, s49, s7
	s_clause 0x1
	global_store_b64 v2, v[0:1], s[6:7]
	global_store_b32 v2, v15, s[4:5]
.LBB18_260:
	s_or_b32 exec_lo, exec_lo, s3
.LBB18_261:
	s_or_saveexec_b32 s0, s2
	s_mov_b32 s2, 0
	s_xor_b32 exec_lo, exec_lo, s0
	s_cbranch_execnz .LBB18_269
.LBB18_262:
	s_or_b32 exec_lo, exec_lo, s0
	s_delay_alu instid0(SALU_CYCLE_1)
	s_and_b32 s2, s2, exec_lo
.LBB18_263:
	s_and_not1_saveexec_b32 s0, s1
	s_cbranch_execnz .LBB18_267
; %bb.264:
	s_or_b32 exec_lo, exec_lo, s0
	s_and_saveexec_b32 s0, s2
.LBB18_265:
	; divergent unreachable
.LBB18_266:
	s_nop 0
	s_sendmsg sendmsg(MSG_DEALLOC_VGPRS)
	s_endpgm
.LBB18_267:
	s_cbranch_execnz .LBB18_271
; %bb.268:
	s_or_b32 s2, s2, exec_lo
	s_or_b32 exec_lo, exec_lo, s0
	s_and_saveexec_b32 s0, s2
	s_cbranch_execnz .LBB18_265
	s_branch .LBB18_266
.LBB18_269:
	s_cbranch_execnz .LBB18_273
; %bb.270:
	s_mov_b32 s2, exec_lo
	s_branch .LBB18_262
.LBB18_271:
	s_trap 2
	s_sendmsg_rtn_b32 s0, sendmsg(MSG_RTN_GET_DOORBELL)
	s_mov_b32 ttmp2, m0
	s_waitcnt lgkmcnt(0)
	s_and_b32 s0, s0, 0x3ff
	s_delay_alu instid0(SALU_CYCLE_1) | instskip(NEXT) | instid1(SALU_CYCLE_1)
	s_bitset1_b32 s0, 10
	s_mov_b32 m0, s0
	s_sendmsg sendmsg(MSG_INTERRUPT)
	s_mov_b32 m0, ttmp2
.LBB18_272:                             ; =>This Inner Loop Header: Depth=1
	s_sethalt 5
	s_branch .LBB18_272
.LBB18_273:
	s_trap 2
	s_sendmsg_rtn_b32 s0, sendmsg(MSG_RTN_GET_DOORBELL)
	s_mov_b32 ttmp2, m0
	s_waitcnt lgkmcnt(0)
	s_and_b32 s0, s0, 0x3ff
	s_delay_alu instid0(SALU_CYCLE_1) | instskip(NEXT) | instid1(SALU_CYCLE_1)
	s_bitset1_b32 s0, 10
	s_mov_b32 m0, s0
	s_sendmsg sendmsg(MSG_INTERRUPT)
	s_mov_b32 m0, ttmp2
.LBB18_274:                             ; =>This Inner Loop Header: Depth=1
	s_sethalt 5
	s_branch .LBB18_274
	.section	.rodata,"a",@progbits
	.p2align	6, 0x0
	.amdhsa_kernel _ZN2at6native12_GLOBAL__N_114gatherKthValueIiiLi3EEEvNS_4cuda6detail10TensorInfoIKT_T0_EES8_S8_S8_S8_NS5_IS6_S8_EENS5_IlS8_EE
		.amdhsa_group_segment_fixed_size 4112
		.amdhsa_private_segment_fixed_size 0
		.amdhsa_kernarg_size 920
		.amdhsa_user_sgpr_count 13
		.amdhsa_user_sgpr_dispatch_ptr 0
		.amdhsa_user_sgpr_queue_ptr 0
		.amdhsa_user_sgpr_kernarg_segment_ptr 1
		.amdhsa_user_sgpr_dispatch_id 0
		.amdhsa_user_sgpr_private_segment_size 0
		.amdhsa_wavefront_size32 1
		.amdhsa_uses_dynamic_stack 0
		.amdhsa_enable_private_segment 0
		.amdhsa_system_sgpr_workgroup_id_x 1
		.amdhsa_system_sgpr_workgroup_id_y 1
		.amdhsa_system_sgpr_workgroup_id_z 1
		.amdhsa_system_sgpr_workgroup_info 0
		.amdhsa_system_vgpr_workitem_id 0
		.amdhsa_next_free_vgpr 40
		.amdhsa_next_free_sgpr 101
		.amdhsa_reserve_vcc 1
		.amdhsa_float_round_mode_32 0
		.amdhsa_float_round_mode_16_64 0
		.amdhsa_float_denorm_mode_32 3
		.amdhsa_float_denorm_mode_16_64 3
		.amdhsa_dx10_clamp 1
		.amdhsa_ieee_mode 1
		.amdhsa_fp16_overflow 0
		.amdhsa_workgroup_processor_mode 1
		.amdhsa_memory_ordered 1
		.amdhsa_forward_progress 0
		.amdhsa_shared_vgpr_count 0
		.amdhsa_exception_fp_ieee_invalid_op 0
		.amdhsa_exception_fp_denorm_src 0
		.amdhsa_exception_fp_ieee_div_zero 0
		.amdhsa_exception_fp_ieee_overflow 0
		.amdhsa_exception_fp_ieee_underflow 0
		.amdhsa_exception_fp_ieee_inexact 0
		.amdhsa_exception_int_div_zero 0
	.end_amdhsa_kernel
	.section	.text._ZN2at6native12_GLOBAL__N_114gatherKthValueIiiLi3EEEvNS_4cuda6detail10TensorInfoIKT_T0_EES8_S8_S8_S8_NS5_IS6_S8_EENS5_IlS8_EE,"axG",@progbits,_ZN2at6native12_GLOBAL__N_114gatherKthValueIiiLi3EEEvNS_4cuda6detail10TensorInfoIKT_T0_EES8_S8_S8_S8_NS5_IS6_S8_EENS5_IlS8_EE,comdat
.Lfunc_end18:
	.size	_ZN2at6native12_GLOBAL__N_114gatherKthValueIiiLi3EEEvNS_4cuda6detail10TensorInfoIKT_T0_EES8_S8_S8_S8_NS5_IS6_S8_EENS5_IlS8_EE, .Lfunc_end18-_ZN2at6native12_GLOBAL__N_114gatherKthValueIiiLi3EEEvNS_4cuda6detail10TensorInfoIKT_T0_EES8_S8_S8_S8_NS5_IS6_S8_EENS5_IlS8_EE
                                        ; -- End function
	.section	.AMDGPU.csdata,"",@progbits
; Kernel info:
; codeLenInByte = 10540
; NumSgprs: 103
; NumVgprs: 40
; ScratchSize: 0
; MemoryBound: 0
; FloatMode: 240
; IeeeMode: 1
; LDSByteSize: 4112 bytes/workgroup (compile time only)
; SGPRBlocks: 12
; VGPRBlocks: 4
; NumSGPRsForWavesPerEU: 103
; NumVGPRsForWavesPerEU: 40
; Occupancy: 16
; WaveLimiterHint : 1
; COMPUTE_PGM_RSRC2:SCRATCH_EN: 0
; COMPUTE_PGM_RSRC2:USER_SGPR: 13
; COMPUTE_PGM_RSRC2:TRAP_HANDLER: 0
; COMPUTE_PGM_RSRC2:TGID_X_EN: 1
; COMPUTE_PGM_RSRC2:TGID_Y_EN: 1
; COMPUTE_PGM_RSRC2:TGID_Z_EN: 1
; COMPUTE_PGM_RSRC2:TIDIG_COMP_CNT: 0
	.section	.text._ZN2at6native12_GLOBAL__N_114gatherKthValueIiiLin1EEEvNS_4cuda6detail10TensorInfoIKT_T0_EES8_S8_S8_S8_NS5_IS6_S8_EENS5_IlS8_EE,"axG",@progbits,_ZN2at6native12_GLOBAL__N_114gatherKthValueIiiLin1EEEvNS_4cuda6detail10TensorInfoIKT_T0_EES8_S8_S8_S8_NS5_IS6_S8_EENS5_IlS8_EE,comdat
	.globl	_ZN2at6native12_GLOBAL__N_114gatherKthValueIiiLin1EEEvNS_4cuda6detail10TensorInfoIKT_T0_EES8_S8_S8_S8_NS5_IS6_S8_EENS5_IlS8_EE ; -- Begin function _ZN2at6native12_GLOBAL__N_114gatherKthValueIiiLin1EEEvNS_4cuda6detail10TensorInfoIKT_T0_EES8_S8_S8_S8_NS5_IS6_S8_EENS5_IlS8_EE
	.p2align	8
	.type	_ZN2at6native12_GLOBAL__N_114gatherKthValueIiiLin1EEEvNS_4cuda6detail10TensorInfoIKT_T0_EES8_S8_S8_S8_NS5_IS6_S8_EENS5_IlS8_EE,@function
_ZN2at6native12_GLOBAL__N_114gatherKthValueIiiLin1EEEvNS_4cuda6detail10TensorInfoIKT_T0_EES8_S8_S8_S8_NS5_IS6_S8_EENS5_IlS8_EE: ; @_ZN2at6native12_GLOBAL__N_114gatherKthValueIiiLin1EEEvNS_4cuda6detail10TensorInfoIKT_T0_EES8_S8_S8_S8_NS5_IS6_S8_EENS5_IlS8_EE
; %bb.0:
	s_clause 0x1
	s_load_b64 s[6:7], s[0:1], 0x298
	s_load_b128 s[36:39], s[0:1], 0xd8
	s_add_u32 s4, s0, 0x298
	s_addc_u32 s5, s1, 0
	s_waitcnt lgkmcnt(0)
	s_mul_i32 s2, s7, s15
	s_delay_alu instid0(SALU_CYCLE_1) | instskip(NEXT) | instid1(SALU_CYCLE_1)
	s_add_i32 s2, s2, s14
	s_mul_i32 s2, s2, s6
	s_delay_alu instid0(SALU_CYCLE_1) | instskip(NEXT) | instid1(SALU_CYCLE_1)
	s_add_i32 s33, s2, s13
	s_cmp_ge_i32 s33, s38
	s_cbranch_scc1 .LBB19_275
; %bb.1:
	s_load_b32 s8, s[0:1], 0xd0
	s_mov_b32 s3, 0
	s_mov_b32 s7, s33
	s_waitcnt lgkmcnt(0)
	s_cmp_lt_i32 s8, 2
	s_cbranch_scc1 .LBB19_4
; %bb.2:
	s_add_i32 s2, s8, -1
	s_delay_alu instid0(SALU_CYCLE_1)
	s_lshl_b64 s[10:11], s[2:3], 2
	s_add_i32 s2, s8, 1
	s_add_u32 s7, s10, s0
	s_addc_u32 s9, s11, s1
	s_add_u32 s8, s7, 8
	s_addc_u32 s9, s9, 0
	s_mov_b32 s7, s33
	s_set_inst_prefetch_distance 0x1
	.p2align	6
.LBB19_3:                               ; =>This Inner Loop Header: Depth=1
	s_clause 0x1
	s_load_b32 s10, s[8:9], 0x0
	s_load_b32 s11, s[8:9], 0x64
	s_mov_b32 s16, s7
	s_waitcnt lgkmcnt(0)
	s_abs_i32 s12, s10
	s_delay_alu instid0(SALU_CYCLE_1)
	v_cvt_f32_u32_e32 v1, s12
	s_sub_i32 s15, 0, s12
	s_waitcnt_depctr 0xfff
	v_rcp_iflag_f32_e32 v1, v1
	s_waitcnt_depctr 0xfff
	v_mul_f32_e32 v1, 0x4f7ffffe, v1
	s_delay_alu instid0(VALU_DEP_1) | instskip(NEXT) | instid1(VALU_DEP_1)
	v_cvt_u32_f32_e32 v1, v1
	v_readfirstlane_b32 s14, v1
	s_delay_alu instid0(VALU_DEP_1) | instskip(NEXT) | instid1(SALU_CYCLE_1)
	s_mul_i32 s15, s15, s14
	s_mul_hi_u32 s7, s14, s15
	s_abs_i32 s15, s16
	s_add_i32 s14, s14, s7
	s_delay_alu instid0(SALU_CYCLE_1)
	s_mul_hi_u32 s7, s15, s14
	s_xor_b32 s14, s16, s10
	s_mul_i32 s17, s7, s12
	s_ashr_i32 s14, s14, 31
	s_sub_i32 s15, s15, s17
	s_add_i32 s17, s7, 1
	s_sub_i32 s18, s15, s12
	s_cmp_ge_u32 s15, s12
	s_cselect_b32 s7, s17, s7
	s_cselect_b32 s15, s18, s15
	s_add_i32 s17, s7, 1
	s_cmp_ge_u32 s15, s12
	s_cselect_b32 s7, s17, s7
	s_add_i32 s2, s2, -1
	s_xor_b32 s7, s7, s14
	s_delay_alu instid0(SALU_CYCLE_1) | instskip(NEXT) | instid1(SALU_CYCLE_1)
	s_sub_i32 s7, s7, s14
	s_mul_i32 s10, s7, s10
	s_delay_alu instid0(SALU_CYCLE_1) | instskip(NEXT) | instid1(SALU_CYCLE_1)
	s_sub_i32 s10, s16, s10
	s_mul_i32 s10, s11, s10
	s_delay_alu instid0(SALU_CYCLE_1)
	s_add_i32 s3, s10, s3
	s_add_u32 s8, s8, -4
	s_addc_u32 s9, s9, -1
	s_cmp_gt_u32 s2, 2
	s_cbranch_scc1 .LBB19_3
.LBB19_4:
	s_set_inst_prefetch_distance 0x2
	s_load_b32 s2, s[0:1], 0x1b8
	s_add_u32 s8, s0, 0xe8
	s_addc_u32 s9, s1, 0
	s_mov_b32 s29, 0
	s_mov_b32 s38, s33
	s_waitcnt lgkmcnt(0)
	s_cmp_lt_i32 s2, 2
	s_cbranch_scc1 .LBB19_7
; %bb.5:
	s_add_i32 s28, s2, -1
	s_add_i32 s2, s2, 1
	s_lshl_b64 s[10:11], s[28:29], 2
	s_mov_b32 s38, s33
	s_add_u32 s10, s10, s8
	s_addc_u32 s11, s11, s9
	s_add_u32 s10, s10, 8
	s_addc_u32 s11, s11, 0
	s_set_inst_prefetch_distance 0x1
	.p2align	6
.LBB19_6:                               ; =>This Inner Loop Header: Depth=1
	s_clause 0x1
	s_load_b32 s12, s[10:11], 0x0
	s_load_b32 s14, s[10:11], 0x64
	s_abs_i32 s19, s38
	s_mov_b32 s18, s38
	s_waitcnt lgkmcnt(0)
	s_abs_i32 s15, s12
	s_delay_alu instid0(SALU_CYCLE_1)
	v_cvt_f32_u32_e32 v1, s15
	s_sub_i32 s17, 0, s15
	s_waitcnt_depctr 0xfff
	v_rcp_iflag_f32_e32 v1, v1
	s_waitcnt_depctr 0xfff
	v_mul_f32_e32 v1, 0x4f7ffffe, v1
	s_delay_alu instid0(VALU_DEP_1) | instskip(NEXT) | instid1(VALU_DEP_1)
	v_cvt_u32_f32_e32 v1, v1
	v_readfirstlane_b32 s16, v1
	s_delay_alu instid0(VALU_DEP_1) | instskip(NEXT) | instid1(SALU_CYCLE_1)
	s_mul_i32 s17, s17, s16
	s_mul_hi_u32 s17, s16, s17
	s_delay_alu instid0(SALU_CYCLE_1) | instskip(SKIP_4) | instid1(SALU_CYCLE_1)
	s_add_i32 s16, s16, s17
	s_xor_b32 s17, s38, s12
	s_mul_hi_u32 s16, s19, s16
	s_ashr_i32 s17, s17, 31
	s_mul_i32 s20, s16, s15
	s_sub_i32 s19, s19, s20
	s_add_i32 s20, s16, 1
	s_sub_i32 s21, s19, s15
	s_cmp_ge_u32 s19, s15
	s_cselect_b32 s16, s20, s16
	s_cselect_b32 s19, s21, s19
	s_add_i32 s20, s16, 1
	s_cmp_ge_u32 s19, s15
	s_cselect_b32 s15, s20, s16
	s_add_i32 s2, s2, -1
	s_xor_b32 s15, s15, s17
	s_delay_alu instid0(SALU_CYCLE_1) | instskip(NEXT) | instid1(SALU_CYCLE_1)
	s_sub_i32 s38, s15, s17
	s_mul_i32 s12, s38, s12
	s_delay_alu instid0(SALU_CYCLE_1) | instskip(NEXT) | instid1(SALU_CYCLE_1)
	s_sub_i32 s12, s18, s12
	s_mul_i32 s12, s14, s12
	s_delay_alu instid0(SALU_CYCLE_1)
	s_add_i32 s29, s12, s29
	s_add_u32 s10, s10, -4
	s_addc_u32 s11, s11, -1
	s_cmp_gt_u32 s2, 2
	s_cbranch_scc1 .LBB19_6
.LBB19_7:
	s_set_inst_prefetch_distance 0x2
	s_clause 0x1
	s_load_b32 s12, s[0:1], 0x6c
	s_load_b32 s2, s[0:1], 0x290
	s_add_u32 s10, s0, 0x1c0
	s_addc_u32 s11, s1, 0
	s_mov_b32 s31, 0
	s_waitcnt lgkmcnt(0)
	s_cmp_lt_i32 s2, 2
	s_cbranch_scc1 .LBB19_10
; %bb.8:
	s_add_i32 s30, s2, -1
	s_add_i32 s2, s2, 1
	s_lshl_b64 s[14:15], s[30:31], 2
	s_delay_alu instid0(SALU_CYCLE_1)
	s_add_u32 s10, s14, s10
	s_addc_u32 s11, s15, s11
	s_add_u32 s10, s10, 8
	s_addc_u32 s11, s11, 0
	s_set_inst_prefetch_distance 0x1
	.p2align	6
.LBB19_9:                               ; =>This Inner Loop Header: Depth=1
	s_clause 0x1
	s_load_b32 s14, s[10:11], 0x0
	s_load_b32 s15, s[10:11], 0x64
	s_abs_i32 s20, s33
	s_mov_b32 s19, s33
	s_waitcnt lgkmcnt(0)
	s_abs_i32 s16, s14
	s_delay_alu instid0(SALU_CYCLE_1)
	v_cvt_f32_u32_e32 v1, s16
	s_sub_i32 s18, 0, s16
	s_waitcnt_depctr 0xfff
	v_rcp_iflag_f32_e32 v1, v1
	s_waitcnt_depctr 0xfff
	v_mul_f32_e32 v1, 0x4f7ffffe, v1
	s_delay_alu instid0(VALU_DEP_1) | instskip(NEXT) | instid1(VALU_DEP_1)
	v_cvt_u32_f32_e32 v1, v1
	v_readfirstlane_b32 s17, v1
	s_delay_alu instid0(VALU_DEP_1) | instskip(NEXT) | instid1(SALU_CYCLE_1)
	s_mul_i32 s18, s18, s17
	s_mul_hi_u32 s18, s17, s18
	s_delay_alu instid0(SALU_CYCLE_1) | instskip(SKIP_4) | instid1(SALU_CYCLE_1)
	s_add_i32 s17, s17, s18
	s_xor_b32 s18, s33, s14
	s_mul_hi_u32 s17, s20, s17
	s_ashr_i32 s18, s18, 31
	s_mul_i32 s21, s17, s16
	s_sub_i32 s20, s20, s21
	s_add_i32 s21, s17, 1
	s_sub_i32 s22, s20, s16
	s_cmp_ge_u32 s20, s16
	s_cselect_b32 s17, s21, s17
	s_cselect_b32 s20, s22, s20
	s_add_i32 s21, s17, 1
	s_cmp_ge_u32 s20, s16
	s_cselect_b32 s16, s21, s17
	s_add_i32 s2, s2, -1
	s_xor_b32 s16, s16, s18
	s_delay_alu instid0(SALU_CYCLE_1) | instskip(NEXT) | instid1(SALU_CYCLE_1)
	s_sub_i32 s33, s16, s18
	s_mul_i32 s14, s33, s14
	s_delay_alu instid0(SALU_CYCLE_1) | instskip(NEXT) | instid1(SALU_CYCLE_1)
	s_sub_i32 s14, s19, s14
	s_mul_i32 s14, s15, s14
	s_delay_alu instid0(SALU_CYCLE_1)
	s_add_i32 s31, s14, s31
	s_add_u32 s10, s10, -4
	s_addc_u32 s11, s11, -1
	s_cmp_gt_u32 s2, 2
	s_cbranch_scc1 .LBB19_9
.LBB19_10:
	s_set_inst_prefetch_distance 0x2
	s_clause 0x3
	s_load_b32 s30, s[8:9], 0x6c
	s_load_b64 s[8:9], s[0:1], 0x0
	s_load_b64 s[40:41], s[0:1], 0xe8
	;; [unrolled: 1-line block ×3, first 2 shown]
	v_cmp_eq_u32_e64 s2, 0, v0
	s_mov_b32 s48, 0
	s_delay_alu instid0(VALU_DEP_1)
	s_and_saveexec_b32 s10, s2
	s_cbranch_execz .LBB19_12
; %bb.11:
	v_dual_mov_b32 v1, 0 :: v_dual_mov_b32 v2, s36
	s_delay_alu instid0(VALU_DEP_1)
	v_mov_b32_e32 v3, v1
	ds_store_b96 v1, v[1:3] offset:4096
.LBB19_12:
	s_or_b32 exec_lo, exec_lo, s10
	s_waitcnt lgkmcnt(0)
	s_barrier
	buffer_gl0_inv
	s_load_b32 s14, s[4:5], 0xc
	s_mul_i32 s7, s12, s7
	v_mbcnt_lo_u32_b32 v18, -1, 0
	s_add_i32 s10, s7, s3
	s_load_b32 s44, s[0:1], 0x22c
	s_ashr_i32 s11, s10, 31
	v_cmp_gt_u32_e32 vcc_lo, 32, v0
	s_lshl_b64 s[10:11], s[10:11], 2
	v_cmp_gt_i32_e64 s0, 4, v18
	s_add_u32 s45, s8, s10
	s_addc_u32 s46, s9, s11
	v_mul_lo_u32 v5, v0, s39
	v_mov_b32_e32 v7, 0
	s_and_b32 s50, vcc_lo, s0
	v_lshrrev_b32_e32 v3, 3, v0
	v_lshlrev_b32_e32 v19, 2, v0
	s_mov_b32 s10, s39
	v_mov_b32_e32 v6, v7
	v_cmp_gt_u32_e64 s0, 2, v0
	v_and_b32_e32 v22, 0x7c, v3
	s_waitcnt lgkmcnt(0)
	s_and_b32 s47, s14, 0xffff
	s_bfe_u32 s3, s14, 0xb0005
	s_lshl_b32 s49, s47, 2
	s_add_i32 s52, s47, -1
	v_cvt_f32_u32_e32 v1, s49
	s_add_i32 s62, s52, s36
	s_cmpk_gt_i32 s36, 0x300
	v_cvt_f32_u32_e32 v2, s47
	s_cselect_b32 s53, -1, 0
	v_rcp_iflag_f32_e32 v1, v1
	s_cmp_gt_u32 s47, 31
	v_lshlrev_b64 v[8:9], 2, v[5:6]
	s_cselect_b32 s54, -1, 0
	s_cmp_lt_u32 s13, s6
	v_rcp_iflag_f32_e32 v2, v2
	s_cselect_b32 s6, 12, 18
	v_lshlrev_b32_e32 v28, 4, v0
	s_add_u32 s42, s4, s6
	s_addc_u32 s43, s5, 0
	s_waitcnt_depctr 0xfff
	v_mul_f32_e32 v1, 0x4f7ffffe, v1
	s_add_i32 s4, s3, -1
	s_bfe_u32 s55, s47, 0x30005
	s_cmp_gt_u32 s4, 6
	v_add_co_u32 v8, vcc_lo, s45, v8
	v_cvt_u32_f32_e32 v1, v1
	s_cselect_b32 s56, -1, 0
	s_and_b32 s57, s3, 0x7f8
	s_cmp_lg_u32 s55, 0
	v_lshlrev_b32_e32 v26, 2, v5
	v_readfirstlane_b32 s4, v1
	s_cselect_b32 s58, -1, 0
	s_sub_i32 s3, 0, s49
	v_mul_f32_e32 v1, 0x4f7ffffe, v2
	v_add_co_ci_u32_e32 v9, vcc_lo, s46, v9, vcc_lo
	s_mul_i32 s5, s3, s4
	v_mad_u64_u32 v[12:13], null, s39, v19, s[10:11]
	s_mul_hi_u32 s5, s4, s5
	v_cvt_u32_f32_e32 v1, v1
	s_add_i32 s59, s4, s5
	v_cmp_gt_u32_e64 s1, s36, v0
	s_mul_hi_u32 s5, s36, s59
	v_cmp_gt_i32_e64 s3, s36, v0
	s_mul_i32 s5, s5, s49
	v_cmp_eq_u32_e64 s4, 0, v18
	s_sub_i32 s5, s36, s5
	v_add_nc_u32_e32 v20, 0xc00, v19
	s_sub_i32 s6, s5, s49
	s_cmp_ge_u32 s5, s49
	v_lshl_or_b32 v29, v18, 2, 0xc00
	s_cselect_b32 s5, s6, s5
	v_readfirstlane_b32 s6, v1
	s_sub_i32 s7, s5, s49
	s_cmp_ge_u32 s5, s49
	v_lshlrev_b64 v[1:2], v18, -1
	s_cselect_b32 s9, s7, s5
	s_sub_i32 s5, 0, s47
	s_sub_i32 s60, s36, s9
	s_mul_i32 s5, s5, s6
	v_add_nc_u32_e32 v21, s60, v0
	s_mul_hi_u32 s5, s6, s5
	s_abs_i32 s7, s62
	s_add_i32 s61, s6, s5
	v_not_b32_e32 v23, v1
	v_mul_lo_u32 v2, v21, s39
	s_mul_hi_u32 s5, s7, s61
	v_mov_b32_e32 v13, 1
	s_mul_i32 s5, s5, s47
	v_mov_b32_e32 v15, 0
	s_sub_i32 s5, s7, s5
	s_ashr_i32 s7, s62, 31
	s_sub_i32 s6, s5, s47
	v_ashrrev_i32_e32 v3, 31, v2
	s_cmp_ge_u32 s5, s47
	s_mul_i32 s51, s39, s47
	s_cselect_b32 s5, s6, s5
	s_mov_b32 s68, 30
	v_lshlrev_b64 v[1:2], 2, v[2:3]
	s_sub_i32 s6, s5, s47
	s_cmp_ge_u32 s5, s47
	v_or_b32_e32 v3, 3, v19
	s_cselect_b32 s6, s6, s5
	v_cmp_gt_i32_e64 s5, s60, v19
	v_add_co_u32 v10, vcc_lo, s45, v1
	v_add3_u32 v1, s47, s36, v0
	v_add_co_ci_u32_e32 v11, vcc_lo, s46, v2, vcc_lo
	v_or_b32_e32 v2, 2, v19
	s_xor_b32 s8, s6, s7
	s_delay_alu instid0(VALU_DEP_3)
	v_subrev_nc_u32_e32 v1, s9, v1
	s_sub_i32 s7, s7, s8
	v_mul_lo_u32 v25, s39, v3
	v_mul_lo_u32 v24, s39, v2
	s_add_i32 s62, s62, s7
	v_mul_lo_u32 v27, s39, v1
	v_cmp_gt_u32_e64 s6, s36, v21
	v_cmp_gt_i32_e64 s7, s36, v21
	v_cmp_gt_i32_e64 s8, s62, v0
	s_lshl_b32 s63, s51, 2
	s_lshl_b32 s64, s47, 4
	s_mov_b32 s71, 0
	s_mov_b32 s73, 0
	;; [unrolled: 1-line block ×3, first 2 shown]
                                        ; implicit-def: $sgpr65
                                        ; implicit-def: $sgpr67
                                        ; implicit-def: $sgpr66
                                        ; implicit-def: $sgpr70
                                        ; implicit-def: $sgpr72
                                        ; implicit-def: $sgpr69
	s_branch .LBB19_17
.LBB19_13:                              ;   in Loop: Header=BB19_17 Depth=1
	s_xor_b32 s71, s71, 1
	s_add_i32 s13, s68, -2
	s_cmp_eq_u32 s68, 0
	s_mov_b32 s9, 0
	s_cselect_b32 s11, -1, 0
	s_mov_b32 s68, s13
.LBB19_14:                              ;   in Loop: Header=BB19_17 Depth=1
	s_and_not1_b32 s13, s15, exec_lo
	s_and_b32 s9, s9, exec_lo
	s_and_not1_b32 s17, s17, exec_lo
	s_or_b32 s15, s13, s9
	s_and_not1_b32 s14, s14, exec_lo
	s_or_not1_b32 s13, s11, exec_lo
	s_mov_b32 s37, s22
.LBB19_15:                              ;   in Loop: Header=BB19_17 Depth=1
	s_or_b32 exec_lo, exec_lo, s10
	s_delay_alu instid0(SALU_CYCLE_1)
	s_and_not1_b32 s9, s69, exec_lo
	s_and_b32 s10, s15, exec_lo
	s_and_not1_b32 s11, s70, exec_lo
	s_or_b32 s69, s9, s10
	s_and_not1_b32 s9, s72, exec_lo
	s_and_b32 s10, s17, exec_lo
	s_and_b32 s14, s14, exec_lo
	s_or_b32 s72, s9, s10
	s_or_b32 s70, s11, s14
	s_or_not1_b32 s14, s13, exec_lo
.LBB19_16:                              ;   in Loop: Header=BB19_17 Depth=1
	s_or_b32 exec_lo, exec_lo, s12
	s_delay_alu instid0(SALU_CYCLE_1)
	s_and_b32 s9, exec_lo, s14
	v_mov_b32_e32 v1, s73
	s_or_b32 s48, s9, s48
	s_and_not1_b32 s9, s66, exec_lo
	s_and_b32 s10, s69, exec_lo
	s_and_not1_b32 s11, s65, exec_lo
	s_or_b32 s66, s9, s10
	s_and_not1_b32 s9, s67, exec_lo
	s_and_b32 s10, s72, exec_lo
	s_and_b32 s12, s70, exec_lo
	s_or_b32 s67, s9, s10
	s_or_b32 s65, s11, s12
	s_and_not1_b32 exec_lo, exec_lo, s48
	s_cbranch_execz .LBB19_251
.LBB19_17:                              ; =>This Loop Header: Depth=1
                                        ;     Child Loop BB19_25 Depth 2
                                        ;     Child Loop BB19_44 Depth 2
	;; [unrolled: 1-line block ×16, first 2 shown]
	ds_load_b64 v[1:2], v7 offset:4096
	s_waitcnt lgkmcnt(0)
	v_readfirstlane_b32 s75, v1
	s_delay_alu instid0(VALU_DEP_1)
	s_cmp_gt_i32 s75, 0
	s_cbranch_scc1 .LBB19_51
; %bb.18:                               ;   in Loop: Header=BB19_17 Depth=1
	s_and_b32 vcc_lo, exec_lo, s53
	s_cbranch_vccz .LBB19_33
; %bb.19:                               ;   in Loop: Header=BB19_17 Depth=1
	v_cmp_gt_i32_e32 vcc_lo, 0x301, v2
	s_mov_b32 s10, 0
	s_mov_b32 s9, 0
	s_cbranch_vccz .LBB19_38
; %bb.20:                               ;   in Loop: Header=BB19_17 Depth=1
	v_mov_b32_e32 v1, 0
	s_and_saveexec_b32 s9, s1
	s_cbranch_execz .LBB19_22
; %bb.21:                               ;   in Loop: Header=BB19_17 Depth=1
	global_load_b32 v1, v[8:9], off
.LBB19_22:                              ;   in Loop: Header=BB19_17 Depth=1
	s_or_b32 exec_lo, exec_lo, s9
	s_and_saveexec_b32 s11, s1
	s_cbranch_execz .LBB19_34
; %bb.23:                               ;   in Loop: Header=BB19_17 Depth=1
	global_load_u16 v2, v7, s[42:43]
	v_mov_b32_e32 v4, v0
	s_mov_b32 s12, 0
	s_waitcnt vmcnt(0)
	v_add_nc_u32_e32 v3, v0, v2
	s_delay_alu instid0(VALU_DEP_1)
	v_mul_lo_u32 v6, s39, v3
	v_mul_lo_u32 v3, s39, v2
	s_branch .LBB19_25
.LBB19_24:                              ;   in Loop: Header=BB19_25 Depth=2
	s_or_b32 exec_lo, exec_lo, s9
	v_cmp_le_i32_e32 vcc_lo, s36, v4
	v_add_nc_u32_e32 v6, v6, v3
	s_waitcnt vmcnt(0)
	v_mov_b32_e32 v1, v14
	s_or_b32 s12, vcc_lo, s12
	s_delay_alu instid0(SALU_CYCLE_1)
	s_and_not1_b32 exec_lo, exec_lo, s12
	s_cbranch_execz .LBB19_34
.LBB19_25:                              ;   Parent Loop BB19_17 Depth=1
                                        ; =>  This Inner Loop Header: Depth=2
	v_add_nc_u32_e32 v4, v4, v2
	s_waitcnt lgkmcnt(0)
	v_mov_b32_e32 v16, 0
	v_mov_b32_e32 v14, 0
	s_mov_b32 s9, exec_lo
	v_cmpx_gt_u32_e64 s36, v4
	s_cbranch_execz .LBB19_27
; %bb.26:                               ;   in Loop: Header=BB19_25 Depth=2
	v_lshlrev_b64 v[30:31], 2, v[6:7]
	s_delay_alu instid0(VALU_DEP_1) | instskip(NEXT) | instid1(VALU_DEP_2)
	v_add_co_u32 v30, vcc_lo, s45, v30
	v_add_co_ci_u32_e32 v31, vcc_lo, s46, v31, vcc_lo
	global_load_b32 v14, v[30:31], off
.LBB19_27:                              ;   in Loop: Header=BB19_25 Depth=2
	s_or_b32 exec_lo, exec_lo, s9
	v_xor_b32_e32 v17, 0x80000000, v1
	s_delay_alu instid0(VALU_DEP_1) | instskip(NEXT) | instid1(VALU_DEP_1)
	v_and_b32_e32 v17, s74, v17
	v_cmp_eq_u32_e32 vcc_lo, s73, v17
	s_cmp_lg_u32 vcc_lo, 0
	s_cselect_b32 s9, -1, 0
	s_delay_alu instid0(SALU_CYCLE_1) | instskip(NEXT) | instid1(SALU_CYCLE_1)
	s_and_b32 s9, s4, s9
	s_and_saveexec_b32 s13, s9
	s_cbranch_execz .LBB19_31
; %bb.28:                               ;   in Loop: Header=BB19_25 Depth=2
	s_mov_b32 s16, exec_lo
	s_bcnt1_i32_b32 s14, vcc_lo
	v_mbcnt_lo_u32_b32 v16, s16, 0
	s_mov_b32 s15, exec_lo
                                        ; implicit-def: $vgpr17
	s_delay_alu instid0(VALU_DEP_1)
	v_cmpx_eq_u32_e32 0, v16
	s_cbranch_execz .LBB19_30
; %bb.29:                               ;   in Loop: Header=BB19_25 Depth=2
	s_bcnt1_i32_b32 s9, s16
	s_delay_alu instid0(SALU_CYCLE_1) | instskip(NEXT) | instid1(SALU_CYCLE_1)
	s_mul_i32 s9, s14, s9
	v_mov_b32_e32 v17, s9
	ds_add_rtn_u32 v17, v7, v17 offset:4104
.LBB19_30:                              ;   in Loop: Header=BB19_25 Depth=2
	s_or_b32 exec_lo, exec_lo, s15
	s_waitcnt lgkmcnt(0)
	v_readfirstlane_b32 s9, v17
	s_delay_alu instid0(VALU_DEP_1)
	v_mad_u32_u24 v16, s14, v16, s9
.LBB19_31:                              ;   in Loop: Header=BB19_25 Depth=2
	s_or_b32 exec_lo, exec_lo, s13
	ds_bpermute_b32 v16, v7, v16
	s_and_saveexec_b32 s9, vcc_lo
	s_cbranch_execz .LBB19_24
; %bb.32:                               ;   in Loop: Header=BB19_25 Depth=2
	v_and_b32_e32 v17, vcc_lo, v23
	s_delay_alu instid0(VALU_DEP_1) | instskip(NEXT) | instid1(VALU_DEP_1)
	v_bcnt_u32_b32 v17, v17, 0
	v_lshlrev_b32_e32 v17, 2, v17
	s_waitcnt lgkmcnt(0)
	s_delay_alu instid0(VALU_DEP_1)
	v_lshl_add_u32 v16, v16, 2, v17
	ds_store_b32 v16, v1
	s_branch .LBB19_24
.LBB19_33:                              ;   in Loop: Header=BB19_17 Depth=1
	s_mov_b32 s10, -1
	s_mov_b32 s9, 0
	s_branch .LBB19_37
.LBB19_34:                              ;   in Loop: Header=BB19_17 Depth=1
	s_or_b32 exec_lo, exec_lo, s11
	s_waitcnt vmcnt(0) lgkmcnt(0)
	s_barrier
	buffer_gl0_inv
	s_and_saveexec_b32 s9, s2
	s_cbranch_execz .LBB19_36
; %bb.35:                               ;   in Loop: Header=BB19_17 Depth=1
	ds_load_b32 v1, v7 offset:4104
	s_waitcnt lgkmcnt(0)
	ds_store_b32 v7, v1 offset:4096
.LBB19_36:                              ;   in Loop: Header=BB19_17 Depth=1
	s_or_b32 exec_lo, exec_lo, s9
	s_waitcnt lgkmcnt(0)
	s_mov_b32 s9, -1
	s_barrier
.LBB19_37:                              ;   in Loop: Header=BB19_17 Depth=1
                                        ; implicit-def: $sgpr75
.LBB19_38:                              ;   in Loop: Header=BB19_17 Depth=1
	s_and_b32 vcc_lo, exec_lo, s10
	s_cbranch_vccz .LBB19_49
; %bb.39:                               ;   in Loop: Header=BB19_17 Depth=1
	v_mov_b32_e32 v1, 0
	s_and_saveexec_b32 s9, s1
	s_cbranch_execz .LBB19_41
; %bb.40:                               ;   in Loop: Header=BB19_17 Depth=1
	global_load_b32 v1, v[8:9], off
.LBB19_41:                              ;   in Loop: Header=BB19_17 Depth=1
	s_or_b32 exec_lo, exec_lo, s9
	s_and_saveexec_b32 s9, s3
	s_cbranch_execz .LBB19_46
; %bb.42:                               ;   in Loop: Header=BB19_17 Depth=1
	global_load_u16 v2, v7, s[42:43]
	v_mov_b32_e32 v16, v0
	s_mov_b32 s10, 0
	s_waitcnt vmcnt(0)
	v_dual_mov_b32 v14, v19 :: v_dual_add_nc_u32 v3, v0, v2
	v_lshlrev_b32_e32 v4, 2, v2
	s_delay_alu instid0(VALU_DEP_2)
	v_mul_lo_u32 v6, s39, v3
	v_mul_lo_u32 v3, s39, v2
	s_branch .LBB19_44
	.p2align	6
.LBB19_43:                              ;   in Loop: Header=BB19_44 Depth=2
	s_or_b32 exec_lo, exec_lo, s11
	v_cmp_le_i32_e32 vcc_lo, s36, v16
	ds_store_b32 v14, v1
	s_waitcnt vmcnt(0)
	v_dual_mov_b32 v1, v17 :: v_dual_add_nc_u32 v14, v14, v4
	v_add_nc_u32_e32 v6, v6, v3
	s_or_b32 s10, vcc_lo, s10
	s_delay_alu instid0(SALU_CYCLE_1)
	s_and_not1_b32 exec_lo, exec_lo, s10
	s_cbranch_execz .LBB19_46
.LBB19_44:                              ;   Parent Loop BB19_17 Depth=1
                                        ; =>  This Inner Loop Header: Depth=2
	v_dual_mov_b32 v17, 0 :: v_dual_add_nc_u32 v16, v16, v2
	s_mov_b32 s11, exec_lo
	s_delay_alu instid0(VALU_DEP_1)
	v_cmpx_gt_u32_e64 s36, v16
	s_cbranch_execz .LBB19_43
; %bb.45:                               ;   in Loop: Header=BB19_44 Depth=2
	s_delay_alu instid0(VALU_DEP_3) | instskip(NEXT) | instid1(VALU_DEP_1)
	v_lshlrev_b64 v[30:31], 2, v[6:7]
	v_add_co_u32 v30, vcc_lo, s45, v30
	s_delay_alu instid0(VALU_DEP_2)
	v_add_co_ci_u32_e32 v31, vcc_lo, s46, v31, vcc_lo
	global_load_b32 v17, v[30:31], off
	s_branch .LBB19_43
.LBB19_46:                              ;   in Loop: Header=BB19_17 Depth=1
	s_or_b32 exec_lo, exec_lo, s9
	s_waitcnt vmcnt(0) lgkmcnt(0)
	s_barrier
	buffer_gl0_inv
	s_and_saveexec_b32 s9, s2
	s_cbranch_execz .LBB19_48
; %bb.47:                               ;   in Loop: Header=BB19_17 Depth=1
	v_mov_b32_e32 v1, s36
	ds_store_b32 v7, v1 offset:4096
.LBB19_48:                              ;   in Loop: Header=BB19_17 Depth=1
	s_or_b32 exec_lo, exec_lo, s9
	s_mov_b32 s9, -1
	s_waitcnt lgkmcnt(0)
	s_barrier
                                        ; implicit-def: $sgpr75
.LBB19_49:                              ;   in Loop: Header=BB19_17 Depth=1
	s_and_b32 vcc_lo, exec_lo, s9
	s_cbranch_vccz .LBB19_51
; %bb.50:                               ;   in Loop: Header=BB19_17 Depth=1
	buffer_gl0_inv
	ds_load_b32 v1, v7 offset:4096
	s_waitcnt lgkmcnt(0)
	v_readfirstlane_b32 s75, v1
.LBB19_51:                              ;   in Loop: Header=BB19_17 Depth=1
	s_delay_alu instid0(VALU_DEP_1)
	s_cmp_lt_i32 s75, 1
	s_cbranch_scc0 .LBB19_55
; %bb.52:                               ;   in Loop: Header=BB19_17 Depth=1
	v_dual_mov_b32 v1, 0 :: v_dual_mov_b32 v2, 0
	v_dual_mov_b32 v3, 0 :: v_dual_mov_b32 v4, 0
	s_mov_b32 s77, 0
	s_and_saveexec_b32 s76, s5
	s_cbranch_execnz .LBB19_56
; %bb.53:                               ;   in Loop: Header=BB19_17 Depth=1
	s_or_b32 exec_lo, exec_lo, s76
	v_mov_b32_e32 v14, 0
	s_and_saveexec_b32 s9, s6
	s_cbranch_execnz .LBB19_59
.LBB19_54:                              ;   in Loop: Header=BB19_17 Depth=1
	s_or_b32 exec_lo, exec_lo, s9
	s_and_saveexec_b32 s13, s7
	s_cbranch_execnz .LBB19_60
	s_branch .LBB19_65
.LBB19_55:                              ;   in Loop: Header=BB19_17 Depth=1
                                        ; implicit-def: $vgpr4
	s_cbranch_execnz .LBB19_66
	s_branch .LBB19_75
.LBB19_56:                              ;   in Loop: Header=BB19_17 Depth=1
	v_mov_b32_e32 v6, v19
	s_and_b32 s78, s68, 0xfe
	s_mov_b32 s79, 0
	s_mov_b32 s80, 0
	;; [unrolled: 1-line block ×5, first 2 shown]
.LBB19_57:                              ;   Parent Loop BB19_17 Depth=1
                                        ; =>  This Inner Loop Header: Depth=2
	v_add_nc_u32_e32 v1, s79, v26
	v_add_nc_u32_e32 v3, s79, v12
	;; [unrolled: 1-line block ×5, first 2 shown]
	v_ashrrev_i32_e32 v2, 31, v1
	v_ashrrev_i32_e32 v4, 31, v3
	;; [unrolled: 1-line block ×4, first 2 shown]
	s_add_i32 s79, s79, s63
	v_lshlrev_b64 v[1:2], 2, v[1:2]
	v_lshlrev_b64 v[3:4], 2, v[3:4]
	;; [unrolled: 1-line block ×4, first 2 shown]
	s_delay_alu instid0(VALU_DEP_4)
	v_add_co_u32 v1, vcc_lo, s45, v1
	v_add_co_ci_u32_e32 v2, vcc_lo, s46, v2, vcc_lo
	v_add_co_u32 v3, vcc_lo, s45, v3
	v_add_co_ci_u32_e32 v4, vcc_lo, s46, v4, vcc_lo
	;; [unrolled: 2-line block ×4, first 2 shown]
	s_clause 0x3
	global_load_b32 v1, v[1:2], off
	global_load_b32 v2, v[3:4], off
	;; [unrolled: 1-line block ×4, first 2 shown]
	v_cmp_le_i32_e32 vcc_lo, s60, v6
	s_waitcnt vmcnt(3)
	v_xor_b32_e32 v1, 0x80000000, v1
	s_waitcnt vmcnt(2)
	v_xor_b32_e32 v2, 0x80000000, v2
	;; [unrolled: 2-line block ×4, first 2 shown]
	v_and_b32_e32 v14, s74, v1
	v_bfe_u32 v1, v1, s78, 2
	v_and_b32_e32 v16, s74, v2
	v_bfe_u32 v2, v2, s78, 2
	;; [unrolled: 2-line block ×3, first 2 shown]
	v_cmp_eq_u32_e64 s9, s73, v14
	v_cmp_eq_u32_e64 s13, 0, v1
	v_and_b32_e32 v30, s74, v4
	v_bfe_u32 v4, v4, s78, 2
	v_cmp_eq_u32_e64 s10, s73, v16
	v_cmp_eq_u32_e64 s14, 0, v2
	;; [unrolled: 1-line block ×4, first 2 shown]
	s_and_b32 s13, s9, s13
	v_cmp_eq_u32_e64 s12, s73, v30
	v_cmp_eq_u32_e64 s16, 0, v4
	;; [unrolled: 1-line block ×5, first 2 shown]
	v_cndmask_b32_e64 v1, 0, 1, s13
	s_and_b32 s13, s10, s14
	v_cmp_eq_u32_e64 s18, 1, v2
	v_cmp_eq_u32_e64 s22, 2, v2
	v_cmp_eq_u32_e64 s26, 3, v2
	v_cndmask_b32_e64 v2, 0, 1, s13
	s_and_b32 s13, s11, s15
	v_cmp_eq_u32_e64 s19, 1, v3
	v_cmp_eq_u32_e64 s23, 2, v3
	v_cmp_eq_u32_e64 s27, 3, v3
	;; [unrolled: 5-line block ×3, first 2 shown]
	v_cndmask_b32_e64 v4, 0, 1, s13
	s_and_b32 s13, s9, s17
	s_delay_alu instid0(SALU_CYCLE_1) | instskip(SKIP_1) | instid1(SALU_CYCLE_1)
	v_cndmask_b32_e64 v14, 0, 1, s13
	s_and_b32 s13, s10, s18
	v_cndmask_b32_e64 v16, 0, 1, s13
	s_and_b32 s13, s11, s19
	s_delay_alu instid0(SALU_CYCLE_1) | instskip(SKIP_1) | instid1(VALU_DEP_2)
	v_cndmask_b32_e64 v17, 0, 1, s13
	s_and_b32 s13, s12, s20
	v_cmp_ne_u32_e64 s14, 0, v16
	v_cndmask_b32_e64 v30, 0, 1, s13
	s_and_b32 s13, s9, s21
	s_and_b32 s9, s9, s25
	v_cndmask_b32_e64 v31, 0, 1, s13
	s_and_b32 s13, s10, s22
	v_cndmask_b32_e64 v35, 0, 1, s9
	;; [unrolled: 2-line block ×7, first 2 shown]
	v_cndmask_b32_e64 v38, 0, 1, s9
	v_cmp_ne_u32_e64 s9, 0, v1
	v_cmp_ne_u32_e64 s13, 0, v14
	;; [unrolled: 1-line block ×11, first 2 shown]
	s_bcnt1_i32_b32 s9, s9
	s_bcnt1_i32_b32 s13, s13
	s_bcnt1_i32_b32 s17, s17
	s_bcnt1_i32_b32 s21, s21
	v_cmp_ne_u32_e64 s12, 0, v4
	v_cmp_ne_u32_e64 s16, 0, v30
	;; [unrolled: 1-line block ×4, first 2 shown]
	s_bcnt1_i32_b32 s10, s10
	s_bcnt1_i32_b32 s14, s14
	s_bcnt1_i32_b32 s18, s18
	s_bcnt1_i32_b32 s22, s22
	s_add_i32 s9, s9, s83
	s_add_i32 s13, s13, s82
	s_add_i32 s17, s17, s81
	s_add_i32 s21, s21, s80
	s_bcnt1_i32_b32 s11, s11
	s_bcnt1_i32_b32 s15, s15
	s_bcnt1_i32_b32 s19, s19
	s_bcnt1_i32_b32 s23, s23
	s_add_i32 s9, s9, s10
	s_add_i32 s10, s13, s14
	s_add_i32 s13, s17, s18
	s_add_i32 s14, s21, s22
	s_bcnt1_i32_b32 s12, s12
	s_bcnt1_i32_b32 s16, s16
	s_bcnt1_i32_b32 s20, s20
	s_bcnt1_i32_b32 s24, s24
	s_add_i32 s9, s9, s11
	s_add_i32 s10, s10, s15
	s_add_i32 s11, s13, s19
	s_add_i32 s13, s14, s23
	s_add_i32 s83, s9, s12
	s_add_i32 s82, s10, s16
	;; [unrolled: 1-line block ×4, first 2 shown]
	v_mov_b32_e32 v3, s81
	v_dual_mov_b32 v1, s83 :: v_dual_mov_b32 v2, s82
	v_mov_b32_e32 v4, s80
	s_or_b32 s77, vcc_lo, s77
	s_delay_alu instid0(SALU_CYCLE_1)
	s_and_not1_b32 exec_lo, exec_lo, s77
	s_cbranch_execnz .LBB19_57
; %bb.58:                               ;   in Loop: Header=BB19_17 Depth=1
	s_or_b32 exec_lo, exec_lo, s77
	s_delay_alu instid0(SALU_CYCLE_1)
	s_or_b32 exec_lo, exec_lo, s76
	v_mov_b32_e32 v14, 0
	s_and_saveexec_b32 s9, s6
	s_cbranch_execz .LBB19_54
.LBB19_59:                              ;   in Loop: Header=BB19_17 Depth=1
	global_load_b32 v14, v[10:11], off
	s_or_b32 exec_lo, exec_lo, s9
	s_and_saveexec_b32 s13, s7
	s_cbranch_execz .LBB19_65
.LBB19_60:                              ;   in Loop: Header=BB19_17 Depth=1
	v_mov_b32_e32 v16, v27
	v_mov_b32_e32 v6, v21
	s_and_b32 s15, s68, 0xfe
	s_mov_b32 s14, 0
	s_branch .LBB19_62
.LBB19_61:                              ;   in Loop: Header=BB19_62 Depth=2
	s_or_b32 exec_lo, exec_lo, s9
	s_waitcnt vmcnt(0)
	v_xor_b32_e32 v14, 0x80000000, v14
	v_add_nc_u32_e32 v16, s51, v16
	s_delay_alu instid0(VALU_DEP_2) | instskip(SKIP_1) | instid1(VALU_DEP_2)
	v_and_b32_e32 v30, s74, v14
	v_bfe_u32 v14, v14, s15, 2
	v_cmp_eq_u32_e32 vcc_lo, s73, v30
	s_delay_alu instid0(VALU_DEP_2) | instskip(SKIP_3) | instid1(VALU_DEP_4)
	v_cmp_eq_u32_e64 s9, 0, v14
	v_cmp_eq_u32_e64 s10, 1, v14
	v_cmp_eq_u32_e64 s11, 2, v14
	v_cmp_eq_u32_e64 s12, 3, v14
	s_and_b32 s9, vcc_lo, s9
	s_delay_alu instid0(SALU_CYCLE_1) | instskip(SKIP_1) | instid1(SALU_CYCLE_1)
	v_cndmask_b32_e64 v14, 0, 1, s9
	s_and_b32 s9, vcc_lo, s10
	v_cndmask_b32_e64 v30, 0, 1, s9
	s_and_b32 s9, vcc_lo, s11
	s_delay_alu instid0(SALU_CYCLE_1)
	v_cndmask_b32_e64 v31, 0, 1, s9
	s_and_b32 s9, vcc_lo, s12
	v_cmp_ne_u32_e32 vcc_lo, 0, v14
	v_cndmask_b32_e64 v32, 0, 1, s9
	v_cmp_ne_u32_e64 s9, 0, v30
	v_cmp_ne_u32_e64 s10, 0, v31
	v_cmp_le_i32_e64 s12, s36, v6
	s_bcnt1_i32_b32 s16, vcc_lo
	v_cmp_ne_u32_e64 s11, 0, v32
	s_bcnt1_i32_b32 s9, s9
	s_bcnt1_i32_b32 s10, s10
	v_dual_mov_b32 v14, v17 :: v_dual_add_nc_u32 v1, s16, v1
	s_delay_alu instid0(VALU_DEP_2) | instskip(SKIP_4) | instid1(SALU_CYCLE_1)
	s_bcnt1_i32_b32 s11, s11
	v_add_nc_u32_e32 v2, s9, v2
	v_add_nc_u32_e32 v3, s10, v3
	;; [unrolled: 1-line block ×3, first 2 shown]
	s_or_b32 s14, s12, s14
	s_and_not1_b32 exec_lo, exec_lo, s14
	s_cbranch_execz .LBB19_64
.LBB19_62:                              ;   Parent Loop BB19_17 Depth=1
                                        ; =>  This Inner Loop Header: Depth=2
	s_delay_alu instid0(VALU_DEP_1) | instskip(SKIP_1) | instid1(VALU_DEP_1)
	v_dual_mov_b32 v17, 0 :: v_dual_add_nc_u32 v6, s47, v6
	s_mov_b32 s9, exec_lo
	v_cmpx_gt_u32_e64 s36, v6
	s_cbranch_execz .LBB19_61
; %bb.63:                               ;   in Loop: Header=BB19_62 Depth=2
	v_ashrrev_i32_e32 v17, 31, v16
	s_delay_alu instid0(VALU_DEP_1) | instskip(NEXT) | instid1(VALU_DEP_1)
	v_lshlrev_b64 v[30:31], 2, v[16:17]
	v_add_co_u32 v30, vcc_lo, s45, v30
	s_delay_alu instid0(VALU_DEP_2)
	v_add_co_ci_u32_e32 v31, vcc_lo, s46, v31, vcc_lo
	global_load_b32 v17, v[30:31], off
	s_branch .LBB19_61
.LBB19_64:                              ;   in Loop: Header=BB19_17 Depth=1
	s_or_b32 exec_lo, exec_lo, s14
.LBB19_65:                              ;   in Loop: Header=BB19_17 Depth=1
	s_delay_alu instid0(SALU_CYCLE_1)
	s_or_b32 exec_lo, exec_lo, s13
	s_branch .LBB19_75
.LBB19_66:                              ;   in Loop: Header=BB19_17 Depth=1
	s_mul_hi_u32 s9, s75, s59
	v_dual_mov_b32 v1, 0 :: v_dual_mov_b32 v2, 0
	s_mul_i32 s9, s9, s49
	v_dual_mov_b32 v3, 0 :: v_dual_mov_b32 v4, 0
	s_sub_i32 s9, s75, s9
	s_mov_b32 s78, 0
	s_sub_i32 s10, s9, s49
	s_cmp_ge_u32 s9, s49
	s_mov_b32 s77, exec_lo
	s_cselect_b32 s9, s10, s9
	s_delay_alu instid0(SALU_CYCLE_1) | instskip(SKIP_2) | instid1(SALU_CYCLE_1)
	s_sub_i32 s10, s9, s49
	s_cmp_ge_u32 s9, s49
	s_cselect_b32 s9, s10, s9
	s_sub_i32 s76, s75, s9
	s_delay_alu instid0(SALU_CYCLE_1)
	v_cmpx_gt_u32_e64 s76, v19
	s_cbranch_execz .LBB19_70
; %bb.67:                               ;   in Loop: Header=BB19_17 Depth=1
	v_mov_b32_e32 v6, v28
	s_waitcnt vmcnt(0)
	v_mov_b32_e32 v14, v19
	s_and_b32 s79, s68, 0xfe
	s_mov_b32 s80, 0
	s_mov_b32 s81, 0
	;; [unrolled: 1-line block ×4, first 2 shown]
.LBB19_68:                              ;   Parent Loop BB19_17 Depth=1
                                        ; =>  This Inner Loop Header: Depth=2
	ds_load_b128 v[1:4], v6
	s_waitcnt lgkmcnt(0)
	v_xor_b32_e32 v1, 0x80000000, v1
	v_xor_b32_e32 v2, 0x80000000, v2
	;; [unrolled: 1-line block ×4, first 2 shown]
	s_delay_alu instid0(VALU_DEP_4)
	v_and_b32_e32 v16, s74, v1
	v_bfe_u32 v1, v1, s79, 2
	v_and_b32_e32 v17, s74, v2
	v_bfe_u32 v2, v2, s79, 2
	;; [unrolled: 2-line block ×3, first 2 shown]
	v_cmp_eq_u32_e64 s9, s73, v16
	v_cmp_eq_u32_e64 s13, 0, v1
	v_and_b32_e32 v31, s74, v4
	v_bfe_u32 v4, v4, s79, 2
	v_cmp_eq_u32_e64 s10, s73, v17
	v_cmp_eq_u32_e64 s14, 0, v2
	;; [unrolled: 1-line block ×4, first 2 shown]
	s_and_b32 s13, s9, s13
	v_cmp_eq_u32_e64 s12, s73, v31
	v_cmp_eq_u32_e64 s16, 0, v4
	;; [unrolled: 1-line block ×5, first 2 shown]
	v_cndmask_b32_e64 v1, 0, 1, s13
	s_and_b32 s13, s10, s14
	v_cmp_eq_u32_e64 s18, 1, v2
	v_cmp_eq_u32_e64 s22, 2, v2
	v_cmp_eq_u32_e64 s26, 3, v2
	v_cndmask_b32_e64 v2, 0, 1, s13
	s_and_b32 s13, s11, s15
	v_cmp_eq_u32_e64 s19, 1, v3
	v_cmp_eq_u32_e64 s23, 2, v3
	v_cmp_eq_u32_e64 s27, 3, v3
	;; [unrolled: 5-line block ×3, first 2 shown]
	v_cndmask_b32_e64 v4, 0, 1, s13
	s_and_b32 s13, s9, s17
	s_delay_alu instid0(SALU_CYCLE_1) | instskip(SKIP_1) | instid1(SALU_CYCLE_1)
	v_cndmask_b32_e64 v16, 0, 1, s13
	s_and_b32 s13, s10, s18
	v_cndmask_b32_e64 v17, 0, 1, s13
	s_and_b32 s13, s11, s19
	s_delay_alu instid0(SALU_CYCLE_1) | instskip(SKIP_1) | instid1(VALU_DEP_2)
	v_cndmask_b32_e64 v30, 0, 1, s13
	s_and_b32 s13, s12, s20
	v_cmp_ne_u32_e64 s14, 0, v17
	v_cndmask_b32_e64 v31, 0, 1, s13
	s_and_b32 s13, s9, s21
	s_and_b32 s9, s9, s25
	v_cndmask_b32_e64 v32, 0, 1, s13
	v_cndmask_b32_e64 v36, 0, 1, s9
	s_and_b32 s9, s10, s26
	s_and_b32 s13, s10, s22
	v_cndmask_b32_e64 v37, 0, 1, s9
	s_and_b32 s9, s11, s27
	v_cndmask_b32_e64 v33, 0, 1, s13
	v_cndmask_b32_e64 v38, 0, 1, s9
	s_and_b32 s9, s12, s28
	s_and_b32 s13, s11, s23
	v_cndmask_b32_e64 v39, 0, 1, s9
	v_cmp_ne_u32_e64 s9, 0, v1
	v_cmp_ne_u32_e64 s10, 0, v2
	v_cndmask_b32_e64 v34, 0, 1, s13
	s_and_b32 s13, s12, s24
	v_cmp_ne_u32_e64 s11, 0, v3
	v_cndmask_b32_e64 v35, 0, 1, s13
	v_cmp_ne_u32_e64 s13, 0, v16
	v_cmp_ne_u32_e64 s17, 0, v32
	;; [unrolled: 1-line block ×3, first 2 shown]
	s_bcnt1_i32_b32 s9, s9
	v_cmp_ne_u32_e64 s12, 0, v4
	v_cmp_ne_u32_e64 s18, 0, v33
	;; [unrolled: 1-line block ×3, first 2 shown]
	s_bcnt1_i32_b32 s10, s10
	s_add_i32 s9, s9, s83
	v_cmp_ne_u32_e64 s15, 0, v30
	v_cmp_ne_u32_e64 s19, 0, v34
	;; [unrolled: 1-line block ×3, first 2 shown]
	s_bcnt1_i32_b32 s11, s11
	s_add_i32 s9, s9, s10
	s_bcnt1_i32_b32 s13, s13
	s_bcnt1_i32_b32 s17, s17
	;; [unrolled: 1-line block ×3, first 2 shown]
	v_cmp_ne_u32_e64 s16, 0, v31
	v_cmp_ne_u32_e64 s20, 0, v35
	;; [unrolled: 1-line block ×3, first 2 shown]
	s_bcnt1_i32_b32 s12, s12
	s_add_i32 s9, s9, s11
	s_bcnt1_i32_b32 s14, s14
	s_bcnt1_i32_b32 s18, s18
	;; [unrolled: 1-line block ×3, first 2 shown]
	s_add_i32 s13, s13, s82
	s_add_i32 s17, s17, s81
	;; [unrolled: 1-line block ×4, first 2 shown]
	s_delay_alu instid0(SALU_CYCLE_1)
	v_dual_mov_b32 v1, s83 :: v_dual_add_nc_u32 v14, s49, v14
	s_bcnt1_i32_b32 s15, s15
	s_bcnt1_i32_b32 s19, s19
	;; [unrolled: 1-line block ×3, first 2 shown]
	s_add_i32 s10, s13, s14
	s_add_i32 s13, s17, s18
	;; [unrolled: 1-line block ×3, first 2 shown]
	s_bcnt1_i32_b32 s16, s16
	s_bcnt1_i32_b32 s20, s20
	;; [unrolled: 1-line block ×3, first 2 shown]
	s_add_i32 s10, s10, s15
	s_add_i32 s11, s13, s19
	s_add_i32 s13, s14, s23
	v_cmp_le_i32_e32 vcc_lo, s76, v14
	s_add_i32 s82, s10, s16
	s_add_i32 s81, s11, s20
	;; [unrolled: 1-line block ×3, first 2 shown]
	v_dual_mov_b32 v3, s81 :: v_dual_add_nc_u32 v6, s64, v6
	v_mov_b32_e32 v2, s82
	v_mov_b32_e32 v4, s80
	s_or_b32 s78, vcc_lo, s78
	s_delay_alu instid0(SALU_CYCLE_1)
	s_and_not1_b32 exec_lo, exec_lo, s78
	s_cbranch_execnz .LBB19_68
; %bb.69:                               ;   in Loop: Header=BB19_17 Depth=1
	s_or_b32 exec_lo, exec_lo, s78
.LBB19_70:                              ;   in Loop: Header=BB19_17 Depth=1
	s_delay_alu instid0(SALU_CYCLE_1) | instskip(SKIP_2) | instid1(VALU_DEP_1)
	s_or_b32 exec_lo, exec_lo, s77
	v_add_nc_u32_e32 v6, s76, v0
	s_mov_b32 s14, exec_lo
	v_cmpx_gt_i32_e64 s75, v6
	s_cbranch_execz .LBB19_74
; %bb.71:                               ;   in Loop: Header=BB19_17 Depth=1
	s_waitcnt vmcnt(0)
	v_lshlrev_b32_e32 v14, 2, v6
	s_and_b32 s16, s68, 0xfe
	s_mov_b32 s15, 0
.LBB19_72:                              ;   Parent Loop BB19_17 Depth=1
                                        ; =>  This Inner Loop Header: Depth=2
	ds_load_b32 v16, v14
	v_add_nc_u32_e32 v6, s47, v6
	v_add_nc_u32_e32 v14, s49, v14
	s_delay_alu instid0(VALU_DEP_2) | instskip(SKIP_2) | instid1(VALU_DEP_1)
	v_cmp_le_i32_e32 vcc_lo, s75, v6
	s_waitcnt lgkmcnt(0)
	v_xor_b32_e32 v16, 0x80000000, v16
	v_and_b32_e32 v17, s74, v16
	v_bfe_u32 v16, v16, s16, 2
	s_delay_alu instid0(VALU_DEP_2) | instskip(NEXT) | instid1(VALU_DEP_2)
	v_cmp_eq_u32_e64 s9, s73, v17
	v_cmp_eq_u32_e64 s10, 0, v16
	;; [unrolled: 1-line block ×5, first 2 shown]
	s_delay_alu instid0(VALU_DEP_4) | instskip(NEXT) | instid1(SALU_CYCLE_1)
	s_and_b32 s10, s9, s10
	v_cndmask_b32_e64 v16, 0, 1, s10
	s_and_b32 s10, s9, s11
	s_delay_alu instid0(SALU_CYCLE_1)
	v_cndmask_b32_e64 v17, 0, 1, s10
	s_and_b32 s10, s9, s12
	s_and_b32 s9, s9, s13
	v_cndmask_b32_e64 v30, 0, 1, s10
	v_cndmask_b32_e64 v31, 0, 1, s9
	v_cmp_ne_u32_e64 s9, 0, v16
	v_cmp_ne_u32_e64 s10, 0, v17
	s_delay_alu instid0(VALU_DEP_4) | instskip(NEXT) | instid1(VALU_DEP_4)
	v_cmp_ne_u32_e64 s11, 0, v30
	v_cmp_ne_u32_e64 s12, 0, v31
	s_delay_alu instid0(VALU_DEP_4) | instskip(NEXT) | instid1(VALU_DEP_3)
	s_bcnt1_i32_b32 s9, s9
	s_bcnt1_i32_b32 s10, s10
	v_add_nc_u32_e32 v1, s9, v1
	s_bcnt1_i32_b32 s11, s11
	s_bcnt1_i32_b32 s12, s12
	v_add_nc_u32_e32 v2, s10, v2
	v_add_nc_u32_e32 v3, s11, v3
	;; [unrolled: 1-line block ×3, first 2 shown]
	s_or_b32 s15, vcc_lo, s15
	s_delay_alu instid0(SALU_CYCLE_1)
	s_and_not1_b32 exec_lo, exec_lo, s15
	s_cbranch_execnz .LBB19_72
; %bb.73:                               ;   in Loop: Header=BB19_17 Depth=1
	s_or_b32 exec_lo, exec_lo, s15
.LBB19_74:                              ;   in Loop: Header=BB19_17 Depth=1
	s_delay_alu instid0(SALU_CYCLE_1)
	s_or_b32 exec_lo, exec_lo, s14
.LBB19_75:                              ;   in Loop: Header=BB19_17 Depth=1
	s_lshl_b32 s9, s71, 7
	s_and_saveexec_b32 s10, s4
	s_cbranch_execz .LBB19_77
; %bb.76:                               ;   in Loop: Header=BB19_17 Depth=1
	v_or_b32_e32 v6, s9, v22
	s_delay_alu instid0(VALU_DEP_1)
	v_lshlrev_b32_e32 v6, 2, v6
	ds_store_b128 v6, v[1:4] offset:3072
.LBB19_77:                              ;   in Loop: Header=BB19_17 Depth=1
	s_or_b32 exec_lo, exec_lo, s10
	s_waitcnt vmcnt(0) lgkmcnt(0)
	s_barrier
	buffer_gl0_inv
	s_and_saveexec_b32 s10, s50
	s_cbranch_execz .LBB19_87
; %bb.78:                               ;   in Loop: Header=BB19_17 Depth=1
	v_mov_b32_e32 v1, 0
	s_and_not1_b32 vcc_lo, exec_lo, s54
	s_cbranch_vccnz .LBB19_86
; %bb.79:                               ;   in Loop: Header=BB19_17 Depth=1
	v_mov_b32_e32 v1, 0
	s_and_not1_b32 vcc_lo, exec_lo, s56
	s_mov_b32 s11, 0
	s_cbranch_vccnz .LBB19_83
; %bb.80:                               ;   in Loop: Header=BB19_17 Depth=1
	v_lshl_add_u32 v2, s71, 9, v29
	v_mov_b32_e32 v1, 0
	.p2align	6
.LBB19_81:                              ;   Parent Loop BB19_17 Depth=1
                                        ; =>  This Inner Loop Header: Depth=2
	ds_load_2addr_b32 v[3:4], v2 offset1:4
	ds_load_2addr_b32 v[16:17], v2 offset0:8 offset1:12
	ds_load_2addr_b32 v[30:31], v2 offset0:16 offset1:20
	;; [unrolled: 1-line block ×3, first 2 shown]
	v_add_nc_u32_e32 v2, 0x80, v2
	s_add_i32 s11, s11, 8
	s_delay_alu instid0(SALU_CYCLE_1) | instskip(SKIP_3) | instid1(VALU_DEP_1)
	s_cmp_eq_u32 s57, s11
	s_waitcnt lgkmcnt(3)
	v_add3_u32 v1, v3, v1, v4
	s_waitcnt lgkmcnt(2)
	v_add3_u32 v1, v16, v1, v17
	s_waitcnt lgkmcnt(1)
	s_delay_alu instid0(VALU_DEP_1) | instskip(SKIP_1) | instid1(VALU_DEP_1)
	v_add3_u32 v1, v30, v1, v31
	s_waitcnt lgkmcnt(0)
	v_add3_u32 v1, v32, v1, v33
	s_cbranch_scc0 .LBB19_81
; %bb.82:                               ;   in Loop: Header=BB19_17 Depth=1
	s_mov_b32 s11, s57
.LBB19_83:                              ;   in Loop: Header=BB19_17 Depth=1
	s_and_not1_b32 vcc_lo, exec_lo, s58
	s_cbranch_vccnz .LBB19_86
; %bb.84:                               ;   in Loop: Header=BB19_17 Depth=1
	s_lshl_b32 s12, s71, 9
	s_lshl_b32 s11, s11, 4
	s_delay_alu instid0(SALU_CYCLE_1)
	v_add3_u32 v2, s12, s11, v29
	s_mov_b32 s11, s55
.LBB19_85:                              ;   Parent Loop BB19_17 Depth=1
                                        ; =>  This Inner Loop Header: Depth=2
	ds_load_b32 v3, v2
	v_add_nc_u32_e32 v2, 16, v2
	s_add_i32 s11, s11, -1
	s_delay_alu instid0(SALU_CYCLE_1)
	s_cmp_lg_u32 s11, 0
	s_waitcnt lgkmcnt(0)
	v_add_nc_u32_e32 v1, v3, v1
	s_cbranch_scc1 .LBB19_85
.LBB19_86:                              ;   in Loop: Header=BB19_17 Depth=1
	v_add_lshl_u32 v2, s9, v18, 2
	ds_store_b32 v2, v1 offset:3072
.LBB19_87:                              ;   in Loop: Header=BB19_17 Depth=1
	s_or_b32 exec_lo, exec_lo, s10
	s_lshl_b32 s9, s9, 2
	s_waitcnt lgkmcnt(0)
	v_mov_b32_e32 v1, s9
	s_barrier
	buffer_gl0_inv
	s_and_b32 s18, s68, 0xfe
	s_mov_b32 s14, -1
	ds_load_b128 v[1:4], v1 offset:3072
	s_lshl_b32 s11, 3, s18
	s_delay_alu instid0(SALU_CYCLE_1) | instskip(SKIP_4) | instid1(VALU_DEP_3)
	s_not_b32 s19, s11
	s_waitcnt lgkmcnt(0)
	v_readfirstlane_b32 s13, v1
	v_readfirstlane_b32 s21, v2
	;; [unrolled: 1-line block ×3, first 2 shown]
	s_cmp_eq_u32 s13, 1
	s_cselect_b32 s9, -1, 0
	s_cmp_eq_u32 s37, 1
	s_cselect_b32 s10, -1, 0
	s_delay_alu instid0(SALU_CYCLE_1)
	s_and_b32 s15, s9, s10
	v_readfirstlane_b32 s10, v4
	s_and_b32 vcc_lo, exec_lo, s15
	s_cbranch_vccz .LBB19_99
; %bb.88:                               ;   in Loop: Header=BB19_17 Depth=1
	ds_load_b32 v1, v7 offset:4096
	s_waitcnt lgkmcnt(0)
	s_barrier
	buffer_gl0_inv
	v_readfirstlane_b32 s12, v1
	s_and_saveexec_b32 s9, s0
	s_cbranch_execz .LBB19_90
; %bb.89:                               ;   in Loop: Header=BB19_17 Depth=1
	ds_store_b32 v20, v7
.LBB19_90:                              ;   in Loop: Header=BB19_17 Depth=1
	s_or_b32 exec_lo, exec_lo, s9
	s_and_b32 s73, s73, s19
	s_or_b32 s74, s74, s11
	s_cmp_lt_i32 s12, 1
	s_waitcnt lgkmcnt(0)
	s_barrier
	buffer_gl0_inv
	s_cbranch_scc0 .LBB19_100
; %bb.91:                               ;   in Loop: Header=BB19_17 Depth=1
	s_mov_b32 s9, 0
                                        ; implicit-def: $vgpr15
	s_and_saveexec_b32 s17, s8
	s_cbranch_execz .LBB19_102
; %bb.92:                               ;   in Loop: Header=BB19_17 Depth=1
	v_mov_b32_e32 v1, v5
	v_mov_b32_e32 v3, v0
	s_mov_b32 s20, 0
                                        ; implicit-def: $sgpr22
	s_set_inst_prefetch_distance 0x1
	s_branch .LBB19_94
	.p2align	6
.LBB19_93:                              ;   in Loop: Header=BB19_94 Depth=2
	s_or_b32 exec_lo, exec_lo, s9
	s_waitcnt vmcnt(0) lgkmcnt(0)
	s_barrier
	buffer_gl0_inv
	ds_load_b64 v[14:15], v7 offset:3072
	v_add_nc_u32_e32 v3, s47, v3
	v_add_nc_u32_e32 v1, s51, v1
	s_waitcnt lgkmcnt(0)
	s_barrier
	buffer_gl0_inv
	v_cmp_le_i32_e32 vcc_lo, s62, v3
	v_readfirstlane_b32 s9, v14
	s_delay_alu instid0(VALU_DEP_1) | instskip(SKIP_1) | instid1(SALU_CYCLE_1)
	s_cmp_lg_u32 s9, 0
	s_cselect_b32 s9, -1, 0
	s_or_b32 s23, vcc_lo, s9
	s_delay_alu instid0(SALU_CYCLE_1) | instskip(NEXT) | instid1(SALU_CYCLE_1)
	s_and_b32 s23, exec_lo, s23
	s_or_b32 s20, s23, s20
	s_and_not1_b32 s22, s22, exec_lo
	s_and_b32 s9, s9, exec_lo
	s_delay_alu instid0(SALU_CYCLE_1)
	s_or_b32 s22, s22, s9
	s_and_not1_b32 exec_lo, exec_lo, s20
	s_cbranch_execz .LBB19_101
.LBB19_94:                              ;   Parent Loop BB19_17 Depth=1
                                        ; =>  This Inner Loop Header: Depth=2
	s_delay_alu instid0(VALU_DEP_1)
	v_cmp_gt_i32_e32 vcc_lo, s36, v3
	v_mov_b32_e32 v14, 0
	s_and_saveexec_b32 s23, vcc_lo
	s_cbranch_execz .LBB19_96
; %bb.95:                               ;   in Loop: Header=BB19_94 Depth=2
	v_ashrrev_i32_e32 v2, 31, v1
	s_delay_alu instid0(VALU_DEP_1) | instskip(NEXT) | instid1(VALU_DEP_1)
	v_lshlrev_b64 v[14:15], 2, v[1:2]
	v_add_co_u32 v14, s9, s45, v14
	s_delay_alu instid0(VALU_DEP_1)
	v_add_co_ci_u32_e64 v15, s9, s46, v15, s9
	global_load_b32 v14, v[14:15], off
.LBB19_96:                              ;   in Loop: Header=BB19_94 Depth=2
	s_or_b32 exec_lo, exec_lo, s23
	s_and_saveexec_b32 s9, vcc_lo
	s_cbranch_execz .LBB19_93
; %bb.97:                               ;   in Loop: Header=BB19_94 Depth=2
	s_waitcnt vmcnt(0)
	v_xor_b32_e32 v2, 0x80000000, v14
	s_delay_alu instid0(VALU_DEP_1) | instskip(NEXT) | instid1(VALU_DEP_1)
	v_and_b32_e32 v2, s74, v2
	v_cmp_eq_u32_e32 vcc_lo, s73, v2
	s_and_b32 exec_lo, exec_lo, vcc_lo
	s_cbranch_execz .LBB19_93
; %bb.98:                               ;   in Loop: Header=BB19_94 Depth=2
	ds_store_b64 v7, v[13:14] offset:3072
	s_branch .LBB19_93
.LBB19_99:                              ;   in Loop: Header=BB19_17 Depth=1
	s_mov_b32 s9, -1
                                        ; implicit-def: $sgpr17
                                        ; implicit-def: $sgpr22
                                        ; implicit-def: $sgpr20
	s_branch .LBB19_113
.LBB19_100:                             ;   in Loop: Header=BB19_17 Depth=1
	s_mov_b32 s17, -1
	s_mov_b32 s9, 0
                                        ; implicit-def: $sgpr20
                                        ; implicit-def: $vgpr15
	s_mov_b32 s22, s17
	s_cbranch_execnz .LBB19_103
	s_branch .LBB19_113
.LBB19_101:                             ;   in Loop: Header=BB19_17 Depth=1
	s_set_inst_prefetch_distance 0x2
	s_or_b32 exec_lo, exec_lo, s20
	s_delay_alu instid0(SALU_CYCLE_1)
	s_and_b32 s9, s22, exec_lo
.LBB19_102:                             ;   in Loop: Header=BB19_17 Depth=1
	s_or_b32 exec_lo, exec_lo, s17
	s_mov_b32 s20, -1
	s_mov_b32 s17, 0
	s_delay_alu instid0(SALU_CYCLE_1)
	s_mov_b32 s22, s17
	s_branch .LBB19_113
.LBB19_103:                             ;   in Loop: Header=BB19_17 Depth=1
	s_add_i32 s20, s12, s52
                                        ; implicit-def: $vgpr15
	s_delay_alu instid0(SALU_CYCLE_1) | instskip(NEXT) | instid1(SALU_CYCLE_1)
	s_abs_i32 s9, s20
	s_mul_hi_u32 s17, s9, s61
	s_delay_alu instid0(SALU_CYCLE_1) | instskip(NEXT) | instid1(SALU_CYCLE_1)
	s_mul_i32 s17, s17, s47
	s_sub_i32 s9, s9, s17
	s_ashr_i32 s17, s20, 31
	s_sub_i32 s22, s9, s47
	s_cmp_ge_u32 s9, s47
	s_cselect_b32 s9, s22, s9
	s_delay_alu instid0(SALU_CYCLE_1) | instskip(SKIP_2) | instid1(SALU_CYCLE_1)
	s_sub_i32 s22, s9, s47
	s_cmp_ge_u32 s9, s47
	s_cselect_b32 s9, s22, s9
	s_xor_b32 s9, s9, s17
	s_delay_alu instid0(SALU_CYCLE_1)
	s_sub_i32 s9, s17, s9
	s_mov_b32 s17, exec_lo
	s_add_i32 s20, s20, s9
	s_mov_b32 s9, 0
	v_cmpx_gt_i32_e64 s20, v0
	s_cbranch_execz .LBB19_112
; %bb.104:                              ;   in Loop: Header=BB19_17 Depth=1
	v_dual_mov_b32 v1, v19 :: v_dual_mov_b32 v2, v0
                                        ; implicit-def: $sgpr22
	s_set_inst_prefetch_distance 0x1
	s_branch .LBB19_106
	.p2align	6
.LBB19_105:                             ;   in Loop: Header=BB19_106 Depth=2
	s_or_b32 exec_lo, exec_lo, s23
	s_waitcnt lgkmcnt(0)
	s_barrier
	buffer_gl0_inv
	ds_load_b64 v[14:15], v7 offset:3072
	v_add_nc_u32_e32 v2, s47, v2
	v_add_nc_u32_e32 v1, s49, v1
	s_waitcnt lgkmcnt(0)
	s_barrier
	buffer_gl0_inv
	v_cmp_le_i32_e32 vcc_lo, s20, v2
	v_readfirstlane_b32 s23, v14
	s_delay_alu instid0(VALU_DEP_1) | instskip(SKIP_1) | instid1(SALU_CYCLE_1)
	s_cmp_lg_u32 s23, 0
	s_cselect_b32 s23, -1, 0
	s_or_b32 s24, vcc_lo, s23
	s_delay_alu instid0(SALU_CYCLE_1) | instskip(NEXT) | instid1(SALU_CYCLE_1)
	s_and_b32 s24, exec_lo, s24
	s_or_b32 s9, s24, s9
	s_and_not1_b32 s22, s22, exec_lo
	s_and_b32 s23, s23, exec_lo
	s_delay_alu instid0(SALU_CYCLE_1)
	s_or_b32 s22, s22, s23
	s_and_not1_b32 exec_lo, exec_lo, s9
	s_cbranch_execz .LBB19_111
.LBB19_106:                             ;   Parent Loop BB19_17 Depth=1
                                        ; =>  This Inner Loop Header: Depth=2
	s_delay_alu instid0(VALU_DEP_1)
	v_cmp_gt_i32_e32 vcc_lo, s12, v2
	v_mov_b32_e32 v14, 0
	s_and_saveexec_b32 s23, vcc_lo
	s_cbranch_execz .LBB19_108
; %bb.107:                              ;   in Loop: Header=BB19_106 Depth=2
	ds_load_b32 v14, v1
.LBB19_108:                             ;   in Loop: Header=BB19_106 Depth=2
	s_or_b32 exec_lo, exec_lo, s23
	s_and_saveexec_b32 s23, vcc_lo
	s_cbranch_execz .LBB19_105
; %bb.109:                              ;   in Loop: Header=BB19_106 Depth=2
	s_waitcnt lgkmcnt(0)
	v_xor_b32_e32 v3, 0x80000000, v14
	s_delay_alu instid0(VALU_DEP_1) | instskip(NEXT) | instid1(VALU_DEP_1)
	v_and_b32_e32 v3, s74, v3
	v_cmp_eq_u32_e32 vcc_lo, s73, v3
	s_and_b32 exec_lo, exec_lo, vcc_lo
	s_cbranch_execz .LBB19_105
; %bb.110:                              ;   in Loop: Header=BB19_106 Depth=2
	ds_store_b64 v7, v[13:14] offset:3072
	s_branch .LBB19_105
.LBB19_111:                             ;   in Loop: Header=BB19_17 Depth=1
	s_set_inst_prefetch_distance 0x2
	s_or_b32 exec_lo, exec_lo, s9
	s_delay_alu instid0(SALU_CYCLE_1)
	s_and_b32 s9, s22, exec_lo
.LBB19_112:                             ;   in Loop: Header=BB19_17 Depth=1
	s_or_b32 exec_lo, exec_lo, s17
	s_mov_b32 s22, -1
	s_mov_b32 s17, 0
	s_mov_b32 s20, 0
.LBB19_113:                             ;   in Loop: Header=BB19_17 Depth=1
	s_and_not1_b32 s12, s69, exec_lo
	s_and_b32 s17, s17, exec_lo
	s_and_b32 s20, s20, exec_lo
	s_or_b32 s69, s12, s17
	s_and_not1_b32 s12, s72, exec_lo
	s_and_b32 s17, s22, exec_lo
	s_and_not1_b32 s22, s70, exec_lo
	s_or_b32 s72, s12, s17
	s_or_b32 s70, s22, s20
	s_and_saveexec_b32 s12, s9
	s_cbranch_execz .LBB19_16
; %bb.114:                              ;   in Loop: Header=BB19_17 Depth=1
	s_xor_b32 s9, s15, -1
	s_mov_b32 s14, 0
	s_and_not1_b32 vcc_lo, exec_lo, s9
	s_mov_b32 s22, 1
	s_cbranch_vccnz .LBB19_125
; %bb.115:                              ;   in Loop: Header=BB19_17 Depth=1
	s_cmp_gt_i32 s37, s13
	s_mov_b32 s14, -1
                                        ; implicit-def: $sgpr9
                                        ; implicit-def: $sgpr15
                                        ; implicit-def: $sgpr17
	s_cbranch_scc1 .LBB19_121
; %bb.116:                              ;   in Loop: Header=BB19_17 Depth=1
	ds_load_b32 v1, v7 offset:4096
	s_waitcnt lgkmcnt(0)
	v_cmp_ne_u32_e32 vcc_lo, 0, v1
	s_cbranch_vccnz .LBB19_120
; %bb.117:                              ;   in Loop: Header=BB19_17 Depth=1
	s_and_saveexec_b32 s9, s2
	s_cbranch_execz .LBB19_119
; %bb.118:                              ;   in Loop: Header=BB19_17 Depth=1
	v_mov_b32_e32 v1, s13
	ds_store_b32 v7, v1 offset:4100
.LBB19_119:                             ;   in Loop: Header=BB19_17 Depth=1
	s_or_b32 exec_lo, exec_lo, s9
	s_waitcnt lgkmcnt(0)
	s_barrier
	buffer_gl0_inv
.LBB19_120:                             ;   in Loop: Header=BB19_17 Depth=1
	s_and_b32 s15, s73, s19
	s_or_b32 s17, s74, s11
	s_mov_b32 s14, 0
	s_mov_b32 s9, 8
.LBB19_121:                             ;   in Loop: Header=BB19_17 Depth=1
	s_and_not1_b32 vcc_lo, exec_lo, s14
	s_cbranch_vccnz .LBB19_123
; %bb.122:                              ;   in Loop: Header=BB19_17 Depth=1
	s_sub_i32 s37, s37, s13
	s_mov_b32 s14, -1
	s_mov_b32 s9, 0
	s_mov_b32 s15, s73
	;; [unrolled: 1-line block ×3, first 2 shown]
.LBB19_123:                             ;   in Loop: Header=BB19_17 Depth=1
	s_delay_alu instid0(SALU_CYCLE_1)
	s_mov_b32 s74, s17
	s_mov_b32 s73, s15
	;; [unrolled: 1-line block ×3, first 2 shown]
	s_and_b32 vcc_lo, exec_lo, s14
	s_mov_b32 s13, -1
	s_cbranch_vccnz .LBB19_126
.LBB19_124:                             ;   in Loop: Header=BB19_17 Depth=1
	s_mov_b32 s25, -1
                                        ; implicit-def: $sgpr14
                                        ; implicit-def: $sgpr17
                                        ; implicit-def: $sgpr15
	s_delay_alu instid0(SALU_CYCLE_1) | instskip(NEXT) | instid1(SALU_CYCLE_1)
	s_and_saveexec_b32 s10, s25
	s_xor_b32 s10, exec_lo, s10
	s_cbranch_execz .LBB19_15
	s_branch .LBB19_249
.LBB19_125:                             ;   in Loop: Header=BB19_17 Depth=1
	s_mov_b32 s9, 1
	s_and_b32 vcc_lo, exec_lo, s14
	s_mov_b32 s13, -1
	s_cbranch_vccz .LBB19_124
.LBB19_126:                             ;   in Loop: Header=BB19_17 Depth=1
	s_cmp_eq_u32 s21, 1
	s_mov_b32 s24, -1
	s_cselect_b32 s9, -1, 0
	s_cmp_eq_u32 s22, 1
	s_cselect_b32 s14, -1, 0
	s_delay_alu instid0(SALU_CYCLE_1) | instskip(NEXT) | instid1(SALU_CYCLE_1)
	s_and_b32 s23, s9, s14
	s_and_b32 vcc_lo, exec_lo, s23
	s_cbranch_vccz .LBB19_138
; %bb.127:                              ;   in Loop: Header=BB19_17 Depth=1
	ds_load_b32 v1, v7 offset:4096
	s_waitcnt lgkmcnt(0)
	s_barrier
	buffer_gl0_inv
	v_readfirstlane_b32 s20, v1
	s_and_saveexec_b32 s9, s0
	s_cbranch_execz .LBB19_129
; %bb.128:                              ;   in Loop: Header=BB19_17 Depth=1
	ds_store_b32 v20, v7
.LBB19_129:                             ;   in Loop: Header=BB19_17 Depth=1
	s_or_b32 exec_lo, exec_lo, s9
	s_lshl_b32 s9, 1, s18
	s_and_b32 s14, s73, s19
	s_or_b32 s74, s74, s11
	s_or_b32 s73, s14, s9
	s_cmp_gt_i32 s20, 0
	s_waitcnt lgkmcnt(0)
	s_barrier
	buffer_gl0_inv
	s_cbranch_scc1 .LBB19_139
; %bb.130:                              ;   in Loop: Header=BB19_17 Depth=1
	s_mov_b32 s24, 0
                                        ; implicit-def: $vgpr15
	s_and_saveexec_b32 s14, s8
	s_cbranch_execz .LBB19_141
; %bb.131:                              ;   in Loop: Header=BB19_17 Depth=1
	v_mov_b32_e32 v1, v5
	v_mov_b32_e32 v3, v0
	s_mov_b32 s15, 0
                                        ; implicit-def: $sgpr17
	s_set_inst_prefetch_distance 0x1
	s_branch .LBB19_133
	.p2align	6
.LBB19_132:                             ;   in Loop: Header=BB19_133 Depth=2
	s_or_b32 exec_lo, exec_lo, s9
	s_waitcnt vmcnt(0) lgkmcnt(0)
	s_barrier
	buffer_gl0_inv
	ds_load_b64 v[14:15], v7 offset:3072
	v_add_nc_u32_e32 v3, s47, v3
	v_add_nc_u32_e32 v1, s51, v1
	s_waitcnt lgkmcnt(0)
	s_barrier
	buffer_gl0_inv
	v_cmp_le_i32_e32 vcc_lo, s62, v3
	v_readfirstlane_b32 s9, v14
	s_delay_alu instid0(VALU_DEP_1) | instskip(SKIP_1) | instid1(SALU_CYCLE_1)
	s_cmp_lg_u32 s9, 0
	s_cselect_b32 s9, -1, 0
	s_or_b32 s24, vcc_lo, s9
	s_delay_alu instid0(SALU_CYCLE_1) | instskip(NEXT) | instid1(SALU_CYCLE_1)
	s_and_b32 s24, exec_lo, s24
	s_or_b32 s15, s24, s15
	s_and_not1_b32 s17, s17, exec_lo
	s_and_b32 s9, s9, exec_lo
	s_delay_alu instid0(SALU_CYCLE_1)
	s_or_b32 s17, s17, s9
	s_and_not1_b32 exec_lo, exec_lo, s15
	s_cbranch_execz .LBB19_140
.LBB19_133:                             ;   Parent Loop BB19_17 Depth=1
                                        ; =>  This Inner Loop Header: Depth=2
	s_delay_alu instid0(VALU_DEP_1)
	v_cmp_gt_i32_e32 vcc_lo, s36, v3
	v_mov_b32_e32 v14, 0
	s_and_saveexec_b32 s24, vcc_lo
	s_cbranch_execz .LBB19_135
; %bb.134:                              ;   in Loop: Header=BB19_133 Depth=2
	v_ashrrev_i32_e32 v2, 31, v1
	s_delay_alu instid0(VALU_DEP_1) | instskip(NEXT) | instid1(VALU_DEP_1)
	v_lshlrev_b64 v[14:15], 2, v[1:2]
	v_add_co_u32 v14, s9, s45, v14
	s_delay_alu instid0(VALU_DEP_1)
	v_add_co_ci_u32_e64 v15, s9, s46, v15, s9
	global_load_b32 v14, v[14:15], off
.LBB19_135:                             ;   in Loop: Header=BB19_133 Depth=2
	s_or_b32 exec_lo, exec_lo, s24
	s_and_saveexec_b32 s9, vcc_lo
	s_cbranch_execz .LBB19_132
; %bb.136:                              ;   in Loop: Header=BB19_133 Depth=2
	s_waitcnt vmcnt(0)
	v_xor_b32_e32 v2, 0x80000000, v14
	s_delay_alu instid0(VALU_DEP_1) | instskip(NEXT) | instid1(VALU_DEP_1)
	v_and_b32_e32 v2, s74, v2
	v_cmp_eq_u32_e32 vcc_lo, s73, v2
	s_and_b32 exec_lo, exec_lo, vcc_lo
	s_cbranch_execz .LBB19_132
; %bb.137:                              ;   in Loop: Header=BB19_133 Depth=2
	ds_store_b64 v7, v[13:14] offset:3072
	s_branch .LBB19_132
.LBB19_138:                             ;   in Loop: Header=BB19_17 Depth=1
                                        ; implicit-def: $sgpr15
                                        ; implicit-def: $sgpr17
                                        ; implicit-def: $sgpr14
	s_branch .LBB19_152
.LBB19_139:                             ;   in Loop: Header=BB19_17 Depth=1
	s_mov_b32 s15, -1
	s_mov_b32 s24, 0
                                        ; implicit-def: $sgpr14
                                        ; implicit-def: $vgpr15
	s_mov_b32 s17, s15
	s_cbranch_execnz .LBB19_142
	s_branch .LBB19_152
.LBB19_140:                             ;   in Loop: Header=BB19_17 Depth=1
	s_set_inst_prefetch_distance 0x2
	s_or_b32 exec_lo, exec_lo, s15
	s_delay_alu instid0(SALU_CYCLE_1)
	s_and_b32 s24, s17, exec_lo
.LBB19_141:                             ;   in Loop: Header=BB19_17 Depth=1
	s_or_b32 exec_lo, exec_lo, s14
	s_mov_b32 s14, -1
	s_mov_b32 s15, 0
	s_delay_alu instid0(SALU_CYCLE_1)
	s_mov_b32 s17, s15
	s_branch .LBB19_152
.LBB19_142:                             ;   in Loop: Header=BB19_17 Depth=1
	s_add_i32 s14, s20, s52
	s_mov_b32 s24, 0
	s_abs_i32 s9, s14
                                        ; implicit-def: $vgpr15
	s_delay_alu instid0(SALU_CYCLE_1) | instskip(NEXT) | instid1(SALU_CYCLE_1)
	s_mul_hi_u32 s15, s9, s61
	s_mul_i32 s15, s15, s47
	s_delay_alu instid0(SALU_CYCLE_1) | instskip(SKIP_4) | instid1(SALU_CYCLE_1)
	s_sub_i32 s9, s9, s15
	s_ashr_i32 s15, s14, 31
	s_sub_i32 s17, s9, s47
	s_cmp_ge_u32 s9, s47
	s_cselect_b32 s9, s17, s9
	s_sub_i32 s17, s9, s47
	s_cmp_ge_u32 s9, s47
	s_cselect_b32 s9, s17, s9
	s_delay_alu instid0(SALU_CYCLE_1) | instskip(NEXT) | instid1(SALU_CYCLE_1)
	s_xor_b32 s9, s9, s15
	s_sub_i32 s9, s15, s9
	s_delay_alu instid0(SALU_CYCLE_1)
	s_add_i32 s14, s14, s9
	s_mov_b32 s9, exec_lo
	v_cmpx_gt_i32_e64 s14, v0
	s_cbranch_execz .LBB19_151
; %bb.143:                              ;   in Loop: Header=BB19_17 Depth=1
	v_dual_mov_b32 v1, v19 :: v_dual_mov_b32 v2, v0
	s_mov_b32 s15, 0
                                        ; implicit-def: $sgpr17
	s_set_inst_prefetch_distance 0x1
	s_branch .LBB19_145
	.p2align	6
.LBB19_144:                             ;   in Loop: Header=BB19_145 Depth=2
	s_or_b32 exec_lo, exec_lo, s24
	s_waitcnt lgkmcnt(0)
	s_barrier
	buffer_gl0_inv
	ds_load_b64 v[14:15], v7 offset:3072
	v_add_nc_u32_e32 v2, s47, v2
	v_add_nc_u32_e32 v1, s49, v1
	s_waitcnt lgkmcnt(0)
	s_barrier
	buffer_gl0_inv
	v_cmp_le_i32_e32 vcc_lo, s14, v2
	v_readfirstlane_b32 s24, v14
	s_delay_alu instid0(VALU_DEP_1) | instskip(SKIP_1) | instid1(SALU_CYCLE_1)
	s_cmp_lg_u32 s24, 0
	s_cselect_b32 s24, -1, 0
	s_or_b32 s25, vcc_lo, s24
	s_delay_alu instid0(SALU_CYCLE_1) | instskip(NEXT) | instid1(SALU_CYCLE_1)
	s_and_b32 s25, exec_lo, s25
	s_or_b32 s15, s25, s15
	s_and_not1_b32 s17, s17, exec_lo
	s_and_b32 s24, s24, exec_lo
	s_delay_alu instid0(SALU_CYCLE_1)
	s_or_b32 s17, s17, s24
	s_and_not1_b32 exec_lo, exec_lo, s15
	s_cbranch_execz .LBB19_150
.LBB19_145:                             ;   Parent Loop BB19_17 Depth=1
                                        ; =>  This Inner Loop Header: Depth=2
	s_delay_alu instid0(VALU_DEP_1)
	v_cmp_gt_i32_e32 vcc_lo, s20, v2
	v_mov_b32_e32 v14, 0
	s_and_saveexec_b32 s24, vcc_lo
	s_cbranch_execz .LBB19_147
; %bb.146:                              ;   in Loop: Header=BB19_145 Depth=2
	ds_load_b32 v14, v1
.LBB19_147:                             ;   in Loop: Header=BB19_145 Depth=2
	s_or_b32 exec_lo, exec_lo, s24
	s_and_saveexec_b32 s24, vcc_lo
	s_cbranch_execz .LBB19_144
; %bb.148:                              ;   in Loop: Header=BB19_145 Depth=2
	s_waitcnt lgkmcnt(0)
	v_xor_b32_e32 v3, 0x80000000, v14
	s_delay_alu instid0(VALU_DEP_1) | instskip(NEXT) | instid1(VALU_DEP_1)
	v_and_b32_e32 v3, s74, v3
	v_cmp_eq_u32_e32 vcc_lo, s73, v3
	s_and_b32 exec_lo, exec_lo, vcc_lo
	s_cbranch_execz .LBB19_144
; %bb.149:                              ;   in Loop: Header=BB19_145 Depth=2
	ds_store_b64 v7, v[13:14] offset:3072
	s_branch .LBB19_144
.LBB19_150:                             ;   in Loop: Header=BB19_17 Depth=1
	s_set_inst_prefetch_distance 0x2
	s_or_b32 exec_lo, exec_lo, s15
	s_delay_alu instid0(SALU_CYCLE_1)
	s_and_b32 s24, s17, exec_lo
.LBB19_151:                             ;   in Loop: Header=BB19_17 Depth=1
	s_or_b32 exec_lo, exec_lo, s9
	s_mov_b32 s17, -1
	s_mov_b32 s15, 0
	s_mov_b32 s14, 0
.LBB19_152:                             ;   in Loop: Header=BB19_17 Depth=1
	s_mov_b32 s25, 0
                                        ; implicit-def: $sgpr9
	s_and_saveexec_b32 s20, s24
	s_cbranch_execz .LBB19_248
; %bb.153:                              ;   in Loop: Header=BB19_17 Depth=1
	s_xor_b32 s9, s23, -1
	s_mov_b32 s23, 0
	s_and_not1_b32 vcc_lo, exec_lo, s9
	s_mov_b32 s26, 1
	s_cbranch_vccnz .LBB19_164
; %bb.154:                              ;   in Loop: Header=BB19_17 Depth=1
	s_cmp_gt_i32 s22, s21
	s_mov_b32 s23, -1
                                        ; implicit-def: $sgpr9
                                        ; implicit-def: $sgpr24
                                        ; implicit-def: $sgpr25
	s_cbranch_scc1 .LBB19_160
; %bb.155:                              ;   in Loop: Header=BB19_17 Depth=1
	ds_load_b32 v1, v7 offset:4096
	s_waitcnt lgkmcnt(0)
	v_cmp_ne_u32_e32 vcc_lo, 0, v1
	s_cbranch_vccnz .LBB19_159
; %bb.156:                              ;   in Loop: Header=BB19_17 Depth=1
	s_and_saveexec_b32 s9, s2
	s_cbranch_execz .LBB19_158
; %bb.157:                              ;   in Loop: Header=BB19_17 Depth=1
	v_mov_b32_e32 v1, s21
	ds_store_b32 v7, v1 offset:4100
.LBB19_158:                             ;   in Loop: Header=BB19_17 Depth=1
	s_or_b32 exec_lo, exec_lo, s9
	s_waitcnt lgkmcnt(0)
	s_barrier
	buffer_gl0_inv
.LBB19_159:                             ;   in Loop: Header=BB19_17 Depth=1
	s_lshl_b32 s9, 1, s18
	s_and_b32 s23, s73, s19
	s_or_b32 s25, s74, s11
	s_or_b32 s24, s23, s9
	s_mov_b32 s23, 0
	s_mov_b32 s9, 8
.LBB19_160:                             ;   in Loop: Header=BB19_17 Depth=1
	s_and_not1_b32 vcc_lo, exec_lo, s23
	s_cbranch_vccnz .LBB19_162
; %bb.161:                              ;   in Loop: Header=BB19_17 Depth=1
	s_sub_i32 s22, s22, s21
	s_mov_b32 s23, -1
	s_mov_b32 s9, 0
	s_mov_b32 s24, s73
	;; [unrolled: 1-line block ×3, first 2 shown]
.LBB19_162:                             ;   in Loop: Header=BB19_17 Depth=1
	s_delay_alu instid0(SALU_CYCLE_1)
	s_mov_b32 s74, s25
	s_mov_b32 s73, s24
	;; [unrolled: 1-line block ×3, first 2 shown]
	s_and_not1_b32 vcc_lo, exec_lo, s23
	s_mov_b32 s28, -1
	s_cbranch_vccz .LBB19_165
.LBB19_163:                             ;   in Loop: Header=BB19_17 Depth=1
                                        ; implicit-def: $sgpr22
                                        ; implicit-def: $sgpr23
                                        ; implicit-def: $sgpr21
	s_branch .LBB19_247
.LBB19_164:                             ;   in Loop: Header=BB19_17 Depth=1
	s_mov_b32 s9, 1
	s_and_not1_b32 vcc_lo, exec_lo, s23
	s_mov_b32 s28, -1
	s_cbranch_vccnz .LBB19_163
.LBB19_165:                             ;   in Loop: Header=BB19_17 Depth=1
	s_cmp_eq_u32 s16, 1
	s_mov_b32 s27, -1
	s_cselect_b32 s9, -1, 0
	s_cmp_eq_u32 s26, 1
	s_cselect_b32 s21, -1, 0
	s_delay_alu instid0(SALU_CYCLE_1) | instskip(NEXT) | instid1(SALU_CYCLE_1)
	s_and_b32 s25, s9, s21
	s_and_b32 vcc_lo, exec_lo, s25
	s_cbranch_vccz .LBB19_177
; %bb.166:                              ;   in Loop: Header=BB19_17 Depth=1
	ds_load_b32 v1, v7 offset:4096
	s_waitcnt lgkmcnt(0)
	s_barrier
	buffer_gl0_inv
	v_readfirstlane_b32 s24, v1
	s_and_saveexec_b32 s9, s0
	s_cbranch_execz .LBB19_168
; %bb.167:                              ;   in Loop: Header=BB19_17 Depth=1
	ds_store_b32 v20, v7
.LBB19_168:                             ;   in Loop: Header=BB19_17 Depth=1
	s_or_b32 exec_lo, exec_lo, s9
	s_lshl_b32 s9, 2, s18
	s_and_b32 s21, s73, s19
	s_or_b32 s74, s74, s11
	s_or_b32 s73, s21, s9
	s_cmp_gt_i32 s24, 0
	s_waitcnt lgkmcnt(0)
	s_barrier
	buffer_gl0_inv
	s_cbranch_scc1 .LBB19_178
; %bb.169:                              ;   in Loop: Header=BB19_17 Depth=1
	s_mov_b32 s27, 0
                                        ; implicit-def: $vgpr15
	s_and_saveexec_b32 s21, s8
	s_cbranch_execz .LBB19_180
; %bb.170:                              ;   in Loop: Header=BB19_17 Depth=1
	v_mov_b32_e32 v1, v5
	v_mov_b32_e32 v3, v0
	s_mov_b32 s22, 0
                                        ; implicit-def: $sgpr23
	s_set_inst_prefetch_distance 0x1
	s_branch .LBB19_172
	.p2align	6
.LBB19_171:                             ;   in Loop: Header=BB19_172 Depth=2
	s_or_b32 exec_lo, exec_lo, s9
	s_waitcnt vmcnt(0) lgkmcnt(0)
	s_barrier
	buffer_gl0_inv
	ds_load_b64 v[14:15], v7 offset:3072
	v_add_nc_u32_e32 v3, s47, v3
	v_add_nc_u32_e32 v1, s51, v1
	s_waitcnt lgkmcnt(0)
	s_barrier
	buffer_gl0_inv
	v_cmp_le_i32_e32 vcc_lo, s62, v3
	v_readfirstlane_b32 s9, v14
	s_delay_alu instid0(VALU_DEP_1) | instskip(SKIP_1) | instid1(SALU_CYCLE_1)
	s_cmp_lg_u32 s9, 0
	s_cselect_b32 s9, -1, 0
	s_or_b32 s27, vcc_lo, s9
	s_delay_alu instid0(SALU_CYCLE_1) | instskip(NEXT) | instid1(SALU_CYCLE_1)
	s_and_b32 s27, exec_lo, s27
	s_or_b32 s22, s27, s22
	s_and_not1_b32 s23, s23, exec_lo
	s_and_b32 s9, s9, exec_lo
	s_delay_alu instid0(SALU_CYCLE_1)
	s_or_b32 s23, s23, s9
	s_and_not1_b32 exec_lo, exec_lo, s22
	s_cbranch_execz .LBB19_179
.LBB19_172:                             ;   Parent Loop BB19_17 Depth=1
                                        ; =>  This Inner Loop Header: Depth=2
	s_delay_alu instid0(VALU_DEP_1)
	v_cmp_gt_i32_e32 vcc_lo, s36, v3
	v_mov_b32_e32 v14, 0
	s_and_saveexec_b32 s27, vcc_lo
	s_cbranch_execz .LBB19_174
; %bb.173:                              ;   in Loop: Header=BB19_172 Depth=2
	v_ashrrev_i32_e32 v2, 31, v1
	s_delay_alu instid0(VALU_DEP_1) | instskip(NEXT) | instid1(VALU_DEP_1)
	v_lshlrev_b64 v[14:15], 2, v[1:2]
	v_add_co_u32 v14, s9, s45, v14
	s_delay_alu instid0(VALU_DEP_1)
	v_add_co_ci_u32_e64 v15, s9, s46, v15, s9
	global_load_b32 v14, v[14:15], off
.LBB19_174:                             ;   in Loop: Header=BB19_172 Depth=2
	s_or_b32 exec_lo, exec_lo, s27
	s_and_saveexec_b32 s9, vcc_lo
	s_cbranch_execz .LBB19_171
; %bb.175:                              ;   in Loop: Header=BB19_172 Depth=2
	s_waitcnt vmcnt(0)
	v_xor_b32_e32 v2, 0x80000000, v14
	s_delay_alu instid0(VALU_DEP_1) | instskip(NEXT) | instid1(VALU_DEP_1)
	v_and_b32_e32 v2, s74, v2
	v_cmp_eq_u32_e32 vcc_lo, s73, v2
	s_and_b32 exec_lo, exec_lo, vcc_lo
	s_cbranch_execz .LBB19_171
; %bb.176:                              ;   in Loop: Header=BB19_172 Depth=2
	ds_store_b64 v7, v[13:14] offset:3072
	s_branch .LBB19_171
.LBB19_177:                             ;   in Loop: Header=BB19_17 Depth=1
                                        ; implicit-def: $sgpr21
                                        ; implicit-def: $sgpr23
                                        ; implicit-def: $sgpr22
	s_branch .LBB19_191
.LBB19_178:                             ;   in Loop: Header=BB19_17 Depth=1
	s_mov_b32 s21, -1
	s_mov_b32 s27, 0
                                        ; implicit-def: $sgpr22
                                        ; implicit-def: $vgpr15
	s_mov_b32 s23, s21
	s_cbranch_execnz .LBB19_181
	s_branch .LBB19_191
.LBB19_179:                             ;   in Loop: Header=BB19_17 Depth=1
	s_set_inst_prefetch_distance 0x2
	s_or_b32 exec_lo, exec_lo, s22
	s_delay_alu instid0(SALU_CYCLE_1)
	s_and_b32 s27, s23, exec_lo
.LBB19_180:                             ;   in Loop: Header=BB19_17 Depth=1
	s_or_b32 exec_lo, exec_lo, s21
	s_mov_b32 s22, -1
	s_mov_b32 s21, 0
	s_delay_alu instid0(SALU_CYCLE_1)
	s_mov_b32 s23, s21
	s_branch .LBB19_191
.LBB19_181:                             ;   in Loop: Header=BB19_17 Depth=1
	s_add_i32 s21, s24, s52
	s_mov_b32 s27, 0
	s_abs_i32 s9, s21
                                        ; implicit-def: $vgpr15
	s_delay_alu instid0(SALU_CYCLE_1) | instskip(NEXT) | instid1(SALU_CYCLE_1)
	s_mul_hi_u32 s22, s9, s61
	s_mul_i32 s22, s22, s47
	s_delay_alu instid0(SALU_CYCLE_1) | instskip(SKIP_4) | instid1(SALU_CYCLE_1)
	s_sub_i32 s9, s9, s22
	s_ashr_i32 s22, s21, 31
	s_sub_i32 s23, s9, s47
	s_cmp_ge_u32 s9, s47
	s_cselect_b32 s9, s23, s9
	s_sub_i32 s23, s9, s47
	s_cmp_ge_u32 s9, s47
	s_cselect_b32 s9, s23, s9
	s_delay_alu instid0(SALU_CYCLE_1) | instskip(NEXT) | instid1(SALU_CYCLE_1)
	s_xor_b32 s9, s9, s22
	s_sub_i32 s9, s22, s9
	s_delay_alu instid0(SALU_CYCLE_1)
	s_add_i32 s21, s21, s9
	s_mov_b32 s9, exec_lo
	v_cmpx_gt_i32_e64 s21, v0
	s_cbranch_execz .LBB19_190
; %bb.182:                              ;   in Loop: Header=BB19_17 Depth=1
	v_dual_mov_b32 v1, v19 :: v_dual_mov_b32 v2, v0
	s_mov_b32 s22, 0
                                        ; implicit-def: $sgpr23
	s_set_inst_prefetch_distance 0x1
	s_branch .LBB19_184
	.p2align	6
.LBB19_183:                             ;   in Loop: Header=BB19_184 Depth=2
	s_or_b32 exec_lo, exec_lo, s27
	s_waitcnt lgkmcnt(0)
	s_barrier
	buffer_gl0_inv
	ds_load_b64 v[14:15], v7 offset:3072
	v_add_nc_u32_e32 v2, s47, v2
	v_add_nc_u32_e32 v1, s49, v1
	s_waitcnt lgkmcnt(0)
	s_barrier
	buffer_gl0_inv
	v_cmp_le_i32_e32 vcc_lo, s21, v2
	v_readfirstlane_b32 s27, v14
	s_delay_alu instid0(VALU_DEP_1) | instskip(SKIP_1) | instid1(SALU_CYCLE_1)
	s_cmp_lg_u32 s27, 0
	s_cselect_b32 s27, -1, 0
	s_or_b32 s28, vcc_lo, s27
	s_delay_alu instid0(SALU_CYCLE_1) | instskip(NEXT) | instid1(SALU_CYCLE_1)
	s_and_b32 s28, exec_lo, s28
	s_or_b32 s22, s28, s22
	s_and_not1_b32 s23, s23, exec_lo
	s_and_b32 s27, s27, exec_lo
	s_delay_alu instid0(SALU_CYCLE_1)
	s_or_b32 s23, s23, s27
	s_and_not1_b32 exec_lo, exec_lo, s22
	s_cbranch_execz .LBB19_189
.LBB19_184:                             ;   Parent Loop BB19_17 Depth=1
                                        ; =>  This Inner Loop Header: Depth=2
	s_delay_alu instid0(VALU_DEP_1)
	v_cmp_gt_i32_e32 vcc_lo, s24, v2
	v_mov_b32_e32 v14, 0
	s_and_saveexec_b32 s27, vcc_lo
	s_cbranch_execz .LBB19_186
; %bb.185:                              ;   in Loop: Header=BB19_184 Depth=2
	ds_load_b32 v14, v1
.LBB19_186:                             ;   in Loop: Header=BB19_184 Depth=2
	s_or_b32 exec_lo, exec_lo, s27
	s_and_saveexec_b32 s27, vcc_lo
	s_cbranch_execz .LBB19_183
; %bb.187:                              ;   in Loop: Header=BB19_184 Depth=2
	s_waitcnt lgkmcnt(0)
	v_xor_b32_e32 v3, 0x80000000, v14
	s_delay_alu instid0(VALU_DEP_1) | instskip(NEXT) | instid1(VALU_DEP_1)
	v_and_b32_e32 v3, s74, v3
	v_cmp_eq_u32_e32 vcc_lo, s73, v3
	s_and_b32 exec_lo, exec_lo, vcc_lo
	s_cbranch_execz .LBB19_183
; %bb.188:                              ;   in Loop: Header=BB19_184 Depth=2
	ds_store_b64 v7, v[13:14] offset:3072
	s_branch .LBB19_183
.LBB19_189:                             ;   in Loop: Header=BB19_17 Depth=1
	s_set_inst_prefetch_distance 0x2
	s_or_b32 exec_lo, exec_lo, s22
	s_delay_alu instid0(SALU_CYCLE_1)
	s_and_b32 s27, s23, exec_lo
.LBB19_190:                             ;   in Loop: Header=BB19_17 Depth=1
	s_or_b32 exec_lo, exec_lo, s9
	s_mov_b32 s23, -1
	s_mov_b32 s21, 0
	s_mov_b32 s22, 0
.LBB19_191:                             ;   in Loop: Header=BB19_17 Depth=1
	s_mov_b32 s28, 0
                                        ; implicit-def: $sgpr9
	s_and_saveexec_b32 s24, s27
	s_cbranch_execz .LBB19_246
; %bb.192:                              ;   in Loop: Header=BB19_17 Depth=1
	s_xor_b32 s9, s25, -1
	s_mov_b32 s27, 0
	s_and_not1_b32 vcc_lo, exec_lo, s9
	s_mov_b32 s25, 1
	s_cbranch_vccnz .LBB19_203
; %bb.193:                              ;   in Loop: Header=BB19_17 Depth=1
	s_cmp_gt_i32 s26, s16
	s_mov_b32 s27, -1
                                        ; implicit-def: $sgpr9
                                        ; implicit-def: $sgpr25
                                        ; implicit-def: $sgpr28
	s_cbranch_scc1 .LBB19_199
; %bb.194:                              ;   in Loop: Header=BB19_17 Depth=1
	ds_load_b32 v1, v7 offset:4096
	s_waitcnt lgkmcnt(0)
	v_cmp_ne_u32_e32 vcc_lo, 0, v1
	s_cbranch_vccnz .LBB19_198
; %bb.195:                              ;   in Loop: Header=BB19_17 Depth=1
	s_and_saveexec_b32 s9, s2
	s_cbranch_execz .LBB19_197
; %bb.196:                              ;   in Loop: Header=BB19_17 Depth=1
	v_mov_b32_e32 v1, s16
	ds_store_b32 v7, v1 offset:4100
.LBB19_197:                             ;   in Loop: Header=BB19_17 Depth=1
	s_or_b32 exec_lo, exec_lo, s9
	s_waitcnt lgkmcnt(0)
	s_barrier
	buffer_gl0_inv
.LBB19_198:                             ;   in Loop: Header=BB19_17 Depth=1
	s_lshl_b32 s9, 2, s18
	s_and_b32 s18, s73, s19
	s_or_b32 s28, s74, s11
	s_or_b32 s25, s18, s9
	s_mov_b32 s27, 0
	s_mov_b32 s9, 8
.LBB19_199:                             ;   in Loop: Header=BB19_17 Depth=1
	s_and_not1_b32 vcc_lo, exec_lo, s27
	s_cbranch_vccnz .LBB19_201
; %bb.200:                              ;   in Loop: Header=BB19_17 Depth=1
	s_sub_i32 s26, s26, s16
	s_mov_b32 s27, -1
	s_mov_b32 s9, 0
	s_mov_b32 s25, s73
	;; [unrolled: 1-line block ×3, first 2 shown]
.LBB19_201:                             ;   in Loop: Header=BB19_17 Depth=1
	s_delay_alu instid0(SALU_CYCLE_1)
	s_mov_b32 s74, s28
	s_mov_b32 s73, s25
	s_mov_b32 s25, s26
	s_and_not1_b32 vcc_lo, exec_lo, s27
	s_mov_b32 s37, -1
	s_cbranch_vccz .LBB19_204
.LBB19_202:                             ;   in Loop: Header=BB19_17 Depth=1
                                        ; implicit-def: $sgpr19
                                        ; implicit-def: $sgpr27
                                        ; implicit-def: $sgpr26
	s_branch .LBB19_245
.LBB19_203:                             ;   in Loop: Header=BB19_17 Depth=1
	s_mov_b32 s9, 1
	s_and_not1_b32 vcc_lo, exec_lo, s27
	s_mov_b32 s37, -1
	s_cbranch_vccnz .LBB19_202
.LBB19_204:                             ;   in Loop: Header=BB19_17 Depth=1
	s_cmp_eq_u32 s10, 1
	s_mov_b32 s28, -1
	s_cselect_b32 s9, -1, 0
	s_cmp_eq_u32 s25, 1
	s_cselect_b32 s16, -1, 0
	s_delay_alu instid0(SALU_CYCLE_1) | instskip(NEXT) | instid1(SALU_CYCLE_1)
	s_and_b32 s16, s9, s16
	s_and_b32 vcc_lo, exec_lo, s16
	s_cbranch_vccz .LBB19_216
; %bb.205:                              ;   in Loop: Header=BB19_17 Depth=1
	ds_load_b32 v1, v7 offset:4096
	s_waitcnt lgkmcnt(0)
	s_barrier
	buffer_gl0_inv
	v_readfirstlane_b32 s18, v1
	s_and_saveexec_b32 s9, s0
	s_cbranch_execz .LBB19_207
; %bb.206:                              ;   in Loop: Header=BB19_17 Depth=1
	ds_store_b32 v20, v7
.LBB19_207:                             ;   in Loop: Header=BB19_17 Depth=1
	s_or_b32 exec_lo, exec_lo, s9
	s_or_b32 s73, s73, s11
	s_or_b32 s74, s74, s11
	s_cmp_gt_i32 s18, 0
	s_waitcnt lgkmcnt(0)
	s_barrier
	buffer_gl0_inv
	s_cbranch_scc1 .LBB19_217
; %bb.208:                              ;   in Loop: Header=BB19_17 Depth=1
	s_mov_b32 s28, 0
                                        ; implicit-def: $vgpr15
	s_and_saveexec_b32 s19, s8
	s_cbranch_execz .LBB19_219
; %bb.209:                              ;   in Loop: Header=BB19_17 Depth=1
	v_mov_b32_e32 v1, v5
	v_mov_b32_e32 v3, v0
	s_mov_b32 s26, 0
                                        ; implicit-def: $sgpr27
	s_set_inst_prefetch_distance 0x1
	s_branch .LBB19_211
	.p2align	6
.LBB19_210:                             ;   in Loop: Header=BB19_211 Depth=2
	s_or_b32 exec_lo, exec_lo, s9
	s_waitcnt vmcnt(0) lgkmcnt(0)
	s_barrier
	buffer_gl0_inv
	ds_load_b64 v[14:15], v7 offset:3072
	v_add_nc_u32_e32 v3, s47, v3
	v_add_nc_u32_e32 v1, s51, v1
	s_waitcnt lgkmcnt(0)
	s_barrier
	buffer_gl0_inv
	v_cmp_le_i32_e32 vcc_lo, s62, v3
	v_readfirstlane_b32 s9, v14
	s_delay_alu instid0(VALU_DEP_1) | instskip(SKIP_1) | instid1(SALU_CYCLE_1)
	s_cmp_lg_u32 s9, 0
	s_cselect_b32 s9, -1, 0
	s_or_b32 s28, vcc_lo, s9
	s_delay_alu instid0(SALU_CYCLE_1) | instskip(NEXT) | instid1(SALU_CYCLE_1)
	s_and_b32 s28, exec_lo, s28
	s_or_b32 s26, s28, s26
	s_and_not1_b32 s27, s27, exec_lo
	s_and_b32 s9, s9, exec_lo
	s_delay_alu instid0(SALU_CYCLE_1)
	s_or_b32 s27, s27, s9
	s_and_not1_b32 exec_lo, exec_lo, s26
	s_cbranch_execz .LBB19_218
.LBB19_211:                             ;   Parent Loop BB19_17 Depth=1
                                        ; =>  This Inner Loop Header: Depth=2
	s_delay_alu instid0(VALU_DEP_1)
	v_cmp_gt_i32_e32 vcc_lo, s36, v3
	v_mov_b32_e32 v14, 0
	s_and_saveexec_b32 s28, vcc_lo
	s_cbranch_execz .LBB19_213
; %bb.212:                              ;   in Loop: Header=BB19_211 Depth=2
	v_ashrrev_i32_e32 v2, 31, v1
	s_delay_alu instid0(VALU_DEP_1) | instskip(NEXT) | instid1(VALU_DEP_1)
	v_lshlrev_b64 v[14:15], 2, v[1:2]
	v_add_co_u32 v14, s9, s45, v14
	s_delay_alu instid0(VALU_DEP_1)
	v_add_co_ci_u32_e64 v15, s9, s46, v15, s9
	global_load_b32 v14, v[14:15], off
.LBB19_213:                             ;   in Loop: Header=BB19_211 Depth=2
	s_or_b32 exec_lo, exec_lo, s28
	s_and_saveexec_b32 s9, vcc_lo
	s_cbranch_execz .LBB19_210
; %bb.214:                              ;   in Loop: Header=BB19_211 Depth=2
	s_waitcnt vmcnt(0)
	v_xor_b32_e32 v2, 0x80000000, v14
	s_delay_alu instid0(VALU_DEP_1) | instskip(NEXT) | instid1(VALU_DEP_1)
	v_and_b32_e32 v2, s74, v2
	v_cmp_eq_u32_e32 vcc_lo, s73, v2
	s_and_b32 exec_lo, exec_lo, vcc_lo
	s_cbranch_execz .LBB19_210
; %bb.215:                              ;   in Loop: Header=BB19_211 Depth=2
	ds_store_b64 v7, v[13:14] offset:3072
	s_branch .LBB19_210
.LBB19_216:                             ;   in Loop: Header=BB19_17 Depth=1
                                        ; implicit-def: $sgpr19
                                        ; implicit-def: $sgpr27
                                        ; implicit-def: $sgpr26
	s_branch .LBB19_230
.LBB19_217:                             ;   in Loop: Header=BB19_17 Depth=1
	s_mov_b32 s19, -1
	s_mov_b32 s28, 0
                                        ; implicit-def: $sgpr26
                                        ; implicit-def: $vgpr15
	s_mov_b32 s27, s19
	s_cbranch_execnz .LBB19_220
	s_branch .LBB19_230
.LBB19_218:                             ;   in Loop: Header=BB19_17 Depth=1
	s_set_inst_prefetch_distance 0x2
	s_or_b32 exec_lo, exec_lo, s26
	s_delay_alu instid0(SALU_CYCLE_1)
	s_and_b32 s28, s27, exec_lo
.LBB19_219:                             ;   in Loop: Header=BB19_17 Depth=1
	s_or_b32 exec_lo, exec_lo, s19
	s_mov_b32 s26, -1
	s_mov_b32 s19, 0
	s_delay_alu instid0(SALU_CYCLE_1)
	s_mov_b32 s27, s19
	s_branch .LBB19_230
.LBB19_220:                             ;   in Loop: Header=BB19_17 Depth=1
	s_add_i32 s19, s18, s52
	s_mov_b32 s28, 0
	s_abs_i32 s9, s19
                                        ; implicit-def: $vgpr15
	s_delay_alu instid0(SALU_CYCLE_1) | instskip(NEXT) | instid1(SALU_CYCLE_1)
	s_mul_hi_u32 s26, s9, s61
	s_mul_i32 s26, s26, s47
	s_delay_alu instid0(SALU_CYCLE_1) | instskip(SKIP_4) | instid1(SALU_CYCLE_1)
	s_sub_i32 s9, s9, s26
	s_ashr_i32 s26, s19, 31
	s_sub_i32 s27, s9, s47
	s_cmp_ge_u32 s9, s47
	s_cselect_b32 s9, s27, s9
	s_sub_i32 s27, s9, s47
	s_cmp_ge_u32 s9, s47
	s_cselect_b32 s9, s27, s9
	s_delay_alu instid0(SALU_CYCLE_1) | instskip(NEXT) | instid1(SALU_CYCLE_1)
	s_xor_b32 s9, s9, s26
	s_sub_i32 s9, s26, s9
	s_delay_alu instid0(SALU_CYCLE_1)
	s_add_i32 s19, s19, s9
	s_mov_b32 s9, exec_lo
	v_cmpx_gt_i32_e64 s19, v0
	s_cbranch_execz .LBB19_229
; %bb.221:                              ;   in Loop: Header=BB19_17 Depth=1
	v_dual_mov_b32 v1, v19 :: v_dual_mov_b32 v2, v0
	s_mov_b32 s26, 0
                                        ; implicit-def: $sgpr27
	s_set_inst_prefetch_distance 0x1
	s_branch .LBB19_223
	.p2align	6
.LBB19_222:                             ;   in Loop: Header=BB19_223 Depth=2
	s_or_b32 exec_lo, exec_lo, s28
	s_waitcnt lgkmcnt(0)
	s_barrier
	buffer_gl0_inv
	ds_load_b64 v[14:15], v7 offset:3072
	v_add_nc_u32_e32 v2, s47, v2
	v_add_nc_u32_e32 v1, s49, v1
	s_waitcnt lgkmcnt(0)
	s_barrier
	buffer_gl0_inv
	v_cmp_le_i32_e32 vcc_lo, s19, v2
	v_readfirstlane_b32 s28, v14
	s_delay_alu instid0(VALU_DEP_1) | instskip(SKIP_1) | instid1(SALU_CYCLE_1)
	s_cmp_lg_u32 s28, 0
	s_cselect_b32 s28, -1, 0
	s_or_b32 s37, vcc_lo, s28
	s_delay_alu instid0(SALU_CYCLE_1) | instskip(NEXT) | instid1(SALU_CYCLE_1)
	s_and_b32 s37, exec_lo, s37
	s_or_b32 s26, s37, s26
	s_and_not1_b32 s27, s27, exec_lo
	s_and_b32 s28, s28, exec_lo
	s_delay_alu instid0(SALU_CYCLE_1)
	s_or_b32 s27, s27, s28
	s_and_not1_b32 exec_lo, exec_lo, s26
	s_cbranch_execz .LBB19_228
.LBB19_223:                             ;   Parent Loop BB19_17 Depth=1
                                        ; =>  This Inner Loop Header: Depth=2
	s_delay_alu instid0(VALU_DEP_1)
	v_cmp_gt_i32_e32 vcc_lo, s18, v2
	v_mov_b32_e32 v14, 0
	s_and_saveexec_b32 s28, vcc_lo
	s_cbranch_execz .LBB19_225
; %bb.224:                              ;   in Loop: Header=BB19_223 Depth=2
	ds_load_b32 v14, v1
.LBB19_225:                             ;   in Loop: Header=BB19_223 Depth=2
	s_or_b32 exec_lo, exec_lo, s28
	s_and_saveexec_b32 s28, vcc_lo
	s_cbranch_execz .LBB19_222
; %bb.226:                              ;   in Loop: Header=BB19_223 Depth=2
	s_waitcnt lgkmcnt(0)
	v_xor_b32_e32 v3, 0x80000000, v14
	s_delay_alu instid0(VALU_DEP_1) | instskip(NEXT) | instid1(VALU_DEP_1)
	v_and_b32_e32 v3, s74, v3
	v_cmp_eq_u32_e32 vcc_lo, s73, v3
	s_and_b32 exec_lo, exec_lo, vcc_lo
	s_cbranch_execz .LBB19_222
; %bb.227:                              ;   in Loop: Header=BB19_223 Depth=2
	ds_store_b64 v7, v[13:14] offset:3072
	s_branch .LBB19_222
.LBB19_228:                             ;   in Loop: Header=BB19_17 Depth=1
	s_set_inst_prefetch_distance 0x2
	s_or_b32 exec_lo, exec_lo, s26
	s_delay_alu instid0(SALU_CYCLE_1)
	s_and_b32 s28, s27, exec_lo
.LBB19_229:                             ;   in Loop: Header=BB19_17 Depth=1
	s_or_b32 exec_lo, exec_lo, s9
	s_mov_b32 s27, -1
	s_mov_b32 s19, 0
	s_mov_b32 s26, 0
.LBB19_230:                             ;   in Loop: Header=BB19_17 Depth=1
	s_mov_b32 s37, 0
                                        ; implicit-def: $sgpr9
	s_and_saveexec_b32 s18, s28
	s_cbranch_execz .LBB19_244
; %bb.231:                              ;   in Loop: Header=BB19_17 Depth=1
	s_xor_b32 s9, s16, -1
	s_delay_alu instid0(SALU_CYCLE_1)
	s_and_not1_b32 vcc_lo, exec_lo, s9
	s_mov_b32 s9, 1
	s_cbranch_vccnz .LBB19_238
; %bb.232:                              ;   in Loop: Header=BB19_17 Depth=1
	s_cmp_gt_i32 s25, s10
	s_cbranch_scc1 .LBB19_239
; %bb.233:                              ;   in Loop: Header=BB19_17 Depth=1
	ds_load_b32 v1, v7 offset:4096
	s_waitcnt lgkmcnt(0)
	v_cmp_ne_u32_e32 vcc_lo, 0, v1
	s_cbranch_vccnz .LBB19_237
; %bb.234:                              ;   in Loop: Header=BB19_17 Depth=1
	s_and_saveexec_b32 s9, s2
	s_cbranch_execz .LBB19_236
; %bb.235:                              ;   in Loop: Header=BB19_17 Depth=1
	v_mov_b32_e32 v1, s10
	ds_store_b32 v7, v1 offset:4100
.LBB19_236:                             ;   in Loop: Header=BB19_17 Depth=1
	s_or_b32 exec_lo, exec_lo, s9
	s_waitcnt lgkmcnt(0)
	s_barrier
	buffer_gl0_inv
.LBB19_237:                             ;   in Loop: Header=BB19_17 Depth=1
	s_or_b32 s16, s73, s11
	s_or_b32 s11, s74, s11
	s_mov_b32 s28, 0
	s_mov_b32 s9, 8
	s_branch .LBB19_240
.LBB19_238:                             ;   in Loop: Header=BB19_17 Depth=1
	s_mov_b32 s25, 1
	s_branch .LBB19_243
.LBB19_239:                             ;   in Loop: Header=BB19_17 Depth=1
	s_mov_b32 s28, -1
                                        ; implicit-def: $sgpr9
                                        ; implicit-def: $sgpr16
                                        ; implicit-def: $sgpr11
.LBB19_240:                             ;   in Loop: Header=BB19_17 Depth=1
	s_delay_alu instid0(SALU_CYCLE_1)
	s_and_not1_b32 vcc_lo, exec_lo, s28
	s_cbranch_vccnz .LBB19_242
; %bb.241:                              ;   in Loop: Header=BB19_17 Depth=1
	s_sub_i32 s25, s25, s10
	s_mov_b32 s9, 8
	s_mov_b32 s16, s73
	;; [unrolled: 1-line block ×3, first 2 shown]
.LBB19_242:                             ;   in Loop: Header=BB19_17 Depth=1
	s_mov_b32 s73, s16
	s_mov_b32 s74, s11
.LBB19_243:                             ;   in Loop: Header=BB19_17 Depth=1
	s_mov_b32 s37, exec_lo
.LBB19_244:                             ;   in Loop: Header=BB19_17 Depth=1
	s_or_b32 exec_lo, exec_lo, s18
.LBB19_245:                             ;   in Loop: Header=BB19_17 Depth=1
	s_delay_alu instid0(SALU_CYCLE_1)
	s_and_not1_b32 s10, s21, exec_lo
	s_and_b32 s11, s19, exec_lo
	s_and_not1_b32 s16, s22, exec_lo
	s_or_b32 s21, s10, s11
	s_and_not1_b32 s10, s23, exec_lo
	s_and_b32 s11, s27, exec_lo
	s_and_b32 s18, s26, exec_lo
	s_or_b32 s23, s10, s11
	s_or_b32 s22, s16, s18
	s_and_b32 s28, s37, exec_lo
	s_mov_b32 s26, s25
.LBB19_246:                             ;   in Loop: Header=BB19_17 Depth=1
	s_or_b32 exec_lo, exec_lo, s24
.LBB19_247:                             ;   in Loop: Header=BB19_17 Depth=1
	s_delay_alu instid0(SALU_CYCLE_1)
	s_and_not1_b32 s10, s15, exec_lo
	s_and_b32 s11, s21, exec_lo
	s_and_not1_b32 s14, s14, exec_lo
	s_or_b32 s15, s10, s11
	s_and_not1_b32 s10, s17, exec_lo
	s_and_b32 s11, s23, exec_lo
	s_and_b32 s16, s22, exec_lo
	s_or_b32 s17, s10, s11
	s_or_b32 s14, s14, s16
	s_and_b32 s25, s28, exec_lo
	s_mov_b32 s22, s26
.LBB19_248:                             ;   in Loop: Header=BB19_17 Depth=1
	s_or_b32 exec_lo, exec_lo, s20
	s_and_saveexec_b32 s10, s25
	s_delay_alu instid0(SALU_CYCLE_1)
	s_xor_b32 s10, exec_lo, s10
	s_cbranch_execz .LBB19_15
.LBB19_249:                             ;   in Loop: Header=BB19_17 Depth=1
	s_and_b32 s9, s9, -9
	s_delay_alu instid0(SALU_CYCLE_1)
	s_cmp_eq_u32 s9, 0
	s_cbranch_scc1 .LBB19_13
; %bb.250:                              ;   in Loop: Header=BB19_17 Depth=1
	s_mov_b32 s9, -1
	s_mov_b32 s11, -1
                                        ; implicit-def: $sgpr74
                                        ; implicit-def: $sgpr22
                                        ; implicit-def: $sgpr68
                                        ; implicit-def: $sgpr71
	s_branch .LBB19_14
.LBB19_251:
	s_or_b32 exec_lo, exec_lo, s48
	s_xor_b32 s4, s67, -1
	s_xor_b32 s0, s65, -1
	;; [unrolled: 1-line block ×3, first 2 shown]
	s_mov_b32 s1, 0
	s_and_saveexec_b32 s5, s0
	s_delay_alu instid0(SALU_CYCLE_1)
	s_xor_b32 s0, exec_lo, s5
	s_cbranch_execz .LBB19_272
; %bb.252:
	s_and_saveexec_b32 s1, s4
	s_delay_alu instid0(SALU_CYCLE_1)
	s_xor_b32 s1, exec_lo, s1
	s_cbranch_execz .LBB19_270
; %bb.253:
	s_and_saveexec_b32 s4, s3
	s_delay_alu instid0(SALU_CYCLE_1)
	s_xor_b32 s3, exec_lo, s4
; %bb.254:
	v_xor_b32_e32 v15, 0x80000000, v1
; %bb.255:
	s_or_b32 exec_lo, exec_lo, s3
	s_and_saveexec_b32 s3, s2
	s_cbranch_execz .LBB19_257
; %bb.256:
	v_dual_mov_b32 v1, 0 :: v_dual_mov_b32 v2, s36
	ds_store_b32 v1, v2 offset:4108
.LBB19_257:
	s_or_b32 exec_lo, exec_lo, s3
	v_mov_b32_e32 v1, 0
	s_waitcnt lgkmcnt(0)
	s_barrier
	buffer_gl0_inv
	s_mov_b32 s3, exec_lo
	ds_load_b32 v1, v1 offset:4108
	s_waitcnt lgkmcnt(0)
	v_min_i32_e32 v1, s36, v1
	s_delay_alu instid0(VALU_DEP_1)
	v_cmpx_lt_i32_e64 v0, v1
	s_cbranch_execz .LBB19_267
; %bb.258:
	s_mov_b32 s4, 0
                                        ; implicit-def: $sgpr5
                                        ; implicit-def: $sgpr7
                                        ; implicit-def: $sgpr6
	s_set_inst_prefetch_distance 0x1
	s_branch .LBB19_260
	.p2align	6
.LBB19_259:                             ;   in Loop: Header=BB19_260 Depth=1
	s_or_b32 exec_lo, exec_lo, s8
	s_delay_alu instid0(SALU_CYCLE_1) | instskip(NEXT) | instid1(SALU_CYCLE_1)
	s_and_b32 s8, exec_lo, s7
	s_or_b32 s4, s8, s4
	s_and_not1_b32 s5, s5, exec_lo
	s_and_b32 s8, s6, exec_lo
	s_delay_alu instid0(SALU_CYCLE_1)
	s_or_b32 s5, s5, s8
	s_and_not1_b32 exec_lo, exec_lo, s4
	s_cbranch_execz .LBB19_262
.LBB19_260:                             ; =>This Inner Loop Header: Depth=1
	v_ashrrev_i32_e32 v6, 31, v5
	s_or_b32 s6, s6, exec_lo
	s_or_b32 s7, s7, exec_lo
	s_mov_b32 s8, exec_lo
	s_delay_alu instid0(VALU_DEP_1) | instskip(NEXT) | instid1(VALU_DEP_1)
	v_lshlrev_b64 v[2:3], 2, v[5:6]
	v_add_co_u32 v2, vcc_lo, s45, v2
	s_delay_alu instid0(VALU_DEP_2)
	v_add_co_ci_u32_e32 v3, vcc_lo, s46, v3, vcc_lo
	global_load_b32 v3, v[2:3], off
	v_mov_b32_e32 v2, v0
                                        ; implicit-def: $vgpr0
	s_waitcnt vmcnt(0)
	v_cmpx_ne_u32_e64 v3, v15
	s_cbranch_execz .LBB19_259
; %bb.261:                              ;   in Loop: Header=BB19_260 Depth=1
	s_delay_alu instid0(VALU_DEP_2) | instskip(SKIP_3) | instid1(VALU_DEP_2)
	v_add_nc_u32_e32 v0, s47, v2
	s_and_not1_b32 s7, s7, exec_lo
	v_add_nc_u32_e32 v5, s51, v5
	s_and_not1_b32 s6, s6, exec_lo
	v_cmp_ge_i32_e32 vcc_lo, v0, v1
	s_and_b32 s9, vcc_lo, exec_lo
	s_delay_alu instid0(SALU_CYCLE_1)
	s_or_b32 s7, s7, s9
	s_branch .LBB19_259
.LBB19_262:
	s_set_inst_prefetch_distance 0x2
	s_or_b32 exec_lo, exec_lo, s4
	s_and_saveexec_b32 s4, s5
	s_delay_alu instid0(SALU_CYCLE_1)
	s_xor_b32 s4, exec_lo, s4
	s_cbranch_execz .LBB19_267
; %bb.263:
	s_mov_b32 s5, exec_lo
	s_brev_b32 s4, -2
.LBB19_264:                             ; =>This Inner Loop Header: Depth=1
	s_ctz_i32_b32 s6, s5
	s_delay_alu instid0(SALU_CYCLE_1) | instskip(SKIP_1) | instid1(SALU_CYCLE_1)
	v_readlane_b32 s7, v2, s6
	s_lshl_b32 s6, 1, s6
	s_and_not1_b32 s5, s5, s6
	s_delay_alu instid0(VALU_DEP_1)
	s_min_i32 s4, s4, s7
	s_cmp_lg_u32 s5, 0
	s_cbranch_scc1 .LBB19_264
; %bb.265:
	v_mbcnt_lo_u32_b32 v0, exec_lo, 0
	s_mov_b32 s5, exec_lo
	s_delay_alu instid0(VALU_DEP_1)
	v_cmpx_eq_u32_e32 0, v0
	s_xor_b32 s5, exec_lo, s5
	s_cbranch_execz .LBB19_267
; %bb.266:
	v_dual_mov_b32 v0, 0 :: v_dual_mov_b32 v1, s4
	ds_min_i32 v0, v1 offset:4108
.LBB19_267:
	s_or_b32 exec_lo, exec_lo, s3
	s_waitcnt lgkmcnt(0)
	s_barrier
	buffer_gl0_inv
	s_and_saveexec_b32 s3, s2
	s_cbranch_execz .LBB19_269
; %bb.268:
	v_mov_b32_e32 v2, 0
	s_mul_i32 s2, s30, s38
	s_delay_alu instid0(SALU_CYCLE_1)
	s_add_i32 s4, s2, s29
	s_mul_i32 s2, s44, s33
	ds_load_b32 v0, v2 offset:4108
	s_ashr_i32 s5, s4, 31
	s_add_i32 s6, s2, s31
	s_lshl_b64 s[4:5], s[4:5], 2
	s_delay_alu instid0(SALU_CYCLE_1) | instskip(SKIP_2) | instid1(SALU_CYCLE_1)
	s_add_u32 s4, s40, s4
	s_addc_u32 s5, s41, s5
	s_ashr_i32 s7, s6, 31
	s_lshl_b64 s[6:7], s[6:7], 3
	s_delay_alu instid0(SALU_CYCLE_1)
	s_add_u32 s6, s34, s6
	s_addc_u32 s7, s35, s7
	s_waitcnt lgkmcnt(0)
	v_ashrrev_i32_e32 v1, 31, v0
	s_clause 0x1
	global_store_b64 v2, v[0:1], s[6:7]
	global_store_b32 v2, v15, s[4:5]
.LBB19_269:
	s_or_b32 exec_lo, exec_lo, s3
.LBB19_270:
	s_or_saveexec_b32 s1, s1
	s_mov_b32 s2, 0
	s_xor_b32 exec_lo, exec_lo, s1
	s_cbranch_execnz .LBB19_278
.LBB19_271:
	s_or_b32 exec_lo, exec_lo, s1
	s_delay_alu instid0(SALU_CYCLE_1)
	s_and_b32 s1, s2, exec_lo
.LBB19_272:
	s_and_not1_saveexec_b32 s0, s0
	s_cbranch_execnz .LBB19_276
; %bb.273:
	s_or_b32 exec_lo, exec_lo, s0
	s_and_saveexec_b32 s0, s1
.LBB19_274:
	; divergent unreachable
.LBB19_275:
	s_nop 0
	s_sendmsg sendmsg(MSG_DEALLOC_VGPRS)
	s_endpgm
.LBB19_276:
	s_cbranch_execnz .LBB19_280
; %bb.277:
	s_or_b32 s1, s1, exec_lo
	s_or_b32 exec_lo, exec_lo, s0
	s_and_saveexec_b32 s0, s1
	s_cbranch_execnz .LBB19_274
	s_branch .LBB19_275
.LBB19_278:
	s_cbranch_execnz .LBB19_282
; %bb.279:
	s_mov_b32 s2, exec_lo
	s_branch .LBB19_271
.LBB19_280:
	s_trap 2
	s_sendmsg_rtn_b32 s0, sendmsg(MSG_RTN_GET_DOORBELL)
	s_mov_b32 ttmp2, m0
	s_waitcnt lgkmcnt(0)
	s_and_b32 s0, s0, 0x3ff
	s_delay_alu instid0(SALU_CYCLE_1) | instskip(NEXT) | instid1(SALU_CYCLE_1)
	s_bitset1_b32 s0, 10
	s_mov_b32 m0, s0
	s_sendmsg sendmsg(MSG_INTERRUPT)
	s_mov_b32 m0, ttmp2
.LBB19_281:                             ; =>This Inner Loop Header: Depth=1
	s_sethalt 5
	s_branch .LBB19_281
.LBB19_282:
	s_trap 2
	s_sendmsg_rtn_b32 s0, sendmsg(MSG_RTN_GET_DOORBELL)
	s_mov_b32 ttmp2, m0
	s_waitcnt lgkmcnt(0)
	s_and_b32 s0, s0, 0x3ff
	s_delay_alu instid0(SALU_CYCLE_1) | instskip(NEXT) | instid1(SALU_CYCLE_1)
	s_bitset1_b32 s0, 10
	s_mov_b32 m0, s0
	s_sendmsg sendmsg(MSG_INTERRUPT)
	s_mov_b32 m0, ttmp2
.LBB19_283:                             ; =>This Inner Loop Header: Depth=1
	s_sethalt 5
	s_branch .LBB19_283
	.section	.rodata,"a",@progbits
	.p2align	6, 0x0
	.amdhsa_kernel _ZN2at6native12_GLOBAL__N_114gatherKthValueIiiLin1EEEvNS_4cuda6detail10TensorInfoIKT_T0_EES8_S8_S8_S8_NS5_IS6_S8_EENS5_IlS8_EE
		.amdhsa_group_segment_fixed_size 4112
		.amdhsa_private_segment_fixed_size 0
		.amdhsa_kernarg_size 920
		.amdhsa_user_sgpr_count 13
		.amdhsa_user_sgpr_dispatch_ptr 0
		.amdhsa_user_sgpr_queue_ptr 0
		.amdhsa_user_sgpr_kernarg_segment_ptr 1
		.amdhsa_user_sgpr_dispatch_id 0
		.amdhsa_user_sgpr_private_segment_size 0
		.amdhsa_wavefront_size32 1
		.amdhsa_uses_dynamic_stack 0
		.amdhsa_enable_private_segment 0
		.amdhsa_system_sgpr_workgroup_id_x 1
		.amdhsa_system_sgpr_workgroup_id_y 1
		.amdhsa_system_sgpr_workgroup_id_z 1
		.amdhsa_system_sgpr_workgroup_info 0
		.amdhsa_system_vgpr_workitem_id 0
		.amdhsa_next_free_vgpr 40
		.amdhsa_next_free_sgpr 84
		.amdhsa_reserve_vcc 1
		.amdhsa_float_round_mode_32 0
		.amdhsa_float_round_mode_16_64 0
		.amdhsa_float_denorm_mode_32 3
		.amdhsa_float_denorm_mode_16_64 3
		.amdhsa_dx10_clamp 1
		.amdhsa_ieee_mode 1
		.amdhsa_fp16_overflow 0
		.amdhsa_workgroup_processor_mode 1
		.amdhsa_memory_ordered 1
		.amdhsa_forward_progress 0
		.amdhsa_shared_vgpr_count 0
		.amdhsa_exception_fp_ieee_invalid_op 0
		.amdhsa_exception_fp_denorm_src 0
		.amdhsa_exception_fp_ieee_div_zero 0
		.amdhsa_exception_fp_ieee_overflow 0
		.amdhsa_exception_fp_ieee_underflow 0
		.amdhsa_exception_fp_ieee_inexact 0
		.amdhsa_exception_int_div_zero 0
	.end_amdhsa_kernel
	.section	.text._ZN2at6native12_GLOBAL__N_114gatherKthValueIiiLin1EEEvNS_4cuda6detail10TensorInfoIKT_T0_EES8_S8_S8_S8_NS5_IS6_S8_EENS5_IlS8_EE,"axG",@progbits,_ZN2at6native12_GLOBAL__N_114gatherKthValueIiiLin1EEEvNS_4cuda6detail10TensorInfoIKT_T0_EES8_S8_S8_S8_NS5_IS6_S8_EENS5_IlS8_EE,comdat
.Lfunc_end19:
	.size	_ZN2at6native12_GLOBAL__N_114gatherKthValueIiiLin1EEEvNS_4cuda6detail10TensorInfoIKT_T0_EES8_S8_S8_S8_NS5_IS6_S8_EENS5_IlS8_EE, .Lfunc_end19-_ZN2at6native12_GLOBAL__N_114gatherKthValueIiiLin1EEEvNS_4cuda6detail10TensorInfoIKT_T0_EES8_S8_S8_S8_NS5_IS6_S8_EENS5_IlS8_EE
                                        ; -- End function
	.section	.AMDGPU.csdata,"",@progbits
; Kernel info:
; codeLenInByte = 10508
; NumSgprs: 86
; NumVgprs: 40
; ScratchSize: 0
; MemoryBound: 0
; FloatMode: 240
; IeeeMode: 1
; LDSByteSize: 4112 bytes/workgroup (compile time only)
; SGPRBlocks: 10
; VGPRBlocks: 4
; NumSGPRsForWavesPerEU: 86
; NumVGPRsForWavesPerEU: 40
; Occupancy: 16
; WaveLimiterHint : 1
; COMPUTE_PGM_RSRC2:SCRATCH_EN: 0
; COMPUTE_PGM_RSRC2:USER_SGPR: 13
; COMPUTE_PGM_RSRC2:TRAP_HANDLER: 0
; COMPUTE_PGM_RSRC2:TGID_X_EN: 1
; COMPUTE_PGM_RSRC2:TGID_Y_EN: 1
; COMPUTE_PGM_RSRC2:TGID_Z_EN: 1
; COMPUTE_PGM_RSRC2:TIDIG_COMP_CNT: 0
	.section	.text._ZN2at6native12_GLOBAL__N_114gatherKthValueIilLi1EEEvNS_4cuda6detail10TensorInfoIKT_T0_EES8_S8_S8_S8_NS5_IS6_S8_EENS5_IlS8_EE,"axG",@progbits,_ZN2at6native12_GLOBAL__N_114gatherKthValueIilLi1EEEvNS_4cuda6detail10TensorInfoIKT_T0_EES8_S8_S8_S8_NS5_IS6_S8_EENS5_IlS8_EE,comdat
	.globl	_ZN2at6native12_GLOBAL__N_114gatherKthValueIilLi1EEEvNS_4cuda6detail10TensorInfoIKT_T0_EES8_S8_S8_S8_NS5_IS6_S8_EENS5_IlS8_EE ; -- Begin function _ZN2at6native12_GLOBAL__N_114gatherKthValueIilLi1EEEvNS_4cuda6detail10TensorInfoIKT_T0_EES8_S8_S8_S8_NS5_IS6_S8_EENS5_IlS8_EE
	.p2align	8
	.type	_ZN2at6native12_GLOBAL__N_114gatherKthValueIilLi1EEEvNS_4cuda6detail10TensorInfoIKT_T0_EES8_S8_S8_S8_NS5_IS6_S8_EENS5_IlS8_EE,@function
_ZN2at6native12_GLOBAL__N_114gatherKthValueIilLi1EEEvNS_4cuda6detail10TensorInfoIKT_T0_EES8_S8_S8_S8_NS5_IS6_S8_EENS5_IlS8_EE: ; @_ZN2at6native12_GLOBAL__N_114gatherKthValueIilLi1EEEvNS_4cuda6detail10TensorInfoIKT_T0_EES8_S8_S8_S8_NS5_IS6_S8_EENS5_IlS8_EE
; %bb.0:
	s_clause 0x1
	s_load_b64 s[8:9], s[0:1], 0x500
	s_load_b256 s[36:43], s[0:1], 0x1a0
	s_add_u32 s6, s0, 0x500
	s_addc_u32 s7, s1, 0
	s_mov_b32 s27, 0
	s_waitcnt lgkmcnt(0)
	s_mul_i32 s2, s9, s15
	s_delay_alu instid0(SALU_CYCLE_1) | instskip(NEXT) | instid1(SALU_CYCLE_1)
	s_add_i32 s2, s2, s14
	s_mul_i32 s2, s2, s8
	s_delay_alu instid0(SALU_CYCLE_1) | instskip(NEXT) | instid1(SALU_CYCLE_1)
	s_add_i32 s26, s2, s13
	v_cmp_ge_i64_e64 s2, s[26:27], s[40:41]
	s_delay_alu instid0(VALU_DEP_1)
	s_and_b32 vcc_lo, exec_lo, s2
	s_cbranch_vccnz .LBB20_303
; %bb.1:
	s_clause 0x5
	s_load_b64 s[34:35], s[0:1], 0x430
	s_load_b64 s[28:29], s[0:1], 0x360
	s_load_b64 s[40:41], s[0:1], 0x290
	s_load_b64 s[30:31], s[0:1], 0x1c0
	s_load_b64 s[4:5], s[0:1], 0xd0
	s_load_b64 s[2:3], s[0:1], 0x0
	v_cmp_eq_u32_e64 s0, 0, v0
	s_delay_alu instid0(VALU_DEP_1)
	s_and_saveexec_b32 s1, s0
	s_cbranch_execz .LBB20_3
; %bb.2:
	v_dual_mov_b32 v1, 0 :: v_dual_mov_b32 v4, s37
	s_delay_alu instid0(VALU_DEP_1)
	v_dual_mov_b32 v3, s36 :: v_dual_mov_b32 v2, v1
	ds_store_b32 v1, v1 offset:5136
	ds_store_b128 v1, v[1:4] offset:5120
.LBB20_3:
	s_or_b32 exec_lo, exec_lo, s1
	v_mad_u64_u32 v[2:3], null, v0, s42, 0
	v_lshlrev_b32_e32 v35, 4, v0
	s_waitcnt lgkmcnt(0)
	s_mul_i32 s1, s5, s26
	s_mul_hi_u32 s5, s4, s26
	s_mul_i32 s4, s4, s26
	s_add_i32 s5, s5, s1
	v_or_b32_e32 v22, 4, v35
	v_dual_mov_b32 v1, v3 :: v_dual_lshlrev_b32 v14, 2, v0
	s_lshl_b64 s[4:5], s[4:5], 2
	v_mbcnt_lo_u32_b32 v32, -1, 0
	s_delay_alu instid0(VALU_DEP_3) | instskip(NEXT) | instid1(VALU_DEP_3)
	v_mad_u64_u32 v[20:21], null, s42, v22, 0
	v_mad_u64_u32 v[3:4], null, v0, s43, v[1:2]
	v_lshrrev_b32_e32 v6, 3, v0
	s_add_u32 s46, s2, s4
	s_addc_u32 s47, s3, s5
	s_barrier
	buffer_gl0_inv
	s_load_b32 s5, s[6:7], 0xc
	v_lshlrev_b64 v[4:5], 2, v[2:3]
	v_cmp_gt_u32_e32 vcc_lo, 32, v0
	v_cmp_gt_i32_e64 s1, 4, v32
	v_dual_mov_b32 v13, 0 :: v_dual_and_b32 v34, 0x7c, v6
	v_mov_b32_e32 v6, v21
	v_or_b32_e32 v9, 12, v35
	v_or_b32_e32 v12, 8, v35
	s_and_b32 s33, vcc_lo, s1
	v_add_co_u32 v10, vcc_lo, s46, v4
	s_delay_alu instid0(VALU_DEP_3) | instskip(NEXT) | instid1(VALU_DEP_3)
	v_mad_u64_u32 v[16:17], null, s42, v9, 0
	v_mad_u64_u32 v[18:19], null, s42, v12, 0
	v_add_co_ci_u32_e32 v11, vcc_lo, s47, v5, vcc_lo
	v_lshlrev_b64 v[4:5], v32, -1
	v_add_nc_u32_e32 v33, 0xc00, v14
	s_waitcnt lgkmcnt(0)
	s_and_b32 s27, s5, 0xffff
	s_bfe_u32 s9, s5, 0xb0005
	s_delay_alu instid0(VALU_DEP_4)
	v_mov_b32_e32 v5, v19
	s_add_u32 s69, s27, -1
	v_not_b32_e32 v36, v4
	v_mov_b32_e32 v4, v17
	s_addc_u32 s70, 0, -1
	s_add_u32 s71, s69, s36
	s_addc_u32 s25, s70, s37
	s_cmp_lt_u32 s13, s8
	v_mad_u64_u32 v[7:8], null, s43, v9, v[4:5]
	s_cselect_b32 s8, 12, 18
	v_mad_u64_u32 v[8:9], null, s43, v12, v[5:6]
	s_add_u32 s50, s6, s8
	v_mov_b32_e32 v1, v13
	s_addc_u32 s51, s7, 0
	s_delay_alu instid0(VALU_DEP_3)
	v_mad_u64_u32 v[4:5], null, s43, v22, v[6:7]
	s_add_i32 s6, s9, -1
	s_bfe_u32 s72, s27, 0x30005
	s_cmp_gt_u32 s6, 6
	v_add_co_u32 v38, s7, s36, v0
	s_cselect_b32 s73, -1, 0
	s_and_b32 s74, s9, 0x7f8
	v_cmp_lt_i64_e64 s68, 0x300, s[36:37]
	v_cmp_gt_u64_e64 s4, s[36:37], v[0:1]
	v_cmp_gt_i64_e64 s1, s[36:37], v[0:1]
	s_cmp_lg_u32 s72, 0
	v_cmp_gt_u16_e64 s75, s5, 31
	v_lshlrev_b64 v[21:22], 4, v[2:3]
	s_mul_i32 s5, s43, s27
	s_mul_hi_u32 s6, s42, s27
	v_cmp_eq_u32_e64 s2, 0, v32
	v_cmp_gt_u32_e64 s3, 2, v0
	v_mov_b32_e32 v15, v13
	v_mov_b32_e32 v17, v7
	;; [unrolled: 1-line block ×4, first 2 shown]
	v_add_co_ci_u32_e64 v39, null, s37, 0, s7
	v_lshl_or_b32 v40, v32, 3, 0xc00
	v_mov_b32_e32 v23, 1
	v_cvt_f32_ubyte0_e32 v41, 0
	v_mov_b32_e32 v25, 0
	s_cselect_b32 s76, -1, 0
	s_add_i32 s7, s6, s5
	s_mul_i32 s6, s42, s27
	s_mov_b32 s49, 0
	s_lshl_b64 s[52:53], s[42:43], 2
	s_lshl_b64 s[54:55], s[42:43], 4
	;; [unrolled: 1-line block ×3, first 2 shown]
	s_lshl_b32 s77, s27, 2
	s_mov_b32 s81, 30
	s_mov_b32 s78, 0
	;; [unrolled: 1-line block ×5, first 2 shown]
                                        ; implicit-def: $sgpr79
                                        ; implicit-def: $sgpr82
                                        ; implicit-def: $sgpr80
                                        ; implicit-def: $sgpr85
                                        ; implicit-def: $sgpr86
                                        ; implicit-def: $sgpr84
	s_branch .LBB20_8
.LBB20_4:                               ;   in Loop: Header=BB20_8 Depth=1
	s_xor_b32 s83, s83, 1
	s_add_i32 s8, s81, -2
	s_cmp_eq_u32 s81, 0
	s_mov_b32 s5, 0
	s_cselect_b32 s7, -1, 0
	s_mov_b32 s81, s8
.LBB20_5:                               ;   in Loop: Header=BB20_8 Depth=1
	s_and_not1_b32 s8, s15, exec_lo
	s_and_b32 s5, s5, exec_lo
	s_and_not1_b32 s21, s21, exec_lo
	s_or_b32 s15, s8, s5
	s_and_not1_b32 s14, s14, exec_lo
	s_or_not1_b32 s17, s7, exec_lo
.LBB20_6:                               ;   in Loop: Header=BB20_8 Depth=1
	s_or_b32 exec_lo, exec_lo, s6
	s_delay_alu instid0(SALU_CYCLE_1)
	s_and_not1_b32 s5, s84, exec_lo
	s_and_b32 s6, s15, exec_lo
	s_and_not1_b32 s7, s85, exec_lo
	s_or_b32 s84, s5, s6
	s_and_not1_b32 s5, s86, exec_lo
	s_and_b32 s6, s21, exec_lo
	s_and_b32 s8, s14, exec_lo
	s_or_b32 s86, s5, s6
	s_or_b32 s85, s7, s8
	s_or_not1_b32 s21, s17, exec_lo
.LBB20_7:                               ;   in Loop: Header=BB20_8 Depth=1
	s_or_b32 exec_lo, exec_lo, s16
	s_delay_alu instid0(SALU_CYCLE_1)
	s_and_b32 s5, exec_lo, s21
	v_mov_b32_e32 v2, s88
	s_or_b32 s78, s5, s78
	s_and_not1_b32 s5, s80, exec_lo
	s_and_b32 s6, s84, exec_lo
	s_and_not1_b32 s7, s79, exec_lo
	s_or_b32 s80, s5, s6
	s_and_not1_b32 s5, s82, exec_lo
	s_and_b32 s6, s86, exec_lo
	s_and_b32 s8, s85, exec_lo
	s_or_b32 s82, s5, s6
	s_or_b32 s79, s7, s8
	s_and_not1_b32 exec_lo, exec_lo, s78
	s_cbranch_execz .LBB20_277
.LBB20_8:                               ; =>This Loop Header: Depth=1
                                        ;     Child Loop BB20_16 Depth 2
                                        ;     Child Loop BB20_35 Depth 2
	;; [unrolled: 1-line block ×16, first 2 shown]
	ds_load_b128 v[2:5], v13 offset:5120
	s_waitcnt lgkmcnt(0)
	v_readfirstlane_b32 s57, v3
	v_readfirstlane_b32 s56, v2
	s_delay_alu instid0(VALU_DEP_1) | instskip(NEXT) | instid1(VALU_DEP_1)
	v_cmp_gt_i64_e64 s5, s[56:57], 0
	s_and_b32 vcc_lo, exec_lo, s5
	s_cbranch_vccnz .LBB20_42
; %bb.9:                                ;   in Loop: Header=BB20_8 Depth=1
	s_and_b32 vcc_lo, exec_lo, s68
	s_cbranch_vccz .LBB20_24
; %bb.10:                               ;   in Loop: Header=BB20_8 Depth=1
	v_cmp_gt_i64_e32 vcc_lo, 0x301, v[4:5]
	s_mov_b32 s7, 0
	s_mov_b32 s5, 0
	s_cbranch_vccz .LBB20_29
; %bb.11:                               ;   in Loop: Header=BB20_8 Depth=1
	v_mov_b32_e32 v6, 0
	s_and_saveexec_b32 s5, s4
	s_cbranch_execz .LBB20_13
; %bb.12:                               ;   in Loop: Header=BB20_8 Depth=1
	global_load_b32 v6, v[10:11], off
.LBB20_13:                              ;   in Loop: Header=BB20_8 Depth=1
	s_or_b32 exec_lo, exec_lo, s5
	s_and_saveexec_b32 s8, s4
	s_cbranch_execz .LBB20_25
; %bb.14:                               ;   in Loop: Header=BB20_8 Depth=1
	global_load_u16 v7, v13, s[50:51]
	s_mov_b32 s11, 0
	s_waitcnt vmcnt(0)
	v_readfirstlane_b32 s5, v7
	v_and_b32_e32 v7, 0xffff, v7
	s_delay_alu instid0(VALU_DEP_2) | instskip(NEXT) | instid1(SALU_CYCLE_1)
	s_and_b32 s5, 0xffff, s5
	v_add_nc_u32_e32 v8, s5, v0
	s_mul_i32 s6, s53, s5
	s_mul_hi_u32 s9, s52, s5
	s_mul_i32 s10, s52, s5
	s_add_i32 s9, s9, s6
	v_mad_u64_u32 v[2:3], null, s52, v8, s[46:47]
	s_delay_alu instid0(VALU_DEP_1) | instskip(NEXT) | instid1(VALU_DEP_1)
	v_mad_u64_u32 v[4:5], null, s53, v8, v[3:4]
	v_mov_b32_e32 v3, v4
	v_dual_mov_b32 v5, v1 :: v_dual_mov_b32 v4, v0
	s_branch .LBB20_16
.LBB20_15:                              ;   in Loop: Header=BB20_16 Depth=2
	s_or_b32 exec_lo, exec_lo, s6
	v_add_co_u32 v2, vcc_lo, v2, s10
	v_add_co_ci_u32_e32 v3, vcc_lo, s9, v3, vcc_lo
	s_waitcnt vmcnt(0)
	v_mov_b32_e32 v6, v8
	s_and_not1_b32 exec_lo, exec_lo, s11
	s_cbranch_execz .LBB20_25
.LBB20_16:                              ;   Parent Loop BB20_8 Depth=1
                                        ; =>  This Inner Loop Header: Depth=2
	s_delay_alu instid0(VALU_DEP_1) | instskip(NEXT) | instid1(VALU_DEP_2)
	v_add_co_u32 v4, vcc_lo, v4, v7
	v_add_co_ci_u32_e32 v5, vcc_lo, 0, v5, vcc_lo
	s_waitcnt lgkmcnt(0)
	v_dual_mov_b32 v9, 0 :: v_dual_mov_b32 v8, 0
	s_mov_b32 s6, exec_lo
	s_delay_alu instid0(VALU_DEP_2)
	v_cmp_le_i64_e32 vcc_lo, s[36:37], v[4:5]
	v_cmpx_gt_i64_e64 s[36:37], v[4:5]
	s_cbranch_execz .LBB20_18
; %bb.17:                               ;   in Loop: Header=BB20_16 Depth=2
	global_load_b32 v8, v[2:3], off
.LBB20_18:                              ;   in Loop: Header=BB20_16 Depth=2
	s_or_b32 exec_lo, exec_lo, s6
	v_xor_b32_e32 v12, 0x80000000, v6
	s_delay_alu instid0(VALU_DEP_1) | instskip(NEXT) | instid1(VALU_DEP_1)
	v_and_b32_e32 v12, s87, v12
	v_cmp_eq_u32_e64 s5, s88, v12
	s_delay_alu instid0(VALU_DEP_1) | instskip(SKIP_1) | instid1(SALU_CYCLE_1)
	s_cmp_lg_u32 s5, 0
	s_cselect_b32 s6, -1, 0
	s_and_b32 s6, s2, s6
	s_delay_alu instid0(SALU_CYCLE_1)
	s_and_saveexec_b32 s12, s6
	s_cbranch_execz .LBB20_22
; %bb.19:                               ;   in Loop: Header=BB20_16 Depth=2
	s_mov_b32 s15, exec_lo
	s_bcnt1_i32_b32 s13, s5
	v_mbcnt_lo_u32_b32 v9, s15, 0
	s_mov_b32 s14, exec_lo
                                        ; implicit-def: $vgpr12
	s_delay_alu instid0(VALU_DEP_1)
	v_cmpx_eq_u32_e32 0, v9
	s_cbranch_execz .LBB20_21
; %bb.20:                               ;   in Loop: Header=BB20_16 Depth=2
	s_bcnt1_i32_b32 s6, s15
	s_delay_alu instid0(SALU_CYCLE_1) | instskip(NEXT) | instid1(SALU_CYCLE_1)
	s_mul_i32 s6, s13, s6
	v_mov_b32_e32 v12, s6
	ds_add_rtn_u32 v12, v13, v12 offset:5136
.LBB20_21:                              ;   in Loop: Header=BB20_16 Depth=2
	s_or_b32 exec_lo, exec_lo, s14
	s_waitcnt lgkmcnt(0)
	v_readfirstlane_b32 s6, v12
	s_delay_alu instid0(VALU_DEP_1)
	v_mad_u32_u24 v9, s13, v9, s6
.LBB20_22:                              ;   in Loop: Header=BB20_16 Depth=2
	s_or_b32 exec_lo, exec_lo, s12
	ds_bpermute_b32 v9, v13, v9
	s_and_b32 s6, exec_lo, vcc_lo
	s_delay_alu instid0(SALU_CYCLE_1)
	s_or_b32 s11, s6, s11
	s_and_saveexec_b32 s6, s5
	s_cbranch_execz .LBB20_15
; %bb.23:                               ;   in Loop: Header=BB20_16 Depth=2
	v_and_b32_e32 v12, s5, v36
	s_delay_alu instid0(VALU_DEP_1) | instskip(NEXT) | instid1(VALU_DEP_1)
	v_bcnt_u32_b32 v12, v12, 0
	v_lshlrev_b32_e32 v12, 2, v12
	s_waitcnt lgkmcnt(0)
	s_delay_alu instid0(VALU_DEP_1)
	v_lshl_add_u32 v9, v9, 2, v12
	ds_store_b32 v9, v6
	s_branch .LBB20_15
.LBB20_24:                              ;   in Loop: Header=BB20_8 Depth=1
	s_mov_b32 s7, -1
	s_mov_b32 s5, 0
	s_branch .LBB20_28
.LBB20_25:                              ;   in Loop: Header=BB20_8 Depth=1
	s_or_b32 exec_lo, exec_lo, s8
	s_waitcnt vmcnt(0) lgkmcnt(0)
	s_barrier
	buffer_gl0_inv
	s_and_saveexec_b32 s5, s0
	s_cbranch_execz .LBB20_27
; %bb.26:                               ;   in Loop: Header=BB20_8 Depth=1
	ds_load_b32 v2, v13 offset:5136
	s_waitcnt lgkmcnt(0)
	v_ashrrev_i32_e32 v3, 31, v2
	ds_store_b64 v13, v[2:3] offset:5120
.LBB20_27:                              ;   in Loop: Header=BB20_8 Depth=1
	s_or_b32 exec_lo, exec_lo, s5
	s_waitcnt lgkmcnt(0)
	s_mov_b32 s5, -1
	s_barrier
.LBB20_28:                              ;   in Loop: Header=BB20_8 Depth=1
                                        ; implicit-def: $sgpr56_sgpr57
.LBB20_29:                              ;   in Loop: Header=BB20_8 Depth=1
	s_and_b32 vcc_lo, exec_lo, s7
	s_cbranch_vccz .LBB20_40
; %bb.30:                               ;   in Loop: Header=BB20_8 Depth=1
	v_mov_b32_e32 v6, 0
	s_and_saveexec_b32 s5, s1
	s_cbranch_execz .LBB20_32
; %bb.31:                               ;   in Loop: Header=BB20_8 Depth=1
	global_load_b32 v6, v[10:11], off
.LBB20_32:                              ;   in Loop: Header=BB20_8 Depth=1
	s_or_b32 exec_lo, exec_lo, s5
	s_and_saveexec_b32 s6, s1
	s_cbranch_execz .LBB20_37
; %bb.33:                               ;   in Loop: Header=BB20_8 Depth=1
	global_load_u16 v8, v13, s[50:51]
	s_mov_b32 s10, 0
	s_waitcnt vmcnt(0)
	v_readfirstlane_b32 s5, v8
	v_and_b32_e32 v8, 0xffff, v8
	s_delay_alu instid0(VALU_DEP_2) | instskip(NEXT) | instid1(SALU_CYCLE_1)
	s_and_b32 s5, 0xffff, s5
	v_add_nc_u32_e32 v7, s5, v0
	s_mul_i32 s8, s53, s5
	s_mul_hi_u32 s9, s52, s5
	s_lshl_b32 s7, s5, 2
	s_add_i32 s8, s9, s8
	v_mad_u64_u32 v[2:3], null, s52, v7, s[46:47]
	s_mul_i32 s9, s52, s5
	s_delay_alu instid0(VALU_DEP_1) | instskip(SKIP_1) | instid1(VALU_DEP_2)
	v_mad_u64_u32 v[4:5], null, s53, v7, v[3:4]
	v_mov_b32_e32 v7, v14
	v_mov_b32_e32 v3, v4
	v_dual_mov_b32 v5, v1 :: v_dual_mov_b32 v4, v0
	s_branch .LBB20_35
	.p2align	6
.LBB20_34:                              ;   in Loop: Header=BB20_35 Depth=2
	s_or_b32 exec_lo, exec_lo, s11
	s_delay_alu instid0(SALU_CYCLE_1)
	s_and_b32 s5, exec_lo, vcc_lo
	v_add_co_u32 v2, vcc_lo, v2, s9
	ds_store_b32 v7, v6
	s_waitcnt vmcnt(0)
	v_dual_mov_b32 v6, v9 :: v_dual_add_nc_u32 v7, s7, v7
	v_add_co_ci_u32_e32 v3, vcc_lo, s8, v3, vcc_lo
	s_or_b32 s10, s5, s10
	s_delay_alu instid0(SALU_CYCLE_1)
	s_and_not1_b32 exec_lo, exec_lo, s10
	s_cbranch_execz .LBB20_37
.LBB20_35:                              ;   Parent Loop BB20_8 Depth=1
                                        ; =>  This Inner Loop Header: Depth=2
	s_delay_alu instid0(VALU_DEP_1) | instskip(NEXT) | instid1(VALU_DEP_2)
	v_add_co_u32 v4, vcc_lo, v4, v8
	v_add_co_ci_u32_e32 v5, vcc_lo, 0, v5, vcc_lo
	v_mov_b32_e32 v9, 0
	s_mov_b32 s11, exec_lo
	s_delay_alu instid0(VALU_DEP_2)
	v_cmp_le_i64_e32 vcc_lo, s[36:37], v[4:5]
	v_cmpx_gt_i64_e64 s[36:37], v[4:5]
	s_cbranch_execz .LBB20_34
; %bb.36:                               ;   in Loop: Header=BB20_35 Depth=2
	global_load_b32 v9, v[2:3], off
	s_branch .LBB20_34
.LBB20_37:                              ;   in Loop: Header=BB20_8 Depth=1
	s_or_b32 exec_lo, exec_lo, s6
	s_waitcnt vmcnt(0) lgkmcnt(0)
	s_barrier
	buffer_gl0_inv
	s_and_saveexec_b32 s5, s0
	s_cbranch_execz .LBB20_39
; %bb.38:                               ;   in Loop: Header=BB20_8 Depth=1
	v_dual_mov_b32 v2, s36 :: v_dual_mov_b32 v3, s37
	ds_store_b64 v13, v[2:3] offset:5120
.LBB20_39:                              ;   in Loop: Header=BB20_8 Depth=1
	s_or_b32 exec_lo, exec_lo, s5
	s_mov_b32 s5, -1
	s_waitcnt lgkmcnt(0)
	s_barrier
                                        ; implicit-def: $sgpr56_sgpr57
.LBB20_40:                              ;   in Loop: Header=BB20_8 Depth=1
	s_and_b32 vcc_lo, exec_lo, s5
	s_cbranch_vccz .LBB20_42
; %bb.41:                               ;   in Loop: Header=BB20_8 Depth=1
	buffer_gl0_inv
	ds_load_b64 v[2:3], v13 offset:5120
	s_waitcnt lgkmcnt(0)
	v_readfirstlane_b32 s56, v2
.LBB20_42:                              ;   in Loop: Header=BB20_8 Depth=1
	s_delay_alu instid0(VALU_DEP_1)
	s_cmp_lt_i32 s56, 1
	s_cbranch_scc0 .LBB20_57
; %bb.43:                               ;   in Loop: Header=BB20_8 Depth=1
	global_load_u16 v2, v13, s[50:51]
	s_mov_b32 s6, s49
	s_mov_b32 s7, s37
	s_waitcnt vmcnt(0)
	v_readfirstlane_b32 s5, v2
	s_delay_alu instid0(VALU_DEP_1) | instskip(NEXT) | instid1(SALU_CYCLE_1)
	s_and_b32 s48, s5, 0xffff
	s_lshl_b32 s57, s48, 2
	s_cmp_lg_u64 s[6:7], 0
	s_cbranch_scc0 .LBB20_77
; %bb.44:                               ;   in Loop: Header=BB20_8 Depth=1
	v_cvt_f32_u32_e32 v2, s57
	s_sub_u32 s7, 0, s57
	s_subb_u32 s8, 0, 0
	s_delay_alu instid0(VALU_DEP_1) | instskip(NEXT) | instid1(VALU_DEP_1)
	v_fmac_f32_e32 v2, 0x4f800000, v41
	v_rcp_f32_e32 v2, v2
	s_waitcnt_depctr 0xfff
	v_mul_f32_e32 v2, 0x5f7ffffc, v2
	s_delay_alu instid0(VALU_DEP_1) | instskip(NEXT) | instid1(VALU_DEP_1)
	v_mul_f32_e32 v3, 0x2f800000, v2
	v_trunc_f32_e32 v3, v3
	s_delay_alu instid0(VALU_DEP_1) | instskip(SKIP_1) | instid1(VALU_DEP_2)
	v_fmac_f32_e32 v2, 0xcf800000, v3
	v_cvt_u32_f32_e32 v3, v3
	v_cvt_u32_f32_e32 v2, v2
	s_delay_alu instid0(VALU_DEP_2) | instskip(NEXT) | instid1(VALU_DEP_2)
	v_readfirstlane_b32 s5, v3
	v_readfirstlane_b32 s6, v2
	s_delay_alu instid0(VALU_DEP_2) | instskip(NEXT) | instid1(VALU_DEP_1)
	s_mul_i32 s9, s7, s5
	s_mul_hi_u32 s11, s7, s6
	s_mul_i32 s10, s8, s6
	s_add_i32 s9, s11, s9
	s_mul_i32 s12, s7, s6
	s_add_i32 s9, s9, s10
	s_mul_hi_u32 s11, s6, s12
	s_mul_hi_u32 s13, s5, s12
	s_mul_i32 s10, s5, s12
	s_mul_hi_u32 s12, s6, s9
	s_mul_i32 s6, s6, s9
	s_mul_hi_u32 s14, s5, s9
	s_add_u32 s6, s11, s6
	s_addc_u32 s11, 0, s12
	s_add_u32 s6, s6, s10
	s_mul_i32 s9, s5, s9
	s_addc_u32 s6, s11, s13
	s_addc_u32 s10, s14, 0
	s_add_u32 s6, s6, s9
	s_addc_u32 s9, 0, s10
	v_add_co_u32 v2, s6, v2, s6
	s_delay_alu instid0(VALU_DEP_1) | instskip(SKIP_1) | instid1(VALU_DEP_1)
	s_cmp_lg_u32 s6, 0
	s_addc_u32 s5, s5, s9
	v_readfirstlane_b32 s6, v2
	s_mul_i32 s9, s7, s5
	s_delay_alu instid0(VALU_DEP_1)
	s_mul_hi_u32 s10, s7, s6
	s_mul_i32 s8, s8, s6
	s_add_i32 s9, s10, s9
	s_mul_i32 s7, s7, s6
	s_add_i32 s9, s9, s8
	s_mul_hi_u32 s10, s5, s7
	s_mul_i32 s11, s5, s7
	s_mul_hi_u32 s7, s6, s7
	s_mul_hi_u32 s12, s6, s9
	s_mul_i32 s6, s6, s9
	s_mul_hi_u32 s8, s5, s9
	s_add_u32 s6, s7, s6
	s_addc_u32 s7, 0, s12
	s_add_u32 s6, s6, s11
	s_mul_i32 s9, s5, s9
	s_addc_u32 s6, s7, s10
	s_addc_u32 s7, s8, 0
	s_add_u32 s6, s6, s9
	s_addc_u32 s7, 0, s7
	v_add_co_u32 v2, s6, v2, s6
	s_delay_alu instid0(VALU_DEP_1) | instskip(SKIP_2) | instid1(VALU_DEP_1)
	s_cmp_lg_u32 s6, 0
	s_addc_u32 s5, s5, s7
	s_ashr_i32 s6, s37, 31
	v_readfirstlane_b32 s10, v2
	s_add_u32 s8, s36, s6
	s_mov_b32 s7, s6
	s_addc_u32 s9, s37, s6
	s_delay_alu instid0(SALU_CYCLE_1) | instskip(NEXT) | instid1(SALU_CYCLE_1)
	s_xor_b64 s[8:9], s[8:9], s[6:7]
	s_mul_i32 s11, s8, s5
	s_mul_hi_u32 s12, s8, s10
	s_mul_hi_u32 s7, s8, s5
	;; [unrolled: 1-line block ×3, first 2 shown]
	s_mul_i32 s10, s9, s10
	s_add_u32 s11, s12, s11
	s_addc_u32 s7, 0, s7
	s_mul_hi_u32 s13, s9, s5
	s_add_u32 s10, s11, s10
	s_mul_i32 s5, s9, s5
	s_addc_u32 s7, s7, s14
	s_addc_u32 s10, s13, 0
	s_add_u32 s5, s7, s5
	s_addc_u32 s7, 0, s10
	s_mul_hi_u32 s10, s57, s5
	s_mul_i32 s5, s57, s5
	s_mul_i32 s7, s57, s7
	v_sub_co_u32 v2, s5, s8, s5
	s_add_i32 s10, s10, s7
	s_cmp_lg_u32 s5, 0
	s_delay_alu instid0(VALU_DEP_1) | instskip(SKIP_2) | instid1(VALU_DEP_1)
	v_sub_co_u32 v3, s5, v2, s57
	s_subb_u32 s7, s9, s10
	s_cmp_lg_u32 s5, 0
	v_cmp_le_u32_e32 vcc_lo, s57, v3
	v_sub_co_u32 v4, s5, v3, s57
	s_subb_u32 s8, s7, 0
	s_cmp_lg_u32 s5, 0
	v_cndmask_b32_e64 v5, 0, -1, vcc_lo
	s_subb_u32 s5, s8, 0
	s_cmp_eq_u32 s8, 0
	v_mov_b32_e32 v7, s5
	s_cselect_b32 vcc_lo, -1, 0
	s_cmp_eq_u32 s7, 0
	v_cndmask_b32_e32 v5, -1, v5, vcc_lo
	v_cmp_le_u32_e32 vcc_lo, s57, v2
	s_cselect_b32 s5, -1, 0
	v_cndmask_b32_e64 v6, 0, -1, vcc_lo
	s_delay_alu instid0(VALU_DEP_3) | instskip(NEXT) | instid1(VALU_DEP_2)
	v_cmp_ne_u32_e32 vcc_lo, 0, v5
	v_cndmask_b32_e64 v5, -1, v6, s5
	v_cndmask_b32_e32 v3, v3, v4, vcc_lo
	v_cndmask_b32_e32 v6, s8, v7, vcc_lo
	s_delay_alu instid0(VALU_DEP_3) | instskip(NEXT) | instid1(VALU_DEP_3)
	v_cmp_ne_u32_e32 vcc_lo, 0, v5
	v_cndmask_b32_e32 v2, v2, v3, vcc_lo
	s_delay_alu instid0(VALU_DEP_3) | instskip(NEXT) | instid1(VALU_DEP_2)
	v_cndmask_b32_e32 v4, s7, v6, vcc_lo
	v_xor_b32_e32 v2, s6, v2
	s_delay_alu instid0(VALU_DEP_2) | instskip(NEXT) | instid1(VALU_DEP_2)
	v_xor_b32_e32 v3, s6, v4
	v_sub_co_u32 v26, vcc_lo, v2, s6
	s_delay_alu instid0(VALU_DEP_2)
	v_subrev_co_ci_u32_e32 v27, vcc_lo, s6, v3, vcc_lo
	s_cbranch_execnz .LBB20_46
.LBB20_45:                              ;   in Loop: Header=BB20_8 Depth=1
	v_cvt_f32_u32_e32 v2, s57
	s_sub_i32 s5, 0, s57
	s_delay_alu instid0(VALU_DEP_1) | instskip(SKIP_2) | instid1(VALU_DEP_1)
	v_rcp_iflag_f32_e32 v2, v2
	s_waitcnt_depctr 0xfff
	v_mul_f32_e32 v2, 0x4f7ffffe, v2
	v_cvt_u32_f32_e32 v2, v2
	s_delay_alu instid0(VALU_DEP_1) | instskip(NEXT) | instid1(VALU_DEP_1)
	v_mul_lo_u32 v3, s5, v2
	v_mul_hi_u32 v3, v2, v3
	s_delay_alu instid0(VALU_DEP_1) | instskip(NEXT) | instid1(VALU_DEP_1)
	v_add_nc_u32_e32 v2, v2, v3
	v_mul_hi_u32 v2, s36, v2
	s_delay_alu instid0(VALU_DEP_1) | instskip(NEXT) | instid1(VALU_DEP_1)
	v_mul_lo_u32 v2, v2, s57
	v_sub_nc_u32_e32 v2, s36, v2
	s_delay_alu instid0(VALU_DEP_1) | instskip(SKIP_1) | instid1(VALU_DEP_2)
	v_subrev_nc_u32_e32 v3, s57, v2
	v_cmp_le_u32_e32 vcc_lo, s57, v2
	v_cndmask_b32_e32 v2, v2, v3, vcc_lo
	s_delay_alu instid0(VALU_DEP_1) | instskip(SKIP_1) | instid1(VALU_DEP_2)
	v_subrev_nc_u32_e32 v3, s57, v2
	v_cmp_le_u32_e32 vcc_lo, s57, v2
	v_cndmask_b32_e32 v12, v2, v3, vcc_lo
	s_delay_alu instid0(VALU_DEP_1)
	v_dual_mov_b32 v27, v13 :: v_dual_mov_b32 v26, v12
.LBB20_46:                              ;   in Loop: Header=BB20_8 Depth=1
	v_mov_b32_e32 v2, 0
	v_mov_b32_e32 v3, 0
	s_delay_alu instid0(VALU_DEP_3) | instskip(NEXT) | instid1(VALU_DEP_4)
	v_sub_co_u32 v28, vcc_lo, s36, v26
	v_sub_co_ci_u32_e32 v29, vcc_lo, s37, v27, vcc_lo
	s_delay_alu instid0(VALU_DEP_3)
	v_dual_mov_b32 v5, v3 :: v_dual_mov_b32 v4, v2
	v_dual_mov_b32 v7, v3 :: v_dual_mov_b32 v6, v2
	;; [unrolled: 1-line block ×3, first 2 shown]
	s_mov_b64 s[58:59], 0
	s_mov_b32 s89, exec_lo
	v_cmpx_gt_i64_e64 v[28:29], v[14:15]
	s_cbranch_execz .LBB20_50
; %bb.47:                               ;   in Loop: Header=BB20_8 Depth=1
	v_dual_mov_b32 v31, v15 :: v_dual_mov_b32 v30, v14
	s_mul_i32 s5, s55, s48
	s_mul_hi_u32 s6, s54, s48
	s_and_b32 s90, s81, 0xfe
	s_add_i32 s91, s6, s5
	s_mul_i32 s92, s54, s48
	s_mov_b32 s93, 0
	s_mov_b64 s[60:61], s[46:47]
	s_mov_b64 s[62:63], 0
	;; [unrolled: 1-line block ×4, first 2 shown]
.LBB20_48:                              ;   Parent Loop BB20_8 Depth=1
                                        ; =>  This Inner Loop Header: Depth=2
	v_add_co_u32 v2, vcc_lo, s60, v21
	v_add_co_ci_u32_e32 v3, vcc_lo, s61, v22, vcc_lo
	v_add_co_u32 v4, vcc_lo, s60, v20
	v_add_co_ci_u32_e32 v5, vcc_lo, s61, v37, vcc_lo
	;; [unrolled: 2-line block ×4, first 2 shown]
	s_clause 0x3
	global_load_b32 v2, v[2:3], off
	global_load_b32 v3, v[4:5], off
	global_load_b32 v4, v[6:7], off
	global_load_b32 v5, v[8:9], off
	v_add_co_u32 v30, vcc_lo, v30, s57
	v_add_co_ci_u32_e32 v31, vcc_lo, 0, v31, vcc_lo
	s_delay_alu instid0(VALU_DEP_1)
	v_cmp_ge_i64_e32 vcc_lo, v[30:31], v[28:29]
	s_waitcnt vmcnt(3)
	v_xor_b32_e32 v2, 0x80000000, v2
	s_waitcnt vmcnt(2)
	v_xor_b32_e32 v3, 0x80000000, v3
	s_waitcnt vmcnt(1)
	v_xor_b32_e32 v4, 0x80000000, v4
	s_waitcnt vmcnt(0)
	v_xor_b32_e32 v5, 0x80000000, v5
	v_and_b32_e32 v6, s87, v2
	v_bfe_u32 v2, v2, s90, 2
	v_and_b32_e32 v7, s87, v3
	v_bfe_u32 v3, v3, s90, 2
	;; [unrolled: 2-line block ×3, first 2 shown]
	v_cmp_eq_u32_e64 s5, s88, v6
	v_cmp_eq_u32_e64 s9, 0, v2
	v_and_b32_e32 v9, s87, v5
	v_bfe_u32 v5, v5, s90, 2
	v_cmp_eq_u32_e64 s6, s88, v7
	v_cmp_eq_u32_e64 s10, 0, v3
	;; [unrolled: 1-line block ×4, first 2 shown]
	s_and_b32 s9, s5, s9
	v_cmp_eq_u32_e64 s8, s88, v9
	v_cmp_eq_u32_e64 s12, 0, v5
	;; [unrolled: 1-line block ×5, first 2 shown]
	v_cndmask_b32_e64 v2, 0, 1, s9
	s_and_b32 s9, s6, s10
	v_cmp_eq_u32_e64 s14, 1, v3
	v_cmp_eq_u32_e64 s18, 2, v3
	v_cmp_eq_u32_e64 s22, 3, v3
	v_cndmask_b32_e64 v3, 0, 1, s9
	s_and_b32 s9, s7, s11
	v_cmp_eq_u32_e64 s15, 1, v4
	v_cmp_eq_u32_e64 s19, 2, v4
	v_cmp_eq_u32_e64 s23, 3, v4
	;; [unrolled: 5-line block ×3, first 2 shown]
	v_cndmask_b32_e64 v5, 0, 1, s9
	v_cmp_ne_u32_e64 s9, 0, v2
	v_cmp_ne_u32_e64 s10, 0, v3
	;; [unrolled: 1-line block ×3, first 2 shown]
	s_delay_alu instid0(VALU_DEP_4) | instskip(NEXT) | instid1(VALU_DEP_4)
	v_cmp_ne_u32_e64 s12, 0, v5
	s_bcnt1_i32_b32 s9, s9
	s_delay_alu instid0(VALU_DEP_3) | instskip(NEXT) | instid1(VALU_DEP_2)
	s_bcnt1_i32_b32 s10, s10
	s_bcnt1_i32_b32 s11, s11
	s_add_i32 s9, s10, s9
	s_bcnt1_i32_b32 s12, s12
	s_add_i32 s9, s9, s11
	s_delay_alu instid0(SALU_CYCLE_1) | instskip(NEXT) | instid1(SALU_CYCLE_1)
	s_add_i32 s9, s9, s12
	s_add_u32 s66, s66, s9
	s_addc_u32 s67, s67, 0
	s_and_b32 s9, s5, s13
	v_mov_b32_e32 v2, s66
	v_cndmask_b32_e64 v4, 0, 1, s9
	s_and_b32 s9, s6, s14
	v_mov_b32_e32 v3, s67
	v_cndmask_b32_e64 v5, 0, 1, s9
	s_and_b32 s9, s7, s15
	s_delay_alu instid0(SALU_CYCLE_1) | instskip(SKIP_1) | instid1(VALU_DEP_2)
	v_cndmask_b32_e64 v6, 0, 1, s9
	s_and_b32 s9, s8, s16
	v_cmp_ne_u32_e64 s10, 0, v5
	v_cndmask_b32_e64 v7, 0, 1, s9
	v_cmp_ne_u32_e64 s9, 0, v4
	v_cmp_ne_u32_e64 s11, 0, v6
	s_delay_alu instid0(VALU_DEP_4) | instskip(NEXT) | instid1(VALU_DEP_3)
	s_bcnt1_i32_b32 s10, s10
	v_cmp_ne_u32_e64 s12, 0, v7
	s_delay_alu instid0(VALU_DEP_3) | instskip(NEXT) | instid1(VALU_DEP_2)
	s_bcnt1_i32_b32 s9, s9
	s_bcnt1_i32_b32 s11, s11
	s_add_i32 s9, s10, s9
	s_delay_alu instid0(VALU_DEP_1) | instskip(SKIP_1) | instid1(SALU_CYCLE_1)
	s_bcnt1_i32_b32 s12, s12
	s_add_i32 s9, s9, s11
	s_add_i32 s9, s9, s12
	s_delay_alu instid0(SALU_CYCLE_1) | instskip(SKIP_2) | instid1(SALU_CYCLE_1)
	s_add_u32 s64, s64, s9
	s_addc_u32 s65, s65, 0
	s_and_b32 s9, s5, s17
	v_cndmask_b32_e64 v4, 0, 1, s9
	s_and_b32 s9, s6, s18
	s_delay_alu instid0(SALU_CYCLE_1) | instskip(SKIP_1) | instid1(SALU_CYCLE_1)
	v_cndmask_b32_e64 v5, 0, 1, s9
	s_and_b32 s9, s7, s19
	v_cndmask_b32_e64 v6, 0, 1, s9
	s_and_b32 s9, s8, s20
	s_delay_alu instid0(VALU_DEP_2) | instskip(SKIP_3) | instid1(VALU_DEP_4)
	v_cmp_ne_u32_e64 s10, 0, v5
	v_cndmask_b32_e64 v7, 0, 1, s9
	v_cmp_ne_u32_e64 s9, 0, v4
	v_cmp_ne_u32_e64 s11, 0, v6
	s_bcnt1_i32_b32 s10, s10
	s_delay_alu instid0(VALU_DEP_3) | instskip(NEXT) | instid1(VALU_DEP_3)
	v_cmp_ne_u32_e64 s12, 0, v7
	s_bcnt1_i32_b32 s9, s9
	s_delay_alu instid0(VALU_DEP_2) | instskip(SKIP_1) | instid1(VALU_DEP_1)
	s_bcnt1_i32_b32 s11, s11
	s_add_i32 s9, s10, s9
	s_bcnt1_i32_b32 s12, s12
	s_add_i32 s9, s9, s11
	s_delay_alu instid0(SALU_CYCLE_1) | instskip(NEXT) | instid1(SALU_CYCLE_1)
	s_add_i32 s9, s9, s12
	s_add_u32 s62, s62, s9
	s_addc_u32 s63, s63, 0
	s_and_b32 s5, s5, s21
	s_delay_alu instid0(SALU_CYCLE_1) | instskip(SKIP_1) | instid1(SALU_CYCLE_1)
	v_cndmask_b32_e64 v4, 0, 1, s5
	s_and_b32 s5, s6, s22
	v_cndmask_b32_e64 v5, 0, 1, s5
	s_and_b32 s5, s7, s23
	s_delay_alu instid0(SALU_CYCLE_1) | instskip(SKIP_1) | instid1(VALU_DEP_2)
	v_cndmask_b32_e64 v6, 0, 1, s5
	s_and_b32 s5, s8, s24
	v_cmp_ne_u32_e64 s6, 0, v5
	v_cndmask_b32_e64 v7, 0, 1, s5
	v_cmp_ne_u32_e64 s5, 0, v4
	v_mov_b32_e32 v4, s64
	v_cmp_ne_u32_e64 s7, 0, v6
	s_bcnt1_i32_b32 s6, s6
	v_cmp_ne_u32_e64 s8, 0, v7
	s_bcnt1_i32_b32 s5, s5
	v_mov_b32_e32 v5, s65
	s_bcnt1_i32_b32 s7, s7
	s_add_i32 s5, s6, s5
	s_bcnt1_i32_b32 s6, s8
	s_add_i32 s5, s5, s7
	v_dual_mov_b32 v6, s62 :: v_dual_mov_b32 v7, s63
	s_add_i32 s5, s5, s6
	s_delay_alu instid0(SALU_CYCLE_1) | instskip(SKIP_1) | instid1(SALU_CYCLE_1)
	s_add_u32 s58, s58, s5
	s_addc_u32 s59, s59, 0
	v_dual_mov_b32 v8, s58 :: v_dual_mov_b32 v9, s59
	s_add_u32 s60, s60, s92
	s_addc_u32 s61, s61, s91
	s_or_b32 s93, vcc_lo, s93
	s_delay_alu instid0(SALU_CYCLE_1)
	s_and_not1_b32 exec_lo, exec_lo, s93
	s_cbranch_execnz .LBB20_48
; %bb.49:                               ;   in Loop: Header=BB20_8 Depth=1
	s_or_b32 exec_lo, exec_lo, s93
.LBB20_50:                              ;   in Loop: Header=BB20_8 Depth=1
	s_delay_alu instid0(SALU_CYCLE_1) | instskip(SKIP_3) | instid1(VALU_DEP_2)
	s_or_b32 exec_lo, exec_lo, s89
	v_add_co_u32 v28, vcc_lo, v28, v0
	v_add_co_ci_u32_e32 v29, vcc_lo, 0, v29, vcc_lo
	v_mov_b32_e32 v12, 0
	v_cmp_gt_i64_e32 vcc_lo, s[36:37], v[28:29]
	s_and_saveexec_b32 s6, vcc_lo
	s_cbranch_execz .LBB20_52
; %bb.51:                               ;   in Loop: Header=BB20_8 Depth=1
	v_mul_lo_u32 v12, v29, s42
	v_mul_lo_u32 v24, v28, s43
	v_mad_u64_u32 v[30:31], null, v28, s42, 0
	s_delay_alu instid0(VALU_DEP_1) | instskip(NEXT) | instid1(VALU_DEP_1)
	v_add3_u32 v31, v31, v24, v12
	v_lshlrev_b64 v[30:31], 2, v[30:31]
	s_delay_alu instid0(VALU_DEP_1) | instskip(NEXT) | instid1(VALU_DEP_1)
	v_add_co_u32 v30, s5, s46, v30
	v_add_co_ci_u32_e64 v31, s5, s47, v31, s5
	global_load_b32 v12, v[30:31], off
.LBB20_52:                              ;   in Loop: Header=BB20_8 Depth=1
	s_or_b32 exec_lo, exec_lo, s6
	s_and_saveexec_b32 s8, vcc_lo
	s_cbranch_execz .LBB20_59
; %bb.53:                               ;   in Loop: Header=BB20_8 Depth=1
	v_add_co_u32 v24, vcc_lo, v38, s48
	v_add_co_ci_u32_e32 v30, vcc_lo, 0, v39, vcc_lo
	s_mul_i32 s5, s53, s48
	s_delay_alu instid0(VALU_DEP_2) | instskip(NEXT) | instid1(VALU_DEP_2)
	v_sub_co_u32 v24, vcc_lo, v24, v26
	v_sub_co_ci_u32_e32 v26, vcc_lo, v30, v27, vcc_lo
	s_mul_hi_u32 s6, s52, s48
	s_delay_alu instid0(VALU_DEP_2) | instskip(SKIP_1) | instid1(VALU_DEP_2)
	v_mul_lo_u32 v31, s53, v24
	s_and_b32 s9, s81, 0xfe
	v_mul_lo_u32 v30, s52, v26
	v_mad_u64_u32 v[26:27], null, s52, v24, s[46:47]
	s_add_i32 s10, s6, s5
	s_mul_i32 s11, s52, s48
	s_mov_b32 s12, 0
	s_delay_alu instid0(VALU_DEP_1)
	v_add3_u32 v27, v31, v27, v30
	s_branch .LBB20_55
.LBB20_54:                              ;   in Loop: Header=BB20_55 Depth=2
	s_or_b32 exec_lo, exec_lo, s6
	s_waitcnt vmcnt(0)
	v_xor_b32_e32 v12, 0x80000000, v12
	s_and_b32 s7, exec_lo, vcc_lo
	s_delay_alu instid0(SALU_CYCLE_1) | instskip(NEXT) | instid1(VALU_DEP_1)
	s_or_b32 s12, s7, s12
	v_and_b32_e32 v30, s87, v12
	v_bfe_u32 v12, v12, s9, 2
	s_delay_alu instid0(VALU_DEP_2) | instskip(NEXT) | instid1(VALU_DEP_2)
	v_cmp_eq_u32_e64 s5, s88, v30
	v_cmp_eq_u32_e64 s6, 0, v12
	v_cmp_eq_u32_e32 vcc_lo, 1, v12
	v_cmp_eq_u32_e64 s7, 2, v12
	s_delay_alu instid0(VALU_DEP_3) | instskip(NEXT) | instid1(SALU_CYCLE_1)
	s_and_b32 s6, s5, s6
	v_cndmask_b32_e64 v30, 0, 1, s6
	s_and_b32 s6, s5, vcc_lo
	v_cmp_eq_u32_e32 vcc_lo, 3, v12
	v_cndmask_b32_e64 v31, 0, 1, s6
	s_and_b32 s6, s5, s7
	s_delay_alu instid0(SALU_CYCLE_1) | instskip(SKIP_1) | instid1(VALU_DEP_3)
	v_cndmask_b32_e64 v12, 0, 1, s6
	v_cmp_ne_u32_e64 s6, 0, v30
	v_cmp_ne_u32_e64 s7, 0, v31
	s_and_b32 s5, s5, vcc_lo
	s_delay_alu instid0(SALU_CYCLE_1) | instskip(NEXT) | instid1(VALU_DEP_3)
	v_cndmask_b32_e64 v30, 0, 1, s5
	s_bcnt1_i32_b32 s5, s6
	v_cmp_ne_u32_e32 vcc_lo, 0, v12
	v_add_co_u32 v2, s5, v2, s5
	s_bcnt1_i32_b32 s6, s7
	v_add_co_ci_u32_e64 v3, s5, 0, v3, s5
	v_add_co_u32 v4, s5, v4, s6
	s_delay_alu instid0(VALU_DEP_1) | instskip(SKIP_3) | instid1(VALU_DEP_1)
	v_add_co_ci_u32_e64 v5, s5, 0, v5, s5
	s_bcnt1_i32_b32 s5, vcc_lo
	v_cmp_ne_u32_e32 vcc_lo, 0, v30
	v_add_co_u32 v6, s5, v6, s5
	v_add_co_ci_u32_e64 v7, s5, 0, v7, s5
	s_bcnt1_i32_b32 s5, vcc_lo
	v_mov_b32_e32 v12, v24
	v_add_co_u32 v8, vcc_lo, v8, s5
	v_add_co_ci_u32_e32 v9, vcc_lo, 0, v9, vcc_lo
	v_add_co_u32 v26, vcc_lo, v26, s11
	v_add_co_ci_u32_e32 v27, vcc_lo, s10, v27, vcc_lo
	s_and_not1_b32 exec_lo, exec_lo, s12
	s_cbranch_execz .LBB20_58
.LBB20_55:                              ;   Parent Loop BB20_8 Depth=1
                                        ; =>  This Inner Loop Header: Depth=2
	v_add_co_u32 v28, vcc_lo, v28, s48
	v_add_co_ci_u32_e32 v29, vcc_lo, 0, v29, vcc_lo
	v_mov_b32_e32 v24, 0
	s_mov_b32 s6, exec_lo
	s_delay_alu instid0(VALU_DEP_2)
	v_cmp_le_i64_e32 vcc_lo, s[36:37], v[28:29]
	v_cmpx_gt_i64_e64 s[36:37], v[28:29]
	s_cbranch_execz .LBB20_54
; %bb.56:                               ;   in Loop: Header=BB20_55 Depth=2
	global_load_b32 v24, v[26:27], off
	s_branch .LBB20_54
.LBB20_57:                              ;   in Loop: Header=BB20_8 Depth=1
                                        ; implicit-def: $vgpr8_vgpr9
                                        ; implicit-def: $vgpr4_vgpr5
	s_cbranch_execnz .LBB20_60
	s_branch .LBB20_69
.LBB20_58:                              ;   in Loop: Header=BB20_8 Depth=1
	s_or_b32 exec_lo, exec_lo, s12
.LBB20_59:                              ;   in Loop: Header=BB20_8 Depth=1
	s_delay_alu instid0(SALU_CYCLE_1)
	s_or_b32 exec_lo, exec_lo, s8
	s_branch .LBB20_69
.LBB20_60:                              ;   in Loop: Header=BB20_8 Depth=1
	global_load_u16 v8, v13, s[50:51]
	s_mov_b64 s[58:59], 0
	s_mov_b32 s66, exec_lo
	s_waitcnt vmcnt(0)
	v_readfirstlane_b32 s5, v8
	v_and_b32_e32 v24, 0xffff, v8
	s_delay_alu instid0(VALU_DEP_2) | instskip(NEXT) | instid1(SALU_CYCLE_1)
	s_and_b32 s5, 0xffff, s5
	s_lshl_b32 s57, s5, 2
	s_delay_alu instid0(SALU_CYCLE_1) | instskip(SKIP_1) | instid1(VALU_DEP_1)
	v_cvt_f32_u32_e32 v2, s57
	s_sub_i32 s6, 0, s57
	v_rcp_iflag_f32_e32 v2, v2
	s_waitcnt_depctr 0xfff
	v_mul_f32_e32 v2, 0x4f7ffffe, v2
	s_delay_alu instid0(VALU_DEP_1) | instskip(NEXT) | instid1(VALU_DEP_1)
	v_cvt_u32_f32_e32 v2, v2
	v_readfirstlane_b32 s5, v2
	v_mov_b32_e32 v2, 0
	v_mov_b32_e32 v3, 0
	s_delay_alu instid0(VALU_DEP_3) | instskip(NEXT) | instid1(VALU_DEP_1)
	s_mul_i32 s6, s6, s5
	v_dual_mov_b32 v5, v3 :: v_dual_mov_b32 v4, v2
	s_mul_hi_u32 s6, s5, s6
	v_dual_mov_b32 v7, v3 :: v_dual_mov_b32 v6, v2
	s_add_i32 s5, s5, s6
	v_dual_mov_b32 v9, v3 :: v_dual_mov_b32 v8, v2
	s_mul_hi_u32 s5, s56, s5
	s_delay_alu instid0(SALU_CYCLE_1) | instskip(NEXT) | instid1(SALU_CYCLE_1)
	s_mul_i32 s5, s5, s57
	s_sub_i32 s5, s56, s5
	s_delay_alu instid0(SALU_CYCLE_1) | instskip(SKIP_2) | instid1(SALU_CYCLE_1)
	s_sub_i32 s6, s5, s57
	s_cmp_ge_u32 s5, s57
	s_cselect_b32 s5, s6, s5
	s_sub_i32 s6, s5, s57
	s_cmp_ge_u32 s5, s57
	s_cselect_b32 s5, s6, s5
	s_delay_alu instid0(SALU_CYCLE_1) | instskip(NEXT) | instid1(SALU_CYCLE_1)
	s_sub_i32 s48, s56, s5
	v_cmpx_gt_u32_e64 s48, v14
	s_cbranch_execz .LBB20_64
; %bb.61:                               ;   in Loop: Header=BB20_8 Depth=1
	v_dual_mov_b32 v27, v15 :: v_dual_lshlrev_b32 v12, 4, v24
	v_mov_b32_e32 v28, v35
	v_mov_b32_e32 v26, v14
	s_and_b32 s67, s81, 0xfe
	s_mov_b32 s89, 0
	s_mov_b64 s[60:61], 0
	s_mov_b64 s[62:63], 0
	;; [unrolled: 1-line block ×3, first 2 shown]
.LBB20_62:                              ;   Parent Loop BB20_8 Depth=1
                                        ; =>  This Inner Loop Header: Depth=2
	ds_load_b128 v[2:5], v28
	v_add_co_u32 v26, vcc_lo, v26, s57
	v_add_co_ci_u32_e32 v27, vcc_lo, 0, v27, vcc_lo
	s_delay_alu instid0(VALU_DEP_1)
	v_cmp_le_u64_e32 vcc_lo, s[48:49], v[26:27]
	s_waitcnt lgkmcnt(0)
	v_xor_b32_e32 v2, 0x80000000, v2
	v_xor_b32_e32 v3, 0x80000000, v3
	;; [unrolled: 1-line block ×4, first 2 shown]
	s_delay_alu instid0(VALU_DEP_4)
	v_and_b32_e32 v6, s87, v2
	v_bfe_u32 v2, v2, s67, 2
	v_and_b32_e32 v7, s87, v3
	v_bfe_u32 v3, v3, s67, 2
	;; [unrolled: 2-line block ×3, first 2 shown]
	v_cmp_eq_u32_e64 s5, s88, v6
	v_cmp_eq_u32_e64 s9, 0, v2
	v_and_b32_e32 v9, s87, v5
	v_bfe_u32 v5, v5, s67, 2
	v_cmp_eq_u32_e64 s6, s88, v7
	v_cmp_eq_u32_e64 s10, 0, v3
	;; [unrolled: 1-line block ×4, first 2 shown]
	s_and_b32 s9, s5, s9
	v_cmp_eq_u32_e64 s8, s88, v9
	v_cmp_eq_u32_e64 s12, 0, v5
	;; [unrolled: 1-line block ×5, first 2 shown]
	v_cndmask_b32_e64 v2, 0, 1, s9
	s_and_b32 s9, s6, s10
	v_cmp_eq_u32_e64 s14, 1, v3
	v_cmp_eq_u32_e64 s18, 2, v3
	v_cmp_eq_u32_e64 s22, 3, v3
	v_cndmask_b32_e64 v3, 0, 1, s9
	s_and_b32 s9, s7, s11
	v_cmp_eq_u32_e64 s15, 1, v4
	v_cmp_eq_u32_e64 s19, 2, v4
	v_cmp_eq_u32_e64 s23, 3, v4
	;; [unrolled: 5-line block ×3, first 2 shown]
	v_cndmask_b32_e64 v5, 0, 1, s9
	v_cmp_ne_u32_e64 s9, 0, v2
	v_cmp_ne_u32_e64 s10, 0, v3
	;; [unrolled: 1-line block ×3, first 2 shown]
	s_delay_alu instid0(VALU_DEP_4) | instskip(NEXT) | instid1(VALU_DEP_4)
	v_cmp_ne_u32_e64 s12, 0, v5
	s_bcnt1_i32_b32 s9, s9
	s_delay_alu instid0(VALU_DEP_3) | instskip(NEXT) | instid1(VALU_DEP_2)
	s_bcnt1_i32_b32 s10, s10
	s_bcnt1_i32_b32 s11, s11
	s_add_i32 s9, s10, s9
	s_bcnt1_i32_b32 s12, s12
	s_add_i32 s9, s9, s11
	s_delay_alu instid0(SALU_CYCLE_1) | instskip(NEXT) | instid1(SALU_CYCLE_1)
	s_add_i32 s9, s9, s12
	s_add_u32 s64, s64, s9
	s_addc_u32 s65, s65, 0
	s_and_b32 s9, s5, s13
	v_add_nc_u32_e32 v28, v28, v12
	v_cndmask_b32_e64 v2, 0, 1, s9
	s_and_b32 s9, s6, s14
	s_delay_alu instid0(SALU_CYCLE_1) | instskip(SKIP_1) | instid1(SALU_CYCLE_1)
	v_cndmask_b32_e64 v3, 0, 1, s9
	s_and_b32 s9, s7, s15
	v_cndmask_b32_e64 v4, 0, 1, s9
	s_and_b32 s9, s8, s16
	s_delay_alu instid0(VALU_DEP_2) | instskip(SKIP_3) | instid1(VALU_DEP_4)
	v_cmp_ne_u32_e64 s10, 0, v3
	v_cndmask_b32_e64 v5, 0, 1, s9
	v_cmp_ne_u32_e64 s9, 0, v2
	v_cmp_ne_u32_e64 s11, 0, v4
	s_bcnt1_i32_b32 s10, s10
	s_delay_alu instid0(VALU_DEP_3) | instskip(NEXT) | instid1(VALU_DEP_3)
	v_cmp_ne_u32_e64 s12, 0, v5
	s_bcnt1_i32_b32 s9, s9
	s_delay_alu instid0(VALU_DEP_2) | instskip(SKIP_1) | instid1(VALU_DEP_1)
	s_bcnt1_i32_b32 s11, s11
	s_add_i32 s9, s10, s9
	s_bcnt1_i32_b32 s12, s12
	s_add_i32 s9, s9, s11
	s_delay_alu instid0(SALU_CYCLE_1) | instskip(NEXT) | instid1(SALU_CYCLE_1)
	s_add_i32 s9, s9, s12
	s_add_u32 s62, s62, s9
	s_addc_u32 s63, s63, 0
	s_and_b32 s9, s5, s17
	s_delay_alu instid0(SALU_CYCLE_1) | instskip(SKIP_1) | instid1(SALU_CYCLE_1)
	v_cndmask_b32_e64 v2, 0, 1, s9
	s_and_b32 s9, s6, s18
	v_cndmask_b32_e64 v3, 0, 1, s9
	s_and_b32 s9, s7, s19
	s_delay_alu instid0(SALU_CYCLE_1) | instskip(SKIP_1) | instid1(VALU_DEP_2)
	v_cndmask_b32_e64 v4, 0, 1, s9
	s_and_b32 s9, s8, s20
	v_cmp_ne_u32_e64 s10, 0, v3
	v_cndmask_b32_e64 v5, 0, 1, s9
	v_cmp_ne_u32_e64 s9, 0, v2
	v_cmp_ne_u32_e64 s11, 0, v4
	s_delay_alu instid0(VALU_DEP_4) | instskip(NEXT) | instid1(VALU_DEP_3)
	s_bcnt1_i32_b32 s10, s10
	v_cmp_ne_u32_e64 s12, 0, v5
	s_delay_alu instid0(VALU_DEP_3) | instskip(NEXT) | instid1(VALU_DEP_2)
	s_bcnt1_i32_b32 s9, s9
	s_bcnt1_i32_b32 s11, s11
	s_add_i32 s9, s10, s9
	s_delay_alu instid0(VALU_DEP_1) | instskip(SKIP_1) | instid1(SALU_CYCLE_1)
	s_bcnt1_i32_b32 s12, s12
	s_add_i32 s9, s9, s11
	s_add_i32 s9, s9, s12
	s_delay_alu instid0(SALU_CYCLE_1) | instskip(SKIP_2) | instid1(SALU_CYCLE_1)
	s_add_u32 s60, s60, s9
	s_addc_u32 s61, s61, 0
	s_and_b32 s5, s5, s21
	v_cndmask_b32_e64 v2, 0, 1, s5
	s_and_b32 s5, s6, s22
	s_delay_alu instid0(SALU_CYCLE_1) | instskip(SKIP_1) | instid1(SALU_CYCLE_1)
	v_cndmask_b32_e64 v3, 0, 1, s5
	s_and_b32 s5, s7, s23
	v_cndmask_b32_e64 v4, 0, 1, s5
	s_and_b32 s5, s8, s24
	s_delay_alu instid0(VALU_DEP_2) | instskip(SKIP_4) | instid1(VALU_DEP_4)
	v_cmp_ne_u32_e64 s6, 0, v3
	v_cndmask_b32_e64 v5, 0, 1, s5
	v_cmp_ne_u32_e64 s5, 0, v2
	v_cmp_ne_u32_e64 s7, 0, v4
	v_dual_mov_b32 v2, s64 :: v_dual_mov_b32 v3, s65
	v_cmp_ne_u32_e64 s8, 0, v5
	s_delay_alu instid0(VALU_DEP_4)
	s_bcnt1_i32_b32 s5, s5
	s_bcnt1_i32_b32 s6, s6
	;; [unrolled: 1-line block ×3, first 2 shown]
	s_add_i32 s5, s6, s5
	s_bcnt1_i32_b32 s6, s8
	s_add_i32 s5, s5, s7
	v_mov_b32_e32 v4, s62
	s_add_i32 s5, s5, s6
	v_mov_b32_e32 v5, s63
	s_add_u32 s58, s58, s5
	s_addc_u32 s59, s59, 0
	v_mov_b32_e32 v6, s60
	v_dual_mov_b32 v8, s58 :: v_dual_mov_b32 v9, s59
	v_mov_b32_e32 v7, s61
	s_or_b32 s89, vcc_lo, s89
	s_delay_alu instid0(SALU_CYCLE_1)
	s_and_not1_b32 exec_lo, exec_lo, s89
	s_cbranch_execnz .LBB20_62
; %bb.63:                               ;   in Loop: Header=BB20_8 Depth=1
	s_or_b32 exec_lo, exec_lo, s89
.LBB20_64:                              ;   in Loop: Header=BB20_8 Depth=1
	s_delay_alu instid0(SALU_CYCLE_1) | instskip(SKIP_2) | instid1(VALU_DEP_1)
	s_or_b32 exec_lo, exec_lo, s66
	v_add_nc_u32_e32 v12, s48, v0
	s_mov_b32 s12, exec_lo
	v_cmpx_gt_u32_e64 s56, v12
	s_cbranch_execz .LBB20_68
; %bb.65:                               ;   in Loop: Header=BB20_8 Depth=1
	v_dual_mov_b32 v27, v13 :: v_dual_lshlrev_b32 v28, 2, v12
	v_mov_b32_e32 v26, v12
	s_mov_b32 s11, 0
	s_and_b32 s10, s56, 0x7fffffff
	s_and_b32 s14, s81, 0xfe
	s_mov_b32 s13, s11
.LBB20_66:                              ;   Parent Loop BB20_8 Depth=1
                                        ; =>  This Inner Loop Header: Depth=2
	ds_load_b32 v12, v28
	v_add_co_u32 v26, vcc_lo, v26, v24
	v_add_co_ci_u32_e32 v27, vcc_lo, 0, v27, vcc_lo
	v_add_nc_u32_e32 v28, s57, v28
	s_delay_alu instid0(VALU_DEP_2) | instskip(SKIP_2) | instid1(VALU_DEP_1)
	v_cmp_le_u64_e32 vcc_lo, s[10:11], v[26:27]
	s_waitcnt lgkmcnt(0)
	v_xor_b32_e32 v12, 0x80000000, v12
	v_and_b32_e32 v29, s87, v12
	v_bfe_u32 v12, v12, s14, 2
	s_delay_alu instid0(VALU_DEP_2) | instskip(NEXT) | instid1(VALU_DEP_2)
	v_cmp_eq_u32_e64 s5, s88, v29
	v_cmp_eq_u32_e64 s6, 0, v12
	;; [unrolled: 1-line block ×5, first 2 shown]
	s_delay_alu instid0(VALU_DEP_4) | instskip(NEXT) | instid1(SALU_CYCLE_1)
	s_and_b32 s6, s5, s6
	v_cndmask_b32_e64 v12, 0, 1, s6
	s_and_b32 s6, s5, s7
	s_delay_alu instid0(SALU_CYCLE_1)
	v_cndmask_b32_e64 v29, 0, 1, s6
	s_and_b32 s6, s5, s8
	s_and_b32 s5, s5, s9
	v_cndmask_b32_e64 v30, 0, 1, s6
	v_cndmask_b32_e64 v31, 0, 1, s5
	v_cmp_ne_u32_e64 s5, 0, v12
	v_cmp_ne_u32_e64 s6, 0, v29
	s_delay_alu instid0(VALU_DEP_4) | instskip(NEXT) | instid1(VALU_DEP_4)
	v_cmp_ne_u32_e64 s7, 0, v30
	v_cmp_ne_u32_e64 s8, 0, v31
	s_delay_alu instid0(VALU_DEP_4) | instskip(NEXT) | instid1(VALU_DEP_3)
	s_bcnt1_i32_b32 s5, s5
	s_bcnt1_i32_b32 s6, s6
	v_add_co_u32 v2, s5, v2, s5
	s_delay_alu instid0(VALU_DEP_1)
	v_add_co_ci_u32_e64 v3, s5, 0, v3, s5
	v_add_co_u32 v4, s5, v4, s6
	s_bcnt1_i32_b32 s7, s7
	v_add_co_ci_u32_e64 v5, s5, 0, v5, s5
	v_add_co_u32 v6, s5, v6, s7
	s_bcnt1_i32_b32 s8, s8
	v_add_co_ci_u32_e64 v7, s5, 0, v7, s5
	v_add_co_u32 v8, s5, v8, s8
	s_delay_alu instid0(VALU_DEP_1) | instskip(SKIP_1) | instid1(SALU_CYCLE_1)
	v_add_co_ci_u32_e64 v9, s5, 0, v9, s5
	s_or_b32 s13, vcc_lo, s13
	s_and_not1_b32 exec_lo, exec_lo, s13
	s_cbranch_execnz .LBB20_66
; %bb.67:                               ;   in Loop: Header=BB20_8 Depth=1
	s_or_b32 exec_lo, exec_lo, s13
.LBB20_68:                              ;   in Loop: Header=BB20_8 Depth=1
	s_delay_alu instid0(SALU_CYCLE_1)
	s_or_b32 exec_lo, exec_lo, s12
.LBB20_69:                              ;   in Loop: Header=BB20_8 Depth=1
	s_lshl_b32 s5, s83, 7
	s_and_saveexec_b32 s6, s2
	s_cbranch_execz .LBB20_71
; %bb.70:                               ;   in Loop: Header=BB20_8 Depth=1
	s_waitcnt vmcnt(0)
	v_or_b32_e32 v12, s5, v34
	s_delay_alu instid0(VALU_DEP_1)
	v_lshlrev_b32_e32 v12, 3, v12
	ds_store_b128 v12, v[2:5] offset:3072
	ds_store_b128 v12, v[6:9] offset:3088
.LBB20_71:                              ;   in Loop: Header=BB20_8 Depth=1
	s_or_b32 exec_lo, exec_lo, s6
	s_waitcnt vmcnt(0) lgkmcnt(0)
	s_barrier
	buffer_gl0_inv
	s_and_saveexec_b32 s6, s33
	s_cbranch_execz .LBB20_82
; %bb.72:                               ;   in Loop: Header=BB20_8 Depth=1
	v_mov_b32_e32 v2, 0
	v_mov_b32_e32 v3, 0
	s_and_not1_b32 vcc_lo, exec_lo, s75
	s_cbranch_vccnz .LBB20_81
; %bb.73:                               ;   in Loop: Header=BB20_8 Depth=1
	v_mov_b32_e32 v2, 0
	v_mov_b32_e32 v3, 0
	s_and_not1_b32 vcc_lo, exec_lo, s73
	s_cbranch_vccnz .LBB20_78
; %bb.74:                               ;   in Loop: Header=BB20_8 Depth=1
	v_lshl_add_u32 v4, s83, 10, v40
	s_mov_b32 s7, 0
	s_set_inst_prefetch_distance 0x1
	.p2align	6
.LBB20_75:                              ;   Parent Loop BB20_8 Depth=1
                                        ; =>  This Inner Loop Header: Depth=2
	ds_load_2addr_b64 v[5:8], v4 offset1:4
	ds_load_2addr_b64 v[26:29], v4 offset0:8 offset1:12
	ds_load_2addr_b64 v[42:45], v4 offset0:16 offset1:20
	s_add_i32 s7, s7, 8
	s_delay_alu instid0(SALU_CYCLE_1) | instskip(SKIP_3) | instid1(VALU_DEP_2)
	s_cmp_eq_u32 s74, s7
	s_waitcnt lgkmcnt(2)
	v_add_co_u32 v2, vcc_lo, v5, v2
	v_add_co_ci_u32_e32 v3, vcc_lo, v6, v3, vcc_lo
	v_add_co_u32 v2, vcc_lo, v7, v2
	s_delay_alu instid0(VALU_DEP_2)
	v_add_co_ci_u32_e32 v3, vcc_lo, v8, v3, vcc_lo
	ds_load_2addr_b64 v[5:8], v4 offset0:24 offset1:28
	s_waitcnt lgkmcnt(2)
	v_add_co_u32 v2, vcc_lo, v26, v2
	v_add_co_ci_u32_e32 v3, vcc_lo, v27, v3, vcc_lo
	v_add_nc_u32_e32 v4, 0x100, v4
	s_delay_alu instid0(VALU_DEP_3) | instskip(NEXT) | instid1(VALU_DEP_3)
	v_add_co_u32 v2, vcc_lo, v28, v2
	v_add_co_ci_u32_e32 v3, vcc_lo, v29, v3, vcc_lo
	s_waitcnt lgkmcnt(1)
	s_delay_alu instid0(VALU_DEP_2) | instskip(NEXT) | instid1(VALU_DEP_2)
	v_add_co_u32 v2, vcc_lo, v42, v2
	v_add_co_ci_u32_e32 v3, vcc_lo, v43, v3, vcc_lo
	s_delay_alu instid0(VALU_DEP_2) | instskip(NEXT) | instid1(VALU_DEP_2)
	v_add_co_u32 v2, vcc_lo, v44, v2
	v_add_co_ci_u32_e32 v3, vcc_lo, v45, v3, vcc_lo
	s_waitcnt lgkmcnt(0)
	s_delay_alu instid0(VALU_DEP_2) | instskip(NEXT) | instid1(VALU_DEP_2)
	v_add_co_u32 v2, vcc_lo, v5, v2
	v_add_co_ci_u32_e32 v3, vcc_lo, v6, v3, vcc_lo
	s_delay_alu instid0(VALU_DEP_2) | instskip(NEXT) | instid1(VALU_DEP_2)
	v_add_co_u32 v2, vcc_lo, v7, v2
	v_add_co_ci_u32_e32 v3, vcc_lo, v8, v3, vcc_lo
	s_cbranch_scc0 .LBB20_75
; %bb.76:                               ;   in Loop: Header=BB20_8 Depth=1
	s_set_inst_prefetch_distance 0x2
	s_mov_b32 s7, s74
	s_and_not1_b32 vcc_lo, exec_lo, s76
	s_cbranch_vccz .LBB20_79
	s_branch .LBB20_81
.LBB20_77:                              ;   in Loop: Header=BB20_8 Depth=1
                                        ; implicit-def: $vgpr26_vgpr27
	s_branch .LBB20_45
.LBB20_78:                              ;   in Loop: Header=BB20_8 Depth=1
	s_mov_b32 s7, 0
	s_and_not1_b32 vcc_lo, exec_lo, s76
	s_cbranch_vccnz .LBB20_81
.LBB20_79:                              ;   in Loop: Header=BB20_8 Depth=1
	s_lshl_b32 s8, s83, 10
	s_lshl_b32 s7, s7, 5
	s_delay_alu instid0(SALU_CYCLE_1)
	v_add3_u32 v4, s8, s7, v40
	s_mov_b32 s7, s72
.LBB20_80:                              ;   Parent Loop BB20_8 Depth=1
                                        ; =>  This Inner Loop Header: Depth=2
	ds_load_b64 v[5:6], v4
	v_add_nc_u32_e32 v4, 32, v4
	s_add_i32 s7, s7, -1
	s_delay_alu instid0(SALU_CYCLE_1)
	s_cmp_lg_u32 s7, 0
	s_waitcnt lgkmcnt(0)
	v_add_co_u32 v2, vcc_lo, v5, v2
	v_add_co_ci_u32_e32 v3, vcc_lo, v6, v3, vcc_lo
	s_cbranch_scc1 .LBB20_80
.LBB20_81:                              ;   in Loop: Header=BB20_8 Depth=1
	v_add_lshl_u32 v4, s5, v32, 3
	ds_store_b64 v4, v[2:3] offset:3072
.LBB20_82:                              ;   in Loop: Header=BB20_8 Depth=1
	s_or_b32 exec_lo, exec_lo, s6
	s_lshl_b32 s5, s5, 3
	s_waitcnt lgkmcnt(0)
	v_mov_b32_e32 v6, s5
	s_barrier
	buffer_gl0_inv
	s_and_b32 s19, s81, 0xfe
	s_mov_b32 s21, -1
	ds_load_b128 v[2:5], v6 offset:3072
	ds_load_b128 v[6:9], v6 offset:3088
	s_lshl_b32 s18, 3, s19
	s_delay_alu instid0(SALU_CYCLE_1)
	s_not_b32 s20, s18
	s_waitcnt lgkmcnt(1)
	v_readfirstlane_b32 s13, v3
	v_readfirstlane_b32 s12, v2
	;; [unrolled: 1-line block ×4, first 2 shown]
	s_waitcnt lgkmcnt(0)
	v_readfirstlane_b32 s8, v6
	v_readfirstlane_b32 s9, v7
	s_cmp_eq_u64 s[12:13], 1
	v_readfirstlane_b32 s6, v8
	s_cselect_b32 s5, -1, 0
	s_cmp_eq_u64 s[38:39], 1
	s_cselect_b32 s7, -1, 0
	s_delay_alu instid0(SALU_CYCLE_1)
	s_and_b32 s22, s5, s7
	v_readfirstlane_b32 s7, v9
	s_and_b32 vcc_lo, exec_lo, s22
	s_cbranch_vccz .LBB20_97
; %bb.83:                               ;   in Loop: Header=BB20_8 Depth=1
	ds_load_b64 v[2:3], v13 offset:5120
	s_waitcnt lgkmcnt(0)
	s_barrier
	buffer_gl0_inv
	v_readfirstlane_b32 s14, v2
	v_readfirstlane_b32 s15, v3
	s_and_saveexec_b32 s5, s3
	s_cbranch_execz .LBB20_85
; %bb.84:                               ;   in Loop: Header=BB20_8 Depth=1
	ds_store_b32 v33, v13
.LBB20_85:                              ;   in Loop: Header=BB20_8 Depth=1
	s_or_b32 exec_lo, exec_lo, s5
	s_delay_alu instid0(VALU_DEP_1)
	v_cmp_lt_i64_e64 s5, s[14:15], 1
	s_and_b32 s88, s88, s20
	s_or_b32 s87, s87, s18
	s_waitcnt lgkmcnt(0)
	s_barrier
	buffer_gl0_inv
	s_and_b32 vcc_lo, exec_lo, s5
	s_cbranch_vccz .LBB20_98
; %bb.86:                               ;   in Loop: Header=BB20_8 Depth=1
	s_mov_b32 s24, s49
	s_delay_alu instid0(SALU_CYCLE_1)
	s_cmp_lg_u64 s[24:25], 0
	s_cbranch_scc0 .LBB20_143
; %bb.87:                               ;   in Loop: Header=BB20_8 Depth=1
	v_cvt_f32_u32_e32 v2, s27
	s_sub_u32 s17, 0, s27
	s_subb_u32 s23, 0, 0
	s_delay_alu instid0(VALU_DEP_1) | instskip(NEXT) | instid1(VALU_DEP_1)
	v_fmac_f32_e32 v2, 0x4f800000, v41
	v_rcp_f32_e32 v2, v2
	s_waitcnt_depctr 0xfff
	v_mul_f32_e32 v2, 0x5f7ffffc, v2
	s_delay_alu instid0(VALU_DEP_1) | instskip(NEXT) | instid1(VALU_DEP_1)
	v_mul_f32_e32 v3, 0x2f800000, v2
	v_trunc_f32_e32 v3, v3
	s_delay_alu instid0(VALU_DEP_1) | instskip(SKIP_1) | instid1(VALU_DEP_2)
	v_fmac_f32_e32 v2, 0xcf800000, v3
	v_cvt_u32_f32_e32 v3, v3
	v_cvt_u32_f32_e32 v2, v2
	s_delay_alu instid0(VALU_DEP_2) | instskip(NEXT) | instid1(VALU_DEP_2)
	v_readfirstlane_b32 s5, v3
	v_readfirstlane_b32 s16, v2
	s_delay_alu instid0(VALU_DEP_2) | instskip(NEXT) | instid1(VALU_DEP_1)
	s_mul_i32 s24, s17, s5
	s_mul_hi_u32 s56, s17, s16
	s_mul_i32 s48, s23, s16
	s_add_i32 s24, s56, s24
	s_mul_i32 s57, s17, s16
	s_add_i32 s24, s24, s48
	s_mul_hi_u32 s56, s16, s57
	s_mul_hi_u32 s58, s5, s57
	s_mul_i32 s48, s5, s57
	s_mul_hi_u32 s57, s16, s24
	s_mul_i32 s16, s16, s24
	s_mul_hi_u32 s59, s5, s24
	s_add_u32 s16, s56, s16
	s_addc_u32 s56, 0, s57
	s_add_u32 s16, s16, s48
	s_mul_i32 s24, s5, s24
	s_addc_u32 s16, s56, s58
	s_addc_u32 s48, s59, 0
	s_add_u32 s16, s16, s24
	s_addc_u32 s24, 0, s48
	v_add_co_u32 v2, s16, v2, s16
	s_delay_alu instid0(VALU_DEP_1) | instskip(SKIP_1) | instid1(VALU_DEP_1)
	s_cmp_lg_u32 s16, 0
	s_addc_u32 s5, s5, s24
	v_readfirstlane_b32 s16, v2
	s_mul_i32 s24, s17, s5
	s_delay_alu instid0(VALU_DEP_1)
	s_mul_hi_u32 s48, s17, s16
	s_mul_i32 s23, s23, s16
	s_add_i32 s24, s48, s24
	s_mul_i32 s17, s17, s16
	s_add_i32 s24, s24, s23
	s_mul_hi_u32 s48, s5, s17
	s_mul_i32 s56, s5, s17
	s_mul_hi_u32 s17, s16, s17
	s_mul_hi_u32 s57, s16, s24
	s_mul_i32 s16, s16, s24
	s_mul_hi_u32 s23, s5, s24
	s_add_u32 s16, s17, s16
	s_addc_u32 s17, 0, s57
	s_add_u32 s16, s16, s56
	s_mul_i32 s24, s5, s24
	s_addc_u32 s16, s17, s48
	s_addc_u32 s17, s23, 0
	s_add_u32 s16, s16, s24
	s_addc_u32 s17, 0, s17
	v_add_co_u32 v2, s16, v2, s16
	s_delay_alu instid0(VALU_DEP_1) | instskip(SKIP_2) | instid1(VALU_DEP_1)
	s_cmp_lg_u32 s16, 0
	s_addc_u32 s5, s5, s17
	s_ashr_i32 s16, s25, 31
	v_readfirstlane_b32 s23, v2
	s_add_u32 s56, s71, s16
	s_mov_b32 s17, s16
	s_addc_u32 s57, s25, s16
	s_delay_alu instid0(SALU_CYCLE_1) | instskip(NEXT) | instid1(SALU_CYCLE_1)
	s_xor_b64 s[56:57], s[56:57], s[16:17]
	s_mul_i32 s24, s56, s5
	s_mul_hi_u32 s48, s56, s23
	s_mul_hi_u32 s17, s56, s5
	s_mul_hi_u32 s59, s57, s23
	s_mul_i32 s23, s57, s23
	s_add_u32 s24, s48, s24
	s_addc_u32 s17, 0, s17
	s_mul_hi_u32 s58, s57, s5
	s_add_u32 s23, s24, s23
	s_mul_i32 s5, s57, s5
	s_addc_u32 s17, s17, s59
	s_addc_u32 s23, s58, 0
	s_add_u32 s5, s17, s5
	s_addc_u32 s17, 0, s23
	s_mul_hi_u32 s23, s27, s5
	s_mul_i32 s5, s27, s5
	s_mul_i32 s17, s27, s17
	v_sub_co_u32 v2, s5, s56, s5
	s_add_i32 s23, s23, s17
	s_cmp_lg_u32 s5, 0
	s_delay_alu instid0(VALU_DEP_1) | instskip(SKIP_2) | instid1(VALU_DEP_1)
	v_sub_co_u32 v3, s5, v2, s27
	s_subb_u32 s17, s57, s23
	s_cmp_lg_u32 s5, 0
	v_cmp_le_u32_e32 vcc_lo, s27, v3
	v_sub_co_u32 v4, s5, v3, s27
	s_subb_u32 s23, s17, 0
	s_cmp_lg_u32 s5, 0
	v_cndmask_b32_e64 v5, 0, -1, vcc_lo
	s_subb_u32 s5, s23, 0
	s_cmp_eq_u32 s23, 0
	v_mov_b32_e32 v7, s5
	s_cselect_b32 vcc_lo, -1, 0
	s_cmp_eq_u32 s17, 0
	v_cndmask_b32_e32 v5, -1, v5, vcc_lo
	v_cmp_le_u32_e32 vcc_lo, s27, v2
	s_cselect_b32 s5, -1, 0
	v_cndmask_b32_e64 v6, 0, -1, vcc_lo
	s_delay_alu instid0(VALU_DEP_3) | instskip(NEXT) | instid1(VALU_DEP_2)
	v_cmp_ne_u32_e32 vcc_lo, 0, v5
	v_cndmask_b32_e64 v5, -1, v6, s5
	v_cndmask_b32_e32 v3, v3, v4, vcc_lo
	v_cndmask_b32_e32 v6, s23, v7, vcc_lo
	s_delay_alu instid0(VALU_DEP_3) | instskip(NEXT) | instid1(VALU_DEP_3)
	v_cmp_ne_u32_e32 vcc_lo, 0, v5
	v_cndmask_b32_e32 v2, v2, v3, vcc_lo
	s_delay_alu instid0(VALU_DEP_3) | instskip(NEXT) | instid1(VALU_DEP_2)
	v_cndmask_b32_e32 v4, s17, v6, vcc_lo
	v_xor_b32_e32 v2, s16, v2
	s_delay_alu instid0(VALU_DEP_2) | instskip(NEXT) | instid1(VALU_DEP_2)
	v_xor_b32_e32 v3, s16, v4
	v_sub_co_u32 v2, vcc_lo, v2, s16
	s_delay_alu instid0(VALU_DEP_2)
	v_subrev_co_ci_u32_e32 v3, vcc_lo, s16, v3, vcc_lo
	s_cbranch_execnz .LBB20_89
.LBB20_88:                              ;   in Loop: Header=BB20_8 Depth=1
	v_cvt_f32_u32_e32 v2, s27
	s_sub_i32 s5, 0, s27
	s_delay_alu instid0(VALU_DEP_1) | instskip(SKIP_2) | instid1(VALU_DEP_1)
	v_rcp_iflag_f32_e32 v2, v2
	s_waitcnt_depctr 0xfff
	v_mul_f32_e32 v2, 0x4f7ffffe, v2
	v_cvt_u32_f32_e32 v2, v2
	s_delay_alu instid0(VALU_DEP_1) | instskip(NEXT) | instid1(VALU_DEP_1)
	v_mul_lo_u32 v3, s5, v2
	v_mul_hi_u32 v3, v2, v3
	s_delay_alu instid0(VALU_DEP_1) | instskip(NEXT) | instid1(VALU_DEP_1)
	v_add_nc_u32_e32 v2, v2, v3
	v_mul_hi_u32 v2, s71, v2
	s_delay_alu instid0(VALU_DEP_1) | instskip(NEXT) | instid1(VALU_DEP_1)
	v_mul_lo_u32 v2, v2, s27
	v_sub_nc_u32_e32 v2, s71, v2
	s_delay_alu instid0(VALU_DEP_1) | instskip(SKIP_1) | instid1(VALU_DEP_2)
	v_subrev_nc_u32_e32 v3, s27, v2
	v_cmp_le_u32_e32 vcc_lo, s27, v2
	v_cndmask_b32_e32 v2, v2, v3, vcc_lo
	s_delay_alu instid0(VALU_DEP_1) | instskip(SKIP_1) | instid1(VALU_DEP_2)
	v_subrev_nc_u32_e32 v3, s27, v2
	v_cmp_le_u32_e32 vcc_lo, s27, v2
	v_cndmask_b32_e32 v12, v2, v3, vcc_lo
	s_delay_alu instid0(VALU_DEP_1)
	v_dual_mov_b32 v2, v12 :: v_dual_mov_b32 v3, v13
.LBB20_89:                              ;   in Loop: Header=BB20_8 Depth=1
	s_delay_alu instid0(VALU_DEP_1) | instskip(NEXT) | instid1(VALU_DEP_2)
	v_sub_co_u32 v2, vcc_lo, s71, v2
	v_sub_co_ci_u32_e32 v3, vcc_lo, s25, v3, vcc_lo
	s_mov_b32 s5, 0
	s_mov_b32 s16, exec_lo
                                        ; implicit-def: $vgpr25
	s_delay_alu instid0(VALU_DEP_1)
	v_cmpx_gt_i64_e64 v[2:3], v[0:1]
	s_cbranch_execz .LBB20_100
; %bb.90:                               ;   in Loop: Header=BB20_8 Depth=1
	v_dual_mov_b32 v4, v10 :: v_dual_mov_b32 v5, v11
	v_dual_mov_b32 v7, v1 :: v_dual_mov_b32 v6, v0
                                        ; implicit-def: $sgpr17
	s_set_inst_prefetch_distance 0x1
	s_branch .LBB20_92
	.p2align	6
.LBB20_91:                              ;   in Loop: Header=BB20_92 Depth=2
	s_or_b32 exec_lo, exec_lo, s23
	s_waitcnt vmcnt(0) lgkmcnt(0)
	s_barrier
	buffer_gl0_inv
	ds_load_b64 v[24:25], v13 offset:3072
	v_add_co_u32 v6, vcc_lo, v6, s27
	v_add_co_ci_u32_e32 v7, vcc_lo, 0, v7, vcc_lo
	s_waitcnt lgkmcnt(0)
	s_barrier
	buffer_gl0_inv
	v_cmp_ge_i64_e32 vcc_lo, v[6:7], v[2:3]
	v_readfirstlane_b32 s23, v24
	s_delay_alu instid0(VALU_DEP_1) | instskip(SKIP_1) | instid1(SALU_CYCLE_1)
	s_cmp_lg_u32 s23, 0
	s_cselect_b32 s23, -1, 0
	s_or_b32 s24, s23, vcc_lo
	v_add_co_u32 v4, vcc_lo, v4, s44
	s_and_b32 s24, exec_lo, s24
	v_add_co_ci_u32_e32 v5, vcc_lo, s45, v5, vcc_lo
	s_or_b32 s5, s24, s5
	s_and_not1_b32 s17, s17, exec_lo
	s_and_b32 s23, s23, exec_lo
	s_delay_alu instid0(SALU_CYCLE_1)
	s_or_b32 s17, s17, s23
	s_and_not1_b32 exec_lo, exec_lo, s5
	s_cbranch_execz .LBB20_99
.LBB20_92:                              ;   Parent Loop BB20_8 Depth=1
                                        ; =>  This Inner Loop Header: Depth=2
	s_delay_alu instid0(VALU_DEP_1)
	v_cmp_gt_i64_e32 vcc_lo, s[36:37], v[6:7]
	v_mov_b32_e32 v24, 0
	s_and_saveexec_b32 s23, vcc_lo
	s_cbranch_execz .LBB20_94
; %bb.93:                               ;   in Loop: Header=BB20_92 Depth=2
	global_load_b32 v24, v[4:5], off
.LBB20_94:                              ;   in Loop: Header=BB20_92 Depth=2
	s_or_b32 exec_lo, exec_lo, s23
	s_and_saveexec_b32 s23, vcc_lo
	s_cbranch_execz .LBB20_91
; %bb.95:                               ;   in Loop: Header=BB20_92 Depth=2
	s_waitcnt vmcnt(0)
	v_xor_b32_e32 v8, 0x80000000, v24
	s_delay_alu instid0(VALU_DEP_1) | instskip(NEXT) | instid1(VALU_DEP_1)
	v_and_b32_e32 v8, s87, v8
	v_cmp_eq_u32_e32 vcc_lo, s88, v8
	s_and_b32 exec_lo, exec_lo, vcc_lo
	s_cbranch_execz .LBB20_91
; %bb.96:                               ;   in Loop: Header=BB20_92 Depth=2
	ds_store_b64 v13, v[23:24] offset:3072
	s_branch .LBB20_91
.LBB20_97:                              ;   in Loop: Header=BB20_8 Depth=1
	s_mov_b32 s5, -1
                                        ; implicit-def: $sgpr16
                                        ; implicit-def: $sgpr23
                                        ; implicit-def: $sgpr17
	s_branch .LBB20_114
.LBB20_98:                              ;   in Loop: Header=BB20_8 Depth=1
	s_mov_b32 s16, -1
	s_mov_b32 s5, 0
                                        ; implicit-def: $sgpr17
                                        ; implicit-def: $vgpr25
	s_mov_b32 s23, s16
	s_cbranch_execnz .LBB20_101
	s_branch .LBB20_114
.LBB20_99:                              ;   in Loop: Header=BB20_8 Depth=1
	s_set_inst_prefetch_distance 0x2
	s_or_b32 exec_lo, exec_lo, s5
	s_delay_alu instid0(SALU_CYCLE_1)
	s_and_b32 s5, s17, exec_lo
.LBB20_100:                             ;   in Loop: Header=BB20_8 Depth=1
	s_or_b32 exec_lo, exec_lo, s16
	s_mov_b32 s17, -1
	s_mov_b32 s16, 0
	s_delay_alu instid0(SALU_CYCLE_1)
	s_mov_b32 s23, s16
	s_branch .LBB20_114
.LBB20_101:                             ;   in Loop: Header=BB20_8 Depth=1
	s_add_u32 s23, s69, s14
	s_addc_u32 s17, s70, s15
	s_mov_b32 s16, s49
	s_delay_alu instid0(SALU_CYCLE_1)
	s_cmp_lg_u64 s[16:17], 0
	s_cbranch_scc0 .LBB20_144
; %bb.102:                              ;   in Loop: Header=BB20_8 Depth=1
	v_cvt_f32_u32_e32 v2, s27
	s_sub_u32 s24, 0, s27
	s_subb_u32 s48, 0, 0
	s_delay_alu instid0(VALU_DEP_1) | instskip(NEXT) | instid1(VALU_DEP_1)
	v_fmac_f32_e32 v2, 0x4f800000, v41
	v_rcp_f32_e32 v2, v2
	s_waitcnt_depctr 0xfff
	v_mul_f32_e32 v2, 0x5f7ffffc, v2
	s_delay_alu instid0(VALU_DEP_1) | instskip(NEXT) | instid1(VALU_DEP_1)
	v_mul_f32_e32 v3, 0x2f800000, v2
	v_trunc_f32_e32 v3, v3
	s_delay_alu instid0(VALU_DEP_1) | instskip(SKIP_1) | instid1(VALU_DEP_2)
	v_fmac_f32_e32 v2, 0xcf800000, v3
	v_cvt_u32_f32_e32 v3, v3
	v_cvt_u32_f32_e32 v2, v2
	s_delay_alu instid0(VALU_DEP_2) | instskip(NEXT) | instid1(VALU_DEP_2)
	v_readfirstlane_b32 s5, v3
	v_readfirstlane_b32 s16, v2
	s_delay_alu instid0(VALU_DEP_2) | instskip(NEXT) | instid1(VALU_DEP_1)
	s_mul_i32 s56, s24, s5
	s_mul_hi_u32 s58, s24, s16
	s_mul_i32 s57, s48, s16
	s_add_i32 s56, s58, s56
	s_mul_i32 s59, s24, s16
	s_add_i32 s56, s56, s57
	s_mul_hi_u32 s58, s16, s59
	s_mul_hi_u32 s60, s5, s59
	s_mul_i32 s57, s5, s59
	s_mul_hi_u32 s59, s16, s56
	s_mul_i32 s16, s16, s56
	s_mul_hi_u32 s61, s5, s56
	s_add_u32 s16, s58, s16
	s_addc_u32 s58, 0, s59
	s_add_u32 s16, s16, s57
	s_mul_i32 s56, s5, s56
	s_addc_u32 s16, s58, s60
	s_addc_u32 s57, s61, 0
	s_add_u32 s16, s16, s56
	s_addc_u32 s56, 0, s57
	v_add_co_u32 v2, s16, v2, s16
	s_delay_alu instid0(VALU_DEP_1) | instskip(SKIP_1) | instid1(VALU_DEP_1)
	s_cmp_lg_u32 s16, 0
	s_addc_u32 s5, s5, s56
	v_readfirstlane_b32 s16, v2
	s_mul_i32 s56, s24, s5
	s_delay_alu instid0(VALU_DEP_1)
	s_mul_hi_u32 s57, s24, s16
	s_mul_i32 s48, s48, s16
	s_add_i32 s56, s57, s56
	s_mul_i32 s24, s24, s16
	s_add_i32 s56, s56, s48
	s_mul_hi_u32 s57, s5, s24
	s_mul_i32 s58, s5, s24
	s_mul_hi_u32 s24, s16, s24
	s_mul_hi_u32 s59, s16, s56
	s_mul_i32 s16, s16, s56
	s_mul_hi_u32 s48, s5, s56
	s_add_u32 s16, s24, s16
	s_addc_u32 s24, 0, s59
	s_add_u32 s16, s16, s58
	s_mul_i32 s56, s5, s56
	s_addc_u32 s16, s24, s57
	s_addc_u32 s24, s48, 0
	s_add_u32 s16, s16, s56
	s_addc_u32 s24, 0, s24
	v_add_co_u32 v2, s16, v2, s16
	s_delay_alu instid0(VALU_DEP_1) | instskip(SKIP_2) | instid1(VALU_DEP_1)
	s_cmp_lg_u32 s16, 0
	s_addc_u32 s5, s5, s24
	s_ashr_i32 s56, s17, 31
	v_readfirstlane_b32 s16, v2
	s_add_u32 s58, s23, s56
	s_mov_b32 s57, s56
	s_addc_u32 s59, s17, s56
	s_delay_alu instid0(SALU_CYCLE_1) | instskip(NEXT) | instid1(SALU_CYCLE_1)
	s_xor_b64 s[58:59], s[58:59], s[56:57]
	s_mul_i32 s48, s58, s5
	s_mul_hi_u32 s57, s58, s16
	s_mul_hi_u32 s24, s58, s5
	;; [unrolled: 1-line block ×3, first 2 shown]
	s_mul_i32 s16, s59, s16
	s_add_u32 s48, s57, s48
	s_addc_u32 s24, 0, s24
	s_mul_hi_u32 s60, s59, s5
	s_add_u32 s16, s48, s16
	s_mul_i32 s5, s59, s5
	s_addc_u32 s16, s24, s61
	s_addc_u32 s24, s60, 0
	s_add_u32 s5, s16, s5
	s_addc_u32 s16, 0, s24
	s_mul_hi_u32 s24, s27, s5
	s_mul_i32 s5, s27, s5
	s_mul_i32 s16, s27, s16
	v_sub_co_u32 v2, s5, s58, s5
	s_add_i32 s24, s24, s16
	s_cmp_lg_u32 s5, 0
	s_delay_alu instid0(VALU_DEP_1) | instskip(SKIP_2) | instid1(VALU_DEP_1)
	v_sub_co_u32 v3, s5, v2, s27
	s_subb_u32 s16, s59, s24
	s_cmp_lg_u32 s5, 0
	v_cmp_le_u32_e32 vcc_lo, s27, v3
	v_sub_co_u32 v4, s5, v3, s27
	s_subb_u32 s24, s16, 0
	s_cmp_lg_u32 s5, 0
	v_cndmask_b32_e64 v5, 0, -1, vcc_lo
	s_subb_u32 s5, s24, 0
	s_cmp_eq_u32 s24, 0
	v_mov_b32_e32 v7, s5
	s_cselect_b32 vcc_lo, -1, 0
	s_cmp_eq_u32 s16, 0
	v_cndmask_b32_e32 v5, -1, v5, vcc_lo
	v_cmp_le_u32_e32 vcc_lo, s27, v2
	s_cselect_b32 s5, -1, 0
	v_cndmask_b32_e64 v6, 0, -1, vcc_lo
	s_delay_alu instid0(VALU_DEP_3) | instskip(NEXT) | instid1(VALU_DEP_2)
	v_cmp_ne_u32_e32 vcc_lo, 0, v5
	v_cndmask_b32_e64 v5, -1, v6, s5
	v_cndmask_b32_e32 v3, v3, v4, vcc_lo
	v_cndmask_b32_e32 v6, s24, v7, vcc_lo
	s_delay_alu instid0(VALU_DEP_3) | instskip(NEXT) | instid1(VALU_DEP_3)
	v_cmp_ne_u32_e32 vcc_lo, 0, v5
	v_cndmask_b32_e32 v2, v2, v3, vcc_lo
	s_delay_alu instid0(VALU_DEP_3) | instskip(NEXT) | instid1(VALU_DEP_2)
	v_cndmask_b32_e32 v4, s16, v6, vcc_lo
	v_xor_b32_e32 v2, s56, v2
	s_delay_alu instid0(VALU_DEP_2) | instskip(NEXT) | instid1(VALU_DEP_2)
	v_xor_b32_e32 v3, s56, v4
	v_sub_co_u32 v2, vcc_lo, v2, s56
	s_delay_alu instid0(VALU_DEP_2)
	v_subrev_co_ci_u32_e32 v3, vcc_lo, s56, v3, vcc_lo
	s_cbranch_execnz .LBB20_104
.LBB20_103:                             ;   in Loop: Header=BB20_8 Depth=1
	v_cvt_f32_u32_e32 v2, s27
	s_sub_i32 s5, 0, s27
	s_delay_alu instid0(VALU_DEP_1) | instskip(SKIP_2) | instid1(VALU_DEP_1)
	v_rcp_iflag_f32_e32 v2, v2
	s_waitcnt_depctr 0xfff
	v_mul_f32_e32 v2, 0x4f7ffffe, v2
	v_cvt_u32_f32_e32 v2, v2
	s_delay_alu instid0(VALU_DEP_1) | instskip(NEXT) | instid1(VALU_DEP_1)
	v_mul_lo_u32 v3, s5, v2
	v_mul_hi_u32 v3, v2, v3
	s_delay_alu instid0(VALU_DEP_1) | instskip(NEXT) | instid1(VALU_DEP_1)
	v_add_nc_u32_e32 v2, v2, v3
	v_mul_hi_u32 v2, s23, v2
	s_delay_alu instid0(VALU_DEP_1) | instskip(NEXT) | instid1(VALU_DEP_1)
	v_mul_lo_u32 v2, v2, s27
	v_sub_nc_u32_e32 v2, s23, v2
	s_delay_alu instid0(VALU_DEP_1) | instskip(SKIP_1) | instid1(VALU_DEP_2)
	v_subrev_nc_u32_e32 v3, s27, v2
	v_cmp_le_u32_e32 vcc_lo, s27, v2
	v_cndmask_b32_e32 v2, v2, v3, vcc_lo
	s_delay_alu instid0(VALU_DEP_1) | instskip(SKIP_1) | instid1(VALU_DEP_2)
	v_subrev_nc_u32_e32 v3, s27, v2
	v_cmp_le_u32_e32 vcc_lo, s27, v2
	v_cndmask_b32_e32 v12, v2, v3, vcc_lo
	s_delay_alu instid0(VALU_DEP_1)
	v_dual_mov_b32 v2, v12 :: v_dual_mov_b32 v3, v13
.LBB20_104:                             ;   in Loop: Header=BB20_8 Depth=1
	s_delay_alu instid0(VALU_DEP_1) | instskip(NEXT) | instid1(VALU_DEP_2)
	v_sub_co_u32 v2, vcc_lo, s23, v2
	v_sub_co_ci_u32_e32 v3, vcc_lo, s17, v3, vcc_lo
	s_mov_b32 s5, 0
	s_mov_b32 s16, exec_lo
                                        ; implicit-def: $vgpr25
	s_delay_alu instid0(VALU_DEP_1)
	v_cmpx_gt_i64_e64 v[2:3], v[0:1]
	s_cbranch_execz .LBB20_113
; %bb.105:                              ;   in Loop: Header=BB20_8 Depth=1
	v_dual_mov_b32 v6, v14 :: v_dual_mov_b32 v5, v1
	v_mov_b32_e32 v4, v0
                                        ; implicit-def: $sgpr17
	s_set_inst_prefetch_distance 0x1
	s_branch .LBB20_107
	.p2align	6
.LBB20_106:                             ;   in Loop: Header=BB20_107 Depth=2
	s_or_b32 exec_lo, exec_lo, s23
	s_waitcnt lgkmcnt(0)
	s_barrier
	buffer_gl0_inv
	ds_load_b64 v[24:25], v13 offset:3072
	v_add_co_u32 v4, vcc_lo, v4, s27
	v_add_co_ci_u32_e32 v5, vcc_lo, 0, v5, vcc_lo
	v_add_nc_u32_e32 v6, s77, v6
	s_waitcnt lgkmcnt(0)
	s_barrier
	s_delay_alu instid0(VALU_DEP_2) | instskip(SKIP_2) | instid1(VALU_DEP_1)
	v_cmp_ge_i64_e32 vcc_lo, v[4:5], v[2:3]
	buffer_gl0_inv
	v_readfirstlane_b32 s23, v24
	s_cmp_lg_u32 s23, 0
	s_cselect_b32 s23, -1, 0
	s_delay_alu instid0(SALU_CYCLE_1) | instskip(NEXT) | instid1(SALU_CYCLE_1)
	s_or_b32 s24, s23, vcc_lo
	s_and_b32 s24, exec_lo, s24
	s_delay_alu instid0(SALU_CYCLE_1) | instskip(SKIP_2) | instid1(SALU_CYCLE_1)
	s_or_b32 s5, s24, s5
	s_and_not1_b32 s17, s17, exec_lo
	s_and_b32 s23, s23, exec_lo
	s_or_b32 s17, s17, s23
	s_and_not1_b32 exec_lo, exec_lo, s5
	s_cbranch_execz .LBB20_112
.LBB20_107:                             ;   Parent Loop BB20_8 Depth=1
                                        ; =>  This Inner Loop Header: Depth=2
	s_delay_alu instid0(VALU_DEP_1)
	v_cmp_gt_i64_e32 vcc_lo, s[14:15], v[4:5]
	v_mov_b32_e32 v24, 0
	s_and_saveexec_b32 s23, vcc_lo
	s_cbranch_execz .LBB20_109
; %bb.108:                              ;   in Loop: Header=BB20_107 Depth=2
	ds_load_b32 v24, v6
.LBB20_109:                             ;   in Loop: Header=BB20_107 Depth=2
	s_or_b32 exec_lo, exec_lo, s23
	s_and_saveexec_b32 s23, vcc_lo
	s_cbranch_execz .LBB20_106
; %bb.110:                              ;   in Loop: Header=BB20_107 Depth=2
	s_waitcnt lgkmcnt(0)
	v_xor_b32_e32 v7, 0x80000000, v24
	s_delay_alu instid0(VALU_DEP_1) | instskip(NEXT) | instid1(VALU_DEP_1)
	v_and_b32_e32 v7, s87, v7
	v_cmp_eq_u32_e32 vcc_lo, s88, v7
	s_and_b32 exec_lo, exec_lo, vcc_lo
	s_cbranch_execz .LBB20_106
; %bb.111:                              ;   in Loop: Header=BB20_107 Depth=2
	ds_store_b64 v13, v[23:24] offset:3072
	s_branch .LBB20_106
.LBB20_112:                             ;   in Loop: Header=BB20_8 Depth=1
	s_set_inst_prefetch_distance 0x2
	s_or_b32 exec_lo, exec_lo, s5
	s_delay_alu instid0(SALU_CYCLE_1)
	s_and_b32 s5, s17, exec_lo
.LBB20_113:                             ;   in Loop: Header=BB20_8 Depth=1
	s_or_b32 exec_lo, exec_lo, s16
	s_mov_b32 s23, -1
	s_mov_b32 s16, 0
	s_mov_b32 s17, 0
.LBB20_114:                             ;   in Loop: Header=BB20_8 Depth=1
	s_and_not1_b32 s14, s84, exec_lo
	s_and_b32 s15, s16, exec_lo
	s_and_not1_b32 s16, s85, exec_lo
	s_or_b32 s84, s14, s15
	s_and_not1_b32 s14, s86, exec_lo
	s_and_b32 s15, s23, exec_lo
	s_and_b32 s17, s17, exec_lo
	s_or_b32 s86, s14, s15
	s_or_b32 s85, s16, s17
	s_and_saveexec_b32 s16, s5
	s_cbranch_execz .LBB20_7
; %bb.115:                              ;   in Loop: Header=BB20_8 Depth=1
	s_xor_b32 s5, s22, -1
	s_delay_alu instid0(SALU_CYCLE_1)
	s_and_not1_b32 vcc_lo, exec_lo, s5
	s_mov_b32 s5, 1
	s_cbranch_vccnz .LBB20_126
; %bb.116:                              ;   in Loop: Header=BB20_8 Depth=1
	v_cmp_gt_i64_e64 s5, s[38:39], s[12:13]
	s_mov_b32 s14, -1
                                        ; implicit-def: $sgpr15
                                        ; implicit-def: $sgpr17
	s_delay_alu instid0(VALU_DEP_1)
	s_and_b32 vcc_lo, exec_lo, s5
                                        ; implicit-def: $sgpr5
	s_cbranch_vccnz .LBB20_122
; %bb.117:                              ;   in Loop: Header=BB20_8 Depth=1
	ds_load_b64 v[2:3], v13 offset:5120
	s_waitcnt lgkmcnt(0)
	v_cmp_ne_u64_e32 vcc_lo, 0, v[2:3]
	s_cbranch_vccnz .LBB20_121
; %bb.118:                              ;   in Loop: Header=BB20_8 Depth=1
	s_and_saveexec_b32 s5, s0
	s_cbranch_execz .LBB20_120
; %bb.119:                              ;   in Loop: Header=BB20_8 Depth=1
	v_dual_mov_b32 v2, s12 :: v_dual_mov_b32 v3, s13
	ds_store_b64 v13, v[2:3] offset:5128
.LBB20_120:                             ;   in Loop: Header=BB20_8 Depth=1
	s_or_b32 exec_lo, exec_lo, s5
	s_waitcnt lgkmcnt(0)
	s_barrier
	buffer_gl0_inv
.LBB20_121:                             ;   in Loop: Header=BB20_8 Depth=1
	s_and_b32 s15, s88, s20
	s_or_b32 s17, s87, s18
	s_mov_b32 s14, 0
	s_mov_b32 s5, 8
.LBB20_122:                             ;   in Loop: Header=BB20_8 Depth=1
	s_and_not1_b32 vcc_lo, exec_lo, s14
	s_cbranch_vccnz .LBB20_124
; %bb.123:                              ;   in Loop: Header=BB20_8 Depth=1
	s_sub_u32 s38, s38, s12
	s_subb_u32 s39, s39, s13
	s_mov_b32 s14, -1
	s_mov_b32 s5, 0
	s_mov_b32 s15, s88
	;; [unrolled: 1-line block ×3, first 2 shown]
.LBB20_124:                             ;   in Loop: Header=BB20_8 Depth=1
	s_delay_alu instid0(SALU_CYCLE_1)
	s_mov_b32 s87, s17
	s_mov_b32 s88, s15
	s_and_b32 vcc_lo, exec_lo, s14
	s_mov_b32 s17, -1
	s_cbranch_vccnz .LBB20_127
.LBB20_125:                             ;   in Loop: Header=BB20_8 Depth=1
	s_mov_b32 s12, -1
                                        ; implicit-def: $sgpr14
                                        ; implicit-def: $sgpr21
                                        ; implicit-def: $sgpr15
	s_delay_alu instid0(SALU_CYCLE_1) | instskip(NEXT) | instid1(SALU_CYCLE_1)
	s_and_saveexec_b32 s6, s12
	s_xor_b32 s6, exec_lo, s6
	s_cbranch_execz .LBB20_6
	s_branch .LBB20_273
.LBB20_126:                             ;   in Loop: Header=BB20_8 Depth=1
	s_mov_b64 s[38:39], 1
	s_mov_b32 s17, -1
	s_branch .LBB20_125
.LBB20_127:                             ;   in Loop: Header=BB20_8 Depth=1
	s_cmp_eq_u64 s[10:11], 1
	s_mov_b32 s24, -1
	s_cselect_b32 s5, -1, 0
	s_cmp_eq_u64 s[38:39], 1
	s_cselect_b32 s12, -1, 0
	s_delay_alu instid0(SALU_CYCLE_1) | instskip(NEXT) | instid1(SALU_CYCLE_1)
	s_and_b32 s23, s5, s12
	s_and_b32 vcc_lo, exec_lo, s23
	s_cbranch_vccz .LBB20_142
; %bb.128:                              ;   in Loop: Header=BB20_8 Depth=1
	ds_load_b64 v[2:3], v13 offset:5120
	s_waitcnt lgkmcnt(0)
	s_barrier
	buffer_gl0_inv
	v_readfirstlane_b32 s12, v2
	v_readfirstlane_b32 s13, v3
	s_and_saveexec_b32 s5, s3
	s_cbranch_execz .LBB20_130
; %bb.129:                              ;   in Loop: Header=BB20_8 Depth=1
	ds_store_b32 v33, v13
.LBB20_130:                             ;   in Loop: Header=BB20_8 Depth=1
	s_or_b32 exec_lo, exec_lo, s5
	s_delay_alu instid0(VALU_DEP_1)
	v_cmp_gt_i64_e64 s15, s[12:13], 0
	s_lshl_b32 s5, 1, s19
	s_and_b32 s14, s88, s20
	s_or_b32 s87, s87, s18
	s_or_b32 s88, s14, s5
	s_waitcnt lgkmcnt(0)
	s_and_b32 vcc_lo, exec_lo, s15
	s_barrier
	buffer_gl0_inv
	s_cbranch_vccnz .LBB20_145
; %bb.131:                              ;   in Loop: Header=BB20_8 Depth=1
	s_mov_b32 s24, s49
	s_delay_alu instid0(SALU_CYCLE_1)
	s_cmp_lg_u64 s[24:25], 0
	s_cbranch_scc0 .LBB20_190
; %bb.132:                              ;   in Loop: Header=BB20_8 Depth=1
	v_cvt_f32_u32_e32 v2, s27
	s_sub_u32 s15, 0, s27
	s_subb_u32 s21, 0, 0
	s_delay_alu instid0(VALU_DEP_1) | instskip(NEXT) | instid1(VALU_DEP_1)
	v_fmac_f32_e32 v2, 0x4f800000, v41
	v_rcp_f32_e32 v2, v2
	s_waitcnt_depctr 0xfff
	v_mul_f32_e32 v2, 0x5f7ffffc, v2
	s_delay_alu instid0(VALU_DEP_1) | instskip(NEXT) | instid1(VALU_DEP_1)
	v_mul_f32_e32 v3, 0x2f800000, v2
	v_trunc_f32_e32 v3, v3
	s_delay_alu instid0(VALU_DEP_1) | instskip(SKIP_1) | instid1(VALU_DEP_2)
	v_fmac_f32_e32 v2, 0xcf800000, v3
	v_cvt_u32_f32_e32 v3, v3
	v_cvt_u32_f32_e32 v2, v2
	s_delay_alu instid0(VALU_DEP_2) | instskip(NEXT) | instid1(VALU_DEP_2)
	v_readfirstlane_b32 s5, v3
	v_readfirstlane_b32 s14, v2
	s_delay_alu instid0(VALU_DEP_2) | instskip(NEXT) | instid1(VALU_DEP_1)
	s_mul_i32 s22, s15, s5
	s_mul_hi_u32 s48, s15, s14
	s_mul_i32 s24, s21, s14
	s_add_i32 s22, s48, s22
	s_mul_i32 s56, s15, s14
	s_add_i32 s22, s22, s24
	s_mul_hi_u32 s48, s14, s56
	s_mul_hi_u32 s57, s5, s56
	s_mul_i32 s24, s5, s56
	s_mul_hi_u32 s56, s14, s22
	s_mul_i32 s14, s14, s22
	s_mul_hi_u32 s58, s5, s22
	s_add_u32 s14, s48, s14
	s_addc_u32 s48, 0, s56
	s_add_u32 s14, s14, s24
	s_mul_i32 s22, s5, s22
	s_addc_u32 s14, s48, s57
	s_addc_u32 s24, s58, 0
	s_add_u32 s14, s14, s22
	s_addc_u32 s22, 0, s24
	v_add_co_u32 v2, s14, v2, s14
	s_delay_alu instid0(VALU_DEP_1) | instskip(SKIP_1) | instid1(VALU_DEP_1)
	s_cmp_lg_u32 s14, 0
	s_addc_u32 s5, s5, s22
	v_readfirstlane_b32 s14, v2
	s_mul_i32 s22, s15, s5
	s_delay_alu instid0(VALU_DEP_1)
	s_mul_hi_u32 s24, s15, s14
	s_mul_i32 s21, s21, s14
	s_add_i32 s22, s24, s22
	s_mul_i32 s15, s15, s14
	s_add_i32 s22, s22, s21
	s_mul_hi_u32 s24, s5, s15
	s_mul_i32 s48, s5, s15
	s_mul_hi_u32 s15, s14, s15
	s_mul_hi_u32 s56, s14, s22
	s_mul_i32 s14, s14, s22
	s_mul_hi_u32 s21, s5, s22
	s_add_u32 s14, s15, s14
	s_addc_u32 s15, 0, s56
	s_add_u32 s14, s14, s48
	s_mul_i32 s22, s5, s22
	s_addc_u32 s14, s15, s24
	s_addc_u32 s15, s21, 0
	s_add_u32 s14, s14, s22
	s_addc_u32 s15, 0, s15
	v_add_co_u32 v2, s14, v2, s14
	s_delay_alu instid0(VALU_DEP_1) | instskip(SKIP_2) | instid1(VALU_DEP_1)
	s_cmp_lg_u32 s14, 0
	s_addc_u32 s5, s5, s15
	s_ashr_i32 s14, s25, 31
	v_readfirstlane_b32 s21, v2
	s_add_u32 s56, s71, s14
	s_mov_b32 s15, s14
	s_addc_u32 s57, s25, s14
	s_delay_alu instid0(SALU_CYCLE_1) | instskip(NEXT) | instid1(SALU_CYCLE_1)
	s_xor_b64 s[56:57], s[56:57], s[14:15]
	s_mul_i32 s22, s56, s5
	s_mul_hi_u32 s24, s56, s21
	s_mul_hi_u32 s15, s56, s5
	;; [unrolled: 1-line block ×3, first 2 shown]
	s_mul_i32 s21, s57, s21
	s_add_u32 s22, s24, s22
	s_addc_u32 s15, 0, s15
	s_mul_hi_u32 s48, s57, s5
	s_add_u32 s21, s22, s21
	s_mul_i32 s5, s57, s5
	s_addc_u32 s15, s15, s58
	s_addc_u32 s21, s48, 0
	s_add_u32 s5, s15, s5
	s_addc_u32 s15, 0, s21
	s_mul_hi_u32 s21, s27, s5
	s_mul_i32 s5, s27, s5
	s_mul_i32 s15, s27, s15
	v_sub_co_u32 v2, s5, s56, s5
	s_add_i32 s21, s21, s15
	s_cmp_lg_u32 s5, 0
	s_delay_alu instid0(VALU_DEP_1) | instskip(SKIP_2) | instid1(VALU_DEP_1)
	v_sub_co_u32 v3, s5, v2, s27
	s_subb_u32 s15, s57, s21
	s_cmp_lg_u32 s5, 0
	v_cmp_le_u32_e32 vcc_lo, s27, v3
	v_sub_co_u32 v4, s5, v3, s27
	s_subb_u32 s21, s15, 0
	s_cmp_lg_u32 s5, 0
	v_cndmask_b32_e64 v5, 0, -1, vcc_lo
	s_subb_u32 s5, s21, 0
	s_cmp_eq_u32 s21, 0
	v_mov_b32_e32 v7, s5
	s_cselect_b32 vcc_lo, -1, 0
	s_cmp_eq_u32 s15, 0
	v_cndmask_b32_e32 v5, -1, v5, vcc_lo
	v_cmp_le_u32_e32 vcc_lo, s27, v2
	s_cselect_b32 s5, -1, 0
	v_cndmask_b32_e64 v6, 0, -1, vcc_lo
	s_delay_alu instid0(VALU_DEP_3) | instskip(NEXT) | instid1(VALU_DEP_2)
	v_cmp_ne_u32_e32 vcc_lo, 0, v5
	v_cndmask_b32_e64 v5, -1, v6, s5
	v_cndmask_b32_e32 v3, v3, v4, vcc_lo
	v_cndmask_b32_e32 v6, s21, v7, vcc_lo
	s_delay_alu instid0(VALU_DEP_3) | instskip(NEXT) | instid1(VALU_DEP_3)
	v_cmp_ne_u32_e32 vcc_lo, 0, v5
	v_cndmask_b32_e32 v2, v2, v3, vcc_lo
	s_delay_alu instid0(VALU_DEP_3) | instskip(NEXT) | instid1(VALU_DEP_2)
	v_cndmask_b32_e32 v4, s15, v6, vcc_lo
	v_xor_b32_e32 v2, s14, v2
	s_delay_alu instid0(VALU_DEP_2) | instskip(NEXT) | instid1(VALU_DEP_2)
	v_xor_b32_e32 v3, s14, v4
	v_sub_co_u32 v2, vcc_lo, v2, s14
	s_delay_alu instid0(VALU_DEP_2)
	v_subrev_co_ci_u32_e32 v3, vcc_lo, s14, v3, vcc_lo
	s_cbranch_execnz .LBB20_134
.LBB20_133:                             ;   in Loop: Header=BB20_8 Depth=1
	v_cvt_f32_u32_e32 v2, s27
	s_sub_i32 s5, 0, s27
	s_delay_alu instid0(VALU_DEP_1) | instskip(SKIP_2) | instid1(VALU_DEP_1)
	v_rcp_iflag_f32_e32 v2, v2
	s_waitcnt_depctr 0xfff
	v_mul_f32_e32 v2, 0x4f7ffffe, v2
	v_cvt_u32_f32_e32 v2, v2
	s_delay_alu instid0(VALU_DEP_1) | instskip(NEXT) | instid1(VALU_DEP_1)
	v_mul_lo_u32 v3, s5, v2
	v_mul_hi_u32 v3, v2, v3
	s_delay_alu instid0(VALU_DEP_1) | instskip(NEXT) | instid1(VALU_DEP_1)
	v_add_nc_u32_e32 v2, v2, v3
	v_mul_hi_u32 v2, s71, v2
	s_delay_alu instid0(VALU_DEP_1) | instskip(NEXT) | instid1(VALU_DEP_1)
	v_mul_lo_u32 v2, v2, s27
	v_sub_nc_u32_e32 v2, s71, v2
	s_delay_alu instid0(VALU_DEP_1) | instskip(SKIP_1) | instid1(VALU_DEP_2)
	v_subrev_nc_u32_e32 v3, s27, v2
	v_cmp_le_u32_e32 vcc_lo, s27, v2
	v_cndmask_b32_e32 v2, v2, v3, vcc_lo
	s_delay_alu instid0(VALU_DEP_1) | instskip(SKIP_1) | instid1(VALU_DEP_2)
	v_subrev_nc_u32_e32 v3, s27, v2
	v_cmp_le_u32_e32 vcc_lo, s27, v2
	v_cndmask_b32_e32 v12, v2, v3, vcc_lo
	s_delay_alu instid0(VALU_DEP_1)
	v_dual_mov_b32 v2, v12 :: v_dual_mov_b32 v3, v13
.LBB20_134:                             ;   in Loop: Header=BB20_8 Depth=1
	s_delay_alu instid0(VALU_DEP_1) | instskip(NEXT) | instid1(VALU_DEP_2)
	v_sub_co_u32 v2, vcc_lo, s71, v2
	v_sub_co_ci_u32_e32 v3, vcc_lo, s25, v3, vcc_lo
	s_mov_b32 s24, 0
	s_mov_b32 s5, exec_lo
                                        ; implicit-def: $vgpr25
	s_delay_alu instid0(VALU_DEP_1)
	v_cmpx_gt_i64_e64 v[2:3], v[0:1]
	s_cbranch_execz .LBB20_147
; %bb.135:                              ;   in Loop: Header=BB20_8 Depth=1
	v_dual_mov_b32 v4, v10 :: v_dual_mov_b32 v5, v11
	v_dual_mov_b32 v7, v1 :: v_dual_mov_b32 v6, v0
	s_mov_b32 s14, 0
                                        ; implicit-def: $sgpr15
	s_set_inst_prefetch_distance 0x1
	s_branch .LBB20_137
	.p2align	6
.LBB20_136:                             ;   in Loop: Header=BB20_137 Depth=2
	s_or_b32 exec_lo, exec_lo, s21
	s_waitcnt vmcnt(0) lgkmcnt(0)
	s_barrier
	buffer_gl0_inv
	ds_load_b64 v[24:25], v13 offset:3072
	v_add_co_u32 v6, vcc_lo, v6, s27
	v_add_co_ci_u32_e32 v7, vcc_lo, 0, v7, vcc_lo
	s_waitcnt lgkmcnt(0)
	s_barrier
	buffer_gl0_inv
	v_cmp_ge_i64_e32 vcc_lo, v[6:7], v[2:3]
	v_readfirstlane_b32 s21, v24
	s_delay_alu instid0(VALU_DEP_1) | instskip(SKIP_1) | instid1(SALU_CYCLE_1)
	s_cmp_lg_u32 s21, 0
	s_cselect_b32 s21, -1, 0
	s_or_b32 s22, s21, vcc_lo
	v_add_co_u32 v4, vcc_lo, v4, s44
	s_and_b32 s22, exec_lo, s22
	v_add_co_ci_u32_e32 v5, vcc_lo, s45, v5, vcc_lo
	s_or_b32 s14, s22, s14
	s_and_not1_b32 s15, s15, exec_lo
	s_and_b32 s21, s21, exec_lo
	s_delay_alu instid0(SALU_CYCLE_1)
	s_or_b32 s15, s15, s21
	s_and_not1_b32 exec_lo, exec_lo, s14
	s_cbranch_execz .LBB20_146
.LBB20_137:                             ;   Parent Loop BB20_8 Depth=1
                                        ; =>  This Inner Loop Header: Depth=2
	s_delay_alu instid0(VALU_DEP_1)
	v_cmp_gt_i64_e32 vcc_lo, s[36:37], v[6:7]
	v_mov_b32_e32 v24, 0
	s_and_saveexec_b32 s21, vcc_lo
	s_cbranch_execz .LBB20_139
; %bb.138:                              ;   in Loop: Header=BB20_137 Depth=2
	global_load_b32 v24, v[4:5], off
.LBB20_139:                             ;   in Loop: Header=BB20_137 Depth=2
	s_or_b32 exec_lo, exec_lo, s21
	s_and_saveexec_b32 s21, vcc_lo
	s_cbranch_execz .LBB20_136
; %bb.140:                              ;   in Loop: Header=BB20_137 Depth=2
	s_waitcnt vmcnt(0)
	v_xor_b32_e32 v8, 0x80000000, v24
	s_delay_alu instid0(VALU_DEP_1) | instskip(NEXT) | instid1(VALU_DEP_1)
	v_and_b32_e32 v8, s87, v8
	v_cmp_eq_u32_e32 vcc_lo, s88, v8
	s_and_b32 exec_lo, exec_lo, vcc_lo
	s_cbranch_execz .LBB20_136
; %bb.141:                              ;   in Loop: Header=BB20_137 Depth=2
	ds_store_b64 v13, v[23:24] offset:3072
	s_branch .LBB20_136
.LBB20_142:                             ;   in Loop: Header=BB20_8 Depth=1
                                        ; implicit-def: $sgpr15
                                        ; implicit-def: $sgpr21
                                        ; implicit-def: $sgpr14
	s_branch .LBB20_161
.LBB20_143:                             ;   in Loop: Header=BB20_8 Depth=1
                                        ; implicit-def: $vgpr2_vgpr3
	s_branch .LBB20_88
.LBB20_144:                             ;   in Loop: Header=BB20_8 Depth=1
                                        ; implicit-def: $vgpr2_vgpr3
	s_branch .LBB20_103
.LBB20_145:                             ;   in Loop: Header=BB20_8 Depth=1
	s_mov_b32 s15, -1
	s_mov_b32 s24, 0
                                        ; implicit-def: $sgpr14
                                        ; implicit-def: $vgpr25
	s_mov_b32 s21, s15
	s_cbranch_execnz .LBB20_148
	s_branch .LBB20_161
.LBB20_146:                             ;   in Loop: Header=BB20_8 Depth=1
	s_set_inst_prefetch_distance 0x2
	s_or_b32 exec_lo, exec_lo, s14
	s_delay_alu instid0(SALU_CYCLE_1)
	s_and_b32 s24, s15, exec_lo
.LBB20_147:                             ;   in Loop: Header=BB20_8 Depth=1
	s_or_b32 exec_lo, exec_lo, s5
	s_mov_b32 s14, -1
	s_mov_b32 s15, 0
	s_delay_alu instid0(SALU_CYCLE_1)
	s_mov_b32 s21, s15
	s_branch .LBB20_161
.LBB20_148:                             ;   in Loop: Header=BB20_8 Depth=1
	s_add_u32 s21, s69, s12
	s_addc_u32 s15, s70, s13
	s_mov_b32 s14, s49
	s_delay_alu instid0(SALU_CYCLE_1)
	s_cmp_lg_u64 s[14:15], 0
	s_cbranch_scc0 .LBB20_191
; %bb.149:                              ;   in Loop: Header=BB20_8 Depth=1
	v_cvt_f32_u32_e32 v2, s27
	s_sub_u32 s22, 0, s27
	s_subb_u32 s24, 0, 0
	s_delay_alu instid0(VALU_DEP_1) | instskip(NEXT) | instid1(VALU_DEP_1)
	v_fmac_f32_e32 v2, 0x4f800000, v41
	v_rcp_f32_e32 v2, v2
	s_waitcnt_depctr 0xfff
	v_mul_f32_e32 v2, 0x5f7ffffc, v2
	s_delay_alu instid0(VALU_DEP_1) | instskip(NEXT) | instid1(VALU_DEP_1)
	v_mul_f32_e32 v3, 0x2f800000, v2
	v_trunc_f32_e32 v3, v3
	s_delay_alu instid0(VALU_DEP_1) | instskip(SKIP_1) | instid1(VALU_DEP_2)
	v_fmac_f32_e32 v2, 0xcf800000, v3
	v_cvt_u32_f32_e32 v3, v3
	v_cvt_u32_f32_e32 v2, v2
	s_delay_alu instid0(VALU_DEP_2) | instskip(NEXT) | instid1(VALU_DEP_2)
	v_readfirstlane_b32 s5, v3
	v_readfirstlane_b32 s14, v2
	s_delay_alu instid0(VALU_DEP_2) | instskip(NEXT) | instid1(VALU_DEP_1)
	s_mul_i32 s48, s22, s5
	s_mul_hi_u32 s57, s22, s14
	s_mul_i32 s56, s24, s14
	s_add_i32 s48, s57, s48
	s_mul_i32 s58, s22, s14
	s_add_i32 s48, s48, s56
	s_mul_hi_u32 s57, s14, s58
	s_mul_hi_u32 s59, s5, s58
	s_mul_i32 s56, s5, s58
	s_mul_hi_u32 s58, s14, s48
	s_mul_i32 s14, s14, s48
	s_mul_hi_u32 s60, s5, s48
	s_add_u32 s14, s57, s14
	s_addc_u32 s57, 0, s58
	s_add_u32 s14, s14, s56
	s_mul_i32 s48, s5, s48
	s_addc_u32 s14, s57, s59
	s_addc_u32 s56, s60, 0
	s_add_u32 s14, s14, s48
	s_addc_u32 s48, 0, s56
	v_add_co_u32 v2, s14, v2, s14
	s_delay_alu instid0(VALU_DEP_1) | instskip(SKIP_1) | instid1(VALU_DEP_1)
	s_cmp_lg_u32 s14, 0
	s_addc_u32 s5, s5, s48
	v_readfirstlane_b32 s14, v2
	s_mul_i32 s48, s22, s5
	s_delay_alu instid0(VALU_DEP_1)
	s_mul_hi_u32 s56, s22, s14
	s_mul_i32 s24, s24, s14
	s_add_i32 s48, s56, s48
	s_mul_i32 s22, s22, s14
	s_add_i32 s48, s48, s24
	s_mul_hi_u32 s56, s5, s22
	s_mul_i32 s57, s5, s22
	s_mul_hi_u32 s22, s14, s22
	s_mul_hi_u32 s58, s14, s48
	s_mul_i32 s14, s14, s48
	s_mul_hi_u32 s24, s5, s48
	s_add_u32 s14, s22, s14
	s_addc_u32 s22, 0, s58
	s_add_u32 s14, s14, s57
	s_mul_i32 s48, s5, s48
	s_addc_u32 s14, s22, s56
	s_addc_u32 s22, s24, 0
	s_add_u32 s14, s14, s48
	s_addc_u32 s22, 0, s22
	v_add_co_u32 v2, s14, v2, s14
	s_delay_alu instid0(VALU_DEP_1) | instskip(SKIP_2) | instid1(VALU_DEP_1)
	s_cmp_lg_u32 s14, 0
	s_addc_u32 s5, s5, s22
	s_ashr_i32 s56, s15, 31
	v_readfirstlane_b32 s14, v2
	s_add_u32 s58, s21, s56
	s_mov_b32 s57, s56
	s_addc_u32 s59, s15, s56
	s_delay_alu instid0(SALU_CYCLE_1) | instskip(NEXT) | instid1(SALU_CYCLE_1)
	s_xor_b64 s[58:59], s[58:59], s[56:57]
	s_mul_i32 s24, s58, s5
	s_mul_hi_u32 s48, s58, s14
	s_mul_hi_u32 s22, s58, s5
	;; [unrolled: 1-line block ×3, first 2 shown]
	s_mul_i32 s14, s59, s14
	s_add_u32 s24, s48, s24
	s_addc_u32 s22, 0, s22
	s_mul_hi_u32 s57, s59, s5
	s_add_u32 s14, s24, s14
	s_mul_i32 s5, s59, s5
	s_addc_u32 s14, s22, s60
	s_addc_u32 s22, s57, 0
	s_add_u32 s5, s14, s5
	s_addc_u32 s14, 0, s22
	s_mul_hi_u32 s22, s27, s5
	s_mul_i32 s5, s27, s5
	s_mul_i32 s14, s27, s14
	v_sub_co_u32 v2, s5, s58, s5
	s_add_i32 s22, s22, s14
	s_cmp_lg_u32 s5, 0
	s_delay_alu instid0(VALU_DEP_1) | instskip(SKIP_2) | instid1(VALU_DEP_1)
	v_sub_co_u32 v3, s5, v2, s27
	s_subb_u32 s14, s59, s22
	s_cmp_lg_u32 s5, 0
	v_cmp_le_u32_e32 vcc_lo, s27, v3
	v_sub_co_u32 v4, s5, v3, s27
	s_subb_u32 s22, s14, 0
	s_cmp_lg_u32 s5, 0
	v_cndmask_b32_e64 v5, 0, -1, vcc_lo
	s_subb_u32 s5, s22, 0
	s_cmp_eq_u32 s22, 0
	v_mov_b32_e32 v7, s5
	s_cselect_b32 vcc_lo, -1, 0
	s_cmp_eq_u32 s14, 0
	v_cndmask_b32_e32 v5, -1, v5, vcc_lo
	v_cmp_le_u32_e32 vcc_lo, s27, v2
	s_cselect_b32 s5, -1, 0
	v_cndmask_b32_e64 v6, 0, -1, vcc_lo
	s_delay_alu instid0(VALU_DEP_3) | instskip(NEXT) | instid1(VALU_DEP_2)
	v_cmp_ne_u32_e32 vcc_lo, 0, v5
	v_cndmask_b32_e64 v5, -1, v6, s5
	v_cndmask_b32_e32 v3, v3, v4, vcc_lo
	v_cndmask_b32_e32 v6, s22, v7, vcc_lo
	s_delay_alu instid0(VALU_DEP_3) | instskip(NEXT) | instid1(VALU_DEP_3)
	v_cmp_ne_u32_e32 vcc_lo, 0, v5
	v_cndmask_b32_e32 v2, v2, v3, vcc_lo
	s_delay_alu instid0(VALU_DEP_3) | instskip(NEXT) | instid1(VALU_DEP_2)
	v_cndmask_b32_e32 v4, s14, v6, vcc_lo
	v_xor_b32_e32 v2, s56, v2
	s_delay_alu instid0(VALU_DEP_2) | instskip(NEXT) | instid1(VALU_DEP_2)
	v_xor_b32_e32 v3, s56, v4
	v_sub_co_u32 v2, vcc_lo, v2, s56
	s_delay_alu instid0(VALU_DEP_2)
	v_subrev_co_ci_u32_e32 v3, vcc_lo, s56, v3, vcc_lo
	s_cbranch_execnz .LBB20_151
.LBB20_150:                             ;   in Loop: Header=BB20_8 Depth=1
	v_cvt_f32_u32_e32 v2, s27
	s_sub_i32 s5, 0, s27
	s_delay_alu instid0(VALU_DEP_1) | instskip(SKIP_2) | instid1(VALU_DEP_1)
	v_rcp_iflag_f32_e32 v2, v2
	s_waitcnt_depctr 0xfff
	v_mul_f32_e32 v2, 0x4f7ffffe, v2
	v_cvt_u32_f32_e32 v2, v2
	s_delay_alu instid0(VALU_DEP_1) | instskip(NEXT) | instid1(VALU_DEP_1)
	v_mul_lo_u32 v3, s5, v2
	v_mul_hi_u32 v3, v2, v3
	s_delay_alu instid0(VALU_DEP_1) | instskip(NEXT) | instid1(VALU_DEP_1)
	v_add_nc_u32_e32 v2, v2, v3
	v_mul_hi_u32 v2, s21, v2
	s_delay_alu instid0(VALU_DEP_1) | instskip(NEXT) | instid1(VALU_DEP_1)
	v_mul_lo_u32 v2, v2, s27
	v_sub_nc_u32_e32 v2, s21, v2
	s_delay_alu instid0(VALU_DEP_1) | instskip(SKIP_1) | instid1(VALU_DEP_2)
	v_subrev_nc_u32_e32 v3, s27, v2
	v_cmp_le_u32_e32 vcc_lo, s27, v2
	v_cndmask_b32_e32 v2, v2, v3, vcc_lo
	s_delay_alu instid0(VALU_DEP_1) | instskip(SKIP_1) | instid1(VALU_DEP_2)
	v_subrev_nc_u32_e32 v3, s27, v2
	v_cmp_le_u32_e32 vcc_lo, s27, v2
	v_cndmask_b32_e32 v12, v2, v3, vcc_lo
	s_delay_alu instid0(VALU_DEP_1)
	v_dual_mov_b32 v2, v12 :: v_dual_mov_b32 v3, v13
.LBB20_151:                             ;   in Loop: Header=BB20_8 Depth=1
	s_delay_alu instid0(VALU_DEP_1) | instskip(NEXT) | instid1(VALU_DEP_2)
	v_sub_co_u32 v2, vcc_lo, s21, v2
	v_sub_co_ci_u32_e32 v3, vcc_lo, s15, v3, vcc_lo
	s_mov_b32 s24, 0
	s_mov_b32 s5, exec_lo
                                        ; implicit-def: $vgpr25
	s_delay_alu instid0(VALU_DEP_1)
	v_cmpx_gt_i64_e64 v[2:3], v[0:1]
	s_cbranch_execz .LBB20_160
; %bb.152:                              ;   in Loop: Header=BB20_8 Depth=1
	v_dual_mov_b32 v6, v14 :: v_dual_mov_b32 v5, v1
	v_mov_b32_e32 v4, v0
	s_mov_b32 s14, 0
                                        ; implicit-def: $sgpr15
	s_set_inst_prefetch_distance 0x1
	s_branch .LBB20_154
	.p2align	6
.LBB20_153:                             ;   in Loop: Header=BB20_154 Depth=2
	s_or_b32 exec_lo, exec_lo, s21
	s_waitcnt lgkmcnt(0)
	s_barrier
	buffer_gl0_inv
	ds_load_b64 v[24:25], v13 offset:3072
	v_add_co_u32 v4, vcc_lo, v4, s27
	v_add_co_ci_u32_e32 v5, vcc_lo, 0, v5, vcc_lo
	v_add_nc_u32_e32 v6, s77, v6
	s_waitcnt lgkmcnt(0)
	s_barrier
	s_delay_alu instid0(VALU_DEP_2) | instskip(SKIP_2) | instid1(VALU_DEP_1)
	v_cmp_ge_i64_e32 vcc_lo, v[4:5], v[2:3]
	buffer_gl0_inv
	v_readfirstlane_b32 s21, v24
	s_cmp_lg_u32 s21, 0
	s_cselect_b32 s21, -1, 0
	s_delay_alu instid0(SALU_CYCLE_1) | instskip(NEXT) | instid1(SALU_CYCLE_1)
	s_or_b32 s22, s21, vcc_lo
	s_and_b32 s22, exec_lo, s22
	s_delay_alu instid0(SALU_CYCLE_1) | instskip(SKIP_2) | instid1(SALU_CYCLE_1)
	s_or_b32 s14, s22, s14
	s_and_not1_b32 s15, s15, exec_lo
	s_and_b32 s21, s21, exec_lo
	s_or_b32 s15, s15, s21
	s_and_not1_b32 exec_lo, exec_lo, s14
	s_cbranch_execz .LBB20_159
.LBB20_154:                             ;   Parent Loop BB20_8 Depth=1
                                        ; =>  This Inner Loop Header: Depth=2
	s_delay_alu instid0(VALU_DEP_1)
	v_cmp_gt_i64_e32 vcc_lo, s[12:13], v[4:5]
	v_mov_b32_e32 v24, 0
	s_and_saveexec_b32 s21, vcc_lo
	s_cbranch_execz .LBB20_156
; %bb.155:                              ;   in Loop: Header=BB20_154 Depth=2
	ds_load_b32 v24, v6
.LBB20_156:                             ;   in Loop: Header=BB20_154 Depth=2
	s_or_b32 exec_lo, exec_lo, s21
	s_and_saveexec_b32 s21, vcc_lo
	s_cbranch_execz .LBB20_153
; %bb.157:                              ;   in Loop: Header=BB20_154 Depth=2
	s_waitcnt lgkmcnt(0)
	v_xor_b32_e32 v7, 0x80000000, v24
	s_delay_alu instid0(VALU_DEP_1) | instskip(NEXT) | instid1(VALU_DEP_1)
	v_and_b32_e32 v7, s87, v7
	v_cmp_eq_u32_e32 vcc_lo, s88, v7
	s_and_b32 exec_lo, exec_lo, vcc_lo
	s_cbranch_execz .LBB20_153
; %bb.158:                              ;   in Loop: Header=BB20_154 Depth=2
	ds_store_b64 v13, v[23:24] offset:3072
	s_branch .LBB20_153
.LBB20_159:                             ;   in Loop: Header=BB20_8 Depth=1
	s_set_inst_prefetch_distance 0x2
	s_or_b32 exec_lo, exec_lo, s14
	s_delay_alu instid0(SALU_CYCLE_1)
	s_and_b32 s24, s15, exec_lo
.LBB20_160:                             ;   in Loop: Header=BB20_8 Depth=1
	s_or_b32 exec_lo, exec_lo, s5
	s_mov_b32 s21, -1
	s_mov_b32 s15, 0
	s_mov_b32 s14, 0
.LBB20_161:                             ;   in Loop: Header=BB20_8 Depth=1
	s_mov_b32 s12, 0
                                        ; implicit-def: $sgpr5
	s_and_saveexec_b32 s22, s24
	s_cbranch_execz .LBB20_272
; %bb.162:                              ;   in Loop: Header=BB20_8 Depth=1
	s_xor_b32 s5, s23, -1
	s_delay_alu instid0(SALU_CYCLE_1)
	s_and_not1_b32 vcc_lo, exec_lo, s5
	s_mov_b32 s5, 1
	s_cbranch_vccnz .LBB20_173
; %bb.163:                              ;   in Loop: Header=BB20_8 Depth=1
	v_cmp_gt_i64_e64 s5, s[38:39], s[10:11]
	s_mov_b32 s12, -1
                                        ; implicit-def: $sgpr13
                                        ; implicit-def: $sgpr23
	s_delay_alu instid0(VALU_DEP_1)
	s_and_b32 vcc_lo, exec_lo, s5
                                        ; implicit-def: $sgpr5
	s_cbranch_vccnz .LBB20_169
; %bb.164:                              ;   in Loop: Header=BB20_8 Depth=1
	ds_load_b64 v[2:3], v13 offset:5120
	s_waitcnt lgkmcnt(0)
	v_cmp_ne_u64_e32 vcc_lo, 0, v[2:3]
	s_cbranch_vccnz .LBB20_168
; %bb.165:                              ;   in Loop: Header=BB20_8 Depth=1
	s_and_saveexec_b32 s5, s0
	s_cbranch_execz .LBB20_167
; %bb.166:                              ;   in Loop: Header=BB20_8 Depth=1
	v_dual_mov_b32 v2, s10 :: v_dual_mov_b32 v3, s11
	ds_store_b64 v13, v[2:3] offset:5128
.LBB20_167:                             ;   in Loop: Header=BB20_8 Depth=1
	s_or_b32 exec_lo, exec_lo, s5
	s_waitcnt lgkmcnt(0)
	s_barrier
	buffer_gl0_inv
.LBB20_168:                             ;   in Loop: Header=BB20_8 Depth=1
	s_lshl_b32 s5, 1, s19
	s_and_b32 s12, s88, s20
	s_or_b32 s23, s87, s18
	s_or_b32 s13, s12, s5
	s_mov_b32 s12, 0
	s_mov_b32 s5, 8
.LBB20_169:                             ;   in Loop: Header=BB20_8 Depth=1
	s_and_not1_b32 vcc_lo, exec_lo, s12
	s_cbranch_vccnz .LBB20_171
; %bb.170:                              ;   in Loop: Header=BB20_8 Depth=1
	s_sub_u32 s38, s38, s10
	s_subb_u32 s39, s39, s11
	s_mov_b32 s12, -1
	s_mov_b32 s5, 0
	s_mov_b32 s13, s88
	;; [unrolled: 1-line block ×3, first 2 shown]
.LBB20_171:                             ;   in Loop: Header=BB20_8 Depth=1
	s_delay_alu instid0(SALU_CYCLE_1)
	s_mov_b32 s87, s23
	s_mov_b32 s88, s13
	s_and_not1_b32 vcc_lo, exec_lo, s12
	s_mov_b32 s10, -1
	s_cbranch_vccz .LBB20_174
.LBB20_172:                             ;   in Loop: Header=BB20_8 Depth=1
                                        ; implicit-def: $sgpr13
                                        ; implicit-def: $sgpr23
                                        ; implicit-def: $sgpr12
	s_branch .LBB20_271
.LBB20_173:                             ;   in Loop: Header=BB20_8 Depth=1
	s_mov_b64 s[38:39], 1
	s_and_not1_b32 vcc_lo, exec_lo, s12
	s_mov_b32 s10, -1
	s_cbranch_vccnz .LBB20_172
.LBB20_174:                             ;   in Loop: Header=BB20_8 Depth=1
	s_cmp_eq_u64 s[8:9], 1
	s_mov_b32 s24, -1
	s_cselect_b32 s5, -1, 0
	s_cmp_eq_u64 s[38:39], 1
	s_cselect_b32 s10, -1, 0
	s_delay_alu instid0(SALU_CYCLE_1) | instskip(NEXT) | instid1(SALU_CYCLE_1)
	s_and_b32 s56, s5, s10
	s_and_b32 vcc_lo, exec_lo, s56
	s_cbranch_vccz .LBB20_189
; %bb.175:                              ;   in Loop: Header=BB20_8 Depth=1
	ds_load_b64 v[2:3], v13 offset:5120
	s_waitcnt lgkmcnt(0)
	s_barrier
	buffer_gl0_inv
	v_readfirstlane_b32 s10, v2
	v_readfirstlane_b32 s11, v3
	s_and_saveexec_b32 s5, s3
	s_cbranch_execz .LBB20_177
; %bb.176:                              ;   in Loop: Header=BB20_8 Depth=1
	ds_store_b32 v33, v13
.LBB20_177:                             ;   in Loop: Header=BB20_8 Depth=1
	s_or_b32 exec_lo, exec_lo, s5
	s_delay_alu instid0(VALU_DEP_1)
	v_cmp_gt_i64_e64 s13, s[10:11], 0
	s_lshl_b32 s5, 2, s19
	s_and_b32 s12, s88, s20
	s_or_b32 s87, s87, s18
	s_or_b32 s88, s12, s5
	s_waitcnt lgkmcnt(0)
	s_and_b32 vcc_lo, exec_lo, s13
	s_barrier
	buffer_gl0_inv
	s_cbranch_vccnz .LBB20_192
; %bb.178:                              ;   in Loop: Header=BB20_8 Depth=1
	s_mov_b32 s24, s49
	s_delay_alu instid0(SALU_CYCLE_1)
	s_cmp_lg_u64 s[24:25], 0
	s_cbranch_scc0 .LBB20_237
; %bb.179:                              ;   in Loop: Header=BB20_8 Depth=1
	v_cvt_f32_u32_e32 v2, s27
	s_sub_u32 s13, 0, s27
	s_subb_u32 s23, 0, 0
	s_delay_alu instid0(VALU_DEP_1) | instskip(NEXT) | instid1(VALU_DEP_1)
	v_fmac_f32_e32 v2, 0x4f800000, v41
	v_rcp_f32_e32 v2, v2
	s_waitcnt_depctr 0xfff
	v_mul_f32_e32 v2, 0x5f7ffffc, v2
	s_delay_alu instid0(VALU_DEP_1) | instskip(NEXT) | instid1(VALU_DEP_1)
	v_mul_f32_e32 v3, 0x2f800000, v2
	v_trunc_f32_e32 v3, v3
	s_delay_alu instid0(VALU_DEP_1) | instskip(SKIP_1) | instid1(VALU_DEP_2)
	v_fmac_f32_e32 v2, 0xcf800000, v3
	v_cvt_u32_f32_e32 v3, v3
	v_cvt_u32_f32_e32 v2, v2
	s_delay_alu instid0(VALU_DEP_2) | instskip(NEXT) | instid1(VALU_DEP_2)
	v_readfirstlane_b32 s5, v3
	v_readfirstlane_b32 s12, v2
	s_delay_alu instid0(VALU_DEP_2) | instskip(NEXT) | instid1(VALU_DEP_1)
	s_mul_i32 s24, s13, s5
	s_mul_hi_u32 s57, s13, s12
	s_mul_i32 s48, s23, s12
	s_add_i32 s24, s57, s24
	s_mul_i32 s58, s13, s12
	s_add_i32 s24, s24, s48
	s_mul_hi_u32 s57, s12, s58
	s_mul_hi_u32 s59, s5, s58
	s_mul_i32 s48, s5, s58
	s_mul_hi_u32 s58, s12, s24
	s_mul_i32 s12, s12, s24
	s_mul_hi_u32 s60, s5, s24
	s_add_u32 s12, s57, s12
	s_addc_u32 s57, 0, s58
	s_add_u32 s12, s12, s48
	s_mul_i32 s24, s5, s24
	s_addc_u32 s12, s57, s59
	s_addc_u32 s48, s60, 0
	s_add_u32 s12, s12, s24
	s_addc_u32 s24, 0, s48
	v_add_co_u32 v2, s12, v2, s12
	s_delay_alu instid0(VALU_DEP_1) | instskip(SKIP_1) | instid1(VALU_DEP_1)
	s_cmp_lg_u32 s12, 0
	s_addc_u32 s5, s5, s24
	v_readfirstlane_b32 s12, v2
	s_mul_i32 s24, s13, s5
	s_delay_alu instid0(VALU_DEP_1)
	s_mul_hi_u32 s48, s13, s12
	s_mul_i32 s23, s23, s12
	s_add_i32 s24, s48, s24
	s_mul_i32 s13, s13, s12
	s_add_i32 s24, s24, s23
	s_mul_hi_u32 s48, s5, s13
	s_mul_i32 s57, s5, s13
	s_mul_hi_u32 s13, s12, s13
	s_mul_hi_u32 s58, s12, s24
	s_mul_i32 s12, s12, s24
	s_mul_hi_u32 s23, s5, s24
	s_add_u32 s12, s13, s12
	s_addc_u32 s13, 0, s58
	s_add_u32 s12, s12, s57
	s_mul_i32 s24, s5, s24
	s_addc_u32 s12, s13, s48
	s_addc_u32 s13, s23, 0
	s_add_u32 s12, s12, s24
	s_addc_u32 s13, 0, s13
	v_add_co_u32 v2, s12, v2, s12
	s_delay_alu instid0(VALU_DEP_1) | instskip(SKIP_2) | instid1(VALU_DEP_1)
	s_cmp_lg_u32 s12, 0
	s_addc_u32 s5, s5, s13
	s_ashr_i32 s12, s25, 31
	v_readfirstlane_b32 s23, v2
	s_add_u32 s58, s71, s12
	s_mov_b32 s13, s12
	s_addc_u32 s59, s25, s12
	s_delay_alu instid0(SALU_CYCLE_1) | instskip(NEXT) | instid1(SALU_CYCLE_1)
	s_xor_b64 s[58:59], s[58:59], s[12:13]
	s_mul_i32 s24, s58, s5
	s_mul_hi_u32 s48, s58, s23
	s_mul_hi_u32 s13, s58, s5
	;; [unrolled: 1-line block ×3, first 2 shown]
	s_mul_i32 s23, s59, s23
	s_add_u32 s24, s48, s24
	s_addc_u32 s13, 0, s13
	s_mul_hi_u32 s57, s59, s5
	s_add_u32 s23, s24, s23
	s_mul_i32 s5, s59, s5
	s_addc_u32 s13, s13, s60
	s_addc_u32 s23, s57, 0
	s_add_u32 s5, s13, s5
	s_addc_u32 s13, 0, s23
	s_mul_hi_u32 s23, s27, s5
	s_mul_i32 s5, s27, s5
	s_mul_i32 s13, s27, s13
	v_sub_co_u32 v2, s5, s58, s5
	s_add_i32 s23, s23, s13
	s_cmp_lg_u32 s5, 0
	s_delay_alu instid0(VALU_DEP_1) | instskip(SKIP_2) | instid1(VALU_DEP_1)
	v_sub_co_u32 v3, s5, v2, s27
	s_subb_u32 s13, s59, s23
	s_cmp_lg_u32 s5, 0
	v_cmp_le_u32_e32 vcc_lo, s27, v3
	v_sub_co_u32 v4, s5, v3, s27
	s_subb_u32 s23, s13, 0
	s_cmp_lg_u32 s5, 0
	v_cndmask_b32_e64 v5, 0, -1, vcc_lo
	s_subb_u32 s5, s23, 0
	s_cmp_eq_u32 s23, 0
	v_mov_b32_e32 v7, s5
	s_cselect_b32 vcc_lo, -1, 0
	s_cmp_eq_u32 s13, 0
	v_cndmask_b32_e32 v5, -1, v5, vcc_lo
	v_cmp_le_u32_e32 vcc_lo, s27, v2
	s_cselect_b32 s5, -1, 0
	v_cndmask_b32_e64 v6, 0, -1, vcc_lo
	s_delay_alu instid0(VALU_DEP_3) | instskip(NEXT) | instid1(VALU_DEP_2)
	v_cmp_ne_u32_e32 vcc_lo, 0, v5
	v_cndmask_b32_e64 v5, -1, v6, s5
	v_cndmask_b32_e32 v3, v3, v4, vcc_lo
	v_cndmask_b32_e32 v6, s23, v7, vcc_lo
	s_delay_alu instid0(VALU_DEP_3) | instskip(NEXT) | instid1(VALU_DEP_3)
	v_cmp_ne_u32_e32 vcc_lo, 0, v5
	v_cndmask_b32_e32 v2, v2, v3, vcc_lo
	s_delay_alu instid0(VALU_DEP_3) | instskip(NEXT) | instid1(VALU_DEP_2)
	v_cndmask_b32_e32 v4, s13, v6, vcc_lo
	v_xor_b32_e32 v2, s12, v2
	s_delay_alu instid0(VALU_DEP_2) | instskip(NEXT) | instid1(VALU_DEP_2)
	v_xor_b32_e32 v3, s12, v4
	v_sub_co_u32 v2, vcc_lo, v2, s12
	s_delay_alu instid0(VALU_DEP_2)
	v_subrev_co_ci_u32_e32 v3, vcc_lo, s12, v3, vcc_lo
	s_cbranch_execnz .LBB20_181
.LBB20_180:                             ;   in Loop: Header=BB20_8 Depth=1
	v_cvt_f32_u32_e32 v2, s27
	s_sub_i32 s5, 0, s27
	s_delay_alu instid0(VALU_DEP_1) | instskip(SKIP_2) | instid1(VALU_DEP_1)
	v_rcp_iflag_f32_e32 v2, v2
	s_waitcnt_depctr 0xfff
	v_mul_f32_e32 v2, 0x4f7ffffe, v2
	v_cvt_u32_f32_e32 v2, v2
	s_delay_alu instid0(VALU_DEP_1) | instskip(NEXT) | instid1(VALU_DEP_1)
	v_mul_lo_u32 v3, s5, v2
	v_mul_hi_u32 v3, v2, v3
	s_delay_alu instid0(VALU_DEP_1) | instskip(NEXT) | instid1(VALU_DEP_1)
	v_add_nc_u32_e32 v2, v2, v3
	v_mul_hi_u32 v2, s71, v2
	s_delay_alu instid0(VALU_DEP_1) | instskip(NEXT) | instid1(VALU_DEP_1)
	v_mul_lo_u32 v2, v2, s27
	v_sub_nc_u32_e32 v2, s71, v2
	s_delay_alu instid0(VALU_DEP_1) | instskip(SKIP_1) | instid1(VALU_DEP_2)
	v_subrev_nc_u32_e32 v3, s27, v2
	v_cmp_le_u32_e32 vcc_lo, s27, v2
	v_cndmask_b32_e32 v2, v2, v3, vcc_lo
	s_delay_alu instid0(VALU_DEP_1) | instskip(SKIP_1) | instid1(VALU_DEP_2)
	v_subrev_nc_u32_e32 v3, s27, v2
	v_cmp_le_u32_e32 vcc_lo, s27, v2
	v_cndmask_b32_e32 v12, v2, v3, vcc_lo
	s_delay_alu instid0(VALU_DEP_1)
	v_dual_mov_b32 v2, v12 :: v_dual_mov_b32 v3, v13
.LBB20_181:                             ;   in Loop: Header=BB20_8 Depth=1
	s_delay_alu instid0(VALU_DEP_1) | instskip(NEXT) | instid1(VALU_DEP_2)
	v_sub_co_u32 v2, vcc_lo, s71, v2
	v_sub_co_ci_u32_e32 v3, vcc_lo, s25, v3, vcc_lo
	s_mov_b32 s24, 0
	s_mov_b32 s5, exec_lo
                                        ; implicit-def: $vgpr25
	s_delay_alu instid0(VALU_DEP_1)
	v_cmpx_gt_i64_e64 v[2:3], v[0:1]
	s_cbranch_execz .LBB20_194
; %bb.182:                              ;   in Loop: Header=BB20_8 Depth=1
	v_dual_mov_b32 v4, v10 :: v_dual_mov_b32 v5, v11
	v_dual_mov_b32 v7, v1 :: v_dual_mov_b32 v6, v0
	s_mov_b32 s12, 0
                                        ; implicit-def: $sgpr13
	s_set_inst_prefetch_distance 0x1
	s_branch .LBB20_184
	.p2align	6
.LBB20_183:                             ;   in Loop: Header=BB20_184 Depth=2
	s_or_b32 exec_lo, exec_lo, s23
	s_waitcnt vmcnt(0) lgkmcnt(0)
	s_barrier
	buffer_gl0_inv
	ds_load_b64 v[24:25], v13 offset:3072
	v_add_co_u32 v6, vcc_lo, v6, s27
	v_add_co_ci_u32_e32 v7, vcc_lo, 0, v7, vcc_lo
	s_waitcnt lgkmcnt(0)
	s_barrier
	buffer_gl0_inv
	v_cmp_ge_i64_e32 vcc_lo, v[6:7], v[2:3]
	v_readfirstlane_b32 s23, v24
	s_delay_alu instid0(VALU_DEP_1) | instskip(SKIP_1) | instid1(SALU_CYCLE_1)
	s_cmp_lg_u32 s23, 0
	s_cselect_b32 s23, -1, 0
	s_or_b32 s24, s23, vcc_lo
	v_add_co_u32 v4, vcc_lo, v4, s44
	s_and_b32 s24, exec_lo, s24
	v_add_co_ci_u32_e32 v5, vcc_lo, s45, v5, vcc_lo
	s_or_b32 s12, s24, s12
	s_and_not1_b32 s13, s13, exec_lo
	s_and_b32 s23, s23, exec_lo
	s_delay_alu instid0(SALU_CYCLE_1)
	s_or_b32 s13, s13, s23
	s_and_not1_b32 exec_lo, exec_lo, s12
	s_cbranch_execz .LBB20_193
.LBB20_184:                             ;   Parent Loop BB20_8 Depth=1
                                        ; =>  This Inner Loop Header: Depth=2
	s_delay_alu instid0(VALU_DEP_1)
	v_cmp_gt_i64_e32 vcc_lo, s[36:37], v[6:7]
	v_mov_b32_e32 v24, 0
	s_and_saveexec_b32 s23, vcc_lo
	s_cbranch_execz .LBB20_186
; %bb.185:                              ;   in Loop: Header=BB20_184 Depth=2
	global_load_b32 v24, v[4:5], off
.LBB20_186:                             ;   in Loop: Header=BB20_184 Depth=2
	s_or_b32 exec_lo, exec_lo, s23
	s_and_saveexec_b32 s23, vcc_lo
	s_cbranch_execz .LBB20_183
; %bb.187:                              ;   in Loop: Header=BB20_184 Depth=2
	s_waitcnt vmcnt(0)
	v_xor_b32_e32 v8, 0x80000000, v24
	s_delay_alu instid0(VALU_DEP_1) | instskip(NEXT) | instid1(VALU_DEP_1)
	v_and_b32_e32 v8, s87, v8
	v_cmp_eq_u32_e32 vcc_lo, s88, v8
	s_and_b32 exec_lo, exec_lo, vcc_lo
	s_cbranch_execz .LBB20_183
; %bb.188:                              ;   in Loop: Header=BB20_184 Depth=2
	ds_store_b64 v13, v[23:24] offset:3072
	s_branch .LBB20_183
.LBB20_189:                             ;   in Loop: Header=BB20_8 Depth=1
                                        ; implicit-def: $sgpr12
                                        ; implicit-def: $sgpr23
                                        ; implicit-def: $sgpr13
	s_branch .LBB20_208
.LBB20_190:                             ;   in Loop: Header=BB20_8 Depth=1
                                        ; implicit-def: $vgpr2_vgpr3
	s_branch .LBB20_133
.LBB20_191:                             ;   in Loop: Header=BB20_8 Depth=1
                                        ; implicit-def: $vgpr2_vgpr3
	s_branch .LBB20_150
.LBB20_192:                             ;   in Loop: Header=BB20_8 Depth=1
	s_mov_b32 s12, -1
	s_mov_b32 s24, 0
                                        ; implicit-def: $sgpr13
                                        ; implicit-def: $vgpr25
	s_mov_b32 s23, s12
	s_cbranch_execnz .LBB20_195
	s_branch .LBB20_208
.LBB20_193:                             ;   in Loop: Header=BB20_8 Depth=1
	s_set_inst_prefetch_distance 0x2
	s_or_b32 exec_lo, exec_lo, s12
	s_delay_alu instid0(SALU_CYCLE_1)
	s_and_b32 s24, s13, exec_lo
.LBB20_194:                             ;   in Loop: Header=BB20_8 Depth=1
	s_or_b32 exec_lo, exec_lo, s5
	s_mov_b32 s13, -1
	s_mov_b32 s12, 0
	s_delay_alu instid0(SALU_CYCLE_1)
	s_mov_b32 s23, s12
	s_branch .LBB20_208
.LBB20_195:                             ;   in Loop: Header=BB20_8 Depth=1
	s_add_u32 s23, s69, s10
	s_addc_u32 s13, s70, s11
	s_mov_b32 s12, s49
	s_delay_alu instid0(SALU_CYCLE_1)
	s_cmp_lg_u64 s[12:13], 0
	s_cbranch_scc0 .LBB20_238
; %bb.196:                              ;   in Loop: Header=BB20_8 Depth=1
	v_cvt_f32_u32_e32 v2, s27
	s_sub_u32 s24, 0, s27
	s_subb_u32 s48, 0, 0
	s_delay_alu instid0(VALU_DEP_1) | instskip(NEXT) | instid1(VALU_DEP_1)
	v_fmac_f32_e32 v2, 0x4f800000, v41
	v_rcp_f32_e32 v2, v2
	s_waitcnt_depctr 0xfff
	v_mul_f32_e32 v2, 0x5f7ffffc, v2
	s_delay_alu instid0(VALU_DEP_1) | instskip(NEXT) | instid1(VALU_DEP_1)
	v_mul_f32_e32 v3, 0x2f800000, v2
	v_trunc_f32_e32 v3, v3
	s_delay_alu instid0(VALU_DEP_1) | instskip(SKIP_1) | instid1(VALU_DEP_2)
	v_fmac_f32_e32 v2, 0xcf800000, v3
	v_cvt_u32_f32_e32 v3, v3
	v_cvt_u32_f32_e32 v2, v2
	s_delay_alu instid0(VALU_DEP_2) | instskip(NEXT) | instid1(VALU_DEP_2)
	v_readfirstlane_b32 s5, v3
	v_readfirstlane_b32 s12, v2
	s_delay_alu instid0(VALU_DEP_2) | instskip(NEXT) | instid1(VALU_DEP_1)
	s_mul_i32 s57, s24, s5
	s_mul_hi_u32 s59, s24, s12
	s_mul_i32 s58, s48, s12
	s_add_i32 s57, s59, s57
	s_mul_i32 s60, s24, s12
	s_add_i32 s57, s57, s58
	s_mul_hi_u32 s59, s12, s60
	s_mul_hi_u32 s61, s5, s60
	s_mul_i32 s58, s5, s60
	s_mul_hi_u32 s60, s12, s57
	s_mul_i32 s12, s12, s57
	s_mul_hi_u32 s62, s5, s57
	s_add_u32 s12, s59, s12
	s_addc_u32 s59, 0, s60
	s_add_u32 s12, s12, s58
	s_mul_i32 s57, s5, s57
	s_addc_u32 s12, s59, s61
	s_addc_u32 s58, s62, 0
	s_add_u32 s12, s12, s57
	s_addc_u32 s57, 0, s58
	v_add_co_u32 v2, s12, v2, s12
	s_delay_alu instid0(VALU_DEP_1) | instskip(SKIP_1) | instid1(VALU_DEP_1)
	s_cmp_lg_u32 s12, 0
	s_addc_u32 s5, s5, s57
	v_readfirstlane_b32 s12, v2
	s_mul_i32 s57, s24, s5
	s_delay_alu instid0(VALU_DEP_1)
	s_mul_hi_u32 s58, s24, s12
	s_mul_i32 s48, s48, s12
	s_add_i32 s57, s58, s57
	s_mul_i32 s24, s24, s12
	s_add_i32 s57, s57, s48
	s_mul_hi_u32 s58, s5, s24
	s_mul_i32 s59, s5, s24
	s_mul_hi_u32 s24, s12, s24
	s_mul_hi_u32 s60, s12, s57
	s_mul_i32 s12, s12, s57
	s_mul_hi_u32 s48, s5, s57
	s_add_u32 s12, s24, s12
	s_addc_u32 s24, 0, s60
	s_add_u32 s12, s12, s59
	s_mul_i32 s57, s5, s57
	s_addc_u32 s12, s24, s58
	s_addc_u32 s24, s48, 0
	s_add_u32 s12, s12, s57
	s_addc_u32 s24, 0, s24
	v_add_co_u32 v2, s12, v2, s12
	s_delay_alu instid0(VALU_DEP_1) | instskip(SKIP_2) | instid1(VALU_DEP_1)
	s_cmp_lg_u32 s12, 0
	s_addc_u32 s5, s5, s24
	s_ashr_i32 s58, s13, 31
	v_readfirstlane_b32 s12, v2
	s_add_u32 s60, s23, s58
	s_mov_b32 s59, s58
	s_addc_u32 s61, s13, s58
	s_delay_alu instid0(SALU_CYCLE_1) | instskip(NEXT) | instid1(SALU_CYCLE_1)
	s_xor_b64 s[60:61], s[60:61], s[58:59]
	s_mul_i32 s48, s60, s5
	s_mul_hi_u32 s57, s60, s12
	s_mul_hi_u32 s24, s60, s5
	;; [unrolled: 1-line block ×3, first 2 shown]
	s_mul_i32 s12, s61, s12
	s_add_u32 s48, s57, s48
	s_addc_u32 s24, 0, s24
	s_mul_hi_u32 s59, s61, s5
	s_add_u32 s12, s48, s12
	s_mul_i32 s5, s61, s5
	s_addc_u32 s12, s24, s62
	s_addc_u32 s24, s59, 0
	s_add_u32 s5, s12, s5
	s_addc_u32 s12, 0, s24
	s_mul_hi_u32 s24, s27, s5
	s_mul_i32 s5, s27, s5
	s_mul_i32 s12, s27, s12
	v_sub_co_u32 v2, s5, s60, s5
	s_add_i32 s24, s24, s12
	s_cmp_lg_u32 s5, 0
	s_delay_alu instid0(VALU_DEP_1) | instskip(SKIP_2) | instid1(VALU_DEP_1)
	v_sub_co_u32 v3, s5, v2, s27
	s_subb_u32 s12, s61, s24
	s_cmp_lg_u32 s5, 0
	v_cmp_le_u32_e32 vcc_lo, s27, v3
	v_sub_co_u32 v4, s5, v3, s27
	s_subb_u32 s24, s12, 0
	s_cmp_lg_u32 s5, 0
	v_cndmask_b32_e64 v5, 0, -1, vcc_lo
	s_subb_u32 s5, s24, 0
	s_cmp_eq_u32 s24, 0
	v_mov_b32_e32 v7, s5
	s_cselect_b32 vcc_lo, -1, 0
	s_cmp_eq_u32 s12, 0
	v_cndmask_b32_e32 v5, -1, v5, vcc_lo
	v_cmp_le_u32_e32 vcc_lo, s27, v2
	s_cselect_b32 s5, -1, 0
	v_cndmask_b32_e64 v6, 0, -1, vcc_lo
	s_delay_alu instid0(VALU_DEP_3) | instskip(NEXT) | instid1(VALU_DEP_2)
	v_cmp_ne_u32_e32 vcc_lo, 0, v5
	v_cndmask_b32_e64 v5, -1, v6, s5
	v_cndmask_b32_e32 v3, v3, v4, vcc_lo
	v_cndmask_b32_e32 v6, s24, v7, vcc_lo
	s_delay_alu instid0(VALU_DEP_3) | instskip(NEXT) | instid1(VALU_DEP_3)
	v_cmp_ne_u32_e32 vcc_lo, 0, v5
	v_cndmask_b32_e32 v2, v2, v3, vcc_lo
	s_delay_alu instid0(VALU_DEP_3) | instskip(NEXT) | instid1(VALU_DEP_2)
	v_cndmask_b32_e32 v4, s12, v6, vcc_lo
	v_xor_b32_e32 v2, s58, v2
	s_delay_alu instid0(VALU_DEP_2) | instskip(NEXT) | instid1(VALU_DEP_2)
	v_xor_b32_e32 v3, s58, v4
	v_sub_co_u32 v2, vcc_lo, v2, s58
	s_delay_alu instid0(VALU_DEP_2)
	v_subrev_co_ci_u32_e32 v3, vcc_lo, s58, v3, vcc_lo
	s_cbranch_execnz .LBB20_198
.LBB20_197:                             ;   in Loop: Header=BB20_8 Depth=1
	v_cvt_f32_u32_e32 v2, s27
	s_sub_i32 s5, 0, s27
	s_delay_alu instid0(VALU_DEP_1) | instskip(SKIP_2) | instid1(VALU_DEP_1)
	v_rcp_iflag_f32_e32 v2, v2
	s_waitcnt_depctr 0xfff
	v_mul_f32_e32 v2, 0x4f7ffffe, v2
	v_cvt_u32_f32_e32 v2, v2
	s_delay_alu instid0(VALU_DEP_1) | instskip(NEXT) | instid1(VALU_DEP_1)
	v_mul_lo_u32 v3, s5, v2
	v_mul_hi_u32 v3, v2, v3
	s_delay_alu instid0(VALU_DEP_1) | instskip(NEXT) | instid1(VALU_DEP_1)
	v_add_nc_u32_e32 v2, v2, v3
	v_mul_hi_u32 v2, s23, v2
	s_delay_alu instid0(VALU_DEP_1) | instskip(NEXT) | instid1(VALU_DEP_1)
	v_mul_lo_u32 v2, v2, s27
	v_sub_nc_u32_e32 v2, s23, v2
	s_delay_alu instid0(VALU_DEP_1) | instskip(SKIP_1) | instid1(VALU_DEP_2)
	v_subrev_nc_u32_e32 v3, s27, v2
	v_cmp_le_u32_e32 vcc_lo, s27, v2
	v_cndmask_b32_e32 v2, v2, v3, vcc_lo
	s_delay_alu instid0(VALU_DEP_1) | instskip(SKIP_1) | instid1(VALU_DEP_2)
	v_subrev_nc_u32_e32 v3, s27, v2
	v_cmp_le_u32_e32 vcc_lo, s27, v2
	v_cndmask_b32_e32 v12, v2, v3, vcc_lo
	s_delay_alu instid0(VALU_DEP_1)
	v_dual_mov_b32 v2, v12 :: v_dual_mov_b32 v3, v13
.LBB20_198:                             ;   in Loop: Header=BB20_8 Depth=1
	s_delay_alu instid0(VALU_DEP_1) | instskip(NEXT) | instid1(VALU_DEP_2)
	v_sub_co_u32 v2, vcc_lo, s23, v2
	v_sub_co_ci_u32_e32 v3, vcc_lo, s13, v3, vcc_lo
	s_mov_b32 s24, 0
	s_mov_b32 s5, exec_lo
                                        ; implicit-def: $vgpr25
	s_delay_alu instid0(VALU_DEP_1)
	v_cmpx_gt_i64_e64 v[2:3], v[0:1]
	s_cbranch_execz .LBB20_207
; %bb.199:                              ;   in Loop: Header=BB20_8 Depth=1
	v_dual_mov_b32 v6, v14 :: v_dual_mov_b32 v5, v1
	v_mov_b32_e32 v4, v0
	s_mov_b32 s12, 0
                                        ; implicit-def: $sgpr13
	s_set_inst_prefetch_distance 0x1
	s_branch .LBB20_201
	.p2align	6
.LBB20_200:                             ;   in Loop: Header=BB20_201 Depth=2
	s_or_b32 exec_lo, exec_lo, s23
	s_waitcnt lgkmcnt(0)
	s_barrier
	buffer_gl0_inv
	ds_load_b64 v[24:25], v13 offset:3072
	v_add_co_u32 v4, vcc_lo, v4, s27
	v_add_co_ci_u32_e32 v5, vcc_lo, 0, v5, vcc_lo
	v_add_nc_u32_e32 v6, s77, v6
	s_waitcnt lgkmcnt(0)
	s_barrier
	s_delay_alu instid0(VALU_DEP_2) | instskip(SKIP_2) | instid1(VALU_DEP_1)
	v_cmp_ge_i64_e32 vcc_lo, v[4:5], v[2:3]
	buffer_gl0_inv
	v_readfirstlane_b32 s23, v24
	s_cmp_lg_u32 s23, 0
	s_cselect_b32 s23, -1, 0
	s_delay_alu instid0(SALU_CYCLE_1) | instskip(NEXT) | instid1(SALU_CYCLE_1)
	s_or_b32 s24, s23, vcc_lo
	s_and_b32 s24, exec_lo, s24
	s_delay_alu instid0(SALU_CYCLE_1) | instskip(SKIP_2) | instid1(SALU_CYCLE_1)
	s_or_b32 s12, s24, s12
	s_and_not1_b32 s13, s13, exec_lo
	s_and_b32 s23, s23, exec_lo
	s_or_b32 s13, s13, s23
	s_and_not1_b32 exec_lo, exec_lo, s12
	s_cbranch_execz .LBB20_206
.LBB20_201:                             ;   Parent Loop BB20_8 Depth=1
                                        ; =>  This Inner Loop Header: Depth=2
	s_delay_alu instid0(VALU_DEP_1)
	v_cmp_gt_i64_e32 vcc_lo, s[10:11], v[4:5]
	v_mov_b32_e32 v24, 0
	s_and_saveexec_b32 s23, vcc_lo
	s_cbranch_execz .LBB20_203
; %bb.202:                              ;   in Loop: Header=BB20_201 Depth=2
	ds_load_b32 v24, v6
.LBB20_203:                             ;   in Loop: Header=BB20_201 Depth=2
	s_or_b32 exec_lo, exec_lo, s23
	s_and_saveexec_b32 s23, vcc_lo
	s_cbranch_execz .LBB20_200
; %bb.204:                              ;   in Loop: Header=BB20_201 Depth=2
	s_waitcnt lgkmcnt(0)
	v_xor_b32_e32 v7, 0x80000000, v24
	s_delay_alu instid0(VALU_DEP_1) | instskip(NEXT) | instid1(VALU_DEP_1)
	v_and_b32_e32 v7, s87, v7
	v_cmp_eq_u32_e32 vcc_lo, s88, v7
	s_and_b32 exec_lo, exec_lo, vcc_lo
	s_cbranch_execz .LBB20_200
; %bb.205:                              ;   in Loop: Header=BB20_201 Depth=2
	ds_store_b64 v13, v[23:24] offset:3072
	s_branch .LBB20_200
.LBB20_206:                             ;   in Loop: Header=BB20_8 Depth=1
	s_set_inst_prefetch_distance 0x2
	s_or_b32 exec_lo, exec_lo, s12
	s_delay_alu instid0(SALU_CYCLE_1)
	s_and_b32 s24, s13, exec_lo
.LBB20_207:                             ;   in Loop: Header=BB20_8 Depth=1
	s_or_b32 exec_lo, exec_lo, s5
	s_mov_b32 s23, -1
	s_mov_b32 s12, 0
	s_mov_b32 s13, 0
.LBB20_208:                             ;   in Loop: Header=BB20_8 Depth=1
	s_mov_b32 s10, 0
                                        ; implicit-def: $sgpr5
	s_and_saveexec_b32 s48, s24
	s_cbranch_execz .LBB20_270
; %bb.209:                              ;   in Loop: Header=BB20_8 Depth=1
	s_xor_b32 s5, s56, -1
	s_delay_alu instid0(SALU_CYCLE_1)
	s_and_not1_b32 vcc_lo, exec_lo, s5
	s_mov_b32 s5, 1
	s_cbranch_vccnz .LBB20_220
; %bb.210:                              ;   in Loop: Header=BB20_8 Depth=1
	v_cmp_gt_i64_e64 s5, s[38:39], s[8:9]
	s_mov_b32 s10, -1
                                        ; implicit-def: $sgpr11
                                        ; implicit-def: $sgpr24
	s_delay_alu instid0(VALU_DEP_1)
	s_and_b32 vcc_lo, exec_lo, s5
                                        ; implicit-def: $sgpr5
	s_cbranch_vccnz .LBB20_216
; %bb.211:                              ;   in Loop: Header=BB20_8 Depth=1
	ds_load_b64 v[2:3], v13 offset:5120
	s_waitcnt lgkmcnt(0)
	v_cmp_ne_u64_e32 vcc_lo, 0, v[2:3]
	s_cbranch_vccnz .LBB20_215
; %bb.212:                              ;   in Loop: Header=BB20_8 Depth=1
	s_and_saveexec_b32 s5, s0
	s_cbranch_execz .LBB20_214
; %bb.213:                              ;   in Loop: Header=BB20_8 Depth=1
	v_dual_mov_b32 v2, s8 :: v_dual_mov_b32 v3, s9
	ds_store_b64 v13, v[2:3] offset:5128
.LBB20_214:                             ;   in Loop: Header=BB20_8 Depth=1
	s_or_b32 exec_lo, exec_lo, s5
	s_waitcnt lgkmcnt(0)
	s_barrier
	buffer_gl0_inv
.LBB20_215:                             ;   in Loop: Header=BB20_8 Depth=1
	s_lshl_b32 s5, 2, s19
	s_and_b32 s10, s88, s20
	s_or_b32 s24, s87, s18
	s_or_b32 s11, s10, s5
	s_mov_b32 s10, 0
	s_mov_b32 s5, 8
.LBB20_216:                             ;   in Loop: Header=BB20_8 Depth=1
	s_and_not1_b32 vcc_lo, exec_lo, s10
	s_cbranch_vccnz .LBB20_218
; %bb.217:                              ;   in Loop: Header=BB20_8 Depth=1
	s_sub_u32 s38, s38, s8
	s_subb_u32 s39, s39, s9
	s_mov_b32 s10, -1
	s_mov_b32 s5, 0
	s_mov_b32 s11, s88
	;; [unrolled: 1-line block ×3, first 2 shown]
.LBB20_218:                             ;   in Loop: Header=BB20_8 Depth=1
	s_delay_alu instid0(SALU_CYCLE_1)
	s_mov_b32 s87, s24
	s_mov_b32 s88, s11
	s_and_not1_b32 vcc_lo, exec_lo, s10
	s_mov_b32 s57, -1
	s_cbranch_vccz .LBB20_221
.LBB20_219:                             ;   in Loop: Header=BB20_8 Depth=1
                                        ; implicit-def: $sgpr10
                                        ; implicit-def: $sgpr20
                                        ; implicit-def: $sgpr11
	s_branch .LBB20_269
.LBB20_220:                             ;   in Loop: Header=BB20_8 Depth=1
	s_mov_b64 s[38:39], 1
	s_and_not1_b32 vcc_lo, exec_lo, s10
	s_mov_b32 s57, -1
	s_cbranch_vccnz .LBB20_219
.LBB20_221:                             ;   in Loop: Header=BB20_8 Depth=1
	s_cmp_eq_u64 s[6:7], 1
	s_mov_b32 s24, -1
	s_cselect_b32 s5, -1, 0
	s_cmp_eq_u64 s[38:39], 1
	s_cselect_b32 s8, -1, 0
	s_delay_alu instid0(SALU_CYCLE_1) | instskip(NEXT) | instid1(SALU_CYCLE_1)
	s_and_b32 s19, s5, s8
	s_and_b32 vcc_lo, exec_lo, s19
	s_cbranch_vccz .LBB20_236
; %bb.222:                              ;   in Loop: Header=BB20_8 Depth=1
	ds_load_b64 v[2:3], v13 offset:5120
	s_waitcnt lgkmcnt(0)
	s_barrier
	buffer_gl0_inv
	v_readfirstlane_b32 s8, v2
	v_readfirstlane_b32 s9, v3
	s_and_saveexec_b32 s5, s3
	s_cbranch_execz .LBB20_224
; %bb.223:                              ;   in Loop: Header=BB20_8 Depth=1
	ds_store_b32 v33, v13
.LBB20_224:                             ;   in Loop: Header=BB20_8 Depth=1
	s_or_b32 exec_lo, exec_lo, s5
	s_delay_alu instid0(VALU_DEP_1)
	v_cmp_gt_i64_e64 s5, s[8:9], 0
	s_or_b32 s88, s88, s18
	s_or_b32 s87, s87, s18
	s_waitcnt lgkmcnt(0)
	s_barrier
	buffer_gl0_inv
	s_and_b32 vcc_lo, exec_lo, s5
	s_cbranch_vccnz .LBB20_239
; %bb.225:                              ;   in Loop: Header=BB20_8 Depth=1
	s_mov_b32 s24, s49
	s_delay_alu instid0(SALU_CYCLE_1)
	s_cmp_lg_u64 s[24:25], 0
	s_cbranch_scc0 .LBB20_275
; %bb.226:                              ;   in Loop: Header=BB20_8 Depth=1
	v_cvt_f32_u32_e32 v2, s27
	s_sub_u32 s11, 0, s27
	s_subb_u32 s20, 0, 0
	s_delay_alu instid0(VALU_DEP_1) | instskip(NEXT) | instid1(VALU_DEP_1)
	v_fmac_f32_e32 v2, 0x4f800000, v41
	v_rcp_f32_e32 v2, v2
	s_waitcnt_depctr 0xfff
	v_mul_f32_e32 v2, 0x5f7ffffc, v2
	s_delay_alu instid0(VALU_DEP_1) | instskip(NEXT) | instid1(VALU_DEP_1)
	v_mul_f32_e32 v3, 0x2f800000, v2
	v_trunc_f32_e32 v3, v3
	s_delay_alu instid0(VALU_DEP_1) | instskip(SKIP_1) | instid1(VALU_DEP_2)
	v_fmac_f32_e32 v2, 0xcf800000, v3
	v_cvt_u32_f32_e32 v3, v3
	v_cvt_u32_f32_e32 v2, v2
	s_delay_alu instid0(VALU_DEP_2) | instskip(NEXT) | instid1(VALU_DEP_2)
	v_readfirstlane_b32 s5, v3
	v_readfirstlane_b32 s10, v2
	s_delay_alu instid0(VALU_DEP_2) | instskip(NEXT) | instid1(VALU_DEP_1)
	s_mul_i32 s24, s11, s5
	s_mul_hi_u32 s57, s11, s10
	s_mul_i32 s56, s20, s10
	s_add_i32 s24, s57, s24
	s_mul_i32 s58, s11, s10
	s_add_i32 s24, s24, s56
	s_mul_hi_u32 s57, s10, s58
	s_mul_hi_u32 s59, s5, s58
	s_mul_i32 s56, s5, s58
	s_mul_hi_u32 s58, s10, s24
	s_mul_i32 s10, s10, s24
	s_mul_hi_u32 s60, s5, s24
	s_add_u32 s10, s57, s10
	s_addc_u32 s57, 0, s58
	s_add_u32 s10, s10, s56
	s_mul_i32 s24, s5, s24
	s_addc_u32 s10, s57, s59
	s_addc_u32 s56, s60, 0
	s_add_u32 s10, s10, s24
	s_addc_u32 s24, 0, s56
	v_add_co_u32 v2, s10, v2, s10
	s_delay_alu instid0(VALU_DEP_1) | instskip(SKIP_1) | instid1(VALU_DEP_1)
	s_cmp_lg_u32 s10, 0
	s_addc_u32 s5, s5, s24
	v_readfirstlane_b32 s10, v2
	s_mul_i32 s24, s11, s5
	s_delay_alu instid0(VALU_DEP_1)
	s_mul_hi_u32 s56, s11, s10
	s_mul_i32 s20, s20, s10
	s_add_i32 s24, s56, s24
	s_mul_i32 s11, s11, s10
	s_add_i32 s24, s24, s20
	s_mul_hi_u32 s56, s5, s11
	s_mul_i32 s57, s5, s11
	s_mul_hi_u32 s11, s10, s11
	s_mul_hi_u32 s58, s10, s24
	s_mul_i32 s10, s10, s24
	s_mul_hi_u32 s20, s5, s24
	s_add_u32 s10, s11, s10
	s_addc_u32 s11, 0, s58
	s_add_u32 s10, s10, s57
	s_mul_i32 s24, s5, s24
	s_addc_u32 s10, s11, s56
	s_addc_u32 s11, s20, 0
	s_add_u32 s10, s10, s24
	s_addc_u32 s11, 0, s11
	v_add_co_u32 v2, s10, v2, s10
	s_delay_alu instid0(VALU_DEP_1) | instskip(SKIP_2) | instid1(VALU_DEP_1)
	s_cmp_lg_u32 s10, 0
	s_addc_u32 s5, s5, s11
	s_ashr_i32 s10, s25, 31
	v_readfirstlane_b32 s20, v2
	s_add_u32 s56, s71, s10
	s_mov_b32 s11, s10
	s_addc_u32 s57, s25, s10
	s_delay_alu instid0(SALU_CYCLE_1) | instskip(NEXT) | instid1(SALU_CYCLE_1)
	s_xor_b64 s[56:57], s[56:57], s[10:11]
	s_mul_i32 s24, s56, s5
	s_mul_hi_u32 s58, s56, s20
	s_mul_hi_u32 s11, s56, s5
	;; [unrolled: 1-line block ×3, first 2 shown]
	s_mul_i32 s20, s57, s20
	s_add_u32 s24, s58, s24
	s_addc_u32 s11, 0, s11
	s_mul_hi_u32 s59, s57, s5
	s_add_u32 s20, s24, s20
	s_mul_i32 s5, s57, s5
	s_addc_u32 s11, s11, s60
	s_addc_u32 s20, s59, 0
	s_add_u32 s5, s11, s5
	s_addc_u32 s11, 0, s20
	s_mul_hi_u32 s20, s27, s5
	s_mul_i32 s5, s27, s5
	s_mul_i32 s11, s27, s11
	v_sub_co_u32 v2, s5, s56, s5
	s_add_i32 s20, s20, s11
	s_cmp_lg_u32 s5, 0
	s_delay_alu instid0(VALU_DEP_1) | instskip(SKIP_2) | instid1(VALU_DEP_1)
	v_sub_co_u32 v3, s5, v2, s27
	s_subb_u32 s11, s57, s20
	s_cmp_lg_u32 s5, 0
	v_cmp_le_u32_e32 vcc_lo, s27, v3
	v_sub_co_u32 v4, s5, v3, s27
	s_subb_u32 s20, s11, 0
	s_cmp_lg_u32 s5, 0
	v_cndmask_b32_e64 v5, 0, -1, vcc_lo
	s_subb_u32 s5, s20, 0
	s_cmp_eq_u32 s20, 0
	v_mov_b32_e32 v7, s5
	s_cselect_b32 vcc_lo, -1, 0
	s_cmp_eq_u32 s11, 0
	v_cndmask_b32_e32 v5, -1, v5, vcc_lo
	v_cmp_le_u32_e32 vcc_lo, s27, v2
	s_cselect_b32 s5, -1, 0
	v_cndmask_b32_e64 v6, 0, -1, vcc_lo
	s_delay_alu instid0(VALU_DEP_3) | instskip(NEXT) | instid1(VALU_DEP_2)
	v_cmp_ne_u32_e32 vcc_lo, 0, v5
	v_cndmask_b32_e64 v5, -1, v6, s5
	v_cndmask_b32_e32 v3, v3, v4, vcc_lo
	v_cndmask_b32_e32 v6, s20, v7, vcc_lo
	s_delay_alu instid0(VALU_DEP_3) | instskip(NEXT) | instid1(VALU_DEP_3)
	v_cmp_ne_u32_e32 vcc_lo, 0, v5
	v_cndmask_b32_e32 v2, v2, v3, vcc_lo
	s_delay_alu instid0(VALU_DEP_3) | instskip(NEXT) | instid1(VALU_DEP_2)
	v_cndmask_b32_e32 v4, s11, v6, vcc_lo
	v_xor_b32_e32 v2, s10, v2
	s_delay_alu instid0(VALU_DEP_2) | instskip(NEXT) | instid1(VALU_DEP_2)
	v_xor_b32_e32 v3, s10, v4
	v_sub_co_u32 v2, vcc_lo, v2, s10
	s_delay_alu instid0(VALU_DEP_2)
	v_subrev_co_ci_u32_e32 v3, vcc_lo, s10, v3, vcc_lo
	s_cbranch_execnz .LBB20_228
.LBB20_227:                             ;   in Loop: Header=BB20_8 Depth=1
	v_cvt_f32_u32_e32 v2, s27
	s_sub_i32 s5, 0, s27
	s_delay_alu instid0(VALU_DEP_1) | instskip(SKIP_2) | instid1(VALU_DEP_1)
	v_rcp_iflag_f32_e32 v2, v2
	s_waitcnt_depctr 0xfff
	v_mul_f32_e32 v2, 0x4f7ffffe, v2
	v_cvt_u32_f32_e32 v2, v2
	s_delay_alu instid0(VALU_DEP_1) | instskip(NEXT) | instid1(VALU_DEP_1)
	v_mul_lo_u32 v3, s5, v2
	v_mul_hi_u32 v3, v2, v3
	s_delay_alu instid0(VALU_DEP_1) | instskip(NEXT) | instid1(VALU_DEP_1)
	v_add_nc_u32_e32 v2, v2, v3
	v_mul_hi_u32 v2, s71, v2
	s_delay_alu instid0(VALU_DEP_1) | instskip(NEXT) | instid1(VALU_DEP_1)
	v_mul_lo_u32 v2, v2, s27
	v_sub_nc_u32_e32 v2, s71, v2
	s_delay_alu instid0(VALU_DEP_1) | instskip(SKIP_1) | instid1(VALU_DEP_2)
	v_subrev_nc_u32_e32 v3, s27, v2
	v_cmp_le_u32_e32 vcc_lo, s27, v2
	v_cndmask_b32_e32 v2, v2, v3, vcc_lo
	s_delay_alu instid0(VALU_DEP_1) | instskip(SKIP_1) | instid1(VALU_DEP_2)
	v_subrev_nc_u32_e32 v3, s27, v2
	v_cmp_le_u32_e32 vcc_lo, s27, v2
	v_cndmask_b32_e32 v12, v2, v3, vcc_lo
	s_delay_alu instid0(VALU_DEP_1)
	v_dual_mov_b32 v2, v12 :: v_dual_mov_b32 v3, v13
.LBB20_228:                             ;   in Loop: Header=BB20_8 Depth=1
	s_delay_alu instid0(VALU_DEP_1) | instskip(NEXT) | instid1(VALU_DEP_2)
	v_sub_co_u32 v2, vcc_lo, s71, v2
	v_sub_co_ci_u32_e32 v3, vcc_lo, s25, v3, vcc_lo
	s_mov_b32 s24, 0
	s_mov_b32 s5, exec_lo
                                        ; implicit-def: $vgpr25
	s_delay_alu instid0(VALU_DEP_1)
	v_cmpx_gt_i64_e64 v[2:3], v[0:1]
	s_cbranch_execz .LBB20_241
; %bb.229:                              ;   in Loop: Header=BB20_8 Depth=1
	v_dual_mov_b32 v4, v10 :: v_dual_mov_b32 v5, v11
	v_dual_mov_b32 v7, v1 :: v_dual_mov_b32 v6, v0
	s_mov_b32 s10, 0
                                        ; implicit-def: $sgpr11
	s_set_inst_prefetch_distance 0x1
	s_branch .LBB20_231
	.p2align	6
.LBB20_230:                             ;   in Loop: Header=BB20_231 Depth=2
	s_or_b32 exec_lo, exec_lo, s20
	s_waitcnt vmcnt(0) lgkmcnt(0)
	s_barrier
	buffer_gl0_inv
	ds_load_b64 v[24:25], v13 offset:3072
	v_add_co_u32 v6, vcc_lo, v6, s27
	v_add_co_ci_u32_e32 v7, vcc_lo, 0, v7, vcc_lo
	s_waitcnt lgkmcnt(0)
	s_barrier
	buffer_gl0_inv
	v_cmp_ge_i64_e32 vcc_lo, v[6:7], v[2:3]
	v_readfirstlane_b32 s20, v24
	s_delay_alu instid0(VALU_DEP_1) | instskip(SKIP_1) | instid1(SALU_CYCLE_1)
	s_cmp_lg_u32 s20, 0
	s_cselect_b32 s20, -1, 0
	s_or_b32 s24, s20, vcc_lo
	v_add_co_u32 v4, vcc_lo, v4, s44
	s_and_b32 s24, exec_lo, s24
	v_add_co_ci_u32_e32 v5, vcc_lo, s45, v5, vcc_lo
	s_or_b32 s10, s24, s10
	s_and_not1_b32 s11, s11, exec_lo
	s_and_b32 s20, s20, exec_lo
	s_delay_alu instid0(SALU_CYCLE_1)
	s_or_b32 s11, s11, s20
	s_and_not1_b32 exec_lo, exec_lo, s10
	s_cbranch_execz .LBB20_240
.LBB20_231:                             ;   Parent Loop BB20_8 Depth=1
                                        ; =>  This Inner Loop Header: Depth=2
	s_delay_alu instid0(VALU_DEP_1)
	v_cmp_gt_i64_e32 vcc_lo, s[36:37], v[6:7]
	v_mov_b32_e32 v24, 0
	s_and_saveexec_b32 s20, vcc_lo
	s_cbranch_execz .LBB20_233
; %bb.232:                              ;   in Loop: Header=BB20_231 Depth=2
	global_load_b32 v24, v[4:5], off
.LBB20_233:                             ;   in Loop: Header=BB20_231 Depth=2
	s_or_b32 exec_lo, exec_lo, s20
	s_and_saveexec_b32 s20, vcc_lo
	s_cbranch_execz .LBB20_230
; %bb.234:                              ;   in Loop: Header=BB20_231 Depth=2
	s_waitcnt vmcnt(0)
	v_xor_b32_e32 v8, 0x80000000, v24
	s_delay_alu instid0(VALU_DEP_1) | instskip(NEXT) | instid1(VALU_DEP_1)
	v_and_b32_e32 v8, s87, v8
	v_cmp_eq_u32_e32 vcc_lo, s88, v8
	s_and_b32 exec_lo, exec_lo, vcc_lo
	s_cbranch_execz .LBB20_230
; %bb.235:                              ;   in Loop: Header=BB20_231 Depth=2
	ds_store_b64 v13, v[23:24] offset:3072
	s_branch .LBB20_230
.LBB20_236:                             ;   in Loop: Header=BB20_8 Depth=1
                                        ; implicit-def: $sgpr10
                                        ; implicit-def: $sgpr20
                                        ; implicit-def: $sgpr11
	s_branch .LBB20_255
.LBB20_237:                             ;   in Loop: Header=BB20_8 Depth=1
                                        ; implicit-def: $vgpr2_vgpr3
	s_branch .LBB20_180
.LBB20_238:                             ;   in Loop: Header=BB20_8 Depth=1
                                        ; implicit-def: $vgpr2_vgpr3
	s_branch .LBB20_197
.LBB20_239:                             ;   in Loop: Header=BB20_8 Depth=1
	s_mov_b32 s10, -1
	s_mov_b32 s24, 0
                                        ; implicit-def: $sgpr11
                                        ; implicit-def: $vgpr25
	s_mov_b32 s20, s10
	s_cbranch_execnz .LBB20_242
	s_branch .LBB20_255
.LBB20_240:                             ;   in Loop: Header=BB20_8 Depth=1
	s_set_inst_prefetch_distance 0x2
	s_or_b32 exec_lo, exec_lo, s10
	s_delay_alu instid0(SALU_CYCLE_1)
	s_and_b32 s24, s11, exec_lo
.LBB20_241:                             ;   in Loop: Header=BB20_8 Depth=1
	s_or_b32 exec_lo, exec_lo, s5
	s_mov_b32 s11, -1
	s_mov_b32 s10, 0
	s_delay_alu instid0(SALU_CYCLE_1)
	s_mov_b32 s20, s10
	s_branch .LBB20_255
.LBB20_242:                             ;   in Loop: Header=BB20_8 Depth=1
	s_add_u32 s20, s69, s8
	s_addc_u32 s11, s70, s9
	s_mov_b32 s10, s49
	s_delay_alu instid0(SALU_CYCLE_1)
	s_cmp_lg_u64 s[10:11], 0
	s_cbranch_scc0 .LBB20_276
; %bb.243:                              ;   in Loop: Header=BB20_8 Depth=1
	v_cvt_f32_u32_e32 v2, s27
	s_sub_u32 s24, 0, s27
	s_subb_u32 s56, 0, 0
	s_delay_alu instid0(VALU_DEP_1) | instskip(NEXT) | instid1(VALU_DEP_1)
	v_fmac_f32_e32 v2, 0x4f800000, v41
	v_rcp_f32_e32 v2, v2
	s_waitcnt_depctr 0xfff
	v_mul_f32_e32 v2, 0x5f7ffffc, v2
	s_delay_alu instid0(VALU_DEP_1) | instskip(NEXT) | instid1(VALU_DEP_1)
	v_mul_f32_e32 v3, 0x2f800000, v2
	v_trunc_f32_e32 v3, v3
	s_delay_alu instid0(VALU_DEP_1) | instskip(SKIP_1) | instid1(VALU_DEP_2)
	v_fmac_f32_e32 v2, 0xcf800000, v3
	v_cvt_u32_f32_e32 v3, v3
	v_cvt_u32_f32_e32 v2, v2
	s_delay_alu instid0(VALU_DEP_2) | instskip(NEXT) | instid1(VALU_DEP_2)
	v_readfirstlane_b32 s5, v3
	v_readfirstlane_b32 s10, v2
	s_delay_alu instid0(VALU_DEP_2) | instskip(NEXT) | instid1(VALU_DEP_1)
	s_mul_i32 s57, s24, s5
	s_mul_hi_u32 s59, s24, s10
	s_mul_i32 s58, s56, s10
	s_add_i32 s57, s59, s57
	s_mul_i32 s60, s24, s10
	s_add_i32 s57, s57, s58
	s_mul_hi_u32 s59, s10, s60
	s_mul_hi_u32 s61, s5, s60
	s_mul_i32 s58, s5, s60
	s_mul_hi_u32 s60, s10, s57
	s_mul_i32 s10, s10, s57
	s_mul_hi_u32 s62, s5, s57
	s_add_u32 s10, s59, s10
	s_addc_u32 s59, 0, s60
	s_add_u32 s10, s10, s58
	s_mul_i32 s57, s5, s57
	s_addc_u32 s10, s59, s61
	s_addc_u32 s58, s62, 0
	s_add_u32 s10, s10, s57
	s_addc_u32 s57, 0, s58
	v_add_co_u32 v2, s10, v2, s10
	s_delay_alu instid0(VALU_DEP_1) | instskip(SKIP_1) | instid1(VALU_DEP_1)
	s_cmp_lg_u32 s10, 0
	s_addc_u32 s5, s5, s57
	v_readfirstlane_b32 s10, v2
	s_mul_i32 s57, s24, s5
	s_delay_alu instid0(VALU_DEP_1)
	s_mul_hi_u32 s58, s24, s10
	s_mul_i32 s56, s56, s10
	s_add_i32 s57, s58, s57
	s_mul_i32 s24, s24, s10
	s_add_i32 s57, s57, s56
	s_mul_hi_u32 s58, s5, s24
	s_mul_i32 s59, s5, s24
	s_mul_hi_u32 s24, s10, s24
	s_mul_hi_u32 s60, s10, s57
	s_mul_i32 s10, s10, s57
	s_mul_hi_u32 s56, s5, s57
	s_add_u32 s10, s24, s10
	s_addc_u32 s24, 0, s60
	s_add_u32 s10, s10, s59
	s_mul_i32 s57, s5, s57
	s_addc_u32 s10, s24, s58
	s_addc_u32 s24, s56, 0
	s_add_u32 s10, s10, s57
	s_addc_u32 s24, 0, s24
	v_add_co_u32 v2, s10, v2, s10
	s_delay_alu instid0(VALU_DEP_1) | instskip(SKIP_2) | instid1(VALU_DEP_1)
	s_cmp_lg_u32 s10, 0
	s_addc_u32 s5, s5, s24
	s_ashr_i32 s56, s11, 31
	v_readfirstlane_b32 s10, v2
	s_add_u32 s58, s20, s56
	s_mov_b32 s57, s56
	s_addc_u32 s59, s11, s56
	s_delay_alu instid0(SALU_CYCLE_1) | instskip(NEXT) | instid1(SALU_CYCLE_1)
	s_xor_b64 s[58:59], s[58:59], s[56:57]
	s_mul_i32 s57, s58, s5
	s_mul_hi_u32 s60, s58, s10
	s_mul_hi_u32 s24, s58, s5
	;; [unrolled: 1-line block ×3, first 2 shown]
	s_mul_i32 s10, s59, s10
	s_add_u32 s57, s60, s57
	s_addc_u32 s24, 0, s24
	s_mul_hi_u32 s61, s59, s5
	s_add_u32 s10, s57, s10
	s_mul_i32 s5, s59, s5
	s_addc_u32 s10, s24, s62
	s_addc_u32 s24, s61, 0
	s_add_u32 s5, s10, s5
	s_addc_u32 s10, 0, s24
	s_mul_hi_u32 s24, s27, s5
	s_mul_i32 s5, s27, s5
	s_mul_i32 s10, s27, s10
	v_sub_co_u32 v2, s5, s58, s5
	s_add_i32 s24, s24, s10
	s_cmp_lg_u32 s5, 0
	s_delay_alu instid0(VALU_DEP_1) | instskip(SKIP_2) | instid1(VALU_DEP_1)
	v_sub_co_u32 v3, s5, v2, s27
	s_subb_u32 s10, s59, s24
	s_cmp_lg_u32 s5, 0
	v_cmp_le_u32_e32 vcc_lo, s27, v3
	v_sub_co_u32 v4, s5, v3, s27
	s_subb_u32 s24, s10, 0
	s_cmp_lg_u32 s5, 0
	v_cndmask_b32_e64 v5, 0, -1, vcc_lo
	s_subb_u32 s5, s24, 0
	s_cmp_eq_u32 s24, 0
	v_mov_b32_e32 v7, s5
	s_cselect_b32 vcc_lo, -1, 0
	s_cmp_eq_u32 s10, 0
	v_cndmask_b32_e32 v5, -1, v5, vcc_lo
	v_cmp_le_u32_e32 vcc_lo, s27, v2
	s_cselect_b32 s5, -1, 0
	v_cndmask_b32_e64 v6, 0, -1, vcc_lo
	s_delay_alu instid0(VALU_DEP_3) | instskip(NEXT) | instid1(VALU_DEP_2)
	v_cmp_ne_u32_e32 vcc_lo, 0, v5
	v_cndmask_b32_e64 v5, -1, v6, s5
	v_cndmask_b32_e32 v3, v3, v4, vcc_lo
	v_cndmask_b32_e32 v6, s24, v7, vcc_lo
	s_delay_alu instid0(VALU_DEP_3) | instskip(NEXT) | instid1(VALU_DEP_3)
	v_cmp_ne_u32_e32 vcc_lo, 0, v5
	v_cndmask_b32_e32 v2, v2, v3, vcc_lo
	s_delay_alu instid0(VALU_DEP_3) | instskip(NEXT) | instid1(VALU_DEP_2)
	v_cndmask_b32_e32 v4, s10, v6, vcc_lo
	v_xor_b32_e32 v2, s56, v2
	s_delay_alu instid0(VALU_DEP_2) | instskip(NEXT) | instid1(VALU_DEP_2)
	v_xor_b32_e32 v3, s56, v4
	v_sub_co_u32 v2, vcc_lo, v2, s56
	s_delay_alu instid0(VALU_DEP_2)
	v_subrev_co_ci_u32_e32 v3, vcc_lo, s56, v3, vcc_lo
	s_cbranch_execnz .LBB20_245
.LBB20_244:                             ;   in Loop: Header=BB20_8 Depth=1
	v_cvt_f32_u32_e32 v2, s27
	s_sub_i32 s5, 0, s27
	s_delay_alu instid0(VALU_DEP_1) | instskip(SKIP_2) | instid1(VALU_DEP_1)
	v_rcp_iflag_f32_e32 v2, v2
	s_waitcnt_depctr 0xfff
	v_mul_f32_e32 v2, 0x4f7ffffe, v2
	v_cvt_u32_f32_e32 v2, v2
	s_delay_alu instid0(VALU_DEP_1) | instskip(NEXT) | instid1(VALU_DEP_1)
	v_mul_lo_u32 v3, s5, v2
	v_mul_hi_u32 v3, v2, v3
	s_delay_alu instid0(VALU_DEP_1) | instskip(NEXT) | instid1(VALU_DEP_1)
	v_add_nc_u32_e32 v2, v2, v3
	v_mul_hi_u32 v2, s20, v2
	s_delay_alu instid0(VALU_DEP_1) | instskip(NEXT) | instid1(VALU_DEP_1)
	v_mul_lo_u32 v2, v2, s27
	v_sub_nc_u32_e32 v2, s20, v2
	s_delay_alu instid0(VALU_DEP_1) | instskip(SKIP_1) | instid1(VALU_DEP_2)
	v_subrev_nc_u32_e32 v3, s27, v2
	v_cmp_le_u32_e32 vcc_lo, s27, v2
	v_cndmask_b32_e32 v2, v2, v3, vcc_lo
	s_delay_alu instid0(VALU_DEP_1) | instskip(SKIP_1) | instid1(VALU_DEP_2)
	v_subrev_nc_u32_e32 v3, s27, v2
	v_cmp_le_u32_e32 vcc_lo, s27, v2
	v_cndmask_b32_e32 v12, v2, v3, vcc_lo
	s_delay_alu instid0(VALU_DEP_1)
	v_dual_mov_b32 v2, v12 :: v_dual_mov_b32 v3, v13
.LBB20_245:                             ;   in Loop: Header=BB20_8 Depth=1
	s_delay_alu instid0(VALU_DEP_1) | instskip(NEXT) | instid1(VALU_DEP_2)
	v_sub_co_u32 v2, vcc_lo, s20, v2
	v_sub_co_ci_u32_e32 v3, vcc_lo, s11, v3, vcc_lo
	s_mov_b32 s24, 0
	s_mov_b32 s5, exec_lo
                                        ; implicit-def: $vgpr25
	s_delay_alu instid0(VALU_DEP_1)
	v_cmpx_gt_i64_e64 v[2:3], v[0:1]
	s_cbranch_execz .LBB20_254
; %bb.246:                              ;   in Loop: Header=BB20_8 Depth=1
	v_dual_mov_b32 v6, v14 :: v_dual_mov_b32 v5, v1
	v_mov_b32_e32 v4, v0
	s_mov_b32 s10, 0
                                        ; implicit-def: $sgpr11
	s_set_inst_prefetch_distance 0x1
	s_branch .LBB20_248
	.p2align	6
.LBB20_247:                             ;   in Loop: Header=BB20_248 Depth=2
	s_or_b32 exec_lo, exec_lo, s20
	s_waitcnt lgkmcnt(0)
	s_barrier
	buffer_gl0_inv
	ds_load_b64 v[24:25], v13 offset:3072
	v_add_co_u32 v4, vcc_lo, v4, s27
	v_add_co_ci_u32_e32 v5, vcc_lo, 0, v5, vcc_lo
	v_add_nc_u32_e32 v6, s77, v6
	s_waitcnt lgkmcnt(0)
	s_barrier
	s_delay_alu instid0(VALU_DEP_2) | instskip(SKIP_2) | instid1(VALU_DEP_1)
	v_cmp_ge_i64_e32 vcc_lo, v[4:5], v[2:3]
	buffer_gl0_inv
	v_readfirstlane_b32 s20, v24
	s_cmp_lg_u32 s20, 0
	s_cselect_b32 s20, -1, 0
	s_delay_alu instid0(SALU_CYCLE_1) | instskip(NEXT) | instid1(SALU_CYCLE_1)
	s_or_b32 s24, s20, vcc_lo
	s_and_b32 s24, exec_lo, s24
	s_delay_alu instid0(SALU_CYCLE_1) | instskip(SKIP_2) | instid1(SALU_CYCLE_1)
	s_or_b32 s10, s24, s10
	s_and_not1_b32 s11, s11, exec_lo
	s_and_b32 s20, s20, exec_lo
	s_or_b32 s11, s11, s20
	s_and_not1_b32 exec_lo, exec_lo, s10
	s_cbranch_execz .LBB20_253
.LBB20_248:                             ;   Parent Loop BB20_8 Depth=1
                                        ; =>  This Inner Loop Header: Depth=2
	s_delay_alu instid0(VALU_DEP_1)
	v_cmp_gt_i64_e32 vcc_lo, s[8:9], v[4:5]
	v_mov_b32_e32 v24, 0
	s_and_saveexec_b32 s20, vcc_lo
	s_cbranch_execz .LBB20_250
; %bb.249:                              ;   in Loop: Header=BB20_248 Depth=2
	ds_load_b32 v24, v6
.LBB20_250:                             ;   in Loop: Header=BB20_248 Depth=2
	s_or_b32 exec_lo, exec_lo, s20
	s_and_saveexec_b32 s20, vcc_lo
	s_cbranch_execz .LBB20_247
; %bb.251:                              ;   in Loop: Header=BB20_248 Depth=2
	s_waitcnt lgkmcnt(0)
	v_xor_b32_e32 v7, 0x80000000, v24
	s_delay_alu instid0(VALU_DEP_1) | instskip(NEXT) | instid1(VALU_DEP_1)
	v_and_b32_e32 v7, s87, v7
	v_cmp_eq_u32_e32 vcc_lo, s88, v7
	s_and_b32 exec_lo, exec_lo, vcc_lo
	s_cbranch_execz .LBB20_247
; %bb.252:                              ;   in Loop: Header=BB20_248 Depth=2
	ds_store_b64 v13, v[23:24] offset:3072
	s_branch .LBB20_247
.LBB20_253:                             ;   in Loop: Header=BB20_8 Depth=1
	s_set_inst_prefetch_distance 0x2
	s_or_b32 exec_lo, exec_lo, s10
	s_delay_alu instid0(SALU_CYCLE_1)
	s_and_b32 s24, s11, exec_lo
.LBB20_254:                             ;   in Loop: Header=BB20_8 Depth=1
	s_or_b32 exec_lo, exec_lo, s5
	s_mov_b32 s20, -1
	s_mov_b32 s10, 0
	s_mov_b32 s11, 0
.LBB20_255:                             ;   in Loop: Header=BB20_8 Depth=1
	s_mov_b32 s57, 0
                                        ; implicit-def: $sgpr5
                                        ; implicit-def: $sgpr8_sgpr9
	s_and_saveexec_b32 s56, s24
	s_cbranch_execz .LBB20_268
; %bb.256:                              ;   in Loop: Header=BB20_8 Depth=1
	s_xor_b32 s5, s19, -1
	s_mov_b64 s[8:9], 1
	s_and_not1_b32 vcc_lo, exec_lo, s5
	s_mov_b32 s5, 1
	s_cbranch_vccnz .LBB20_267
; %bb.257:                              ;   in Loop: Header=BB20_8 Depth=1
	v_cmp_gt_i64_e64 s5, s[38:39], s[6:7]
	s_delay_alu instid0(VALU_DEP_1)
	s_and_b32 vcc_lo, exec_lo, s5
	s_cbranch_vccnz .LBB20_263
; %bb.258:                              ;   in Loop: Header=BB20_8 Depth=1
	ds_load_b64 v[2:3], v13 offset:5120
	s_waitcnt lgkmcnt(0)
	v_cmp_ne_u64_e32 vcc_lo, 0, v[2:3]
	s_cbranch_vccnz .LBB20_262
; %bb.259:                              ;   in Loop: Header=BB20_8 Depth=1
	s_and_saveexec_b32 s5, s0
	s_cbranch_execz .LBB20_261
; %bb.260:                              ;   in Loop: Header=BB20_8 Depth=1
	v_dual_mov_b32 v2, s6 :: v_dual_mov_b32 v3, s7
	ds_store_b64 v13, v[2:3] offset:5128
.LBB20_261:                             ;   in Loop: Header=BB20_8 Depth=1
	s_or_b32 exec_lo, exec_lo, s5
	s_waitcnt lgkmcnt(0)
	s_barrier
	buffer_gl0_inv
.LBB20_262:                             ;   in Loop: Header=BB20_8 Depth=1
	s_or_b32 s19, s88, s18
	s_or_b32 s18, s87, s18
	s_mov_b32 s8, 0
	s_mov_b32 s5, 8
	s_branch .LBB20_264
.LBB20_263:                             ;   in Loop: Header=BB20_8 Depth=1
	s_mov_b32 s8, -1
                                        ; implicit-def: $sgpr5
                                        ; implicit-def: $sgpr19
                                        ; implicit-def: $sgpr18
.LBB20_264:                             ;   in Loop: Header=BB20_8 Depth=1
	s_delay_alu instid0(SALU_CYCLE_1)
	s_and_not1_b32 vcc_lo, exec_lo, s8
	s_cbranch_vccnz .LBB20_266
; %bb.265:                              ;   in Loop: Header=BB20_8 Depth=1
	s_sub_u32 s38, s38, s6
	s_subb_u32 s39, s39, s7
	s_mov_b32 s5, 8
	s_mov_b32 s19, s88
	;; [unrolled: 1-line block ×3, first 2 shown]
.LBB20_266:                             ;   in Loop: Header=BB20_8 Depth=1
	s_mov_b64 s[8:9], s[38:39]
	s_mov_b32 s88, s19
	s_mov_b32 s87, s18
.LBB20_267:                             ;   in Loop: Header=BB20_8 Depth=1
	s_mov_b32 s57, exec_lo
.LBB20_268:                             ;   in Loop: Header=BB20_8 Depth=1
	s_or_b32 exec_lo, exec_lo, s56
	s_mov_b64 s[38:39], s[8:9]
.LBB20_269:                             ;   in Loop: Header=BB20_8 Depth=1
	s_and_not1_b32 s6, s12, exec_lo
	s_and_b32 s7, s10, exec_lo
	s_and_not1_b32 s8, s13, exec_lo
	s_or_b32 s12, s6, s7
	s_and_not1_b32 s6, s23, exec_lo
	s_and_b32 s7, s20, exec_lo
	s_and_b32 s9, s11, exec_lo
	s_or_b32 s23, s6, s7
	s_or_b32 s13, s8, s9
	s_and_b32 s10, s57, exec_lo
.LBB20_270:                             ;   in Loop: Header=BB20_8 Depth=1
	s_or_b32 exec_lo, exec_lo, s48
.LBB20_271:                             ;   in Loop: Header=BB20_8 Depth=1
	s_delay_alu instid0(SALU_CYCLE_1)
	s_and_not1_b32 s6, s15, exec_lo
	s_and_b32 s7, s12, exec_lo
	s_and_not1_b32 s8, s14, exec_lo
	s_or_b32 s15, s6, s7
	s_and_not1_b32 s6, s21, exec_lo
	s_and_b32 s7, s23, exec_lo
	s_and_b32 s9, s13, exec_lo
	s_or_b32 s21, s6, s7
	s_or_b32 s14, s8, s9
	s_and_b32 s12, s10, exec_lo
.LBB20_272:                             ;   in Loop: Header=BB20_8 Depth=1
	s_or_b32 exec_lo, exec_lo, s22
	s_and_saveexec_b32 s6, s12
	s_delay_alu instid0(SALU_CYCLE_1)
	s_xor_b32 s6, exec_lo, s6
	s_cbranch_execz .LBB20_6
.LBB20_273:                             ;   in Loop: Header=BB20_8 Depth=1
	s_and_b32 s5, s5, -9
	s_delay_alu instid0(SALU_CYCLE_1)
	s_cmp_eq_u32 s5, 0
	s_cbranch_scc1 .LBB20_4
; %bb.274:                              ;   in Loop: Header=BB20_8 Depth=1
	s_mov_b32 s5, -1
	s_mov_b32 s7, -1
                                        ; implicit-def: $sgpr87
                                        ; implicit-def: $sgpr81
                                        ; implicit-def: $sgpr83
	s_branch .LBB20_5
.LBB20_275:                             ;   in Loop: Header=BB20_8 Depth=1
                                        ; implicit-def: $vgpr2_vgpr3
	s_branch .LBB20_227
.LBB20_276:                             ;   in Loop: Header=BB20_8 Depth=1
                                        ; implicit-def: $vgpr2_vgpr3
	s_branch .LBB20_244
.LBB20_277:
	s_or_b32 exec_lo, exec_lo, s78
	s_xor_b32 s5, s82, -1
	s_xor_b32 s2, s79, -1
	;; [unrolled: 1-line block ×3, first 2 shown]
	s_mov_b32 s3, 0
	s_and_saveexec_b32 s6, s2
	s_delay_alu instid0(SALU_CYCLE_1)
	s_xor_b32 s2, exec_lo, s6
	s_cbranch_execz .LBB20_300
; %bb.278:
	s_and_saveexec_b32 s3, s5
	s_delay_alu instid0(SALU_CYCLE_1)
	s_xor_b32 s3, exec_lo, s3
	s_cbranch_execz .LBB20_298
; %bb.279:
	s_and_saveexec_b32 s5, s4
	s_delay_alu instid0(SALU_CYCLE_1)
	s_xor_b32 s4, exec_lo, s5
; %bb.280:
	v_xor_b32_e32 v25, 0x80000000, v2
; %bb.281:
	s_or_b32 exec_lo, exec_lo, s4
	s_and_saveexec_b32 s4, s0
	s_cbranch_execz .LBB20_283
; %bb.282:
	v_dual_mov_b32 v2, 0 :: v_dual_mov_b32 v3, s36
	ds_store_b32 v2, v3 offset:5140
.LBB20_283:
	s_or_b32 exec_lo, exec_lo, s4
	s_waitcnt lgkmcnt(0)
	s_barrier
	buffer_gl0_inv
	s_and_saveexec_b32 s4, s1
	s_cbranch_execz .LBB20_295
; %bb.284:
	v_mov_b32_e32 v2, 0
	s_mov_b32 s5, 0
                                        ; implicit-def: $sgpr6
                                        ; implicit-def: $sgpr7
                                        ; implicit-def: $sgpr8
	ds_load_b32 v4, v2 offset:5140
	s_waitcnt lgkmcnt(0)
	v_ashrrev_i32_e32 v5, 31, v4
	s_set_inst_prefetch_distance 0x1
	s_branch .LBB20_287
	.p2align	6
.LBB20_285:                             ;   in Loop: Header=BB20_287 Depth=1
	s_or_b32 exec_lo, exec_lo, s11
	s_delay_alu instid0(SALU_CYCLE_1)
	s_and_not1_b32 s8, s8, exec_lo
	s_and_b32 s10, s10, exec_lo
	s_and_not1_b32 s7, s7, exec_lo
	s_and_b32 s1, s1, exec_lo
	s_or_b32 s8, s8, s10
	s_or_b32 s7, s7, s1
.LBB20_286:                             ;   in Loop: Header=BB20_287 Depth=1
	s_or_b32 exec_lo, exec_lo, s9
	s_delay_alu instid0(SALU_CYCLE_1) | instskip(NEXT) | instid1(SALU_CYCLE_1)
	s_and_b32 s1, exec_lo, s7
	s_or_b32 s5, s1, s5
	s_and_not1_b32 s1, s6, exec_lo
	s_and_b32 s6, s8, exec_lo
	s_delay_alu instid0(SALU_CYCLE_1)
	s_or_b32 s6, s1, s6
	s_and_not1_b32 exec_lo, exec_lo, s5
	s_cbranch_execz .LBB20_290
.LBB20_287:                             ; =>This Inner Loop Header: Depth=1
	v_dual_mov_b32 v3, v1 :: v_dual_mov_b32 v2, v0
	s_or_b32 s8, s8, exec_lo
	s_or_b32 s7, s7, exec_lo
	s_mov_b32 s9, exec_lo
                                        ; implicit-def: $vgpr0_vgpr1
	s_delay_alu instid0(VALU_DEP_1)
	v_cmpx_lt_i64_e64 v[2:3], v[4:5]
	s_cbranch_execz .LBB20_286
; %bb.288:                              ;   in Loop: Header=BB20_287 Depth=1
	global_load_b32 v0, v[10:11], off
	s_mov_b32 s1, -1
	s_mov_b32 s10, 0
	s_waitcnt vmcnt(0)
	v_cmp_ne_u32_e32 vcc_lo, v0, v25
                                        ; implicit-def: $vgpr0_vgpr1
	s_and_saveexec_b32 s11, vcc_lo
	s_cbranch_execz .LBB20_285
; %bb.289:                              ;   in Loop: Header=BB20_287 Depth=1
	v_add_co_u32 v0, vcc_lo, v2, s27
	v_add_co_ci_u32_e32 v1, vcc_lo, 0, v3, vcc_lo
	v_add_co_u32 v10, s1, v10, s44
	s_delay_alu instid0(VALU_DEP_1) | instskip(NEXT) | instid1(VALU_DEP_3)
	v_add_co_ci_u32_e64 v11, s1, s45, v11, s1
	v_cmp_le_i64_e32 vcc_lo, s[36:37], v[0:1]
	s_mov_b32 s10, exec_lo
	s_or_not1_b32 s1, vcc_lo, exec_lo
	s_branch .LBB20_285
.LBB20_290:
	s_set_inst_prefetch_distance 0x2
	s_or_b32 exec_lo, exec_lo, s5
	s_xor_b32 s1, s6, -1
	s_delay_alu instid0(SALU_CYCLE_1) | instskip(NEXT) | instid1(SALU_CYCLE_1)
	s_and_saveexec_b32 s5, s1
	s_xor_b32 s5, exec_lo, s5
	s_cbranch_execz .LBB20_295
; %bb.291:
	s_mov_b32 s5, exec_lo
	s_brev_b32 s1, -2
.LBB20_292:                             ; =>This Inner Loop Header: Depth=1
	s_ctz_i32_b32 s6, s5
	s_delay_alu instid0(SALU_CYCLE_1) | instskip(SKIP_1) | instid1(SALU_CYCLE_1)
	v_readlane_b32 s7, v2, s6
	s_lshl_b32 s6, 1, s6
	s_and_not1_b32 s5, s5, s6
	s_delay_alu instid0(VALU_DEP_1)
	s_min_i32 s1, s1, s7
	s_cmp_lg_u32 s5, 0
	s_cbranch_scc1 .LBB20_292
; %bb.293:
	v_mbcnt_lo_u32_b32 v0, exec_lo, 0
	s_mov_b32 s5, exec_lo
	s_delay_alu instid0(VALU_DEP_1)
	v_cmpx_eq_u32_e32 0, v0
	s_xor_b32 s5, exec_lo, s5
	s_cbranch_execz .LBB20_295
; %bb.294:
	v_dual_mov_b32 v0, 0 :: v_dual_mov_b32 v1, s1
	ds_min_i32 v0, v1 offset:5140
.LBB20_295:
	s_or_b32 exec_lo, exec_lo, s4
	s_waitcnt lgkmcnt(0)
	s_barrier
	buffer_gl0_inv
	s_and_saveexec_b32 s1, s0
	s_cbranch_execz .LBB20_297
; %bb.296:
	v_mov_b32_e32 v2, 0
	s_mul_i32 s0, s41, s26
	s_mul_hi_u32 s5, s40, s26
	s_mul_i32 s4, s40, s26
	s_add_i32 s5, s5, s0
	ds_load_b32 v0, v2 offset:5140
	s_mul_i32 s7, s35, s26
	s_mul_hi_u32 s8, s34, s26
	s_lshl_b64 s[4:5], s[4:5], 2
	s_mul_i32 s6, s34, s26
	s_add_i32 s7, s8, s7
	s_add_u32 s4, s30, s4
	s_addc_u32 s5, s31, s5
	s_lshl_b64 s[6:7], s[6:7], 3
	s_delay_alu instid0(SALU_CYCLE_1)
	s_add_u32 s6, s28, s6
	s_addc_u32 s7, s29, s7
	s_waitcnt lgkmcnt(0)
	v_ashrrev_i32_e32 v1, 31, v0
	s_clause 0x1
	global_store_b64 v2, v[0:1], s[6:7]
	global_store_b32 v2, v25, s[4:5]
.LBB20_297:
	s_or_b32 exec_lo, exec_lo, s1
.LBB20_298:
	s_or_saveexec_b32 s0, s3
	s_mov_b32 s1, 0
	s_xor_b32 exec_lo, exec_lo, s0
	s_cbranch_execnz .LBB20_306
.LBB20_299:
	s_or_b32 exec_lo, exec_lo, s0
	s_delay_alu instid0(SALU_CYCLE_1)
	s_and_b32 s3, s1, exec_lo
.LBB20_300:
	s_and_not1_saveexec_b32 s0, s2
	s_cbranch_execnz .LBB20_304
; %bb.301:
	s_or_b32 exec_lo, exec_lo, s0
	s_and_saveexec_b32 s0, s3
.LBB20_302:
	; divergent unreachable
.LBB20_303:
	s_nop 0
	s_sendmsg sendmsg(MSG_DEALLOC_VGPRS)
	s_endpgm
.LBB20_304:
	s_cbranch_execnz .LBB20_308
; %bb.305:
	s_or_b32 s3, s3, exec_lo
	s_or_b32 exec_lo, exec_lo, s0
	s_and_saveexec_b32 s0, s3
	s_cbranch_execnz .LBB20_302
	s_branch .LBB20_303
.LBB20_306:
	s_cbranch_execnz .LBB20_310
; %bb.307:
	s_mov_b32 s1, exec_lo
	s_branch .LBB20_299
.LBB20_308:
	s_trap 2
	s_sendmsg_rtn_b32 s0, sendmsg(MSG_RTN_GET_DOORBELL)
	s_mov_b32 ttmp2, m0
	s_waitcnt lgkmcnt(0)
	s_and_b32 s0, s0, 0x3ff
	s_delay_alu instid0(SALU_CYCLE_1) | instskip(NEXT) | instid1(SALU_CYCLE_1)
	s_bitset1_b32 s0, 10
	s_mov_b32 m0, s0
	s_sendmsg sendmsg(MSG_INTERRUPT)
	s_mov_b32 m0, ttmp2
.LBB20_309:                             ; =>This Inner Loop Header: Depth=1
	s_sethalt 5
	s_branch .LBB20_309
.LBB20_310:
	s_trap 2
	s_sendmsg_rtn_b32 s0, sendmsg(MSG_RTN_GET_DOORBELL)
	s_mov_b32 ttmp2, m0
	s_waitcnt lgkmcnt(0)
	s_and_b32 s0, s0, 0x3ff
	s_delay_alu instid0(SALU_CYCLE_1) | instskip(NEXT) | instid1(SALU_CYCLE_1)
	s_bitset1_b32 s0, 10
	s_mov_b32 m0, s0
	s_sendmsg sendmsg(MSG_INTERRUPT)
	s_mov_b32 m0, ttmp2
.LBB20_311:                             ; =>This Inner Loop Header: Depth=1
	s_sethalt 5
	s_branch .LBB20_311
	.section	.rodata,"a",@progbits
	.p2align	6, 0x0
	.amdhsa_kernel _ZN2at6native12_GLOBAL__N_114gatherKthValueIilLi1EEEvNS_4cuda6detail10TensorInfoIKT_T0_EES8_S8_S8_S8_NS5_IS6_S8_EENS5_IlS8_EE
		.amdhsa_group_segment_fixed_size 5144
		.amdhsa_private_segment_fixed_size 0
		.amdhsa_kernarg_size 1536
		.amdhsa_user_sgpr_count 13
		.amdhsa_user_sgpr_dispatch_ptr 0
		.amdhsa_user_sgpr_queue_ptr 0
		.amdhsa_user_sgpr_kernarg_segment_ptr 1
		.amdhsa_user_sgpr_dispatch_id 0
		.amdhsa_user_sgpr_private_segment_size 0
		.amdhsa_wavefront_size32 1
		.amdhsa_uses_dynamic_stack 0
		.amdhsa_enable_private_segment 0
		.amdhsa_system_sgpr_workgroup_id_x 1
		.amdhsa_system_sgpr_workgroup_id_y 1
		.amdhsa_system_sgpr_workgroup_id_z 1
		.amdhsa_system_sgpr_workgroup_info 0
		.amdhsa_system_vgpr_workitem_id 0
		.amdhsa_next_free_vgpr 46
		.amdhsa_next_free_sgpr 94
		.amdhsa_reserve_vcc 1
		.amdhsa_float_round_mode_32 0
		.amdhsa_float_round_mode_16_64 0
		.amdhsa_float_denorm_mode_32 3
		.amdhsa_float_denorm_mode_16_64 3
		.amdhsa_dx10_clamp 1
		.amdhsa_ieee_mode 1
		.amdhsa_fp16_overflow 0
		.amdhsa_workgroup_processor_mode 1
		.amdhsa_memory_ordered 1
		.amdhsa_forward_progress 0
		.amdhsa_shared_vgpr_count 0
		.amdhsa_exception_fp_ieee_invalid_op 0
		.amdhsa_exception_fp_denorm_src 0
		.amdhsa_exception_fp_ieee_div_zero 0
		.amdhsa_exception_fp_ieee_overflow 0
		.amdhsa_exception_fp_ieee_underflow 0
		.amdhsa_exception_fp_ieee_inexact 0
		.amdhsa_exception_int_div_zero 0
	.end_amdhsa_kernel
	.section	.text._ZN2at6native12_GLOBAL__N_114gatherKthValueIilLi1EEEvNS_4cuda6detail10TensorInfoIKT_T0_EES8_S8_S8_S8_NS5_IS6_S8_EENS5_IlS8_EE,"axG",@progbits,_ZN2at6native12_GLOBAL__N_114gatherKthValueIilLi1EEEvNS_4cuda6detail10TensorInfoIKT_T0_EES8_S8_S8_S8_NS5_IS6_S8_EENS5_IlS8_EE,comdat
.Lfunc_end20:
	.size	_ZN2at6native12_GLOBAL__N_114gatherKthValueIilLi1EEEvNS_4cuda6detail10TensorInfoIKT_T0_EES8_S8_S8_S8_NS5_IS6_S8_EENS5_IlS8_EE, .Lfunc_end20-_ZN2at6native12_GLOBAL__N_114gatherKthValueIilLi1EEEvNS_4cuda6detail10TensorInfoIKT_T0_EES8_S8_S8_S8_NS5_IS6_S8_EENS5_IlS8_EE
                                        ; -- End function
	.section	.AMDGPU.csdata,"",@progbits
; Kernel info:
; codeLenInByte = 16968
; NumSgprs: 96
; NumVgprs: 46
; ScratchSize: 0
; MemoryBound: 0
; FloatMode: 240
; IeeeMode: 1
; LDSByteSize: 5144 bytes/workgroup (compile time only)
; SGPRBlocks: 11
; VGPRBlocks: 5
; NumSGPRsForWavesPerEU: 96
; NumVGPRsForWavesPerEU: 46
; Occupancy: 16
; WaveLimiterHint : 1
; COMPUTE_PGM_RSRC2:SCRATCH_EN: 0
; COMPUTE_PGM_RSRC2:USER_SGPR: 13
; COMPUTE_PGM_RSRC2:TRAP_HANDLER: 0
; COMPUTE_PGM_RSRC2:TGID_X_EN: 1
; COMPUTE_PGM_RSRC2:TGID_Y_EN: 1
; COMPUTE_PGM_RSRC2:TGID_Z_EN: 1
; COMPUTE_PGM_RSRC2:TIDIG_COMP_CNT: 0
	.section	.text._ZN2at6native12_GLOBAL__N_114gatherKthValueIilLi2EEEvNS_4cuda6detail10TensorInfoIKT_T0_EES8_S8_S8_S8_NS5_IS6_S8_EENS5_IlS8_EE,"axG",@progbits,_ZN2at6native12_GLOBAL__N_114gatherKthValueIilLi2EEEvNS_4cuda6detail10TensorInfoIKT_T0_EES8_S8_S8_S8_NS5_IS6_S8_EENS5_IlS8_EE,comdat
	.globl	_ZN2at6native12_GLOBAL__N_114gatherKthValueIilLi2EEEvNS_4cuda6detail10TensorInfoIKT_T0_EES8_S8_S8_S8_NS5_IS6_S8_EENS5_IlS8_EE ; -- Begin function _ZN2at6native12_GLOBAL__N_114gatherKthValueIilLi2EEEvNS_4cuda6detail10TensorInfoIKT_T0_EES8_S8_S8_S8_NS5_IS6_S8_EENS5_IlS8_EE
	.p2align	8
	.type	_ZN2at6native12_GLOBAL__N_114gatherKthValueIilLi2EEEvNS_4cuda6detail10TensorInfoIKT_T0_EES8_S8_S8_S8_NS5_IS6_S8_EENS5_IlS8_EE,@function
_ZN2at6native12_GLOBAL__N_114gatherKthValueIilLi2EEEvNS_4cuda6detail10TensorInfoIKT_T0_EES8_S8_S8_S8_NS5_IS6_S8_EENS5_IlS8_EE: ; @_ZN2at6native12_GLOBAL__N_114gatherKthValueIilLi2EEEvNS_4cuda6detail10TensorInfoIKT_T0_EES8_S8_S8_S8_NS5_IS6_S8_EENS5_IlS8_EE
; %bb.0:
	s_clause 0x1
	s_load_b64 s[10:11], s[0:1], 0x500
	s_load_b256 s[36:43], s[0:1], 0x1a0
	s_add_u32 s8, s0, 0x500
	s_addc_u32 s9, s1, 0
	s_mov_b32 s27, 0
	s_waitcnt lgkmcnt(0)
	s_mul_i32 s2, s11, s15
	s_delay_alu instid0(SALU_CYCLE_1) | instskip(NEXT) | instid1(SALU_CYCLE_1)
	s_add_i32 s2, s2, s14
	s_mul_i32 s2, s2, s10
	s_delay_alu instid0(SALU_CYCLE_1) | instskip(NEXT) | instid1(SALU_CYCLE_1)
	s_add_i32 s26, s2, s13
	v_cmp_ge_i64_e64 s2, s[26:27], s[40:41]
	s_delay_alu instid0(VALU_DEP_1)
	s_and_b32 vcc_lo, exec_lo, s2
	s_cbranch_vccnz .LBB21_315
; %bb.1:
	s_clause 0x1
	s_load_b64 s[14:15], s[0:1], 0x10
	s_load_b64 s[34:35], s[0:1], 0x1d0
	s_mov_b32 s2, s27
	s_waitcnt lgkmcnt(0)
	s_mov_b32 s3, s15
	s_delay_alu instid0(SALU_CYCLE_1)
	s_cmp_lg_u64 s[2:3], 0
	s_cbranch_scc0 .LBB21_299
; %bb.2:
	s_ashr_i32 s2, s15, 31
	s_delay_alu instid0(SALU_CYCLE_1) | instskip(SKIP_2) | instid1(SALU_CYCLE_1)
	s_add_u32 s4, s14, s2
	s_mov_b32 s3, s2
	s_addc_u32 s5, s15, s2
	s_xor_b64 s[4:5], s[4:5], s[2:3]
	s_delay_alu instid0(SALU_CYCLE_1) | instskip(SKIP_3) | instid1(VALU_DEP_1)
	v_cvt_f32_u32_e32 v1, s4
	v_cvt_f32_u32_e32 v2, s5
	s_sub_u32 s11, 0, s4
	s_subb_u32 s12, 0, s5
	v_fmamk_f32 v1, v2, 0x4f800000, v1
	s_delay_alu instid0(VALU_DEP_1) | instskip(SKIP_2) | instid1(VALU_DEP_1)
	v_rcp_f32_e32 v1, v1
	s_waitcnt_depctr 0xfff
	v_mul_f32_e32 v1, 0x5f7ffffc, v1
	v_mul_f32_e32 v2, 0x2f800000, v1
	s_delay_alu instid0(VALU_DEP_1) | instskip(NEXT) | instid1(VALU_DEP_1)
	v_trunc_f32_e32 v2, v2
	v_fmamk_f32 v1, v2, 0xcf800000, v1
	v_cvt_u32_f32_e32 v2, v2
	s_delay_alu instid0(VALU_DEP_2) | instskip(NEXT) | instid1(VALU_DEP_2)
	v_cvt_u32_f32_e32 v1, v1
	v_readfirstlane_b32 s6, v2
	s_delay_alu instid0(VALU_DEP_2) | instskip(NEXT) | instid1(VALU_DEP_2)
	v_readfirstlane_b32 s7, v1
	s_mul_i32 s16, s11, s6
	s_delay_alu instid0(VALU_DEP_1)
	s_mul_hi_u32 s18, s11, s7
	s_mul_i32 s17, s12, s7
	s_add_i32 s16, s18, s16
	s_mul_i32 s19, s11, s7
	s_add_i32 s16, s16, s17
	s_mul_hi_u32 s18, s7, s19
	s_mul_hi_u32 s20, s6, s19
	s_mul_i32 s17, s6, s19
	s_mul_hi_u32 s19, s7, s16
	s_mul_i32 s7, s7, s16
	s_mul_hi_u32 s21, s6, s16
	s_add_u32 s7, s18, s7
	s_addc_u32 s18, 0, s19
	s_add_u32 s7, s7, s17
	s_mul_i32 s16, s6, s16
	s_addc_u32 s7, s18, s20
	s_addc_u32 s17, s21, 0
	s_add_u32 s7, s7, s16
	s_addc_u32 s16, 0, s17
	v_add_co_u32 v1, s7, v1, s7
	s_delay_alu instid0(VALU_DEP_1) | instskip(SKIP_1) | instid1(VALU_DEP_1)
	s_cmp_lg_u32 s7, 0
	s_addc_u32 s6, s6, s16
	v_readfirstlane_b32 s7, v1
	s_mul_i32 s16, s11, s6
	s_delay_alu instid0(VALU_DEP_1)
	s_mul_hi_u32 s17, s11, s7
	s_mul_i32 s12, s12, s7
	s_add_i32 s16, s17, s16
	s_mul_i32 s11, s11, s7
	s_add_i32 s16, s16, s12
	s_mul_hi_u32 s17, s6, s11
	s_mul_i32 s18, s6, s11
	s_mul_hi_u32 s11, s7, s11
	s_mul_hi_u32 s19, s7, s16
	s_mul_i32 s7, s7, s16
	s_mul_hi_u32 s12, s6, s16
	s_add_u32 s7, s11, s7
	s_addc_u32 s11, 0, s19
	s_add_u32 s7, s7, s18
	s_mul_i32 s16, s6, s16
	s_addc_u32 s7, s11, s17
	s_addc_u32 s11, s12, 0
	s_add_u32 s7, s7, s16
	s_addc_u32 s11, 0, s11
	v_add_co_u32 v1, s7, v1, s7
	s_delay_alu instid0(VALU_DEP_1) | instskip(SKIP_2) | instid1(VALU_DEP_1)
	s_cmp_lg_u32 s7, 0
	s_addc_u32 s11, s6, s11
	s_ashr_i32 s6, 0, 31
	v_readfirstlane_b32 s12, v1
	s_add_u32 s16, s26, s6
	s_mov_b32 s7, s6
	s_addc_u32 s17, 0, s6
	s_delay_alu instid0(SALU_CYCLE_1) | instskip(NEXT) | instid1(SALU_CYCLE_1)
	s_xor_b64 s[16:17], s[16:17], s[6:7]
	s_mul_i32 s19, s16, s11
	s_mul_hi_u32 s20, s16, s12
	s_mul_hi_u32 s18, s16, s11
	;; [unrolled: 1-line block ×3, first 2 shown]
	s_mul_i32 s12, s17, s12
	s_add_u32 s19, s20, s19
	s_addc_u32 s18, 0, s18
	s_mul_hi_u32 s21, s17, s11
	s_add_u32 s12, s19, s12
	s_mul_i32 s11, s17, s11
	s_addc_u32 s12, s18, s22
	s_addc_u32 s18, s21, 0
	s_add_u32 s11, s12, s11
	s_addc_u32 s12, 0, s18
	s_mul_i32 s21, s4, s11
	s_mul_hi_u32 s18, s4, s11
	s_mul_i32 s20, s4, s12
	v_sub_co_u32 v1, s16, s16, s21
	s_mul_i32 s19, s5, s11
	s_add_i32 s18, s18, s20
	s_delay_alu instid0(SALU_CYCLE_1) | instskip(NEXT) | instid1(VALU_DEP_1)
	s_add_i32 s18, s18, s19
	v_sub_co_u32 v2, s20, v1, s4
	s_sub_i32 s19, s17, s18
	s_cmp_lg_u32 s16, 0
	s_subb_u32 s19, s19, s5
	s_cmp_lg_u32 s20, 0
	v_readfirstlane_b32 s20, v2
	s_subb_u32 s19, s19, 0
	s_delay_alu instid0(SALU_CYCLE_1) | instskip(SKIP_1) | instid1(VALU_DEP_1)
	s_cmp_ge_u32 s19, s5
	s_cselect_b32 s21, -1, 0
	s_cmp_ge_u32 s20, s4
	s_cselect_b32 s20, -1, 0
	s_cmp_eq_u32 s19, s5
	s_cselect_b32 s19, s20, s21
	s_add_u32 s20, s11, 1
	s_addc_u32 s21, s12, 0
	s_add_u32 s22, s11, 2
	s_addc_u32 s23, s12, 0
	s_cmp_lg_u32 s19, 0
	s_cselect_b32 s19, s22, s20
	s_cselect_b32 s20, s23, s21
	s_cmp_lg_u32 s16, 0
	v_readfirstlane_b32 s16, v1
	s_subb_u32 s17, s17, s18
	s_delay_alu instid0(SALU_CYCLE_1) | instskip(SKIP_1) | instid1(VALU_DEP_1)
	s_cmp_ge_u32 s17, s5
	s_cselect_b32 s18, -1, 0
	s_cmp_ge_u32 s16, s4
	s_cselect_b32 s4, -1, 0
	s_cmp_eq_u32 s17, s5
	s_cselect_b32 s4, s4, s18
	s_delay_alu instid0(SALU_CYCLE_1) | instskip(SKIP_3) | instid1(SALU_CYCLE_1)
	s_cmp_lg_u32 s4, 0
	s_cselect_b32 s5, s20, s12
	s_cselect_b32 s4, s19, s11
	s_xor_b64 s[6:7], s[6:7], s[2:3]
	s_xor_b64 s[4:5], s[4:5], s[6:7]
	s_delay_alu instid0(SALU_CYCLE_1)
	s_sub_u32 s16, s4, s6
	s_subb_u32 s17, s5, s7
	s_cbranch_execnz .LBB21_4
.LBB21_3:
	v_cvt_f32_u32_e32 v1, s14
	s_sub_i32 s3, 0, s14
	s_mov_b32 s17, 0
	s_delay_alu instid0(VALU_DEP_1) | instskip(SKIP_2) | instid1(VALU_DEP_1)
	v_rcp_iflag_f32_e32 v1, v1
	s_waitcnt_depctr 0xfff
	v_mul_f32_e32 v1, 0x4f7ffffe, v1
	v_cvt_u32_f32_e32 v1, v1
	s_delay_alu instid0(VALU_DEP_1) | instskip(NEXT) | instid1(VALU_DEP_1)
	v_readfirstlane_b32 s2, v1
	s_mul_i32 s3, s3, s2
	s_delay_alu instid0(SALU_CYCLE_1) | instskip(NEXT) | instid1(SALU_CYCLE_1)
	s_mul_hi_u32 s3, s2, s3
	s_add_i32 s2, s2, s3
	s_delay_alu instid0(SALU_CYCLE_1) | instskip(NEXT) | instid1(SALU_CYCLE_1)
	s_mul_hi_u32 s2, s26, s2
	s_mul_i32 s3, s2, s14
	s_add_i32 s4, s2, 1
	s_sub_i32 s3, s26, s3
	s_delay_alu instid0(SALU_CYCLE_1)
	s_sub_i32 s5, s3, s14
	s_cmp_ge_u32 s3, s14
	s_cselect_b32 s2, s4, s2
	s_cselect_b32 s3, s5, s3
	s_add_i32 s4, s2, 1
	s_cmp_ge_u32 s3, s14
	s_cselect_b32 s16, s4, s2
.LBB21_4:
	s_load_b64 s[40:41], s[0:1], 0x370
	s_mov_b32 s2, 0
	s_mov_b32 s3, s35
	s_delay_alu instid0(SALU_CYCLE_1)
	s_cmp_lg_u64 s[2:3], 0
	s_cbranch_scc0 .LBB21_300
; %bb.5:
	s_ashr_i32 s4, s35, 31
	s_delay_alu instid0(SALU_CYCLE_1) | instskip(SKIP_2) | instid1(SALU_CYCLE_1)
	s_add_u32 s6, s34, s4
	s_mov_b32 s5, s4
	s_addc_u32 s7, s35, s4
	s_xor_b64 s[6:7], s[6:7], s[4:5]
	s_delay_alu instid0(SALU_CYCLE_1) | instskip(SKIP_3) | instid1(VALU_DEP_1)
	v_cvt_f32_u32_e32 v1, s6
	v_cvt_f32_u32_e32 v2, s7
	s_sub_u32 s12, 0, s6
	s_subb_u32 s18, 0, s7
	v_fmamk_f32 v1, v2, 0x4f800000, v1
	s_delay_alu instid0(VALU_DEP_1) | instskip(SKIP_2) | instid1(VALU_DEP_1)
	v_rcp_f32_e32 v1, v1
	s_waitcnt_depctr 0xfff
	v_mul_f32_e32 v1, 0x5f7ffffc, v1
	v_mul_f32_e32 v2, 0x2f800000, v1
	s_delay_alu instid0(VALU_DEP_1) | instskip(NEXT) | instid1(VALU_DEP_1)
	v_trunc_f32_e32 v2, v2
	v_fmamk_f32 v1, v2, 0xcf800000, v1
	v_cvt_u32_f32_e32 v2, v2
	s_delay_alu instid0(VALU_DEP_2) | instskip(NEXT) | instid1(VALU_DEP_2)
	v_cvt_u32_f32_e32 v1, v1
	v_readfirstlane_b32 s3, v2
	s_delay_alu instid0(VALU_DEP_2) | instskip(NEXT) | instid1(VALU_DEP_2)
	v_readfirstlane_b32 s11, v1
	s_mul_i32 s19, s12, s3
	s_delay_alu instid0(VALU_DEP_1)
	s_mul_hi_u32 s21, s12, s11
	s_mul_i32 s20, s18, s11
	s_add_i32 s19, s21, s19
	s_mul_i32 s22, s12, s11
	s_add_i32 s19, s19, s20
	s_mul_hi_u32 s21, s11, s22
	s_mul_hi_u32 s23, s3, s22
	s_mul_i32 s20, s3, s22
	s_mul_hi_u32 s22, s11, s19
	s_mul_i32 s11, s11, s19
	s_mul_hi_u32 s24, s3, s19
	s_add_u32 s11, s21, s11
	s_addc_u32 s21, 0, s22
	s_add_u32 s11, s11, s20
	s_mul_i32 s19, s3, s19
	s_addc_u32 s11, s21, s23
	s_addc_u32 s20, s24, 0
	s_add_u32 s11, s11, s19
	s_addc_u32 s19, 0, s20
	v_add_co_u32 v1, s11, v1, s11
	s_delay_alu instid0(VALU_DEP_1) | instskip(SKIP_1) | instid1(VALU_DEP_1)
	s_cmp_lg_u32 s11, 0
	s_addc_u32 s3, s3, s19
	v_readfirstlane_b32 s11, v1
	s_mul_i32 s19, s12, s3
	s_delay_alu instid0(VALU_DEP_1)
	s_mul_hi_u32 s20, s12, s11
	s_mul_i32 s18, s18, s11
	s_add_i32 s19, s20, s19
	s_mul_i32 s12, s12, s11
	s_add_i32 s19, s19, s18
	s_mul_hi_u32 s20, s3, s12
	s_mul_i32 s21, s3, s12
	s_mul_hi_u32 s12, s11, s12
	s_mul_hi_u32 s22, s11, s19
	s_mul_i32 s11, s11, s19
	s_mul_hi_u32 s18, s3, s19
	s_add_u32 s11, s12, s11
	s_addc_u32 s12, 0, s22
	s_add_u32 s11, s11, s21
	s_mul_i32 s19, s3, s19
	s_addc_u32 s11, s12, s20
	s_addc_u32 s12, s18, 0
	s_add_u32 s11, s11, s19
	s_addc_u32 s12, 0, s12
	v_add_co_u32 v1, s11, v1, s11
	s_delay_alu instid0(VALU_DEP_1) | instskip(SKIP_2) | instid1(VALU_DEP_1)
	s_cmp_lg_u32 s11, 0
	s_addc_u32 s3, s3, s12
	s_ashr_i32 s18, 0, 31
	v_readfirstlane_b32 s11, v1
	s_add_u32 s20, s26, s18
	s_mov_b32 s19, s18
	s_addc_u32 s21, 0, s18
	s_delay_alu instid0(SALU_CYCLE_1) | instskip(NEXT) | instid1(SALU_CYCLE_1)
	s_xor_b64 s[20:21], s[20:21], s[18:19]
	s_mul_i32 s22, s20, s3
	s_mul_hi_u32 s23, s20, s11
	s_mul_hi_u32 s12, s20, s3
	;; [unrolled: 1-line block ×3, first 2 shown]
	s_mul_i32 s11, s21, s11
	s_add_u32 s22, s23, s22
	s_addc_u32 s12, 0, s12
	s_mul_hi_u32 s24, s21, s3
	s_add_u32 s11, s22, s11
	s_mul_i32 s3, s21, s3
	s_addc_u32 s11, s12, s25
	s_addc_u32 s12, s24, 0
	s_add_u32 s3, s11, s3
	s_addc_u32 s11, 0, s12
	s_mul_i32 s24, s6, s3
	s_mul_hi_u32 s12, s6, s3
	s_mul_i32 s23, s6, s11
	v_sub_co_u32 v1, s20, s20, s24
	s_mul_i32 s22, s7, s3
	s_add_i32 s12, s12, s23
	s_delay_alu instid0(SALU_CYCLE_1) | instskip(NEXT) | instid1(VALU_DEP_1)
	s_add_i32 s12, s12, s22
	v_sub_co_u32 v2, s23, v1, s6
	s_sub_i32 s22, s21, s12
	s_cmp_lg_u32 s20, 0
	s_subb_u32 s22, s22, s7
	s_cmp_lg_u32 s23, 0
	v_readfirstlane_b32 s23, v2
	s_subb_u32 s22, s22, 0
	s_delay_alu instid0(SALU_CYCLE_1) | instskip(SKIP_1) | instid1(VALU_DEP_1)
	s_cmp_ge_u32 s22, s7
	s_cselect_b32 s24, -1, 0
	s_cmp_ge_u32 s23, s6
	s_cselect_b32 s23, -1, 0
	s_cmp_eq_u32 s22, s7
	s_cselect_b32 s22, s23, s24
	s_add_u32 s23, s3, 1
	s_addc_u32 s24, s11, 0
	s_add_u32 s25, s3, 2
	s_addc_u32 s27, s11, 0
	s_cmp_lg_u32 s22, 0
	s_cselect_b32 s22, s25, s23
	s_cselect_b32 s23, s27, s24
	s_cmp_lg_u32 s20, 0
	v_readfirstlane_b32 s20, v1
	s_subb_u32 s12, s21, s12
	s_delay_alu instid0(SALU_CYCLE_1) | instskip(SKIP_1) | instid1(VALU_DEP_1)
	s_cmp_ge_u32 s12, s7
	s_cselect_b32 s21, -1, 0
	s_cmp_ge_u32 s20, s6
	s_cselect_b32 s6, -1, 0
	s_cmp_eq_u32 s12, s7
	s_cselect_b32 s6, s6, s21
	s_delay_alu instid0(SALU_CYCLE_1) | instskip(SKIP_3) | instid1(SALU_CYCLE_1)
	s_cmp_lg_u32 s6, 0
	s_cselect_b32 s7, s23, s11
	s_cselect_b32 s6, s22, s3
	s_xor_b64 s[4:5], s[18:19], s[4:5]
	s_xor_b64 s[6:7], s[6:7], s[4:5]
	s_delay_alu instid0(SALU_CYCLE_1)
	s_sub_u32 s48, s6, s4
	s_subb_u32 s49, s7, s5
	s_and_not1_b32 vcc_lo, exec_lo, s2
	s_cbranch_vccnz .LBB21_7
.LBB21_6:
	v_cvt_f32_u32_e32 v1, s34
	s_sub_i32 s3, 0, s34
	s_mov_b32 s49, 0
	s_delay_alu instid0(VALU_DEP_1) | instskip(SKIP_2) | instid1(VALU_DEP_1)
	v_rcp_iflag_f32_e32 v1, v1
	s_waitcnt_depctr 0xfff
	v_mul_f32_e32 v1, 0x4f7ffffe, v1
	v_cvt_u32_f32_e32 v1, v1
	s_delay_alu instid0(VALU_DEP_1) | instskip(NEXT) | instid1(VALU_DEP_1)
	v_readfirstlane_b32 s2, v1
	s_mul_i32 s3, s3, s2
	s_delay_alu instid0(SALU_CYCLE_1) | instskip(NEXT) | instid1(SALU_CYCLE_1)
	s_mul_hi_u32 s3, s2, s3
	s_add_i32 s2, s2, s3
	s_delay_alu instid0(SALU_CYCLE_1) | instskip(NEXT) | instid1(SALU_CYCLE_1)
	s_mul_hi_u32 s2, s26, s2
	s_mul_i32 s3, s2, s34
	s_add_i32 s4, s2, 1
	s_sub_i32 s3, s26, s3
	s_delay_alu instid0(SALU_CYCLE_1)
	s_sub_i32 s5, s3, s34
	s_cmp_ge_u32 s3, s34
	s_cselect_b32 s2, s4, s2
	s_cselect_b32 s3, s5, s3
	s_add_i32 s4, s2, 1
	s_cmp_ge_u32 s3, s34
	s_cselect_b32 s48, s4, s2
.LBB21_7:
	s_mov_b32 s2, 0
	s_waitcnt lgkmcnt(0)
	s_mov_b32 s3, s41
	s_delay_alu instid0(SALU_CYCLE_1)
	s_cmp_lg_u64 s[2:3], 0
	s_cbranch_scc0 .LBB21_301
; %bb.8:
	s_ashr_i32 s4, s41, 31
	s_delay_alu instid0(SALU_CYCLE_1) | instskip(SKIP_2) | instid1(SALU_CYCLE_1)
	s_add_u32 s6, s40, s4
	s_mov_b32 s5, s4
	s_addc_u32 s7, s41, s4
	s_xor_b64 s[6:7], s[6:7], s[4:5]
	s_delay_alu instid0(SALU_CYCLE_1) | instskip(SKIP_3) | instid1(VALU_DEP_1)
	v_cvt_f32_u32_e32 v1, s6
	v_cvt_f32_u32_e32 v2, s7
	s_sub_u32 s12, 0, s6
	s_subb_u32 s18, 0, s7
	v_fmamk_f32 v1, v2, 0x4f800000, v1
	s_delay_alu instid0(VALU_DEP_1) | instskip(SKIP_2) | instid1(VALU_DEP_1)
	v_rcp_f32_e32 v1, v1
	s_waitcnt_depctr 0xfff
	v_mul_f32_e32 v1, 0x5f7ffffc, v1
	v_mul_f32_e32 v2, 0x2f800000, v1
	s_delay_alu instid0(VALU_DEP_1) | instskip(NEXT) | instid1(VALU_DEP_1)
	v_trunc_f32_e32 v2, v2
	v_fmamk_f32 v1, v2, 0xcf800000, v1
	v_cvt_u32_f32_e32 v2, v2
	s_delay_alu instid0(VALU_DEP_2) | instskip(NEXT) | instid1(VALU_DEP_2)
	v_cvt_u32_f32_e32 v1, v1
	v_readfirstlane_b32 s3, v2
	s_delay_alu instid0(VALU_DEP_2) | instskip(NEXT) | instid1(VALU_DEP_2)
	v_readfirstlane_b32 s11, v1
	s_mul_i32 s19, s12, s3
	s_delay_alu instid0(VALU_DEP_1)
	s_mul_hi_u32 s21, s12, s11
	s_mul_i32 s20, s18, s11
	s_add_i32 s19, s21, s19
	s_mul_i32 s22, s12, s11
	s_add_i32 s19, s19, s20
	s_mul_hi_u32 s21, s11, s22
	s_mul_hi_u32 s23, s3, s22
	s_mul_i32 s20, s3, s22
	s_mul_hi_u32 s22, s11, s19
	s_mul_i32 s11, s11, s19
	s_mul_hi_u32 s24, s3, s19
	s_add_u32 s11, s21, s11
	s_addc_u32 s21, 0, s22
	s_add_u32 s11, s11, s20
	s_mul_i32 s19, s3, s19
	s_addc_u32 s11, s21, s23
	s_addc_u32 s20, s24, 0
	s_add_u32 s11, s11, s19
	s_addc_u32 s19, 0, s20
	v_add_co_u32 v1, s11, v1, s11
	s_delay_alu instid0(VALU_DEP_1) | instskip(SKIP_1) | instid1(VALU_DEP_1)
	s_cmp_lg_u32 s11, 0
	s_addc_u32 s3, s3, s19
	v_readfirstlane_b32 s11, v1
	s_mul_i32 s19, s12, s3
	s_delay_alu instid0(VALU_DEP_1)
	s_mul_hi_u32 s20, s12, s11
	s_mul_i32 s18, s18, s11
	s_add_i32 s19, s20, s19
	s_mul_i32 s12, s12, s11
	s_add_i32 s19, s19, s18
	s_mul_hi_u32 s20, s3, s12
	s_mul_i32 s21, s3, s12
	s_mul_hi_u32 s12, s11, s12
	s_mul_hi_u32 s22, s11, s19
	s_mul_i32 s11, s11, s19
	s_mul_hi_u32 s18, s3, s19
	s_add_u32 s11, s12, s11
	s_addc_u32 s12, 0, s22
	s_add_u32 s11, s11, s21
	s_mul_i32 s19, s3, s19
	s_addc_u32 s11, s12, s20
	s_addc_u32 s12, s18, 0
	s_add_u32 s11, s11, s19
	s_addc_u32 s12, 0, s12
	v_add_co_u32 v1, s11, v1, s11
	s_delay_alu instid0(VALU_DEP_1) | instskip(SKIP_2) | instid1(VALU_DEP_1)
	s_cmp_lg_u32 s11, 0
	s_addc_u32 s3, s3, s12
	s_ashr_i32 s18, 0, 31
	v_readfirstlane_b32 s11, v1
	s_add_u32 s20, s26, s18
	s_mov_b32 s19, s18
	s_addc_u32 s21, 0, s18
	s_delay_alu instid0(SALU_CYCLE_1) | instskip(NEXT) | instid1(SALU_CYCLE_1)
	s_xor_b64 s[20:21], s[20:21], s[18:19]
	s_mul_i32 s22, s20, s3
	s_mul_hi_u32 s23, s20, s11
	s_mul_hi_u32 s12, s20, s3
	;; [unrolled: 1-line block ×3, first 2 shown]
	s_mul_i32 s11, s21, s11
	s_add_u32 s22, s23, s22
	s_addc_u32 s12, 0, s12
	s_mul_hi_u32 s24, s21, s3
	s_add_u32 s11, s22, s11
	s_mul_i32 s3, s21, s3
	s_addc_u32 s11, s12, s25
	s_addc_u32 s12, s24, 0
	s_add_u32 s3, s11, s3
	s_addc_u32 s11, 0, s12
	s_mul_i32 s24, s6, s3
	s_mul_hi_u32 s12, s6, s3
	s_mul_i32 s23, s6, s11
	v_sub_co_u32 v1, s20, s20, s24
	s_mul_i32 s22, s7, s3
	s_add_i32 s12, s12, s23
	s_delay_alu instid0(SALU_CYCLE_1) | instskip(NEXT) | instid1(VALU_DEP_1)
	s_add_i32 s12, s12, s22
	v_sub_co_u32 v2, s23, v1, s6
	s_sub_i32 s22, s21, s12
	s_cmp_lg_u32 s20, 0
	s_subb_u32 s22, s22, s7
	s_cmp_lg_u32 s23, 0
	v_readfirstlane_b32 s23, v2
	s_subb_u32 s22, s22, 0
	s_delay_alu instid0(SALU_CYCLE_1) | instskip(SKIP_1) | instid1(VALU_DEP_1)
	s_cmp_ge_u32 s22, s7
	s_cselect_b32 s24, -1, 0
	s_cmp_ge_u32 s23, s6
	s_cselect_b32 s23, -1, 0
	s_cmp_eq_u32 s22, s7
	s_cselect_b32 s22, s23, s24
	s_add_u32 s23, s3, 1
	s_addc_u32 s24, s11, 0
	s_add_u32 s25, s3, 2
	s_addc_u32 s27, s11, 0
	s_cmp_lg_u32 s22, 0
	s_cselect_b32 s22, s25, s23
	s_cselect_b32 s23, s27, s24
	s_cmp_lg_u32 s20, 0
	v_readfirstlane_b32 s20, v1
	s_subb_u32 s12, s21, s12
	s_delay_alu instid0(SALU_CYCLE_1) | instskip(SKIP_1) | instid1(VALU_DEP_1)
	s_cmp_ge_u32 s12, s7
	s_cselect_b32 s21, -1, 0
	s_cmp_ge_u32 s20, s6
	s_cselect_b32 s6, -1, 0
	s_cmp_eq_u32 s12, s7
	s_cselect_b32 s6, s6, s21
	s_delay_alu instid0(SALU_CYCLE_1) | instskip(SKIP_3) | instid1(SALU_CYCLE_1)
	s_cmp_lg_u32 s6, 0
	s_cselect_b32 s7, s23, s11
	s_cselect_b32 s6, s22, s3
	s_xor_b64 s[4:5], s[18:19], s[4:5]
	s_xor_b64 s[6:7], s[6:7], s[4:5]
	s_delay_alu instid0(SALU_CYCLE_1)
	s_sub_u32 s50, s6, s4
	s_subb_u32 s51, s7, s5
	s_load_b64 s[18:19], s[0:1], 0x0
	s_and_not1_b32 vcc_lo, exec_lo, s2
	s_cbranch_vccnz .LBB21_10
.LBB21_9:
	v_cvt_f32_u32_e32 v1, s40
	s_sub_i32 s3, 0, s40
	s_mov_b32 s51, 0
	s_delay_alu instid0(VALU_DEP_1) | instskip(SKIP_2) | instid1(VALU_DEP_1)
	v_rcp_iflag_f32_e32 v1, v1
	s_waitcnt_depctr 0xfff
	v_mul_f32_e32 v1, 0x4f7ffffe, v1
	v_cvt_u32_f32_e32 v1, v1
	s_delay_alu instid0(VALU_DEP_1) | instskip(NEXT) | instid1(VALU_DEP_1)
	v_readfirstlane_b32 s2, v1
	s_mul_i32 s3, s3, s2
	s_delay_alu instid0(SALU_CYCLE_1) | instskip(NEXT) | instid1(SALU_CYCLE_1)
	s_mul_hi_u32 s3, s2, s3
	s_add_i32 s2, s2, s3
	s_delay_alu instid0(SALU_CYCLE_1) | instskip(NEXT) | instid1(SALU_CYCLE_1)
	s_mul_hi_u32 s2, s26, s2
	s_mul_i32 s3, s2, s40
	s_add_i32 s4, s2, 1
	s_sub_i32 s3, s26, s3
	s_delay_alu instid0(SALU_CYCLE_1)
	s_sub_i32 s5, s3, s40
	s_cmp_ge_u32 s3, s40
	s_cselect_b32 s2, s4, s2
	s_cselect_b32 s3, s5, s3
	s_add_i32 s4, s2, 1
	s_cmp_ge_u32 s3, s40
	s_cselect_b32 s50, s4, s2
.LBB21_10:
	s_clause 0x2
	s_load_b64 s[52:53], s[0:1], 0x360
	s_load_b64 s[54:55], s[0:1], 0x1c0
	s_load_b128 s[4:7], s[0:1], 0xd0
	v_cmp_eq_u32_e64 s2, 0, v0
	s_mov_b32 s57, 0
	s_delay_alu instid0(VALU_DEP_1)
	s_and_saveexec_b32 s3, s2
	s_cbranch_execz .LBB21_12
; %bb.11:
	v_dual_mov_b32 v1, 0 :: v_dual_mov_b32 v4, s37
	s_delay_alu instid0(VALU_DEP_1)
	v_dual_mov_b32 v3, s36 :: v_dual_mov_b32 v2, v1
	ds_store_b32 v1, v1 offset:5136
	ds_store_b128 v1, v[1:4] offset:5120
.LBB21_12:
	s_or_b32 exec_lo, exec_lo, s3
	v_mad_u64_u32 v[2:3], null, v0, s42, 0
	s_mul_i32 s3, s16, s15
	s_mul_hi_u32 s11, s16, s14
	s_mul_i32 s12, s16, s14
	s_add_i32 s3, s11, s3
	s_mul_i32 s11, s17, s14
	v_lshlrev_b32_e32 v37, 4, v0
	s_add_i32 s3, s3, s11
	s_sub_u32 s11, s26, s12
	s_subb_u32 s3, 0, s3
	s_waitcnt lgkmcnt(0)
	s_mul_i32 s7, s11, s7
	s_mul_hi_u32 s12, s11, s6
	v_dual_mov_b32 v1, v3 :: v_dual_lshlrev_b32 v14, 2, v0
	v_or_b32_e32 v22, 4, v37
	s_add_i32 s7, s12, s7
	s_mul_i32 s3, s3, s6
	s_mul_i32 s5, s16, s5
	s_mul_hi_u32 s12, s16, s4
	s_add_i32 s7, s7, s3
	s_add_i32 s3, s12, s5
	s_mul_i32 s5, s17, s4
	v_mad_u64_u32 v[3:4], null, v0, s43, v[1:2]
	s_mul_i32 s6, s11, s6
	s_add_i32 s5, s3, s5
	s_mul_i32 s4, s16, s4
	v_mad_u64_u32 v[20:21], null, s42, v22, 0
	s_lshl_b64 s[4:5], s[4:5], 2
	s_lshl_b64 s[6:7], s[6:7], 2
	v_mbcnt_lo_u32_b32 v34, -1, 0
	v_lshrrev_b32_e32 v6, 3, v0
	s_clause 0x1
	s_load_b128 s[28:31], s[0:1], 0x430
	s_load_b128 s[44:47], s[0:1], 0x290
	s_add_u32 s0, s4, s6
	s_addc_u32 s1, s5, s7
	s_waitcnt lgkmcnt(0)
	s_barrier
	buffer_gl0_inv
	s_load_b32 s5, s[8:9], 0xc
	v_lshlrev_b64 v[4:5], 2, v[2:3]
	s_add_u32 s60, s18, s0
	v_cmp_gt_u32_e32 vcc_lo, 32, v0
	v_cmp_gt_i32_e64 s0, 4, v34
	v_dual_mov_b32 v13, 0 :: v_dual_and_b32 v36, 0x7c, v6
	v_mov_b32_e32 v6, v21
	v_or_b32_e32 v9, 12, v37
	v_or_b32_e32 v12, 8, v37
	s_addc_u32 s61, s19, s1
	s_and_b32 s33, vcc_lo, s0
	v_add_co_u32 v10, vcc_lo, s60, v4
	v_mad_u64_u32 v[16:17], null, s42, v9, 0
	v_mad_u64_u32 v[18:19], null, s42, v12, 0
	v_add_co_ci_u32_e32 v11, vcc_lo, s61, v5, vcc_lo
	v_lshlrev_b64 v[4:5], v34, -1
	v_add_nc_u32_e32 v35, 0xc00, v14
	s_waitcnt lgkmcnt(0)
	s_and_b32 s27, s5, 0xffff
	s_bfe_u32 s6, s5, 0xb0005
	s_delay_alu instid0(VALU_DEP_4)
	v_mov_b32_e32 v5, v19
	s_add_u32 s79, s27, -1
	v_not_b32_e32 v38, v4
	v_mov_b32_e32 v4, v17
	s_addc_u32 s80, 0, -1
	s_add_u32 s81, s79, s36
	s_addc_u32 s25, s80, s37
	s_cmp_lt_u32 s13, s10
	v_mad_u64_u32 v[7:8], null, s43, v9, v[4:5]
	s_cselect_b32 s7, 12, 18
	v_mad_u64_u32 v[8:9], null, s43, v12, v[5:6]
	s_add_u32 s62, s8, s7
	v_mov_b32_e32 v1, v13
	s_addc_u32 s63, s9, 0
	s_delay_alu instid0(VALU_DEP_3)
	v_mad_u64_u32 v[4:5], null, s43, v22, v[6:7]
	s_add_i32 s7, s6, -1
	s_bfe_u32 s82, s27, 0x30005
	s_cmp_gt_u32 s7, 6
	v_add_co_u32 v40, s7, s36, v0
	s_cselect_b32 s83, -1, 0
	s_and_b32 s84, s6, 0x7f8
	v_cmp_lt_i64_e64 s78, 0x300, s[36:37]
	v_cmp_gt_u64_e64 s4, s[36:37], v[0:1]
	v_cmp_gt_i64_e64 s0, s[36:37], v[0:1]
	s_cmp_lg_u32 s82, 0
	v_cmp_gt_u16_e64 s85, s5, 31
	v_lshlrev_b64 v[21:22], 4, v[2:3]
	s_mul_i32 s5, s43, s27
	s_mul_hi_u32 s6, s42, s27
	v_cmp_eq_u32_e64 s1, 0, v34
	v_cmp_gt_u32_e64 s3, 2, v0
	v_mov_b32_e32 v15, v13
	v_mov_b32_e32 v17, v7
	;; [unrolled: 1-line block ×4, first 2 shown]
	v_add_co_ci_u32_e64 v41, null, s37, 0, s7
	v_lshl_or_b32 v42, v34, 3, 0xc00
	v_mov_b32_e32 v23, 1
	v_cvt_f32_ubyte0_e32 v43, 0
	v_mov_b32_e32 v25, 0
	s_cselect_b32 s86, -1, 0
	s_add_i32 s7, s6, s5
	s_mul_i32 s6, s42, s27
	s_lshl_b64 s[64:65], s[42:43], 2
	s_lshl_b64 s[66:67], s[42:43], 4
	;; [unrolled: 1-line block ×3, first 2 shown]
	s_lshl_b32 s87, s27, 2
	s_mov_b32 s91, 30
	s_mov_b32 s88, 0
	;; [unrolled: 1-line block ×5, first 2 shown]
                                        ; implicit-def: $sgpr89
                                        ; implicit-def: $sgpr92
                                        ; implicit-def: $sgpr90
                                        ; implicit-def: $sgpr95
                                        ; implicit-def: $sgpr96
                                        ; implicit-def: $sgpr94
	s_branch .LBB21_17
.LBB21_13:                              ;   in Loop: Header=BB21_17 Depth=1
	s_xor_b32 s93, s93, 1
	s_add_i32 s8, s91, -2
	s_cmp_eq_u32 s91, 0
	s_mov_b32 s5, 0
	s_cselect_b32 s7, -1, 0
	s_mov_b32 s91, s8
.LBB21_14:                              ;   in Loop: Header=BB21_17 Depth=1
	s_and_not1_b32 s8, s15, exec_lo
	s_and_b32 s5, s5, exec_lo
	s_and_not1_b32 s21, s21, exec_lo
	s_or_b32 s15, s8, s5
	s_and_not1_b32 s14, s14, exec_lo
	s_or_not1_b32 s17, s7, exec_lo
.LBB21_15:                              ;   in Loop: Header=BB21_17 Depth=1
	s_or_b32 exec_lo, exec_lo, s6
	s_delay_alu instid0(SALU_CYCLE_1)
	s_and_not1_b32 s5, s94, exec_lo
	s_and_b32 s6, s15, exec_lo
	s_and_not1_b32 s7, s95, exec_lo
	s_or_b32 s94, s5, s6
	s_and_not1_b32 s5, s96, exec_lo
	s_and_b32 s6, s21, exec_lo
	s_and_b32 s8, s14, exec_lo
	s_or_b32 s96, s5, s6
	s_or_b32 s95, s7, s8
	s_or_not1_b32 s21, s17, exec_lo
.LBB21_16:                              ;   in Loop: Header=BB21_17 Depth=1
	s_or_b32 exec_lo, exec_lo, s16
	s_delay_alu instid0(SALU_CYCLE_1)
	s_and_b32 s5, exec_lo, s21
	v_mov_b32_e32 v2, s98
	s_or_b32 s88, s5, s88
	s_and_not1_b32 s5, s90, exec_lo
	s_and_b32 s6, s94, exec_lo
	s_and_not1_b32 s7, s89, exec_lo
	s_or_b32 s90, s5, s6
	s_and_not1_b32 s5, s92, exec_lo
	s_and_b32 s6, s96, exec_lo
	s_and_b32 s8, s95, exec_lo
	s_or_b32 s92, s5, s6
	s_or_b32 s89, s7, s8
	s_and_not1_b32 exec_lo, exec_lo, s88
	s_cbranch_execz .LBB21_286
.LBB21_17:                              ; =>This Loop Header: Depth=1
                                        ;     Child Loop BB21_25 Depth 2
                                        ;     Child Loop BB21_44 Depth 2
	;; [unrolled: 1-line block ×16, first 2 shown]
	ds_load_b128 v[2:5], v13 offset:5120
	s_waitcnt lgkmcnt(0)
	v_readfirstlane_b32 s69, v3
	v_readfirstlane_b32 s68, v2
	s_delay_alu instid0(VALU_DEP_1) | instskip(NEXT) | instid1(VALU_DEP_1)
	v_cmp_gt_i64_e64 s5, s[68:69], 0
	s_and_b32 vcc_lo, exec_lo, s5
	s_cbranch_vccnz .LBB21_51
; %bb.18:                               ;   in Loop: Header=BB21_17 Depth=1
	s_and_b32 vcc_lo, exec_lo, s78
	s_cbranch_vccz .LBB21_33
; %bb.19:                               ;   in Loop: Header=BB21_17 Depth=1
	v_cmp_gt_i64_e32 vcc_lo, 0x301, v[4:5]
	s_mov_b32 s7, 0
	s_mov_b32 s5, 0
	s_cbranch_vccz .LBB21_38
; %bb.20:                               ;   in Loop: Header=BB21_17 Depth=1
	v_mov_b32_e32 v6, 0
	s_and_saveexec_b32 s5, s4
	s_cbranch_execz .LBB21_22
; %bb.21:                               ;   in Loop: Header=BB21_17 Depth=1
	global_load_b32 v6, v[10:11], off
.LBB21_22:                              ;   in Loop: Header=BB21_17 Depth=1
	s_or_b32 exec_lo, exec_lo, s5
	s_and_saveexec_b32 s8, s4
	s_cbranch_execz .LBB21_34
; %bb.23:                               ;   in Loop: Header=BB21_17 Depth=1
	global_load_u16 v7, v13, s[62:63]
	s_mov_b32 s11, 0
	s_waitcnt vmcnt(0)
	v_readfirstlane_b32 s5, v7
	v_and_b32_e32 v7, 0xffff, v7
	s_delay_alu instid0(VALU_DEP_2) | instskip(NEXT) | instid1(SALU_CYCLE_1)
	s_and_b32 s5, 0xffff, s5
	v_add_nc_u32_e32 v8, s5, v0
	s_mul_i32 s6, s65, s5
	s_mul_hi_u32 s9, s64, s5
	s_mul_i32 s10, s64, s5
	s_add_i32 s9, s9, s6
	v_mad_u64_u32 v[2:3], null, s64, v8, s[60:61]
	s_delay_alu instid0(VALU_DEP_1) | instskip(NEXT) | instid1(VALU_DEP_1)
	v_mad_u64_u32 v[4:5], null, s65, v8, v[3:4]
	v_mov_b32_e32 v3, v4
	v_dual_mov_b32 v5, v1 :: v_dual_mov_b32 v4, v0
	s_branch .LBB21_25
.LBB21_24:                              ;   in Loop: Header=BB21_25 Depth=2
	s_or_b32 exec_lo, exec_lo, s6
	v_add_co_u32 v2, vcc_lo, v2, s10
	v_add_co_ci_u32_e32 v3, vcc_lo, s9, v3, vcc_lo
	s_waitcnt vmcnt(0)
	v_mov_b32_e32 v6, v8
	s_and_not1_b32 exec_lo, exec_lo, s11
	s_cbranch_execz .LBB21_34
.LBB21_25:                              ;   Parent Loop BB21_17 Depth=1
                                        ; =>  This Inner Loop Header: Depth=2
	s_delay_alu instid0(VALU_DEP_1) | instskip(NEXT) | instid1(VALU_DEP_2)
	v_add_co_u32 v4, vcc_lo, v4, v7
	v_add_co_ci_u32_e32 v5, vcc_lo, 0, v5, vcc_lo
	s_waitcnt lgkmcnt(0)
	v_dual_mov_b32 v9, 0 :: v_dual_mov_b32 v8, 0
	s_mov_b32 s6, exec_lo
	s_delay_alu instid0(VALU_DEP_2)
	v_cmp_le_i64_e32 vcc_lo, s[36:37], v[4:5]
	v_cmpx_gt_i64_e64 s[36:37], v[4:5]
	s_cbranch_execz .LBB21_27
; %bb.26:                               ;   in Loop: Header=BB21_25 Depth=2
	global_load_b32 v8, v[2:3], off
.LBB21_27:                              ;   in Loop: Header=BB21_25 Depth=2
	s_or_b32 exec_lo, exec_lo, s6
	v_xor_b32_e32 v12, 0x80000000, v6
	s_delay_alu instid0(VALU_DEP_1) | instskip(NEXT) | instid1(VALU_DEP_1)
	v_and_b32_e32 v12, s97, v12
	v_cmp_eq_u32_e64 s5, s98, v12
	s_delay_alu instid0(VALU_DEP_1) | instskip(SKIP_1) | instid1(SALU_CYCLE_1)
	s_cmp_lg_u32 s5, 0
	s_cselect_b32 s6, -1, 0
	s_and_b32 s6, s1, s6
	s_delay_alu instid0(SALU_CYCLE_1)
	s_and_saveexec_b32 s12, s6
	s_cbranch_execz .LBB21_31
; %bb.28:                               ;   in Loop: Header=BB21_25 Depth=2
	s_mov_b32 s15, exec_lo
	s_bcnt1_i32_b32 s13, s5
	v_mbcnt_lo_u32_b32 v9, s15, 0
	s_mov_b32 s14, exec_lo
                                        ; implicit-def: $vgpr12
	s_delay_alu instid0(VALU_DEP_1)
	v_cmpx_eq_u32_e32 0, v9
	s_cbranch_execz .LBB21_30
; %bb.29:                               ;   in Loop: Header=BB21_25 Depth=2
	s_bcnt1_i32_b32 s6, s15
	s_delay_alu instid0(SALU_CYCLE_1) | instskip(NEXT) | instid1(SALU_CYCLE_1)
	s_mul_i32 s6, s13, s6
	v_mov_b32_e32 v12, s6
	ds_add_rtn_u32 v12, v13, v12 offset:5136
.LBB21_30:                              ;   in Loop: Header=BB21_25 Depth=2
	s_or_b32 exec_lo, exec_lo, s14
	s_waitcnt lgkmcnt(0)
	v_readfirstlane_b32 s6, v12
	s_delay_alu instid0(VALU_DEP_1)
	v_mad_u32_u24 v9, s13, v9, s6
.LBB21_31:                              ;   in Loop: Header=BB21_25 Depth=2
	s_or_b32 exec_lo, exec_lo, s12
	ds_bpermute_b32 v9, v13, v9
	s_and_b32 s6, exec_lo, vcc_lo
	s_delay_alu instid0(SALU_CYCLE_1)
	s_or_b32 s11, s6, s11
	s_and_saveexec_b32 s6, s5
	s_cbranch_execz .LBB21_24
; %bb.32:                               ;   in Loop: Header=BB21_25 Depth=2
	v_and_b32_e32 v12, s5, v38
	s_delay_alu instid0(VALU_DEP_1) | instskip(NEXT) | instid1(VALU_DEP_1)
	v_bcnt_u32_b32 v12, v12, 0
	v_lshlrev_b32_e32 v12, 2, v12
	s_waitcnt lgkmcnt(0)
	s_delay_alu instid0(VALU_DEP_1)
	v_lshl_add_u32 v9, v9, 2, v12
	ds_store_b32 v9, v6
	s_branch .LBB21_24
.LBB21_33:                              ;   in Loop: Header=BB21_17 Depth=1
	s_mov_b32 s7, -1
	s_mov_b32 s5, 0
	s_branch .LBB21_37
.LBB21_34:                              ;   in Loop: Header=BB21_17 Depth=1
	s_or_b32 exec_lo, exec_lo, s8
	s_waitcnt vmcnt(0) lgkmcnt(0)
	s_barrier
	buffer_gl0_inv
	s_and_saveexec_b32 s5, s2
	s_cbranch_execz .LBB21_36
; %bb.35:                               ;   in Loop: Header=BB21_17 Depth=1
	ds_load_b32 v2, v13 offset:5136
	s_waitcnt lgkmcnt(0)
	v_ashrrev_i32_e32 v3, 31, v2
	ds_store_b64 v13, v[2:3] offset:5120
.LBB21_36:                              ;   in Loop: Header=BB21_17 Depth=1
	s_or_b32 exec_lo, exec_lo, s5
	s_waitcnt lgkmcnt(0)
	s_mov_b32 s5, -1
	s_barrier
.LBB21_37:                              ;   in Loop: Header=BB21_17 Depth=1
                                        ; implicit-def: $sgpr68_sgpr69
.LBB21_38:                              ;   in Loop: Header=BB21_17 Depth=1
	s_and_b32 vcc_lo, exec_lo, s7
	s_cbranch_vccz .LBB21_49
; %bb.39:                               ;   in Loop: Header=BB21_17 Depth=1
	v_mov_b32_e32 v6, 0
	s_and_saveexec_b32 s5, s0
	s_cbranch_execz .LBB21_41
; %bb.40:                               ;   in Loop: Header=BB21_17 Depth=1
	global_load_b32 v6, v[10:11], off
.LBB21_41:                              ;   in Loop: Header=BB21_17 Depth=1
	s_or_b32 exec_lo, exec_lo, s5
	s_and_saveexec_b32 s6, s0
	s_cbranch_execz .LBB21_46
; %bb.42:                               ;   in Loop: Header=BB21_17 Depth=1
	global_load_u16 v8, v13, s[62:63]
	s_mov_b32 s10, 0
	s_waitcnt vmcnt(0)
	v_readfirstlane_b32 s5, v8
	v_and_b32_e32 v8, 0xffff, v8
	s_delay_alu instid0(VALU_DEP_2) | instskip(NEXT) | instid1(SALU_CYCLE_1)
	s_and_b32 s5, 0xffff, s5
	v_add_nc_u32_e32 v7, s5, v0
	s_mul_i32 s8, s65, s5
	s_mul_hi_u32 s9, s64, s5
	s_lshl_b32 s7, s5, 2
	s_add_i32 s8, s9, s8
	v_mad_u64_u32 v[2:3], null, s64, v7, s[60:61]
	s_mul_i32 s9, s64, s5
	s_delay_alu instid0(VALU_DEP_1) | instskip(SKIP_1) | instid1(VALU_DEP_2)
	v_mad_u64_u32 v[4:5], null, s65, v7, v[3:4]
	v_mov_b32_e32 v7, v14
	v_mov_b32_e32 v3, v4
	v_dual_mov_b32 v5, v1 :: v_dual_mov_b32 v4, v0
	s_branch .LBB21_44
	.p2align	6
.LBB21_43:                              ;   in Loop: Header=BB21_44 Depth=2
	s_or_b32 exec_lo, exec_lo, s11
	s_delay_alu instid0(SALU_CYCLE_1)
	s_and_b32 s5, exec_lo, vcc_lo
	v_add_co_u32 v2, vcc_lo, v2, s9
	ds_store_b32 v7, v6
	s_waitcnt vmcnt(0)
	v_dual_mov_b32 v6, v9 :: v_dual_add_nc_u32 v7, s7, v7
	v_add_co_ci_u32_e32 v3, vcc_lo, s8, v3, vcc_lo
	s_or_b32 s10, s5, s10
	s_delay_alu instid0(SALU_CYCLE_1)
	s_and_not1_b32 exec_lo, exec_lo, s10
	s_cbranch_execz .LBB21_46
.LBB21_44:                              ;   Parent Loop BB21_17 Depth=1
                                        ; =>  This Inner Loop Header: Depth=2
	s_delay_alu instid0(VALU_DEP_1) | instskip(NEXT) | instid1(VALU_DEP_2)
	v_add_co_u32 v4, vcc_lo, v4, v8
	v_add_co_ci_u32_e32 v5, vcc_lo, 0, v5, vcc_lo
	v_mov_b32_e32 v9, 0
	s_mov_b32 s11, exec_lo
	s_delay_alu instid0(VALU_DEP_2)
	v_cmp_le_i64_e32 vcc_lo, s[36:37], v[4:5]
	v_cmpx_gt_i64_e64 s[36:37], v[4:5]
	s_cbranch_execz .LBB21_43
; %bb.45:                               ;   in Loop: Header=BB21_44 Depth=2
	global_load_b32 v9, v[2:3], off
	s_branch .LBB21_43
.LBB21_46:                              ;   in Loop: Header=BB21_17 Depth=1
	s_or_b32 exec_lo, exec_lo, s6
	s_waitcnt vmcnt(0) lgkmcnt(0)
	s_barrier
	buffer_gl0_inv
	s_and_saveexec_b32 s5, s2
	s_cbranch_execz .LBB21_48
; %bb.47:                               ;   in Loop: Header=BB21_17 Depth=1
	v_dual_mov_b32 v2, s36 :: v_dual_mov_b32 v3, s37
	ds_store_b64 v13, v[2:3] offset:5120
.LBB21_48:                              ;   in Loop: Header=BB21_17 Depth=1
	s_or_b32 exec_lo, exec_lo, s5
	s_mov_b32 s5, -1
	s_waitcnt lgkmcnt(0)
	s_barrier
                                        ; implicit-def: $sgpr68_sgpr69
.LBB21_49:                              ;   in Loop: Header=BB21_17 Depth=1
	s_and_b32 vcc_lo, exec_lo, s5
	s_cbranch_vccz .LBB21_51
; %bb.50:                               ;   in Loop: Header=BB21_17 Depth=1
	buffer_gl0_inv
	ds_load_b64 v[2:3], v13 offset:5120
	s_waitcnt lgkmcnt(0)
	v_readfirstlane_b32 s68, v2
.LBB21_51:                              ;   in Loop: Header=BB21_17 Depth=1
	s_delay_alu instid0(VALU_DEP_1)
	s_cmp_lt_i32 s68, 1
	s_cbranch_scc0 .LBB21_66
; %bb.52:                               ;   in Loop: Header=BB21_17 Depth=1
	global_load_u16 v4, v13, s[62:63]
	s_mov_b32 s6, s57
	s_mov_b32 s7, s37
	s_waitcnt vmcnt(0)
	v_readfirstlane_b32 s5, v4
	s_delay_alu instid0(VALU_DEP_1) | instskip(NEXT) | instid1(SALU_CYCLE_1)
	s_and_b32 s5, 0xffff, s5
	s_lshl_b32 s56, s5, 2
	s_cmp_lg_u64 s[6:7], 0
	s_cbranch_scc0 .LBB21_86
; %bb.53:                               ;   in Loop: Header=BB21_17 Depth=1
	v_cvt_f32_u32_e32 v2, s56
	s_sub_u32 s7, 0, s56
	s_subb_u32 s8, 0, 0
	s_delay_alu instid0(VALU_DEP_1) | instskip(NEXT) | instid1(VALU_DEP_1)
	v_fmac_f32_e32 v2, 0x4f800000, v43
	v_rcp_f32_e32 v2, v2
	s_waitcnt_depctr 0xfff
	v_mul_f32_e32 v2, 0x5f7ffffc, v2
	s_delay_alu instid0(VALU_DEP_1) | instskip(NEXT) | instid1(VALU_DEP_1)
	v_mul_f32_e32 v3, 0x2f800000, v2
	v_trunc_f32_e32 v3, v3
	s_delay_alu instid0(VALU_DEP_1) | instskip(SKIP_1) | instid1(VALU_DEP_2)
	v_fmac_f32_e32 v2, 0xcf800000, v3
	v_cvt_u32_f32_e32 v3, v3
	v_cvt_u32_f32_e32 v2, v2
	s_delay_alu instid0(VALU_DEP_2) | instskip(NEXT) | instid1(VALU_DEP_2)
	v_readfirstlane_b32 s5, v3
	v_readfirstlane_b32 s6, v2
	s_delay_alu instid0(VALU_DEP_2) | instskip(NEXT) | instid1(VALU_DEP_1)
	s_mul_i32 s9, s7, s5
	s_mul_hi_u32 s11, s7, s6
	s_mul_i32 s10, s8, s6
	s_add_i32 s9, s11, s9
	s_mul_i32 s12, s7, s6
	s_add_i32 s9, s9, s10
	s_mul_hi_u32 s11, s6, s12
	s_mul_hi_u32 s13, s5, s12
	s_mul_i32 s10, s5, s12
	s_mul_hi_u32 s12, s6, s9
	s_mul_i32 s6, s6, s9
	s_mul_hi_u32 s14, s5, s9
	s_add_u32 s6, s11, s6
	s_addc_u32 s11, 0, s12
	s_add_u32 s6, s6, s10
	s_mul_i32 s9, s5, s9
	s_addc_u32 s6, s11, s13
	s_addc_u32 s10, s14, 0
	s_add_u32 s6, s6, s9
	s_addc_u32 s9, 0, s10
	v_add_co_u32 v2, s6, v2, s6
	s_delay_alu instid0(VALU_DEP_1) | instskip(SKIP_1) | instid1(VALU_DEP_1)
	s_cmp_lg_u32 s6, 0
	s_addc_u32 s5, s5, s9
	v_readfirstlane_b32 s6, v2
	s_mul_i32 s9, s7, s5
	s_delay_alu instid0(VALU_DEP_1)
	s_mul_hi_u32 s10, s7, s6
	s_mul_i32 s8, s8, s6
	s_add_i32 s9, s10, s9
	s_mul_i32 s7, s7, s6
	s_add_i32 s9, s9, s8
	s_mul_hi_u32 s10, s5, s7
	s_mul_i32 s11, s5, s7
	s_mul_hi_u32 s7, s6, s7
	s_mul_hi_u32 s12, s6, s9
	s_mul_i32 s6, s6, s9
	s_mul_hi_u32 s8, s5, s9
	s_add_u32 s6, s7, s6
	s_addc_u32 s7, 0, s12
	s_add_u32 s6, s6, s11
	s_mul_i32 s9, s5, s9
	s_addc_u32 s6, s7, s10
	s_addc_u32 s7, s8, 0
	s_add_u32 s6, s6, s9
	s_addc_u32 s7, 0, s7
	v_add_co_u32 v2, s6, v2, s6
	s_delay_alu instid0(VALU_DEP_1) | instskip(SKIP_2) | instid1(VALU_DEP_1)
	s_cmp_lg_u32 s6, 0
	s_addc_u32 s5, s5, s7
	s_ashr_i32 s6, s37, 31
	v_readfirstlane_b32 s10, v2
	s_add_u32 s8, s36, s6
	s_mov_b32 s7, s6
	s_addc_u32 s9, s37, s6
	s_delay_alu instid0(SALU_CYCLE_1) | instskip(NEXT) | instid1(SALU_CYCLE_1)
	s_xor_b64 s[8:9], s[8:9], s[6:7]
	s_mul_i32 s11, s8, s5
	s_mul_hi_u32 s12, s8, s10
	s_mul_hi_u32 s7, s8, s5
	;; [unrolled: 1-line block ×3, first 2 shown]
	s_mul_i32 s10, s9, s10
	s_add_u32 s11, s12, s11
	s_addc_u32 s7, 0, s7
	s_mul_hi_u32 s13, s9, s5
	s_add_u32 s10, s11, s10
	s_mul_i32 s5, s9, s5
	s_addc_u32 s7, s7, s14
	s_addc_u32 s10, s13, 0
	s_add_u32 s5, s7, s5
	s_addc_u32 s7, 0, s10
	s_mul_hi_u32 s10, s56, s5
	s_mul_i32 s5, s56, s5
	s_mul_i32 s7, s56, s7
	v_sub_co_u32 v2, s5, s8, s5
	s_add_i32 s10, s10, s7
	s_cmp_lg_u32 s5, 0
	s_delay_alu instid0(VALU_DEP_1) | instskip(SKIP_2) | instid1(VALU_DEP_1)
	v_sub_co_u32 v3, s5, v2, s56
	s_subb_u32 s7, s9, s10
	s_cmp_lg_u32 s5, 0
	v_cmp_le_u32_e32 vcc_lo, s56, v3
	v_sub_co_u32 v5, s5, v3, s56
	s_subb_u32 s8, s7, 0
	s_cmp_lg_u32 s5, 0
	v_cndmask_b32_e64 v6, 0, -1, vcc_lo
	s_subb_u32 s5, s8, 0
	s_cmp_eq_u32 s8, 0
	v_mov_b32_e32 v8, s5
	s_cselect_b32 vcc_lo, -1, 0
	s_cmp_eq_u32 s7, 0
	v_cndmask_b32_e32 v6, -1, v6, vcc_lo
	v_cmp_le_u32_e32 vcc_lo, s56, v2
	s_cselect_b32 s5, -1, 0
	v_cndmask_b32_e64 v7, 0, -1, vcc_lo
	s_delay_alu instid0(VALU_DEP_3) | instskip(NEXT) | instid1(VALU_DEP_2)
	v_cmp_ne_u32_e32 vcc_lo, 0, v6
	v_cndmask_b32_e64 v6, -1, v7, s5
	v_cndmask_b32_e32 v7, s8, v8, vcc_lo
	v_cndmask_b32_e32 v3, v3, v5, vcc_lo
	s_delay_alu instid0(VALU_DEP_3) | instskip(NEXT) | instid1(VALU_DEP_2)
	v_cmp_ne_u32_e32 vcc_lo, 0, v6
	v_cndmask_b32_e32 v2, v2, v3, vcc_lo
	s_delay_alu instid0(VALU_DEP_4) | instskip(NEXT) | instid1(VALU_DEP_2)
	v_cndmask_b32_e32 v5, s7, v7, vcc_lo
	v_xor_b32_e32 v2, s6, v2
	s_delay_alu instid0(VALU_DEP_2) | instskip(NEXT) | instid1(VALU_DEP_2)
	v_xor_b32_e32 v3, s6, v5
	v_sub_co_u32 v26, vcc_lo, v2, s6
	s_delay_alu instid0(VALU_DEP_2)
	v_subrev_co_ci_u32_e32 v27, vcc_lo, s6, v3, vcc_lo
	s_cbranch_execnz .LBB21_55
.LBB21_54:                              ;   in Loop: Header=BB21_17 Depth=1
	v_cvt_f32_u32_e32 v2, s56
	s_sub_i32 s5, 0, s56
	s_delay_alu instid0(VALU_DEP_1) | instskip(SKIP_2) | instid1(VALU_DEP_1)
	v_rcp_iflag_f32_e32 v2, v2
	s_waitcnt_depctr 0xfff
	v_mul_f32_e32 v2, 0x4f7ffffe, v2
	v_cvt_u32_f32_e32 v2, v2
	s_delay_alu instid0(VALU_DEP_1) | instskip(NEXT) | instid1(VALU_DEP_1)
	v_mul_lo_u32 v3, s5, v2
	v_mul_hi_u32 v3, v2, v3
	s_delay_alu instid0(VALU_DEP_1) | instskip(NEXT) | instid1(VALU_DEP_1)
	v_add_nc_u32_e32 v2, v2, v3
	v_mul_hi_u32 v2, s36, v2
	s_delay_alu instid0(VALU_DEP_1) | instskip(NEXT) | instid1(VALU_DEP_1)
	v_mul_lo_u32 v2, v2, s56
	v_sub_nc_u32_e32 v2, s36, v2
	s_delay_alu instid0(VALU_DEP_1) | instskip(SKIP_1) | instid1(VALU_DEP_2)
	v_subrev_nc_u32_e32 v3, s56, v2
	v_cmp_le_u32_e32 vcc_lo, s56, v2
	v_cndmask_b32_e32 v2, v2, v3, vcc_lo
	s_delay_alu instid0(VALU_DEP_1) | instskip(SKIP_1) | instid1(VALU_DEP_2)
	v_subrev_nc_u32_e32 v3, s56, v2
	v_cmp_le_u32_e32 vcc_lo, s56, v2
	v_cndmask_b32_e32 v12, v2, v3, vcc_lo
	s_delay_alu instid0(VALU_DEP_1)
	v_dual_mov_b32 v27, v13 :: v_dual_mov_b32 v26, v12
.LBB21_55:                              ;   in Loop: Header=BB21_17 Depth=1
	v_mov_b32_e32 v2, 0
	v_dual_mov_b32 v3, 0 :: v_dual_and_b32 v12, 0xffff, v4
	s_delay_alu instid0(VALU_DEP_3) | instskip(NEXT) | instid1(VALU_DEP_4)
	v_sub_co_u32 v28, vcc_lo, s36, v26
	v_sub_co_ci_u32_e32 v29, vcc_lo, s37, v27, vcc_lo
	s_delay_alu instid0(VALU_DEP_3)
	v_dual_mov_b32 v5, v3 :: v_dual_mov_b32 v4, v2
	v_dual_mov_b32 v7, v3 :: v_dual_mov_b32 v6, v2
	;; [unrolled: 1-line block ×3, first 2 shown]
	s_mov_b64 s[70:71], 0
	s_mov_b32 s69, exec_lo
	v_cmpx_gt_i64_e64 v[28:29], v[14:15]
	s_cbranch_execz .LBB21_59
; %bb.56:                               ;   in Loop: Header=BB21_17 Depth=1
	v_mul_lo_u32 v2, s67, v12
	v_mul_hi_u32 v3, s66, v12
	v_mul_lo_u32 v24, s66, v12
	v_dual_mov_b32 v30, s60 :: v_dual_mov_b32 v31, s61
	v_dual_mov_b32 v33, v15 :: v_dual_mov_b32 v32, v14
	s_and_b32 s99, s91, 0xfe
	s_mov_b32 s100, 0
	s_delay_alu instid0(VALU_DEP_4)
	v_add_nc_u32_e32 v44, v3, v2
	s_mov_b64 s[72:73], 0
	s_mov_b64 s[74:75], 0
	;; [unrolled: 1-line block ×3, first 2 shown]
.LBB21_57:                              ;   Parent Loop BB21_17 Depth=1
                                        ; =>  This Inner Loop Header: Depth=2
	v_add_co_u32 v2, vcc_lo, v30, v21
	v_add_co_ci_u32_e32 v3, vcc_lo, v31, v22, vcc_lo
	v_add_co_u32 v4, vcc_lo, v30, v20
	v_add_co_ci_u32_e32 v5, vcc_lo, v31, v39, vcc_lo
	;; [unrolled: 2-line block ×4, first 2 shown]
	s_clause 0x3
	global_load_b32 v2, v[2:3], off
	global_load_b32 v3, v[4:5], off
	;; [unrolled: 1-line block ×4, first 2 shown]
	v_add_co_u32 v32, vcc_lo, v32, s56
	v_add_co_ci_u32_e32 v33, vcc_lo, 0, v33, vcc_lo
	v_add_co_u32 v30, vcc_lo, v30, v24
	v_add_co_ci_u32_e32 v31, vcc_lo, v31, v44, vcc_lo
	s_delay_alu instid0(VALU_DEP_3)
	v_cmp_ge_i64_e32 vcc_lo, v[32:33], v[28:29]
	s_waitcnt vmcnt(3)
	v_xor_b32_e32 v2, 0x80000000, v2
	s_waitcnt vmcnt(2)
	v_xor_b32_e32 v3, 0x80000000, v3
	;; [unrolled: 2-line block ×4, first 2 shown]
	v_and_b32_e32 v6, s97, v2
	v_bfe_u32 v2, v2, s99, 2
	v_and_b32_e32 v7, s97, v3
	v_bfe_u32 v3, v3, s99, 2
	;; [unrolled: 2-line block ×3, first 2 shown]
	v_cmp_eq_u32_e64 s5, s98, v6
	v_cmp_eq_u32_e64 s9, 0, v2
	v_and_b32_e32 v9, s97, v5
	v_bfe_u32 v5, v5, s99, 2
	v_cmp_eq_u32_e64 s6, s98, v7
	v_cmp_eq_u32_e64 s10, 0, v3
	;; [unrolled: 1-line block ×4, first 2 shown]
	s_and_b32 s9, s5, s9
	v_cmp_eq_u32_e64 s8, s98, v9
	v_cmp_eq_u32_e64 s12, 0, v5
	;; [unrolled: 1-line block ×5, first 2 shown]
	v_cndmask_b32_e64 v2, 0, 1, s9
	s_and_b32 s9, s6, s10
	v_cmp_eq_u32_e64 s14, 1, v3
	v_cmp_eq_u32_e64 s18, 2, v3
	v_cmp_eq_u32_e64 s22, 3, v3
	v_cndmask_b32_e64 v3, 0, 1, s9
	s_and_b32 s9, s7, s11
	v_cmp_eq_u32_e64 s15, 1, v4
	v_cmp_eq_u32_e64 s19, 2, v4
	v_cmp_eq_u32_e64 s23, 3, v4
	;; [unrolled: 5-line block ×3, first 2 shown]
	v_cndmask_b32_e64 v5, 0, 1, s9
	v_cmp_ne_u32_e64 s9, 0, v2
	v_cmp_ne_u32_e64 s10, 0, v3
	;; [unrolled: 1-line block ×3, first 2 shown]
	s_delay_alu instid0(VALU_DEP_4) | instskip(NEXT) | instid1(VALU_DEP_4)
	v_cmp_ne_u32_e64 s12, 0, v5
	s_bcnt1_i32_b32 s9, s9
	s_delay_alu instid0(VALU_DEP_3) | instskip(NEXT) | instid1(VALU_DEP_2)
	s_bcnt1_i32_b32 s10, s10
	s_bcnt1_i32_b32 s11, s11
	s_add_i32 s9, s10, s9
	s_bcnt1_i32_b32 s12, s12
	s_add_i32 s9, s9, s11
	s_delay_alu instid0(SALU_CYCLE_1) | instskip(NEXT) | instid1(SALU_CYCLE_1)
	s_add_i32 s9, s9, s12
	s_add_u32 s76, s76, s9
	s_addc_u32 s77, s77, 0
	s_and_b32 s9, s5, s13
	s_delay_alu instid0(SALU_CYCLE_1) | instskip(SKIP_1) | instid1(SALU_CYCLE_1)
	v_cndmask_b32_e64 v2, 0, 1, s9
	s_and_b32 s9, s6, s14
	v_cndmask_b32_e64 v3, 0, 1, s9
	s_and_b32 s9, s7, s15
	s_delay_alu instid0(SALU_CYCLE_1) | instskip(SKIP_1) | instid1(VALU_DEP_2)
	v_cndmask_b32_e64 v4, 0, 1, s9
	s_and_b32 s9, s8, s16
	v_cmp_ne_u32_e64 s10, 0, v3
	v_cndmask_b32_e64 v5, 0, 1, s9
	v_cmp_ne_u32_e64 s9, 0, v2
	v_cmp_ne_u32_e64 s11, 0, v4
	s_delay_alu instid0(VALU_DEP_4) | instskip(NEXT) | instid1(VALU_DEP_3)
	s_bcnt1_i32_b32 s10, s10
	v_cmp_ne_u32_e64 s12, 0, v5
	s_delay_alu instid0(VALU_DEP_3) | instskip(NEXT) | instid1(VALU_DEP_2)
	s_bcnt1_i32_b32 s9, s9
	s_bcnt1_i32_b32 s11, s11
	s_add_i32 s9, s10, s9
	s_delay_alu instid0(VALU_DEP_1) | instskip(SKIP_1) | instid1(SALU_CYCLE_1)
	s_bcnt1_i32_b32 s12, s12
	s_add_i32 s9, s9, s11
	s_add_i32 s9, s9, s12
	s_delay_alu instid0(SALU_CYCLE_1) | instskip(SKIP_2) | instid1(SALU_CYCLE_1)
	s_add_u32 s74, s74, s9
	s_addc_u32 s75, s75, 0
	s_and_b32 s9, s5, s17
	v_cndmask_b32_e64 v2, 0, 1, s9
	s_and_b32 s9, s6, s18
	s_delay_alu instid0(SALU_CYCLE_1) | instskip(SKIP_1) | instid1(SALU_CYCLE_1)
	v_cndmask_b32_e64 v3, 0, 1, s9
	s_and_b32 s9, s7, s19
	v_cndmask_b32_e64 v4, 0, 1, s9
	s_and_b32 s9, s8, s20
	s_delay_alu instid0(VALU_DEP_2) | instskip(SKIP_3) | instid1(VALU_DEP_4)
	v_cmp_ne_u32_e64 s10, 0, v3
	v_cndmask_b32_e64 v5, 0, 1, s9
	v_cmp_ne_u32_e64 s9, 0, v2
	v_cmp_ne_u32_e64 s11, 0, v4
	s_bcnt1_i32_b32 s10, s10
	s_delay_alu instid0(VALU_DEP_3) | instskip(NEXT) | instid1(VALU_DEP_3)
	v_cmp_ne_u32_e64 s12, 0, v5
	s_bcnt1_i32_b32 s9, s9
	s_delay_alu instid0(VALU_DEP_2) | instskip(SKIP_1) | instid1(VALU_DEP_1)
	s_bcnt1_i32_b32 s11, s11
	s_add_i32 s9, s10, s9
	s_bcnt1_i32_b32 s12, s12
	s_add_i32 s9, s9, s11
	s_delay_alu instid0(SALU_CYCLE_1) | instskip(NEXT) | instid1(SALU_CYCLE_1)
	s_add_i32 s9, s9, s12
	s_add_u32 s72, s72, s9
	s_addc_u32 s73, s73, 0
	s_and_b32 s5, s5, s21
	v_dual_mov_b32 v6, s72 :: v_dual_mov_b32 v7, s73
	v_cndmask_b32_e64 v2, 0, 1, s5
	s_and_b32 s5, s6, s22
	s_delay_alu instid0(SALU_CYCLE_1) | instskip(SKIP_1) | instid1(SALU_CYCLE_1)
	v_cndmask_b32_e64 v3, 0, 1, s5
	s_and_b32 s5, s7, s23
	v_cndmask_b32_e64 v4, 0, 1, s5
	s_and_b32 s5, s8, s24
	s_delay_alu instid0(VALU_DEP_2)
	v_cmp_ne_u32_e64 s6, 0, v3
	v_cndmask_b32_e64 v5, 0, 1, s5
	v_cmp_ne_u32_e64 s5, 0, v2
	v_cmp_ne_u32_e64 s7, 0, v4
	v_mov_b32_e32 v2, s76
	s_bcnt1_i32_b32 s6, s6
	v_cmp_ne_u32_e64 s8, 0, v5
	s_bcnt1_i32_b32 s5, s5
	s_bcnt1_i32_b32 s7, s7
	s_add_i32 s5, s6, s5
	v_mov_b32_e32 v4, s74
	s_bcnt1_i32_b32 s6, s8
	s_add_i32 s5, s5, s7
	v_mov_b32_e32 v3, s77
	s_add_i32 s5, s5, s6
	v_mov_b32_e32 v5, s75
	s_add_u32 s70, s70, s5
	s_addc_u32 s71, s71, 0
	s_delay_alu instid0(SALU_CYCLE_1) | instskip(SKIP_1) | instid1(SALU_CYCLE_1)
	v_dual_mov_b32 v8, s70 :: v_dual_mov_b32 v9, s71
	s_or_b32 s100, vcc_lo, s100
	s_and_not1_b32 exec_lo, exec_lo, s100
	s_cbranch_execnz .LBB21_57
; %bb.58:                               ;   in Loop: Header=BB21_17 Depth=1
	s_or_b32 exec_lo, exec_lo, s100
.LBB21_59:                              ;   in Loop: Header=BB21_17 Depth=1
	s_delay_alu instid0(SALU_CYCLE_1) | instskip(SKIP_3) | instid1(VALU_DEP_2)
	s_or_b32 exec_lo, exec_lo, s69
	v_add_co_u32 v28, vcc_lo, v28, v0
	v_add_co_ci_u32_e32 v29, vcc_lo, 0, v29, vcc_lo
	v_mov_b32_e32 v31, 0
	v_cmp_gt_i64_e32 vcc_lo, s[36:37], v[28:29]
	s_and_saveexec_b32 s6, vcc_lo
	s_cbranch_execz .LBB21_61
; %bb.60:                               ;   in Loop: Header=BB21_17 Depth=1
	v_mul_lo_u32 v24, v29, s42
	v_mul_lo_u32 v32, v28, s43
	v_mad_u64_u32 v[30:31], null, v28, s42, 0
	s_delay_alu instid0(VALU_DEP_1) | instskip(NEXT) | instid1(VALU_DEP_1)
	v_add3_u32 v31, v31, v32, v24
	v_lshlrev_b64 v[30:31], 2, v[30:31]
	s_delay_alu instid0(VALU_DEP_1) | instskip(NEXT) | instid1(VALU_DEP_1)
	v_add_co_u32 v30, s5, s60, v30
	v_add_co_ci_u32_e64 v31, s5, s61, v31, s5
	global_load_b32 v31, v[30:31], off
.LBB21_61:                              ;   in Loop: Header=BB21_17 Depth=1
	s_or_b32 exec_lo, exec_lo, s6
	s_and_saveexec_b32 s8, vcc_lo
	s_cbranch_execz .LBB21_68
; %bb.62:                               ;   in Loop: Header=BB21_17 Depth=1
	v_add_co_u32 v24, vcc_lo, v40, v12
	v_add_co_ci_u32_e32 v30, vcc_lo, 0, v41, vcc_lo
	v_mul_lo_u32 v33, s65, v12
	s_delay_alu instid0(VALU_DEP_3) | instskip(NEXT) | instid1(VALU_DEP_3)
	v_sub_co_u32 v24, vcc_lo, v24, v26
	v_sub_co_ci_u32_e32 v26, vcc_lo, v30, v27, vcc_lo
	v_mul_hi_u32 v44, s64, v12
	s_delay_alu instid0(VALU_DEP_3) | instskip(SKIP_1) | instid1(VALU_DEP_3)
	v_mul_lo_u32 v32, s65, v24
	s_and_b32 s10, s91, 0xfe
	v_mul_lo_u32 v30, s64, v26
	v_mad_u64_u32 v[26:27], null, s64, v24, s[60:61]
	v_mul_lo_u32 v24, s64, v12
	s_mov_b32 s9, 0
	s_delay_alu instid0(VALU_DEP_2)
	v_add3_u32 v27, v32, v27, v30
	v_add_nc_u32_e32 v30, v44, v33
	s_branch .LBB21_64
.LBB21_63:                              ;   in Loop: Header=BB21_64 Depth=2
	s_or_b32 exec_lo, exec_lo, s6
	s_waitcnt vmcnt(0)
	v_xor_b32_e32 v31, 0x80000000, v31
	s_and_b32 s7, exec_lo, vcc_lo
	s_delay_alu instid0(SALU_CYCLE_1) | instskip(NEXT) | instid1(VALU_DEP_1)
	s_or_b32 s9, s7, s9
	v_and_b32_e32 v33, s97, v31
	v_bfe_u32 v31, v31, s10, 2
	s_delay_alu instid0(VALU_DEP_2) | instskip(NEXT) | instid1(VALU_DEP_2)
	v_cmp_eq_u32_e64 s5, s98, v33
	v_cmp_eq_u32_e64 s6, 0, v31
	v_cmp_eq_u32_e32 vcc_lo, 1, v31
	v_cmp_eq_u32_e64 s7, 2, v31
	s_delay_alu instid0(VALU_DEP_3) | instskip(NEXT) | instid1(SALU_CYCLE_1)
	s_and_b32 s6, s5, s6
	v_cndmask_b32_e64 v33, 0, 1, s6
	s_and_b32 s6, s5, vcc_lo
	v_cmp_eq_u32_e32 vcc_lo, 3, v31
	v_cndmask_b32_e64 v44, 0, 1, s6
	s_and_b32 s6, s5, s7
	s_delay_alu instid0(SALU_CYCLE_1) | instskip(SKIP_1) | instid1(VALU_DEP_3)
	v_cndmask_b32_e64 v31, 0, 1, s6
	v_cmp_ne_u32_e64 s6, 0, v33
	v_cmp_ne_u32_e64 s7, 0, v44
	s_and_b32 s5, s5, vcc_lo
	s_delay_alu instid0(SALU_CYCLE_1) | instskip(NEXT) | instid1(VALU_DEP_3)
	v_cndmask_b32_e64 v33, 0, 1, s5
	s_bcnt1_i32_b32 s5, s6
	v_cmp_ne_u32_e32 vcc_lo, 0, v31
	v_add_co_u32 v2, s5, v2, s5
	s_bcnt1_i32_b32 s6, s7
	v_add_co_ci_u32_e64 v3, s5, 0, v3, s5
	v_add_co_u32 v4, s5, v4, s6
	s_delay_alu instid0(VALU_DEP_1) | instskip(SKIP_3) | instid1(VALU_DEP_1)
	v_add_co_ci_u32_e64 v5, s5, 0, v5, s5
	s_bcnt1_i32_b32 s5, vcc_lo
	v_cmp_ne_u32_e32 vcc_lo, 0, v33
	v_add_co_u32 v6, s5, v6, s5
	v_add_co_ci_u32_e64 v7, s5, 0, v7, s5
	s_bcnt1_i32_b32 s5, vcc_lo
	v_mov_b32_e32 v31, v32
	v_add_co_u32 v8, vcc_lo, v8, s5
	v_add_co_ci_u32_e32 v9, vcc_lo, 0, v9, vcc_lo
	v_add_co_u32 v26, vcc_lo, v26, v24
	v_add_co_ci_u32_e32 v27, vcc_lo, v27, v30, vcc_lo
	s_and_not1_b32 exec_lo, exec_lo, s9
	s_cbranch_execz .LBB21_67
.LBB21_64:                              ;   Parent Loop BB21_17 Depth=1
                                        ; =>  This Inner Loop Header: Depth=2
	v_add_co_u32 v28, vcc_lo, v28, v12
	v_add_co_ci_u32_e32 v29, vcc_lo, 0, v29, vcc_lo
	v_mov_b32_e32 v32, 0
	s_mov_b32 s6, exec_lo
	s_delay_alu instid0(VALU_DEP_2)
	v_cmp_le_i64_e32 vcc_lo, s[36:37], v[28:29]
	v_cmpx_gt_i64_e64 s[36:37], v[28:29]
	s_cbranch_execz .LBB21_63
; %bb.65:                               ;   in Loop: Header=BB21_64 Depth=2
	global_load_b32 v32, v[26:27], off
	s_branch .LBB21_63
.LBB21_66:                              ;   in Loop: Header=BB21_17 Depth=1
                                        ; implicit-def: $vgpr8_vgpr9
                                        ; implicit-def: $vgpr4_vgpr5
	s_cbranch_execnz .LBB21_69
	s_branch .LBB21_78
.LBB21_67:                              ;   in Loop: Header=BB21_17 Depth=1
	s_or_b32 exec_lo, exec_lo, s9
.LBB21_68:                              ;   in Loop: Header=BB21_17 Depth=1
	s_delay_alu instid0(SALU_CYCLE_1)
	s_or_b32 exec_lo, exec_lo, s8
	s_branch .LBB21_78
.LBB21_69:                              ;   in Loop: Header=BB21_17 Depth=1
	global_load_u16 v8, v13, s[62:63]
	s_mov_b64 s[70:71], 0
	s_mov_b32 s99, exec_lo
	s_waitcnt vmcnt(0)
	v_readfirstlane_b32 s5, v8
	v_and_b32_e32 v24, 0xffff, v8
	s_delay_alu instid0(VALU_DEP_2) | instskip(NEXT) | instid1(SALU_CYCLE_1)
	s_and_b32 s5, 0xffff, s5
	s_lshl_b32 s69, s5, 2
	s_delay_alu instid0(SALU_CYCLE_1) | instskip(SKIP_1) | instid1(VALU_DEP_1)
	v_cvt_f32_u32_e32 v2, s69
	s_sub_i32 s6, 0, s69
	v_rcp_iflag_f32_e32 v2, v2
	s_waitcnt_depctr 0xfff
	v_mul_f32_e32 v2, 0x4f7ffffe, v2
	s_delay_alu instid0(VALU_DEP_1) | instskip(NEXT) | instid1(VALU_DEP_1)
	v_cvt_u32_f32_e32 v2, v2
	v_readfirstlane_b32 s5, v2
	v_mov_b32_e32 v2, 0
	v_mov_b32_e32 v3, 0
	s_delay_alu instid0(VALU_DEP_3) | instskip(NEXT) | instid1(VALU_DEP_1)
	s_mul_i32 s6, s6, s5
	v_dual_mov_b32 v5, v3 :: v_dual_mov_b32 v4, v2
	s_mul_hi_u32 s6, s5, s6
	v_dual_mov_b32 v7, v3 :: v_dual_mov_b32 v6, v2
	s_add_i32 s5, s5, s6
	v_dual_mov_b32 v9, v3 :: v_dual_mov_b32 v8, v2
	s_mul_hi_u32 s5, s68, s5
	s_delay_alu instid0(SALU_CYCLE_1) | instskip(NEXT) | instid1(SALU_CYCLE_1)
	s_mul_i32 s5, s5, s69
	s_sub_i32 s5, s68, s5
	s_delay_alu instid0(SALU_CYCLE_1) | instskip(SKIP_2) | instid1(SALU_CYCLE_1)
	s_sub_i32 s6, s5, s69
	s_cmp_ge_u32 s5, s69
	s_cselect_b32 s5, s6, s5
	s_sub_i32 s6, s5, s69
	s_cmp_ge_u32 s5, s69
	s_cselect_b32 s5, s6, s5
	s_delay_alu instid0(SALU_CYCLE_1) | instskip(NEXT) | instid1(SALU_CYCLE_1)
	s_sub_i32 s56, s68, s5
	v_cmpx_gt_u32_e64 s56, v14
	s_cbranch_execz .LBB21_73
; %bb.70:                               ;   in Loop: Header=BB21_17 Depth=1
	v_dual_mov_b32 v27, v15 :: v_dual_lshlrev_b32 v12, 4, v24
	v_mov_b32_e32 v28, v37
	v_mov_b32_e32 v26, v14
	s_and_b32 s100, s91, 0xfe
	s_mov_b32 s101, 0
	s_mov_b64 s[72:73], 0
	s_mov_b64 s[74:75], 0
	;; [unrolled: 1-line block ×3, first 2 shown]
.LBB21_71:                              ;   Parent Loop BB21_17 Depth=1
                                        ; =>  This Inner Loop Header: Depth=2
	ds_load_b128 v[2:5], v28
	v_add_co_u32 v26, vcc_lo, v26, s69
	v_add_co_ci_u32_e32 v27, vcc_lo, 0, v27, vcc_lo
	s_delay_alu instid0(VALU_DEP_1)
	v_cmp_le_u64_e32 vcc_lo, s[56:57], v[26:27]
	s_waitcnt lgkmcnt(0)
	v_xor_b32_e32 v2, 0x80000000, v2
	v_xor_b32_e32 v3, 0x80000000, v3
	;; [unrolled: 1-line block ×4, first 2 shown]
	s_delay_alu instid0(VALU_DEP_4)
	v_and_b32_e32 v6, s97, v2
	v_bfe_u32 v2, v2, s100, 2
	v_and_b32_e32 v7, s97, v3
	v_bfe_u32 v3, v3, s100, 2
	;; [unrolled: 2-line block ×3, first 2 shown]
	v_cmp_eq_u32_e64 s5, s98, v6
	v_cmp_eq_u32_e64 s9, 0, v2
	v_and_b32_e32 v9, s97, v5
	v_bfe_u32 v5, v5, s100, 2
	v_cmp_eq_u32_e64 s6, s98, v7
	v_cmp_eq_u32_e64 s10, 0, v3
	;; [unrolled: 1-line block ×4, first 2 shown]
	s_and_b32 s9, s5, s9
	v_cmp_eq_u32_e64 s8, s98, v9
	v_cmp_eq_u32_e64 s12, 0, v5
	;; [unrolled: 1-line block ×5, first 2 shown]
	v_cndmask_b32_e64 v2, 0, 1, s9
	s_and_b32 s9, s6, s10
	v_cmp_eq_u32_e64 s14, 1, v3
	v_cmp_eq_u32_e64 s18, 2, v3
	v_cmp_eq_u32_e64 s22, 3, v3
	v_cndmask_b32_e64 v3, 0, 1, s9
	s_and_b32 s9, s7, s11
	v_cmp_eq_u32_e64 s15, 1, v4
	v_cmp_eq_u32_e64 s19, 2, v4
	v_cmp_eq_u32_e64 s23, 3, v4
	;; [unrolled: 5-line block ×3, first 2 shown]
	v_cndmask_b32_e64 v5, 0, 1, s9
	v_cmp_ne_u32_e64 s9, 0, v2
	v_cmp_ne_u32_e64 s10, 0, v3
	;; [unrolled: 1-line block ×3, first 2 shown]
	s_delay_alu instid0(VALU_DEP_4) | instskip(NEXT) | instid1(VALU_DEP_4)
	v_cmp_ne_u32_e64 s12, 0, v5
	s_bcnt1_i32_b32 s9, s9
	s_delay_alu instid0(VALU_DEP_3) | instskip(NEXT) | instid1(VALU_DEP_2)
	s_bcnt1_i32_b32 s10, s10
	s_bcnt1_i32_b32 s11, s11
	s_add_i32 s9, s10, s9
	s_bcnt1_i32_b32 s12, s12
	s_add_i32 s9, s9, s11
	s_delay_alu instid0(SALU_CYCLE_1) | instskip(NEXT) | instid1(SALU_CYCLE_1)
	s_add_i32 s9, s9, s12
	s_add_u32 s76, s76, s9
	s_addc_u32 s77, s77, 0
	s_and_b32 s9, s5, s13
	v_add_nc_u32_e32 v28, v28, v12
	v_cndmask_b32_e64 v2, 0, 1, s9
	s_and_b32 s9, s6, s14
	s_delay_alu instid0(SALU_CYCLE_1) | instskip(SKIP_1) | instid1(SALU_CYCLE_1)
	v_cndmask_b32_e64 v3, 0, 1, s9
	s_and_b32 s9, s7, s15
	v_cndmask_b32_e64 v4, 0, 1, s9
	s_and_b32 s9, s8, s16
	s_delay_alu instid0(VALU_DEP_2) | instskip(SKIP_3) | instid1(VALU_DEP_4)
	v_cmp_ne_u32_e64 s10, 0, v3
	v_cndmask_b32_e64 v5, 0, 1, s9
	v_cmp_ne_u32_e64 s9, 0, v2
	v_cmp_ne_u32_e64 s11, 0, v4
	s_bcnt1_i32_b32 s10, s10
	s_delay_alu instid0(VALU_DEP_3) | instskip(NEXT) | instid1(VALU_DEP_3)
	v_cmp_ne_u32_e64 s12, 0, v5
	s_bcnt1_i32_b32 s9, s9
	s_delay_alu instid0(VALU_DEP_2) | instskip(SKIP_1) | instid1(VALU_DEP_1)
	s_bcnt1_i32_b32 s11, s11
	s_add_i32 s9, s10, s9
	s_bcnt1_i32_b32 s12, s12
	s_add_i32 s9, s9, s11
	s_delay_alu instid0(SALU_CYCLE_1) | instskip(NEXT) | instid1(SALU_CYCLE_1)
	s_add_i32 s9, s9, s12
	s_add_u32 s74, s74, s9
	s_addc_u32 s75, s75, 0
	s_and_b32 s9, s5, s17
	s_delay_alu instid0(SALU_CYCLE_1) | instskip(SKIP_1) | instid1(SALU_CYCLE_1)
	v_cndmask_b32_e64 v2, 0, 1, s9
	s_and_b32 s9, s6, s18
	v_cndmask_b32_e64 v3, 0, 1, s9
	s_and_b32 s9, s7, s19
	s_delay_alu instid0(SALU_CYCLE_1) | instskip(SKIP_1) | instid1(VALU_DEP_2)
	v_cndmask_b32_e64 v4, 0, 1, s9
	s_and_b32 s9, s8, s20
	v_cmp_ne_u32_e64 s10, 0, v3
	v_cndmask_b32_e64 v5, 0, 1, s9
	v_cmp_ne_u32_e64 s9, 0, v2
	v_cmp_ne_u32_e64 s11, 0, v4
	s_delay_alu instid0(VALU_DEP_4) | instskip(NEXT) | instid1(VALU_DEP_3)
	s_bcnt1_i32_b32 s10, s10
	v_cmp_ne_u32_e64 s12, 0, v5
	s_delay_alu instid0(VALU_DEP_3) | instskip(NEXT) | instid1(VALU_DEP_2)
	s_bcnt1_i32_b32 s9, s9
	s_bcnt1_i32_b32 s11, s11
	s_add_i32 s9, s10, s9
	s_delay_alu instid0(VALU_DEP_1) | instskip(SKIP_1) | instid1(SALU_CYCLE_1)
	s_bcnt1_i32_b32 s12, s12
	s_add_i32 s9, s9, s11
	s_add_i32 s9, s9, s12
	s_delay_alu instid0(SALU_CYCLE_1) | instskip(SKIP_2) | instid1(SALU_CYCLE_1)
	s_add_u32 s72, s72, s9
	s_addc_u32 s73, s73, 0
	s_and_b32 s5, s5, s21
	v_cndmask_b32_e64 v2, 0, 1, s5
	s_and_b32 s5, s6, s22
	s_delay_alu instid0(SALU_CYCLE_1) | instskip(SKIP_1) | instid1(SALU_CYCLE_1)
	v_cndmask_b32_e64 v3, 0, 1, s5
	s_and_b32 s5, s7, s23
	v_cndmask_b32_e64 v4, 0, 1, s5
	s_and_b32 s5, s8, s24
	s_delay_alu instid0(VALU_DEP_2) | instskip(SKIP_4) | instid1(VALU_DEP_4)
	v_cmp_ne_u32_e64 s6, 0, v3
	v_cndmask_b32_e64 v5, 0, 1, s5
	v_cmp_ne_u32_e64 s5, 0, v2
	v_cmp_ne_u32_e64 s7, 0, v4
	v_dual_mov_b32 v2, s76 :: v_dual_mov_b32 v3, s77
	v_cmp_ne_u32_e64 s8, 0, v5
	s_delay_alu instid0(VALU_DEP_4)
	s_bcnt1_i32_b32 s5, s5
	s_bcnt1_i32_b32 s6, s6
	s_bcnt1_i32_b32 s7, s7
	s_add_i32 s5, s6, s5
	s_bcnt1_i32_b32 s6, s8
	s_add_i32 s5, s5, s7
	v_mov_b32_e32 v4, s74
	s_add_i32 s5, s5, s6
	v_mov_b32_e32 v5, s75
	s_add_u32 s70, s70, s5
	s_addc_u32 s71, s71, 0
	v_mov_b32_e32 v6, s72
	v_dual_mov_b32 v8, s70 :: v_dual_mov_b32 v9, s71
	v_mov_b32_e32 v7, s73
	s_or_b32 s101, vcc_lo, s101
	s_delay_alu instid0(SALU_CYCLE_1)
	s_and_not1_b32 exec_lo, exec_lo, s101
	s_cbranch_execnz .LBB21_71
; %bb.72:                               ;   in Loop: Header=BB21_17 Depth=1
	s_or_b32 exec_lo, exec_lo, s101
.LBB21_73:                              ;   in Loop: Header=BB21_17 Depth=1
	s_delay_alu instid0(SALU_CYCLE_1) | instskip(SKIP_2) | instid1(VALU_DEP_1)
	s_or_b32 exec_lo, exec_lo, s99
	v_add_nc_u32_e32 v12, s56, v0
	s_mov_b32 s12, exec_lo
	v_cmpx_gt_u32_e64 s68, v12
	s_cbranch_execz .LBB21_77
; %bb.74:                               ;   in Loop: Header=BB21_17 Depth=1
	v_dual_mov_b32 v27, v13 :: v_dual_lshlrev_b32 v28, 2, v12
	v_mov_b32_e32 v26, v12
	s_mov_b32 s11, 0
	s_and_b32 s10, s68, 0x7fffffff
	s_and_b32 s14, s91, 0xfe
	s_mov_b32 s13, s11
.LBB21_75:                              ;   Parent Loop BB21_17 Depth=1
                                        ; =>  This Inner Loop Header: Depth=2
	ds_load_b32 v12, v28
	v_add_co_u32 v26, vcc_lo, v26, v24
	v_add_co_ci_u32_e32 v27, vcc_lo, 0, v27, vcc_lo
	v_add_nc_u32_e32 v28, s69, v28
	s_delay_alu instid0(VALU_DEP_2) | instskip(SKIP_2) | instid1(VALU_DEP_1)
	v_cmp_le_u64_e32 vcc_lo, s[10:11], v[26:27]
	s_waitcnt lgkmcnt(0)
	v_xor_b32_e32 v12, 0x80000000, v12
	v_and_b32_e32 v29, s97, v12
	v_bfe_u32 v12, v12, s14, 2
	s_delay_alu instid0(VALU_DEP_2) | instskip(NEXT) | instid1(VALU_DEP_2)
	v_cmp_eq_u32_e64 s5, s98, v29
	v_cmp_eq_u32_e64 s6, 0, v12
	;; [unrolled: 1-line block ×5, first 2 shown]
	s_delay_alu instid0(VALU_DEP_4) | instskip(NEXT) | instid1(SALU_CYCLE_1)
	s_and_b32 s6, s5, s6
	v_cndmask_b32_e64 v12, 0, 1, s6
	s_and_b32 s6, s5, s7
	s_delay_alu instid0(SALU_CYCLE_1)
	v_cndmask_b32_e64 v29, 0, 1, s6
	s_and_b32 s6, s5, s8
	s_and_b32 s5, s5, s9
	v_cndmask_b32_e64 v30, 0, 1, s6
	v_cndmask_b32_e64 v31, 0, 1, s5
	v_cmp_ne_u32_e64 s5, 0, v12
	v_cmp_ne_u32_e64 s6, 0, v29
	s_delay_alu instid0(VALU_DEP_4) | instskip(NEXT) | instid1(VALU_DEP_4)
	v_cmp_ne_u32_e64 s7, 0, v30
	v_cmp_ne_u32_e64 s8, 0, v31
	s_delay_alu instid0(VALU_DEP_4) | instskip(NEXT) | instid1(VALU_DEP_3)
	s_bcnt1_i32_b32 s5, s5
	s_bcnt1_i32_b32 s6, s6
	v_add_co_u32 v2, s5, v2, s5
	s_delay_alu instid0(VALU_DEP_1)
	v_add_co_ci_u32_e64 v3, s5, 0, v3, s5
	v_add_co_u32 v4, s5, v4, s6
	s_bcnt1_i32_b32 s7, s7
	v_add_co_ci_u32_e64 v5, s5, 0, v5, s5
	v_add_co_u32 v6, s5, v6, s7
	s_bcnt1_i32_b32 s8, s8
	v_add_co_ci_u32_e64 v7, s5, 0, v7, s5
	v_add_co_u32 v8, s5, v8, s8
	s_delay_alu instid0(VALU_DEP_1) | instskip(SKIP_1) | instid1(SALU_CYCLE_1)
	v_add_co_ci_u32_e64 v9, s5, 0, v9, s5
	s_or_b32 s13, vcc_lo, s13
	s_and_not1_b32 exec_lo, exec_lo, s13
	s_cbranch_execnz .LBB21_75
; %bb.76:                               ;   in Loop: Header=BB21_17 Depth=1
	s_or_b32 exec_lo, exec_lo, s13
.LBB21_77:                              ;   in Loop: Header=BB21_17 Depth=1
	s_delay_alu instid0(SALU_CYCLE_1)
	s_or_b32 exec_lo, exec_lo, s12
.LBB21_78:                              ;   in Loop: Header=BB21_17 Depth=1
	s_lshl_b32 s5, s93, 7
	s_and_saveexec_b32 s6, s1
	s_cbranch_execz .LBB21_80
; %bb.79:                               ;   in Loop: Header=BB21_17 Depth=1
	v_or_b32_e32 v12, s5, v36
	s_delay_alu instid0(VALU_DEP_1)
	v_lshlrev_b32_e32 v12, 3, v12
	ds_store_b128 v12, v[2:5] offset:3072
	ds_store_b128 v12, v[6:9] offset:3088
.LBB21_80:                              ;   in Loop: Header=BB21_17 Depth=1
	s_or_b32 exec_lo, exec_lo, s6
	s_waitcnt vmcnt(0) lgkmcnt(0)
	s_barrier
	buffer_gl0_inv
	s_and_saveexec_b32 s6, s33
	s_cbranch_execz .LBB21_91
; %bb.81:                               ;   in Loop: Header=BB21_17 Depth=1
	v_mov_b32_e32 v2, 0
	v_mov_b32_e32 v3, 0
	s_and_not1_b32 vcc_lo, exec_lo, s85
	s_cbranch_vccnz .LBB21_90
; %bb.82:                               ;   in Loop: Header=BB21_17 Depth=1
	v_mov_b32_e32 v2, 0
	v_mov_b32_e32 v3, 0
	s_and_not1_b32 vcc_lo, exec_lo, s83
	s_cbranch_vccnz .LBB21_87
; %bb.83:                               ;   in Loop: Header=BB21_17 Depth=1
	v_lshl_add_u32 v4, s93, 10, v42
	s_mov_b32 s7, 0
	s_set_inst_prefetch_distance 0x1
	.p2align	6
.LBB21_84:                              ;   Parent Loop BB21_17 Depth=1
                                        ; =>  This Inner Loop Header: Depth=2
	ds_load_2addr_b64 v[5:8], v4 offset1:4
	ds_load_2addr_b64 v[26:29], v4 offset0:8 offset1:12
	ds_load_2addr_b64 v[30:33], v4 offset0:16 offset1:20
	s_add_i32 s7, s7, 8
	s_delay_alu instid0(SALU_CYCLE_1) | instskip(SKIP_3) | instid1(VALU_DEP_2)
	s_cmp_eq_u32 s84, s7
	s_waitcnt lgkmcnt(2)
	v_add_co_u32 v2, vcc_lo, v5, v2
	v_add_co_ci_u32_e32 v3, vcc_lo, v6, v3, vcc_lo
	v_add_co_u32 v2, vcc_lo, v7, v2
	s_delay_alu instid0(VALU_DEP_2)
	v_add_co_ci_u32_e32 v3, vcc_lo, v8, v3, vcc_lo
	ds_load_2addr_b64 v[5:8], v4 offset0:24 offset1:28
	s_waitcnt lgkmcnt(2)
	v_add_co_u32 v2, vcc_lo, v26, v2
	v_add_co_ci_u32_e32 v3, vcc_lo, v27, v3, vcc_lo
	v_add_nc_u32_e32 v4, 0x100, v4
	s_delay_alu instid0(VALU_DEP_3) | instskip(NEXT) | instid1(VALU_DEP_3)
	v_add_co_u32 v2, vcc_lo, v28, v2
	v_add_co_ci_u32_e32 v3, vcc_lo, v29, v3, vcc_lo
	s_waitcnt lgkmcnt(1)
	s_delay_alu instid0(VALU_DEP_2) | instskip(NEXT) | instid1(VALU_DEP_2)
	v_add_co_u32 v2, vcc_lo, v30, v2
	v_add_co_ci_u32_e32 v3, vcc_lo, v31, v3, vcc_lo
	s_delay_alu instid0(VALU_DEP_2) | instskip(NEXT) | instid1(VALU_DEP_2)
	v_add_co_u32 v2, vcc_lo, v32, v2
	v_add_co_ci_u32_e32 v3, vcc_lo, v33, v3, vcc_lo
	s_waitcnt lgkmcnt(0)
	s_delay_alu instid0(VALU_DEP_2) | instskip(NEXT) | instid1(VALU_DEP_2)
	v_add_co_u32 v2, vcc_lo, v5, v2
	v_add_co_ci_u32_e32 v3, vcc_lo, v6, v3, vcc_lo
	s_delay_alu instid0(VALU_DEP_2) | instskip(NEXT) | instid1(VALU_DEP_2)
	v_add_co_u32 v2, vcc_lo, v7, v2
	v_add_co_ci_u32_e32 v3, vcc_lo, v8, v3, vcc_lo
	s_cbranch_scc0 .LBB21_84
; %bb.85:                               ;   in Loop: Header=BB21_17 Depth=1
	s_set_inst_prefetch_distance 0x2
	s_mov_b32 s7, s84
	s_and_not1_b32 vcc_lo, exec_lo, s86
	s_cbranch_vccz .LBB21_88
	s_branch .LBB21_90
.LBB21_86:                              ;   in Loop: Header=BB21_17 Depth=1
                                        ; implicit-def: $vgpr26_vgpr27
	s_branch .LBB21_54
.LBB21_87:                              ;   in Loop: Header=BB21_17 Depth=1
	s_mov_b32 s7, 0
	s_and_not1_b32 vcc_lo, exec_lo, s86
	s_cbranch_vccnz .LBB21_90
.LBB21_88:                              ;   in Loop: Header=BB21_17 Depth=1
	s_lshl_b32 s8, s93, 10
	s_lshl_b32 s7, s7, 5
	s_delay_alu instid0(SALU_CYCLE_1)
	v_add3_u32 v4, s8, s7, v42
	s_mov_b32 s7, s82
.LBB21_89:                              ;   Parent Loop BB21_17 Depth=1
                                        ; =>  This Inner Loop Header: Depth=2
	ds_load_b64 v[5:6], v4
	v_add_nc_u32_e32 v4, 32, v4
	s_add_i32 s7, s7, -1
	s_delay_alu instid0(SALU_CYCLE_1)
	s_cmp_lg_u32 s7, 0
	s_waitcnt lgkmcnt(0)
	v_add_co_u32 v2, vcc_lo, v5, v2
	v_add_co_ci_u32_e32 v3, vcc_lo, v6, v3, vcc_lo
	s_cbranch_scc1 .LBB21_89
.LBB21_90:                              ;   in Loop: Header=BB21_17 Depth=1
	v_add_lshl_u32 v4, s5, v34, 3
	ds_store_b64 v4, v[2:3] offset:3072
.LBB21_91:                              ;   in Loop: Header=BB21_17 Depth=1
	s_or_b32 exec_lo, exec_lo, s6
	s_lshl_b32 s5, s5, 3
	s_waitcnt lgkmcnt(0)
	v_mov_b32_e32 v6, s5
	s_barrier
	buffer_gl0_inv
	s_and_b32 s19, s91, 0xfe
	s_mov_b32 s21, -1
	ds_load_b128 v[2:5], v6 offset:3072
	ds_load_b128 v[6:9], v6 offset:3088
	s_lshl_b32 s18, 3, s19
	s_delay_alu instid0(SALU_CYCLE_1)
	s_not_b32 s20, s18
	s_waitcnt lgkmcnt(1)
	v_readfirstlane_b32 s13, v3
	v_readfirstlane_b32 s12, v2
	;; [unrolled: 1-line block ×4, first 2 shown]
	s_waitcnt lgkmcnt(0)
	v_readfirstlane_b32 s8, v6
	v_readfirstlane_b32 s9, v7
	s_cmp_eq_u64 s[12:13], 1
	v_readfirstlane_b32 s6, v8
	s_cselect_b32 s5, -1, 0
	s_cmp_eq_u64 s[38:39], 1
	s_cselect_b32 s7, -1, 0
	s_delay_alu instid0(SALU_CYCLE_1)
	s_and_b32 s22, s5, s7
	v_readfirstlane_b32 s7, v9
	s_and_b32 vcc_lo, exec_lo, s22
	s_cbranch_vccz .LBB21_106
; %bb.92:                               ;   in Loop: Header=BB21_17 Depth=1
	ds_load_b64 v[2:3], v13 offset:5120
	s_waitcnt lgkmcnt(0)
	s_barrier
	buffer_gl0_inv
	v_readfirstlane_b32 s14, v2
	v_readfirstlane_b32 s15, v3
	s_and_saveexec_b32 s5, s3
	s_cbranch_execz .LBB21_94
; %bb.93:                               ;   in Loop: Header=BB21_17 Depth=1
	ds_store_b32 v35, v13
.LBB21_94:                              ;   in Loop: Header=BB21_17 Depth=1
	s_or_b32 exec_lo, exec_lo, s5
	s_delay_alu instid0(VALU_DEP_1)
	v_cmp_lt_i64_e64 s5, s[14:15], 1
	s_and_b32 s98, s98, s20
	s_or_b32 s97, s97, s18
	s_waitcnt lgkmcnt(0)
	s_barrier
	buffer_gl0_inv
	s_and_b32 vcc_lo, exec_lo, s5
	s_cbranch_vccz .LBB21_107
; %bb.95:                               ;   in Loop: Header=BB21_17 Depth=1
	s_mov_b32 s24, s57
	s_delay_alu instid0(SALU_CYCLE_1)
	s_cmp_lg_u64 s[24:25], 0
	s_cbranch_scc0 .LBB21_152
; %bb.96:                               ;   in Loop: Header=BB21_17 Depth=1
	v_cvt_f32_u32_e32 v2, s27
	s_sub_u32 s17, 0, s27
	s_subb_u32 s23, 0, 0
	s_delay_alu instid0(VALU_DEP_1) | instskip(NEXT) | instid1(VALU_DEP_1)
	v_fmac_f32_e32 v2, 0x4f800000, v43
	v_rcp_f32_e32 v2, v2
	s_waitcnt_depctr 0xfff
	v_mul_f32_e32 v2, 0x5f7ffffc, v2
	s_delay_alu instid0(VALU_DEP_1) | instskip(NEXT) | instid1(VALU_DEP_1)
	v_mul_f32_e32 v3, 0x2f800000, v2
	v_trunc_f32_e32 v3, v3
	s_delay_alu instid0(VALU_DEP_1) | instskip(SKIP_1) | instid1(VALU_DEP_2)
	v_fmac_f32_e32 v2, 0xcf800000, v3
	v_cvt_u32_f32_e32 v3, v3
	v_cvt_u32_f32_e32 v2, v2
	s_delay_alu instid0(VALU_DEP_2) | instskip(NEXT) | instid1(VALU_DEP_2)
	v_readfirstlane_b32 s5, v3
	v_readfirstlane_b32 s16, v2
	s_delay_alu instid0(VALU_DEP_2) | instskip(NEXT) | instid1(VALU_DEP_1)
	s_mul_i32 s24, s17, s5
	s_mul_hi_u32 s68, s17, s16
	s_mul_i32 s56, s23, s16
	s_add_i32 s24, s68, s24
	s_mul_i32 s69, s17, s16
	s_add_i32 s24, s24, s56
	s_mul_hi_u32 s68, s16, s69
	s_mul_hi_u32 s70, s5, s69
	s_mul_i32 s56, s5, s69
	s_mul_hi_u32 s69, s16, s24
	s_mul_i32 s16, s16, s24
	s_mul_hi_u32 s71, s5, s24
	s_add_u32 s16, s68, s16
	s_addc_u32 s68, 0, s69
	s_add_u32 s16, s16, s56
	s_mul_i32 s24, s5, s24
	s_addc_u32 s16, s68, s70
	s_addc_u32 s56, s71, 0
	s_add_u32 s16, s16, s24
	s_addc_u32 s24, 0, s56
	v_add_co_u32 v2, s16, v2, s16
	s_delay_alu instid0(VALU_DEP_1) | instskip(SKIP_1) | instid1(VALU_DEP_1)
	s_cmp_lg_u32 s16, 0
	s_addc_u32 s5, s5, s24
	v_readfirstlane_b32 s16, v2
	s_mul_i32 s24, s17, s5
	s_delay_alu instid0(VALU_DEP_1)
	s_mul_hi_u32 s56, s17, s16
	s_mul_i32 s23, s23, s16
	s_add_i32 s24, s56, s24
	s_mul_i32 s17, s17, s16
	s_add_i32 s24, s24, s23
	s_mul_hi_u32 s56, s5, s17
	s_mul_i32 s68, s5, s17
	s_mul_hi_u32 s17, s16, s17
	s_mul_hi_u32 s69, s16, s24
	s_mul_i32 s16, s16, s24
	s_mul_hi_u32 s23, s5, s24
	s_add_u32 s16, s17, s16
	s_addc_u32 s17, 0, s69
	s_add_u32 s16, s16, s68
	s_mul_i32 s24, s5, s24
	s_addc_u32 s16, s17, s56
	s_addc_u32 s17, s23, 0
	s_add_u32 s16, s16, s24
	s_addc_u32 s17, 0, s17
	v_add_co_u32 v2, s16, v2, s16
	s_delay_alu instid0(VALU_DEP_1) | instskip(SKIP_2) | instid1(VALU_DEP_1)
	s_cmp_lg_u32 s16, 0
	s_addc_u32 s5, s5, s17
	s_ashr_i32 s16, s25, 31
	v_readfirstlane_b32 s23, v2
	s_add_u32 s68, s81, s16
	s_mov_b32 s17, s16
	s_addc_u32 s69, s25, s16
	s_delay_alu instid0(SALU_CYCLE_1) | instskip(NEXT) | instid1(SALU_CYCLE_1)
	s_xor_b64 s[68:69], s[68:69], s[16:17]
	s_mul_i32 s24, s68, s5
	s_mul_hi_u32 s56, s68, s23
	s_mul_hi_u32 s17, s68, s5
	;; [unrolled: 1-line block ×3, first 2 shown]
	s_mul_i32 s23, s69, s23
	s_add_u32 s24, s56, s24
	s_addc_u32 s17, 0, s17
	s_mul_hi_u32 s70, s69, s5
	s_add_u32 s23, s24, s23
	s_mul_i32 s5, s69, s5
	s_addc_u32 s17, s17, s71
	s_addc_u32 s23, s70, 0
	s_add_u32 s5, s17, s5
	s_addc_u32 s17, 0, s23
	s_mul_hi_u32 s23, s27, s5
	s_mul_i32 s5, s27, s5
	s_mul_i32 s17, s27, s17
	v_sub_co_u32 v2, s5, s68, s5
	s_add_i32 s23, s23, s17
	s_cmp_lg_u32 s5, 0
	s_delay_alu instid0(VALU_DEP_1) | instskip(SKIP_2) | instid1(VALU_DEP_1)
	v_sub_co_u32 v3, s5, v2, s27
	s_subb_u32 s17, s69, s23
	s_cmp_lg_u32 s5, 0
	v_cmp_le_u32_e32 vcc_lo, s27, v3
	v_sub_co_u32 v4, s5, v3, s27
	s_subb_u32 s23, s17, 0
	s_cmp_lg_u32 s5, 0
	v_cndmask_b32_e64 v5, 0, -1, vcc_lo
	s_subb_u32 s5, s23, 0
	s_cmp_eq_u32 s23, 0
	v_mov_b32_e32 v7, s5
	s_cselect_b32 vcc_lo, -1, 0
	s_cmp_eq_u32 s17, 0
	v_cndmask_b32_e32 v5, -1, v5, vcc_lo
	v_cmp_le_u32_e32 vcc_lo, s27, v2
	s_cselect_b32 s5, -1, 0
	v_cndmask_b32_e64 v6, 0, -1, vcc_lo
	s_delay_alu instid0(VALU_DEP_3) | instskip(NEXT) | instid1(VALU_DEP_2)
	v_cmp_ne_u32_e32 vcc_lo, 0, v5
	v_cndmask_b32_e64 v5, -1, v6, s5
	v_cndmask_b32_e32 v3, v3, v4, vcc_lo
	v_cndmask_b32_e32 v6, s23, v7, vcc_lo
	s_delay_alu instid0(VALU_DEP_3) | instskip(NEXT) | instid1(VALU_DEP_3)
	v_cmp_ne_u32_e32 vcc_lo, 0, v5
	v_cndmask_b32_e32 v2, v2, v3, vcc_lo
	s_delay_alu instid0(VALU_DEP_3) | instskip(NEXT) | instid1(VALU_DEP_2)
	v_cndmask_b32_e32 v4, s17, v6, vcc_lo
	v_xor_b32_e32 v2, s16, v2
	s_delay_alu instid0(VALU_DEP_2) | instskip(NEXT) | instid1(VALU_DEP_2)
	v_xor_b32_e32 v3, s16, v4
	v_sub_co_u32 v2, vcc_lo, v2, s16
	s_delay_alu instid0(VALU_DEP_2)
	v_subrev_co_ci_u32_e32 v3, vcc_lo, s16, v3, vcc_lo
	s_cbranch_execnz .LBB21_98
.LBB21_97:                              ;   in Loop: Header=BB21_17 Depth=1
	v_cvt_f32_u32_e32 v2, s27
	s_sub_i32 s5, 0, s27
	s_delay_alu instid0(VALU_DEP_1) | instskip(SKIP_2) | instid1(VALU_DEP_1)
	v_rcp_iflag_f32_e32 v2, v2
	s_waitcnt_depctr 0xfff
	v_mul_f32_e32 v2, 0x4f7ffffe, v2
	v_cvt_u32_f32_e32 v2, v2
	s_delay_alu instid0(VALU_DEP_1) | instskip(NEXT) | instid1(VALU_DEP_1)
	v_mul_lo_u32 v3, s5, v2
	v_mul_hi_u32 v3, v2, v3
	s_delay_alu instid0(VALU_DEP_1) | instskip(NEXT) | instid1(VALU_DEP_1)
	v_add_nc_u32_e32 v2, v2, v3
	v_mul_hi_u32 v2, s81, v2
	s_delay_alu instid0(VALU_DEP_1) | instskip(NEXT) | instid1(VALU_DEP_1)
	v_mul_lo_u32 v2, v2, s27
	v_sub_nc_u32_e32 v2, s81, v2
	s_delay_alu instid0(VALU_DEP_1) | instskip(SKIP_1) | instid1(VALU_DEP_2)
	v_subrev_nc_u32_e32 v3, s27, v2
	v_cmp_le_u32_e32 vcc_lo, s27, v2
	v_cndmask_b32_e32 v2, v2, v3, vcc_lo
	s_delay_alu instid0(VALU_DEP_1) | instskip(SKIP_1) | instid1(VALU_DEP_2)
	v_subrev_nc_u32_e32 v3, s27, v2
	v_cmp_le_u32_e32 vcc_lo, s27, v2
	v_cndmask_b32_e32 v12, v2, v3, vcc_lo
	s_delay_alu instid0(VALU_DEP_1)
	v_dual_mov_b32 v2, v12 :: v_dual_mov_b32 v3, v13
.LBB21_98:                              ;   in Loop: Header=BB21_17 Depth=1
	s_delay_alu instid0(VALU_DEP_1) | instskip(NEXT) | instid1(VALU_DEP_2)
	v_sub_co_u32 v2, vcc_lo, s81, v2
	v_sub_co_ci_u32_e32 v3, vcc_lo, s25, v3, vcc_lo
	s_mov_b32 s5, 0
	s_mov_b32 s16, exec_lo
                                        ; implicit-def: $vgpr25
	s_delay_alu instid0(VALU_DEP_1)
	v_cmpx_gt_i64_e64 v[2:3], v[0:1]
	s_cbranch_execz .LBB21_109
; %bb.99:                               ;   in Loop: Header=BB21_17 Depth=1
	v_dual_mov_b32 v4, v10 :: v_dual_mov_b32 v5, v11
	v_dual_mov_b32 v7, v1 :: v_dual_mov_b32 v6, v0
                                        ; implicit-def: $sgpr17
	s_set_inst_prefetch_distance 0x1
	s_branch .LBB21_101
	.p2align	6
.LBB21_100:                             ;   in Loop: Header=BB21_101 Depth=2
	s_or_b32 exec_lo, exec_lo, s23
	s_waitcnt vmcnt(0) lgkmcnt(0)
	s_barrier
	buffer_gl0_inv
	ds_load_b64 v[24:25], v13 offset:3072
	v_add_co_u32 v6, vcc_lo, v6, s27
	v_add_co_ci_u32_e32 v7, vcc_lo, 0, v7, vcc_lo
	s_waitcnt lgkmcnt(0)
	s_barrier
	buffer_gl0_inv
	v_cmp_ge_i64_e32 vcc_lo, v[6:7], v[2:3]
	v_readfirstlane_b32 s23, v24
	s_delay_alu instid0(VALU_DEP_1) | instskip(SKIP_1) | instid1(SALU_CYCLE_1)
	s_cmp_lg_u32 s23, 0
	s_cselect_b32 s23, -1, 0
	s_or_b32 s24, s23, vcc_lo
	v_add_co_u32 v4, vcc_lo, v4, s58
	s_and_b32 s24, exec_lo, s24
	v_add_co_ci_u32_e32 v5, vcc_lo, s59, v5, vcc_lo
	s_or_b32 s5, s24, s5
	s_and_not1_b32 s17, s17, exec_lo
	s_and_b32 s23, s23, exec_lo
	s_delay_alu instid0(SALU_CYCLE_1)
	s_or_b32 s17, s17, s23
	s_and_not1_b32 exec_lo, exec_lo, s5
	s_cbranch_execz .LBB21_108
.LBB21_101:                             ;   Parent Loop BB21_17 Depth=1
                                        ; =>  This Inner Loop Header: Depth=2
	s_delay_alu instid0(VALU_DEP_1)
	v_cmp_gt_i64_e32 vcc_lo, s[36:37], v[6:7]
	v_mov_b32_e32 v24, 0
	s_and_saveexec_b32 s23, vcc_lo
	s_cbranch_execz .LBB21_103
; %bb.102:                              ;   in Loop: Header=BB21_101 Depth=2
	global_load_b32 v24, v[4:5], off
.LBB21_103:                             ;   in Loop: Header=BB21_101 Depth=2
	s_or_b32 exec_lo, exec_lo, s23
	s_and_saveexec_b32 s23, vcc_lo
	s_cbranch_execz .LBB21_100
; %bb.104:                              ;   in Loop: Header=BB21_101 Depth=2
	s_waitcnt vmcnt(0)
	v_xor_b32_e32 v8, 0x80000000, v24
	s_delay_alu instid0(VALU_DEP_1) | instskip(NEXT) | instid1(VALU_DEP_1)
	v_and_b32_e32 v8, s97, v8
	v_cmp_eq_u32_e32 vcc_lo, s98, v8
	s_and_b32 exec_lo, exec_lo, vcc_lo
	s_cbranch_execz .LBB21_100
; %bb.105:                              ;   in Loop: Header=BB21_101 Depth=2
	ds_store_b64 v13, v[23:24] offset:3072
	s_branch .LBB21_100
.LBB21_106:                             ;   in Loop: Header=BB21_17 Depth=1
	s_mov_b32 s5, -1
                                        ; implicit-def: $sgpr16
                                        ; implicit-def: $sgpr23
                                        ; implicit-def: $sgpr17
	s_branch .LBB21_123
.LBB21_107:                             ;   in Loop: Header=BB21_17 Depth=1
	s_mov_b32 s16, -1
	s_mov_b32 s5, 0
                                        ; implicit-def: $sgpr17
                                        ; implicit-def: $vgpr25
	s_mov_b32 s23, s16
	s_cbranch_execnz .LBB21_110
	s_branch .LBB21_123
.LBB21_108:                             ;   in Loop: Header=BB21_17 Depth=1
	s_set_inst_prefetch_distance 0x2
	s_or_b32 exec_lo, exec_lo, s5
	s_delay_alu instid0(SALU_CYCLE_1)
	s_and_b32 s5, s17, exec_lo
.LBB21_109:                             ;   in Loop: Header=BB21_17 Depth=1
	s_or_b32 exec_lo, exec_lo, s16
	s_mov_b32 s17, -1
	s_mov_b32 s16, 0
	s_delay_alu instid0(SALU_CYCLE_1)
	s_mov_b32 s23, s16
	s_branch .LBB21_123
.LBB21_110:                             ;   in Loop: Header=BB21_17 Depth=1
	s_add_u32 s23, s79, s14
	s_addc_u32 s17, s80, s15
	s_mov_b32 s16, s57
	s_delay_alu instid0(SALU_CYCLE_1)
	s_cmp_lg_u64 s[16:17], 0
	s_cbranch_scc0 .LBB21_153
; %bb.111:                              ;   in Loop: Header=BB21_17 Depth=1
	v_cvt_f32_u32_e32 v2, s27
	s_sub_u32 s24, 0, s27
	s_subb_u32 s56, 0, 0
	s_delay_alu instid0(VALU_DEP_1) | instskip(NEXT) | instid1(VALU_DEP_1)
	v_fmac_f32_e32 v2, 0x4f800000, v43
	v_rcp_f32_e32 v2, v2
	s_waitcnt_depctr 0xfff
	v_mul_f32_e32 v2, 0x5f7ffffc, v2
	s_delay_alu instid0(VALU_DEP_1) | instskip(NEXT) | instid1(VALU_DEP_1)
	v_mul_f32_e32 v3, 0x2f800000, v2
	v_trunc_f32_e32 v3, v3
	s_delay_alu instid0(VALU_DEP_1) | instskip(SKIP_1) | instid1(VALU_DEP_2)
	v_fmac_f32_e32 v2, 0xcf800000, v3
	v_cvt_u32_f32_e32 v3, v3
	v_cvt_u32_f32_e32 v2, v2
	s_delay_alu instid0(VALU_DEP_2) | instskip(NEXT) | instid1(VALU_DEP_2)
	v_readfirstlane_b32 s5, v3
	v_readfirstlane_b32 s16, v2
	s_delay_alu instid0(VALU_DEP_2) | instskip(NEXT) | instid1(VALU_DEP_1)
	s_mul_i32 s68, s24, s5
	s_mul_hi_u32 s70, s24, s16
	s_mul_i32 s69, s56, s16
	s_add_i32 s68, s70, s68
	s_mul_i32 s71, s24, s16
	s_add_i32 s68, s68, s69
	s_mul_hi_u32 s70, s16, s71
	s_mul_hi_u32 s72, s5, s71
	s_mul_i32 s69, s5, s71
	s_mul_hi_u32 s71, s16, s68
	s_mul_i32 s16, s16, s68
	s_mul_hi_u32 s73, s5, s68
	s_add_u32 s16, s70, s16
	s_addc_u32 s70, 0, s71
	s_add_u32 s16, s16, s69
	s_mul_i32 s68, s5, s68
	s_addc_u32 s16, s70, s72
	s_addc_u32 s69, s73, 0
	s_add_u32 s16, s16, s68
	s_addc_u32 s68, 0, s69
	v_add_co_u32 v2, s16, v2, s16
	s_delay_alu instid0(VALU_DEP_1) | instskip(SKIP_1) | instid1(VALU_DEP_1)
	s_cmp_lg_u32 s16, 0
	s_addc_u32 s5, s5, s68
	v_readfirstlane_b32 s16, v2
	s_mul_i32 s68, s24, s5
	s_delay_alu instid0(VALU_DEP_1)
	s_mul_hi_u32 s69, s24, s16
	s_mul_i32 s56, s56, s16
	s_add_i32 s68, s69, s68
	s_mul_i32 s24, s24, s16
	s_add_i32 s68, s68, s56
	s_mul_hi_u32 s69, s5, s24
	s_mul_i32 s70, s5, s24
	s_mul_hi_u32 s24, s16, s24
	s_mul_hi_u32 s71, s16, s68
	s_mul_i32 s16, s16, s68
	s_mul_hi_u32 s56, s5, s68
	s_add_u32 s16, s24, s16
	s_addc_u32 s24, 0, s71
	s_add_u32 s16, s16, s70
	s_mul_i32 s68, s5, s68
	s_addc_u32 s16, s24, s69
	s_addc_u32 s24, s56, 0
	s_add_u32 s16, s16, s68
	s_addc_u32 s24, 0, s24
	v_add_co_u32 v2, s16, v2, s16
	s_delay_alu instid0(VALU_DEP_1) | instskip(SKIP_2) | instid1(VALU_DEP_1)
	s_cmp_lg_u32 s16, 0
	s_addc_u32 s5, s5, s24
	s_ashr_i32 s68, s17, 31
	v_readfirstlane_b32 s16, v2
	s_add_u32 s70, s23, s68
	s_mov_b32 s69, s68
	s_addc_u32 s71, s17, s68
	s_delay_alu instid0(SALU_CYCLE_1) | instskip(NEXT) | instid1(SALU_CYCLE_1)
	s_xor_b64 s[70:71], s[70:71], s[68:69]
	s_mul_i32 s56, s70, s5
	s_mul_hi_u32 s69, s70, s16
	s_mul_hi_u32 s24, s70, s5
	;; [unrolled: 1-line block ×3, first 2 shown]
	s_mul_i32 s16, s71, s16
	s_add_u32 s56, s69, s56
	s_addc_u32 s24, 0, s24
	s_mul_hi_u32 s72, s71, s5
	s_add_u32 s16, s56, s16
	s_mul_i32 s5, s71, s5
	s_addc_u32 s16, s24, s73
	s_addc_u32 s24, s72, 0
	s_add_u32 s5, s16, s5
	s_addc_u32 s16, 0, s24
	s_mul_hi_u32 s24, s27, s5
	s_mul_i32 s5, s27, s5
	s_mul_i32 s16, s27, s16
	v_sub_co_u32 v2, s5, s70, s5
	s_add_i32 s24, s24, s16
	s_cmp_lg_u32 s5, 0
	s_delay_alu instid0(VALU_DEP_1) | instskip(SKIP_2) | instid1(VALU_DEP_1)
	v_sub_co_u32 v3, s5, v2, s27
	s_subb_u32 s16, s71, s24
	s_cmp_lg_u32 s5, 0
	v_cmp_le_u32_e32 vcc_lo, s27, v3
	v_sub_co_u32 v4, s5, v3, s27
	s_subb_u32 s24, s16, 0
	s_cmp_lg_u32 s5, 0
	v_cndmask_b32_e64 v5, 0, -1, vcc_lo
	s_subb_u32 s5, s24, 0
	s_cmp_eq_u32 s24, 0
	v_mov_b32_e32 v7, s5
	s_cselect_b32 vcc_lo, -1, 0
	s_cmp_eq_u32 s16, 0
	v_cndmask_b32_e32 v5, -1, v5, vcc_lo
	v_cmp_le_u32_e32 vcc_lo, s27, v2
	s_cselect_b32 s5, -1, 0
	v_cndmask_b32_e64 v6, 0, -1, vcc_lo
	s_delay_alu instid0(VALU_DEP_3) | instskip(NEXT) | instid1(VALU_DEP_2)
	v_cmp_ne_u32_e32 vcc_lo, 0, v5
	v_cndmask_b32_e64 v5, -1, v6, s5
	v_cndmask_b32_e32 v3, v3, v4, vcc_lo
	v_cndmask_b32_e32 v6, s24, v7, vcc_lo
	s_delay_alu instid0(VALU_DEP_3) | instskip(NEXT) | instid1(VALU_DEP_3)
	v_cmp_ne_u32_e32 vcc_lo, 0, v5
	v_cndmask_b32_e32 v2, v2, v3, vcc_lo
	s_delay_alu instid0(VALU_DEP_3) | instskip(NEXT) | instid1(VALU_DEP_2)
	v_cndmask_b32_e32 v4, s16, v6, vcc_lo
	v_xor_b32_e32 v2, s68, v2
	s_delay_alu instid0(VALU_DEP_2) | instskip(NEXT) | instid1(VALU_DEP_2)
	v_xor_b32_e32 v3, s68, v4
	v_sub_co_u32 v2, vcc_lo, v2, s68
	s_delay_alu instid0(VALU_DEP_2)
	v_subrev_co_ci_u32_e32 v3, vcc_lo, s68, v3, vcc_lo
	s_cbranch_execnz .LBB21_113
.LBB21_112:                             ;   in Loop: Header=BB21_17 Depth=1
	v_cvt_f32_u32_e32 v2, s27
	s_sub_i32 s5, 0, s27
	s_delay_alu instid0(VALU_DEP_1) | instskip(SKIP_2) | instid1(VALU_DEP_1)
	v_rcp_iflag_f32_e32 v2, v2
	s_waitcnt_depctr 0xfff
	v_mul_f32_e32 v2, 0x4f7ffffe, v2
	v_cvt_u32_f32_e32 v2, v2
	s_delay_alu instid0(VALU_DEP_1) | instskip(NEXT) | instid1(VALU_DEP_1)
	v_mul_lo_u32 v3, s5, v2
	v_mul_hi_u32 v3, v2, v3
	s_delay_alu instid0(VALU_DEP_1) | instskip(NEXT) | instid1(VALU_DEP_1)
	v_add_nc_u32_e32 v2, v2, v3
	v_mul_hi_u32 v2, s23, v2
	s_delay_alu instid0(VALU_DEP_1) | instskip(NEXT) | instid1(VALU_DEP_1)
	v_mul_lo_u32 v2, v2, s27
	v_sub_nc_u32_e32 v2, s23, v2
	s_delay_alu instid0(VALU_DEP_1) | instskip(SKIP_1) | instid1(VALU_DEP_2)
	v_subrev_nc_u32_e32 v3, s27, v2
	v_cmp_le_u32_e32 vcc_lo, s27, v2
	v_cndmask_b32_e32 v2, v2, v3, vcc_lo
	s_delay_alu instid0(VALU_DEP_1) | instskip(SKIP_1) | instid1(VALU_DEP_2)
	v_subrev_nc_u32_e32 v3, s27, v2
	v_cmp_le_u32_e32 vcc_lo, s27, v2
	v_cndmask_b32_e32 v12, v2, v3, vcc_lo
	s_delay_alu instid0(VALU_DEP_1)
	v_dual_mov_b32 v2, v12 :: v_dual_mov_b32 v3, v13
.LBB21_113:                             ;   in Loop: Header=BB21_17 Depth=1
	s_delay_alu instid0(VALU_DEP_1) | instskip(NEXT) | instid1(VALU_DEP_2)
	v_sub_co_u32 v2, vcc_lo, s23, v2
	v_sub_co_ci_u32_e32 v3, vcc_lo, s17, v3, vcc_lo
	s_mov_b32 s5, 0
	s_mov_b32 s16, exec_lo
                                        ; implicit-def: $vgpr25
	s_delay_alu instid0(VALU_DEP_1)
	v_cmpx_gt_i64_e64 v[2:3], v[0:1]
	s_cbranch_execz .LBB21_122
; %bb.114:                              ;   in Loop: Header=BB21_17 Depth=1
	v_dual_mov_b32 v6, v14 :: v_dual_mov_b32 v5, v1
	v_mov_b32_e32 v4, v0
                                        ; implicit-def: $sgpr17
	s_set_inst_prefetch_distance 0x1
	s_branch .LBB21_116
	.p2align	6
.LBB21_115:                             ;   in Loop: Header=BB21_116 Depth=2
	s_or_b32 exec_lo, exec_lo, s23
	s_waitcnt lgkmcnt(0)
	s_barrier
	buffer_gl0_inv
	ds_load_b64 v[24:25], v13 offset:3072
	v_add_co_u32 v4, vcc_lo, v4, s27
	v_add_co_ci_u32_e32 v5, vcc_lo, 0, v5, vcc_lo
	v_add_nc_u32_e32 v6, s87, v6
	s_waitcnt lgkmcnt(0)
	s_barrier
	s_delay_alu instid0(VALU_DEP_2) | instskip(SKIP_2) | instid1(VALU_DEP_1)
	v_cmp_ge_i64_e32 vcc_lo, v[4:5], v[2:3]
	buffer_gl0_inv
	v_readfirstlane_b32 s23, v24
	s_cmp_lg_u32 s23, 0
	s_cselect_b32 s23, -1, 0
	s_delay_alu instid0(SALU_CYCLE_1) | instskip(NEXT) | instid1(SALU_CYCLE_1)
	s_or_b32 s24, s23, vcc_lo
	s_and_b32 s24, exec_lo, s24
	s_delay_alu instid0(SALU_CYCLE_1) | instskip(SKIP_2) | instid1(SALU_CYCLE_1)
	s_or_b32 s5, s24, s5
	s_and_not1_b32 s17, s17, exec_lo
	s_and_b32 s23, s23, exec_lo
	s_or_b32 s17, s17, s23
	s_and_not1_b32 exec_lo, exec_lo, s5
	s_cbranch_execz .LBB21_121
.LBB21_116:                             ;   Parent Loop BB21_17 Depth=1
                                        ; =>  This Inner Loop Header: Depth=2
	s_delay_alu instid0(VALU_DEP_1)
	v_cmp_gt_i64_e32 vcc_lo, s[14:15], v[4:5]
	v_mov_b32_e32 v24, 0
	s_and_saveexec_b32 s23, vcc_lo
	s_cbranch_execz .LBB21_118
; %bb.117:                              ;   in Loop: Header=BB21_116 Depth=2
	ds_load_b32 v24, v6
.LBB21_118:                             ;   in Loop: Header=BB21_116 Depth=2
	s_or_b32 exec_lo, exec_lo, s23
	s_and_saveexec_b32 s23, vcc_lo
	s_cbranch_execz .LBB21_115
; %bb.119:                              ;   in Loop: Header=BB21_116 Depth=2
	s_waitcnt lgkmcnt(0)
	v_xor_b32_e32 v7, 0x80000000, v24
	s_delay_alu instid0(VALU_DEP_1) | instskip(NEXT) | instid1(VALU_DEP_1)
	v_and_b32_e32 v7, s97, v7
	v_cmp_eq_u32_e32 vcc_lo, s98, v7
	s_and_b32 exec_lo, exec_lo, vcc_lo
	s_cbranch_execz .LBB21_115
; %bb.120:                              ;   in Loop: Header=BB21_116 Depth=2
	ds_store_b64 v13, v[23:24] offset:3072
	s_branch .LBB21_115
.LBB21_121:                             ;   in Loop: Header=BB21_17 Depth=1
	s_set_inst_prefetch_distance 0x2
	s_or_b32 exec_lo, exec_lo, s5
	s_delay_alu instid0(SALU_CYCLE_1)
	s_and_b32 s5, s17, exec_lo
.LBB21_122:                             ;   in Loop: Header=BB21_17 Depth=1
	s_or_b32 exec_lo, exec_lo, s16
	s_mov_b32 s23, -1
	s_mov_b32 s16, 0
	s_mov_b32 s17, 0
.LBB21_123:                             ;   in Loop: Header=BB21_17 Depth=1
	s_and_not1_b32 s14, s94, exec_lo
	s_and_b32 s15, s16, exec_lo
	s_and_not1_b32 s16, s95, exec_lo
	s_or_b32 s94, s14, s15
	s_and_not1_b32 s14, s96, exec_lo
	s_and_b32 s15, s23, exec_lo
	s_and_b32 s17, s17, exec_lo
	s_or_b32 s96, s14, s15
	s_or_b32 s95, s16, s17
	s_and_saveexec_b32 s16, s5
	s_cbranch_execz .LBB21_16
; %bb.124:                              ;   in Loop: Header=BB21_17 Depth=1
	s_xor_b32 s5, s22, -1
	s_delay_alu instid0(SALU_CYCLE_1)
	s_and_not1_b32 vcc_lo, exec_lo, s5
	s_mov_b32 s5, 1
	s_cbranch_vccnz .LBB21_135
; %bb.125:                              ;   in Loop: Header=BB21_17 Depth=1
	v_cmp_gt_i64_e64 s5, s[38:39], s[12:13]
	s_mov_b32 s14, -1
                                        ; implicit-def: $sgpr15
                                        ; implicit-def: $sgpr17
	s_delay_alu instid0(VALU_DEP_1)
	s_and_b32 vcc_lo, exec_lo, s5
                                        ; implicit-def: $sgpr5
	s_cbranch_vccnz .LBB21_131
; %bb.126:                              ;   in Loop: Header=BB21_17 Depth=1
	ds_load_b64 v[2:3], v13 offset:5120
	s_waitcnt lgkmcnt(0)
	v_cmp_ne_u64_e32 vcc_lo, 0, v[2:3]
	s_cbranch_vccnz .LBB21_130
; %bb.127:                              ;   in Loop: Header=BB21_17 Depth=1
	s_and_saveexec_b32 s5, s2
	s_cbranch_execz .LBB21_129
; %bb.128:                              ;   in Loop: Header=BB21_17 Depth=1
	v_dual_mov_b32 v2, s12 :: v_dual_mov_b32 v3, s13
	ds_store_b64 v13, v[2:3] offset:5128
.LBB21_129:                             ;   in Loop: Header=BB21_17 Depth=1
	s_or_b32 exec_lo, exec_lo, s5
	s_waitcnt lgkmcnt(0)
	s_barrier
	buffer_gl0_inv
.LBB21_130:                             ;   in Loop: Header=BB21_17 Depth=1
	s_and_b32 s15, s98, s20
	s_or_b32 s17, s97, s18
	s_mov_b32 s14, 0
	s_mov_b32 s5, 8
.LBB21_131:                             ;   in Loop: Header=BB21_17 Depth=1
	s_and_not1_b32 vcc_lo, exec_lo, s14
	s_cbranch_vccnz .LBB21_133
; %bb.132:                              ;   in Loop: Header=BB21_17 Depth=1
	s_sub_u32 s38, s38, s12
	s_subb_u32 s39, s39, s13
	s_mov_b32 s14, -1
	s_mov_b32 s5, 0
	s_mov_b32 s15, s98
	;; [unrolled: 1-line block ×3, first 2 shown]
.LBB21_133:                             ;   in Loop: Header=BB21_17 Depth=1
	s_delay_alu instid0(SALU_CYCLE_1)
	s_mov_b32 s97, s17
	s_mov_b32 s98, s15
	s_and_b32 vcc_lo, exec_lo, s14
	s_mov_b32 s17, -1
	s_cbranch_vccnz .LBB21_136
.LBB21_134:                             ;   in Loop: Header=BB21_17 Depth=1
	s_mov_b32 s12, -1
                                        ; implicit-def: $sgpr14
                                        ; implicit-def: $sgpr21
                                        ; implicit-def: $sgpr15
	s_delay_alu instid0(SALU_CYCLE_1) | instskip(NEXT) | instid1(SALU_CYCLE_1)
	s_and_saveexec_b32 s6, s12
	s_xor_b32 s6, exec_lo, s6
	s_cbranch_execz .LBB21_15
	s_branch .LBB21_282
.LBB21_135:                             ;   in Loop: Header=BB21_17 Depth=1
	s_mov_b64 s[38:39], 1
	s_mov_b32 s17, -1
	s_branch .LBB21_134
.LBB21_136:                             ;   in Loop: Header=BB21_17 Depth=1
	s_cmp_eq_u64 s[10:11], 1
	s_mov_b32 s24, -1
	s_cselect_b32 s5, -1, 0
	s_cmp_eq_u64 s[38:39], 1
	s_cselect_b32 s12, -1, 0
	s_delay_alu instid0(SALU_CYCLE_1) | instskip(NEXT) | instid1(SALU_CYCLE_1)
	s_and_b32 s23, s5, s12
	s_and_b32 vcc_lo, exec_lo, s23
	s_cbranch_vccz .LBB21_151
; %bb.137:                              ;   in Loop: Header=BB21_17 Depth=1
	ds_load_b64 v[2:3], v13 offset:5120
	s_waitcnt lgkmcnt(0)
	s_barrier
	buffer_gl0_inv
	v_readfirstlane_b32 s12, v2
	v_readfirstlane_b32 s13, v3
	s_and_saveexec_b32 s5, s3
	s_cbranch_execz .LBB21_139
; %bb.138:                              ;   in Loop: Header=BB21_17 Depth=1
	ds_store_b32 v35, v13
.LBB21_139:                             ;   in Loop: Header=BB21_17 Depth=1
	s_or_b32 exec_lo, exec_lo, s5
	s_delay_alu instid0(VALU_DEP_1)
	v_cmp_gt_i64_e64 s15, s[12:13], 0
	s_lshl_b32 s5, 1, s19
	s_and_b32 s14, s98, s20
	s_or_b32 s97, s97, s18
	s_or_b32 s98, s14, s5
	s_waitcnt lgkmcnt(0)
	s_and_b32 vcc_lo, exec_lo, s15
	s_barrier
	buffer_gl0_inv
	s_cbranch_vccnz .LBB21_154
; %bb.140:                              ;   in Loop: Header=BB21_17 Depth=1
	s_mov_b32 s24, s57
	s_delay_alu instid0(SALU_CYCLE_1)
	s_cmp_lg_u64 s[24:25], 0
	s_cbranch_scc0 .LBB21_199
; %bb.141:                              ;   in Loop: Header=BB21_17 Depth=1
	v_cvt_f32_u32_e32 v2, s27
	s_sub_u32 s15, 0, s27
	s_subb_u32 s21, 0, 0
	s_delay_alu instid0(VALU_DEP_1) | instskip(NEXT) | instid1(VALU_DEP_1)
	v_fmac_f32_e32 v2, 0x4f800000, v43
	v_rcp_f32_e32 v2, v2
	s_waitcnt_depctr 0xfff
	v_mul_f32_e32 v2, 0x5f7ffffc, v2
	s_delay_alu instid0(VALU_DEP_1) | instskip(NEXT) | instid1(VALU_DEP_1)
	v_mul_f32_e32 v3, 0x2f800000, v2
	v_trunc_f32_e32 v3, v3
	s_delay_alu instid0(VALU_DEP_1) | instskip(SKIP_1) | instid1(VALU_DEP_2)
	v_fmac_f32_e32 v2, 0xcf800000, v3
	v_cvt_u32_f32_e32 v3, v3
	v_cvt_u32_f32_e32 v2, v2
	s_delay_alu instid0(VALU_DEP_2) | instskip(NEXT) | instid1(VALU_DEP_2)
	v_readfirstlane_b32 s5, v3
	v_readfirstlane_b32 s14, v2
	s_delay_alu instid0(VALU_DEP_2) | instskip(NEXT) | instid1(VALU_DEP_1)
	s_mul_i32 s22, s15, s5
	s_mul_hi_u32 s56, s15, s14
	s_mul_i32 s24, s21, s14
	s_add_i32 s22, s56, s22
	s_mul_i32 s68, s15, s14
	s_add_i32 s22, s22, s24
	s_mul_hi_u32 s56, s14, s68
	s_mul_hi_u32 s69, s5, s68
	s_mul_i32 s24, s5, s68
	s_mul_hi_u32 s68, s14, s22
	s_mul_i32 s14, s14, s22
	s_mul_hi_u32 s70, s5, s22
	s_add_u32 s14, s56, s14
	s_addc_u32 s56, 0, s68
	s_add_u32 s14, s14, s24
	s_mul_i32 s22, s5, s22
	s_addc_u32 s14, s56, s69
	s_addc_u32 s24, s70, 0
	s_add_u32 s14, s14, s22
	s_addc_u32 s22, 0, s24
	v_add_co_u32 v2, s14, v2, s14
	s_delay_alu instid0(VALU_DEP_1) | instskip(SKIP_1) | instid1(VALU_DEP_1)
	s_cmp_lg_u32 s14, 0
	s_addc_u32 s5, s5, s22
	v_readfirstlane_b32 s14, v2
	s_mul_i32 s22, s15, s5
	s_delay_alu instid0(VALU_DEP_1)
	s_mul_hi_u32 s24, s15, s14
	s_mul_i32 s21, s21, s14
	s_add_i32 s22, s24, s22
	s_mul_i32 s15, s15, s14
	s_add_i32 s22, s22, s21
	s_mul_hi_u32 s24, s5, s15
	s_mul_i32 s56, s5, s15
	s_mul_hi_u32 s15, s14, s15
	s_mul_hi_u32 s68, s14, s22
	s_mul_i32 s14, s14, s22
	s_mul_hi_u32 s21, s5, s22
	s_add_u32 s14, s15, s14
	s_addc_u32 s15, 0, s68
	s_add_u32 s14, s14, s56
	s_mul_i32 s22, s5, s22
	s_addc_u32 s14, s15, s24
	s_addc_u32 s15, s21, 0
	s_add_u32 s14, s14, s22
	s_addc_u32 s15, 0, s15
	v_add_co_u32 v2, s14, v2, s14
	s_delay_alu instid0(VALU_DEP_1) | instskip(SKIP_2) | instid1(VALU_DEP_1)
	s_cmp_lg_u32 s14, 0
	s_addc_u32 s5, s5, s15
	s_ashr_i32 s14, s25, 31
	v_readfirstlane_b32 s21, v2
	s_add_u32 s68, s81, s14
	s_mov_b32 s15, s14
	s_addc_u32 s69, s25, s14
	s_delay_alu instid0(SALU_CYCLE_1) | instskip(NEXT) | instid1(SALU_CYCLE_1)
	s_xor_b64 s[68:69], s[68:69], s[14:15]
	s_mul_i32 s22, s68, s5
	s_mul_hi_u32 s24, s68, s21
	s_mul_hi_u32 s15, s68, s5
	;; [unrolled: 1-line block ×3, first 2 shown]
	s_mul_i32 s21, s69, s21
	s_add_u32 s22, s24, s22
	s_addc_u32 s15, 0, s15
	s_mul_hi_u32 s56, s69, s5
	s_add_u32 s21, s22, s21
	s_mul_i32 s5, s69, s5
	s_addc_u32 s15, s15, s70
	s_addc_u32 s21, s56, 0
	s_add_u32 s5, s15, s5
	s_addc_u32 s15, 0, s21
	s_mul_hi_u32 s21, s27, s5
	s_mul_i32 s5, s27, s5
	s_mul_i32 s15, s27, s15
	v_sub_co_u32 v2, s5, s68, s5
	s_add_i32 s21, s21, s15
	s_cmp_lg_u32 s5, 0
	s_delay_alu instid0(VALU_DEP_1) | instskip(SKIP_2) | instid1(VALU_DEP_1)
	v_sub_co_u32 v3, s5, v2, s27
	s_subb_u32 s15, s69, s21
	s_cmp_lg_u32 s5, 0
	v_cmp_le_u32_e32 vcc_lo, s27, v3
	v_sub_co_u32 v4, s5, v3, s27
	s_subb_u32 s21, s15, 0
	s_cmp_lg_u32 s5, 0
	v_cndmask_b32_e64 v5, 0, -1, vcc_lo
	s_subb_u32 s5, s21, 0
	s_cmp_eq_u32 s21, 0
	v_mov_b32_e32 v7, s5
	s_cselect_b32 vcc_lo, -1, 0
	s_cmp_eq_u32 s15, 0
	v_cndmask_b32_e32 v5, -1, v5, vcc_lo
	v_cmp_le_u32_e32 vcc_lo, s27, v2
	s_cselect_b32 s5, -1, 0
	v_cndmask_b32_e64 v6, 0, -1, vcc_lo
	s_delay_alu instid0(VALU_DEP_3) | instskip(NEXT) | instid1(VALU_DEP_2)
	v_cmp_ne_u32_e32 vcc_lo, 0, v5
	v_cndmask_b32_e64 v5, -1, v6, s5
	v_cndmask_b32_e32 v3, v3, v4, vcc_lo
	v_cndmask_b32_e32 v6, s21, v7, vcc_lo
	s_delay_alu instid0(VALU_DEP_3) | instskip(NEXT) | instid1(VALU_DEP_3)
	v_cmp_ne_u32_e32 vcc_lo, 0, v5
	v_cndmask_b32_e32 v2, v2, v3, vcc_lo
	s_delay_alu instid0(VALU_DEP_3) | instskip(NEXT) | instid1(VALU_DEP_2)
	v_cndmask_b32_e32 v4, s15, v6, vcc_lo
	v_xor_b32_e32 v2, s14, v2
	s_delay_alu instid0(VALU_DEP_2) | instskip(NEXT) | instid1(VALU_DEP_2)
	v_xor_b32_e32 v3, s14, v4
	v_sub_co_u32 v2, vcc_lo, v2, s14
	s_delay_alu instid0(VALU_DEP_2)
	v_subrev_co_ci_u32_e32 v3, vcc_lo, s14, v3, vcc_lo
	s_cbranch_execnz .LBB21_143
.LBB21_142:                             ;   in Loop: Header=BB21_17 Depth=1
	v_cvt_f32_u32_e32 v2, s27
	s_sub_i32 s5, 0, s27
	s_delay_alu instid0(VALU_DEP_1) | instskip(SKIP_2) | instid1(VALU_DEP_1)
	v_rcp_iflag_f32_e32 v2, v2
	s_waitcnt_depctr 0xfff
	v_mul_f32_e32 v2, 0x4f7ffffe, v2
	v_cvt_u32_f32_e32 v2, v2
	s_delay_alu instid0(VALU_DEP_1) | instskip(NEXT) | instid1(VALU_DEP_1)
	v_mul_lo_u32 v3, s5, v2
	v_mul_hi_u32 v3, v2, v3
	s_delay_alu instid0(VALU_DEP_1) | instskip(NEXT) | instid1(VALU_DEP_1)
	v_add_nc_u32_e32 v2, v2, v3
	v_mul_hi_u32 v2, s81, v2
	s_delay_alu instid0(VALU_DEP_1) | instskip(NEXT) | instid1(VALU_DEP_1)
	v_mul_lo_u32 v2, v2, s27
	v_sub_nc_u32_e32 v2, s81, v2
	s_delay_alu instid0(VALU_DEP_1) | instskip(SKIP_1) | instid1(VALU_DEP_2)
	v_subrev_nc_u32_e32 v3, s27, v2
	v_cmp_le_u32_e32 vcc_lo, s27, v2
	v_cndmask_b32_e32 v2, v2, v3, vcc_lo
	s_delay_alu instid0(VALU_DEP_1) | instskip(SKIP_1) | instid1(VALU_DEP_2)
	v_subrev_nc_u32_e32 v3, s27, v2
	v_cmp_le_u32_e32 vcc_lo, s27, v2
	v_cndmask_b32_e32 v12, v2, v3, vcc_lo
	s_delay_alu instid0(VALU_DEP_1)
	v_dual_mov_b32 v2, v12 :: v_dual_mov_b32 v3, v13
.LBB21_143:                             ;   in Loop: Header=BB21_17 Depth=1
	s_delay_alu instid0(VALU_DEP_1) | instskip(NEXT) | instid1(VALU_DEP_2)
	v_sub_co_u32 v2, vcc_lo, s81, v2
	v_sub_co_ci_u32_e32 v3, vcc_lo, s25, v3, vcc_lo
	s_mov_b32 s24, 0
	s_mov_b32 s5, exec_lo
                                        ; implicit-def: $vgpr25
	s_delay_alu instid0(VALU_DEP_1)
	v_cmpx_gt_i64_e64 v[2:3], v[0:1]
	s_cbranch_execz .LBB21_156
; %bb.144:                              ;   in Loop: Header=BB21_17 Depth=1
	v_dual_mov_b32 v4, v10 :: v_dual_mov_b32 v5, v11
	v_dual_mov_b32 v7, v1 :: v_dual_mov_b32 v6, v0
	s_mov_b32 s14, 0
                                        ; implicit-def: $sgpr15
	s_set_inst_prefetch_distance 0x1
	s_branch .LBB21_146
	.p2align	6
.LBB21_145:                             ;   in Loop: Header=BB21_146 Depth=2
	s_or_b32 exec_lo, exec_lo, s21
	s_waitcnt vmcnt(0) lgkmcnt(0)
	s_barrier
	buffer_gl0_inv
	ds_load_b64 v[24:25], v13 offset:3072
	v_add_co_u32 v6, vcc_lo, v6, s27
	v_add_co_ci_u32_e32 v7, vcc_lo, 0, v7, vcc_lo
	s_waitcnt lgkmcnt(0)
	s_barrier
	buffer_gl0_inv
	v_cmp_ge_i64_e32 vcc_lo, v[6:7], v[2:3]
	v_readfirstlane_b32 s21, v24
	s_delay_alu instid0(VALU_DEP_1) | instskip(SKIP_1) | instid1(SALU_CYCLE_1)
	s_cmp_lg_u32 s21, 0
	s_cselect_b32 s21, -1, 0
	s_or_b32 s22, s21, vcc_lo
	v_add_co_u32 v4, vcc_lo, v4, s58
	s_and_b32 s22, exec_lo, s22
	v_add_co_ci_u32_e32 v5, vcc_lo, s59, v5, vcc_lo
	s_or_b32 s14, s22, s14
	s_and_not1_b32 s15, s15, exec_lo
	s_and_b32 s21, s21, exec_lo
	s_delay_alu instid0(SALU_CYCLE_1)
	s_or_b32 s15, s15, s21
	s_and_not1_b32 exec_lo, exec_lo, s14
	s_cbranch_execz .LBB21_155
.LBB21_146:                             ;   Parent Loop BB21_17 Depth=1
                                        ; =>  This Inner Loop Header: Depth=2
	s_delay_alu instid0(VALU_DEP_1)
	v_cmp_gt_i64_e32 vcc_lo, s[36:37], v[6:7]
	v_mov_b32_e32 v24, 0
	s_and_saveexec_b32 s21, vcc_lo
	s_cbranch_execz .LBB21_148
; %bb.147:                              ;   in Loop: Header=BB21_146 Depth=2
	global_load_b32 v24, v[4:5], off
.LBB21_148:                             ;   in Loop: Header=BB21_146 Depth=2
	s_or_b32 exec_lo, exec_lo, s21
	s_and_saveexec_b32 s21, vcc_lo
	s_cbranch_execz .LBB21_145
; %bb.149:                              ;   in Loop: Header=BB21_146 Depth=2
	s_waitcnt vmcnt(0)
	v_xor_b32_e32 v8, 0x80000000, v24
	s_delay_alu instid0(VALU_DEP_1) | instskip(NEXT) | instid1(VALU_DEP_1)
	v_and_b32_e32 v8, s97, v8
	v_cmp_eq_u32_e32 vcc_lo, s98, v8
	s_and_b32 exec_lo, exec_lo, vcc_lo
	s_cbranch_execz .LBB21_145
; %bb.150:                              ;   in Loop: Header=BB21_146 Depth=2
	ds_store_b64 v13, v[23:24] offset:3072
	s_branch .LBB21_145
.LBB21_151:                             ;   in Loop: Header=BB21_17 Depth=1
                                        ; implicit-def: $sgpr15
                                        ; implicit-def: $sgpr21
                                        ; implicit-def: $sgpr14
	s_branch .LBB21_170
.LBB21_152:                             ;   in Loop: Header=BB21_17 Depth=1
                                        ; implicit-def: $vgpr2_vgpr3
	s_branch .LBB21_97
.LBB21_153:                             ;   in Loop: Header=BB21_17 Depth=1
                                        ; implicit-def: $vgpr2_vgpr3
	s_branch .LBB21_112
.LBB21_154:                             ;   in Loop: Header=BB21_17 Depth=1
	s_mov_b32 s15, -1
	s_mov_b32 s24, 0
                                        ; implicit-def: $sgpr14
                                        ; implicit-def: $vgpr25
	s_mov_b32 s21, s15
	s_cbranch_execnz .LBB21_157
	s_branch .LBB21_170
.LBB21_155:                             ;   in Loop: Header=BB21_17 Depth=1
	s_set_inst_prefetch_distance 0x2
	s_or_b32 exec_lo, exec_lo, s14
	s_delay_alu instid0(SALU_CYCLE_1)
	s_and_b32 s24, s15, exec_lo
.LBB21_156:                             ;   in Loop: Header=BB21_17 Depth=1
	s_or_b32 exec_lo, exec_lo, s5
	s_mov_b32 s14, -1
	s_mov_b32 s15, 0
	s_delay_alu instid0(SALU_CYCLE_1)
	s_mov_b32 s21, s15
	s_branch .LBB21_170
.LBB21_157:                             ;   in Loop: Header=BB21_17 Depth=1
	s_add_u32 s21, s79, s12
	s_addc_u32 s15, s80, s13
	s_mov_b32 s14, s57
	s_delay_alu instid0(SALU_CYCLE_1)
	s_cmp_lg_u64 s[14:15], 0
	s_cbranch_scc0 .LBB21_200
; %bb.158:                              ;   in Loop: Header=BB21_17 Depth=1
	v_cvt_f32_u32_e32 v2, s27
	s_sub_u32 s22, 0, s27
	s_subb_u32 s24, 0, 0
	s_delay_alu instid0(VALU_DEP_1) | instskip(NEXT) | instid1(VALU_DEP_1)
	v_fmac_f32_e32 v2, 0x4f800000, v43
	v_rcp_f32_e32 v2, v2
	s_waitcnt_depctr 0xfff
	v_mul_f32_e32 v2, 0x5f7ffffc, v2
	s_delay_alu instid0(VALU_DEP_1) | instskip(NEXT) | instid1(VALU_DEP_1)
	v_mul_f32_e32 v3, 0x2f800000, v2
	v_trunc_f32_e32 v3, v3
	s_delay_alu instid0(VALU_DEP_1) | instskip(SKIP_1) | instid1(VALU_DEP_2)
	v_fmac_f32_e32 v2, 0xcf800000, v3
	v_cvt_u32_f32_e32 v3, v3
	v_cvt_u32_f32_e32 v2, v2
	s_delay_alu instid0(VALU_DEP_2) | instskip(NEXT) | instid1(VALU_DEP_2)
	v_readfirstlane_b32 s5, v3
	v_readfirstlane_b32 s14, v2
	s_delay_alu instid0(VALU_DEP_2) | instskip(NEXT) | instid1(VALU_DEP_1)
	s_mul_i32 s56, s22, s5
	s_mul_hi_u32 s69, s22, s14
	s_mul_i32 s68, s24, s14
	s_add_i32 s56, s69, s56
	s_mul_i32 s70, s22, s14
	s_add_i32 s56, s56, s68
	s_mul_hi_u32 s69, s14, s70
	s_mul_hi_u32 s71, s5, s70
	s_mul_i32 s68, s5, s70
	s_mul_hi_u32 s70, s14, s56
	s_mul_i32 s14, s14, s56
	s_mul_hi_u32 s72, s5, s56
	s_add_u32 s14, s69, s14
	s_addc_u32 s69, 0, s70
	s_add_u32 s14, s14, s68
	s_mul_i32 s56, s5, s56
	s_addc_u32 s14, s69, s71
	s_addc_u32 s68, s72, 0
	s_add_u32 s14, s14, s56
	s_addc_u32 s56, 0, s68
	v_add_co_u32 v2, s14, v2, s14
	s_delay_alu instid0(VALU_DEP_1) | instskip(SKIP_1) | instid1(VALU_DEP_1)
	s_cmp_lg_u32 s14, 0
	s_addc_u32 s5, s5, s56
	v_readfirstlane_b32 s14, v2
	s_mul_i32 s56, s22, s5
	s_delay_alu instid0(VALU_DEP_1)
	s_mul_hi_u32 s68, s22, s14
	s_mul_i32 s24, s24, s14
	s_add_i32 s56, s68, s56
	s_mul_i32 s22, s22, s14
	s_add_i32 s56, s56, s24
	s_mul_hi_u32 s68, s5, s22
	s_mul_i32 s69, s5, s22
	s_mul_hi_u32 s22, s14, s22
	s_mul_hi_u32 s70, s14, s56
	s_mul_i32 s14, s14, s56
	s_mul_hi_u32 s24, s5, s56
	s_add_u32 s14, s22, s14
	s_addc_u32 s22, 0, s70
	s_add_u32 s14, s14, s69
	s_mul_i32 s56, s5, s56
	s_addc_u32 s14, s22, s68
	s_addc_u32 s22, s24, 0
	s_add_u32 s14, s14, s56
	s_addc_u32 s22, 0, s22
	v_add_co_u32 v2, s14, v2, s14
	s_delay_alu instid0(VALU_DEP_1) | instskip(SKIP_2) | instid1(VALU_DEP_1)
	s_cmp_lg_u32 s14, 0
	s_addc_u32 s5, s5, s22
	s_ashr_i32 s68, s15, 31
	v_readfirstlane_b32 s14, v2
	s_add_u32 s70, s21, s68
	s_mov_b32 s69, s68
	s_addc_u32 s71, s15, s68
	s_delay_alu instid0(SALU_CYCLE_1) | instskip(NEXT) | instid1(SALU_CYCLE_1)
	s_xor_b64 s[70:71], s[70:71], s[68:69]
	s_mul_i32 s24, s70, s5
	s_mul_hi_u32 s56, s70, s14
	s_mul_hi_u32 s22, s70, s5
	;; [unrolled: 1-line block ×3, first 2 shown]
	s_mul_i32 s14, s71, s14
	s_add_u32 s24, s56, s24
	s_addc_u32 s22, 0, s22
	s_mul_hi_u32 s69, s71, s5
	s_add_u32 s14, s24, s14
	s_mul_i32 s5, s71, s5
	s_addc_u32 s14, s22, s72
	s_addc_u32 s22, s69, 0
	s_add_u32 s5, s14, s5
	s_addc_u32 s14, 0, s22
	s_mul_hi_u32 s22, s27, s5
	s_mul_i32 s5, s27, s5
	s_mul_i32 s14, s27, s14
	v_sub_co_u32 v2, s5, s70, s5
	s_add_i32 s22, s22, s14
	s_cmp_lg_u32 s5, 0
	s_delay_alu instid0(VALU_DEP_1) | instskip(SKIP_2) | instid1(VALU_DEP_1)
	v_sub_co_u32 v3, s5, v2, s27
	s_subb_u32 s14, s71, s22
	s_cmp_lg_u32 s5, 0
	v_cmp_le_u32_e32 vcc_lo, s27, v3
	v_sub_co_u32 v4, s5, v3, s27
	s_subb_u32 s22, s14, 0
	s_cmp_lg_u32 s5, 0
	v_cndmask_b32_e64 v5, 0, -1, vcc_lo
	s_subb_u32 s5, s22, 0
	s_cmp_eq_u32 s22, 0
	v_mov_b32_e32 v7, s5
	s_cselect_b32 vcc_lo, -1, 0
	s_cmp_eq_u32 s14, 0
	v_cndmask_b32_e32 v5, -1, v5, vcc_lo
	v_cmp_le_u32_e32 vcc_lo, s27, v2
	s_cselect_b32 s5, -1, 0
	v_cndmask_b32_e64 v6, 0, -1, vcc_lo
	s_delay_alu instid0(VALU_DEP_3) | instskip(NEXT) | instid1(VALU_DEP_2)
	v_cmp_ne_u32_e32 vcc_lo, 0, v5
	v_cndmask_b32_e64 v5, -1, v6, s5
	v_cndmask_b32_e32 v3, v3, v4, vcc_lo
	v_cndmask_b32_e32 v6, s22, v7, vcc_lo
	s_delay_alu instid0(VALU_DEP_3) | instskip(NEXT) | instid1(VALU_DEP_3)
	v_cmp_ne_u32_e32 vcc_lo, 0, v5
	v_cndmask_b32_e32 v2, v2, v3, vcc_lo
	s_delay_alu instid0(VALU_DEP_3) | instskip(NEXT) | instid1(VALU_DEP_2)
	v_cndmask_b32_e32 v4, s14, v6, vcc_lo
	v_xor_b32_e32 v2, s68, v2
	s_delay_alu instid0(VALU_DEP_2) | instskip(NEXT) | instid1(VALU_DEP_2)
	v_xor_b32_e32 v3, s68, v4
	v_sub_co_u32 v2, vcc_lo, v2, s68
	s_delay_alu instid0(VALU_DEP_2)
	v_subrev_co_ci_u32_e32 v3, vcc_lo, s68, v3, vcc_lo
	s_cbranch_execnz .LBB21_160
.LBB21_159:                             ;   in Loop: Header=BB21_17 Depth=1
	v_cvt_f32_u32_e32 v2, s27
	s_sub_i32 s5, 0, s27
	s_delay_alu instid0(VALU_DEP_1) | instskip(SKIP_2) | instid1(VALU_DEP_1)
	v_rcp_iflag_f32_e32 v2, v2
	s_waitcnt_depctr 0xfff
	v_mul_f32_e32 v2, 0x4f7ffffe, v2
	v_cvt_u32_f32_e32 v2, v2
	s_delay_alu instid0(VALU_DEP_1) | instskip(NEXT) | instid1(VALU_DEP_1)
	v_mul_lo_u32 v3, s5, v2
	v_mul_hi_u32 v3, v2, v3
	s_delay_alu instid0(VALU_DEP_1) | instskip(NEXT) | instid1(VALU_DEP_1)
	v_add_nc_u32_e32 v2, v2, v3
	v_mul_hi_u32 v2, s21, v2
	s_delay_alu instid0(VALU_DEP_1) | instskip(NEXT) | instid1(VALU_DEP_1)
	v_mul_lo_u32 v2, v2, s27
	v_sub_nc_u32_e32 v2, s21, v2
	s_delay_alu instid0(VALU_DEP_1) | instskip(SKIP_1) | instid1(VALU_DEP_2)
	v_subrev_nc_u32_e32 v3, s27, v2
	v_cmp_le_u32_e32 vcc_lo, s27, v2
	v_cndmask_b32_e32 v2, v2, v3, vcc_lo
	s_delay_alu instid0(VALU_DEP_1) | instskip(SKIP_1) | instid1(VALU_DEP_2)
	v_subrev_nc_u32_e32 v3, s27, v2
	v_cmp_le_u32_e32 vcc_lo, s27, v2
	v_cndmask_b32_e32 v12, v2, v3, vcc_lo
	s_delay_alu instid0(VALU_DEP_1)
	v_dual_mov_b32 v2, v12 :: v_dual_mov_b32 v3, v13
.LBB21_160:                             ;   in Loop: Header=BB21_17 Depth=1
	s_delay_alu instid0(VALU_DEP_1) | instskip(NEXT) | instid1(VALU_DEP_2)
	v_sub_co_u32 v2, vcc_lo, s21, v2
	v_sub_co_ci_u32_e32 v3, vcc_lo, s15, v3, vcc_lo
	s_mov_b32 s24, 0
	s_mov_b32 s5, exec_lo
                                        ; implicit-def: $vgpr25
	s_delay_alu instid0(VALU_DEP_1)
	v_cmpx_gt_i64_e64 v[2:3], v[0:1]
	s_cbranch_execz .LBB21_169
; %bb.161:                              ;   in Loop: Header=BB21_17 Depth=1
	v_dual_mov_b32 v6, v14 :: v_dual_mov_b32 v5, v1
	v_mov_b32_e32 v4, v0
	s_mov_b32 s14, 0
                                        ; implicit-def: $sgpr15
	s_set_inst_prefetch_distance 0x1
	s_branch .LBB21_163
	.p2align	6
.LBB21_162:                             ;   in Loop: Header=BB21_163 Depth=2
	s_or_b32 exec_lo, exec_lo, s21
	s_waitcnt lgkmcnt(0)
	s_barrier
	buffer_gl0_inv
	ds_load_b64 v[24:25], v13 offset:3072
	v_add_co_u32 v4, vcc_lo, v4, s27
	v_add_co_ci_u32_e32 v5, vcc_lo, 0, v5, vcc_lo
	v_add_nc_u32_e32 v6, s87, v6
	s_waitcnt lgkmcnt(0)
	s_barrier
	s_delay_alu instid0(VALU_DEP_2) | instskip(SKIP_2) | instid1(VALU_DEP_1)
	v_cmp_ge_i64_e32 vcc_lo, v[4:5], v[2:3]
	buffer_gl0_inv
	v_readfirstlane_b32 s21, v24
	s_cmp_lg_u32 s21, 0
	s_cselect_b32 s21, -1, 0
	s_delay_alu instid0(SALU_CYCLE_1) | instskip(NEXT) | instid1(SALU_CYCLE_1)
	s_or_b32 s22, s21, vcc_lo
	s_and_b32 s22, exec_lo, s22
	s_delay_alu instid0(SALU_CYCLE_1) | instskip(SKIP_2) | instid1(SALU_CYCLE_1)
	s_or_b32 s14, s22, s14
	s_and_not1_b32 s15, s15, exec_lo
	s_and_b32 s21, s21, exec_lo
	s_or_b32 s15, s15, s21
	s_and_not1_b32 exec_lo, exec_lo, s14
	s_cbranch_execz .LBB21_168
.LBB21_163:                             ;   Parent Loop BB21_17 Depth=1
                                        ; =>  This Inner Loop Header: Depth=2
	s_delay_alu instid0(VALU_DEP_1)
	v_cmp_gt_i64_e32 vcc_lo, s[12:13], v[4:5]
	v_mov_b32_e32 v24, 0
	s_and_saveexec_b32 s21, vcc_lo
	s_cbranch_execz .LBB21_165
; %bb.164:                              ;   in Loop: Header=BB21_163 Depth=2
	ds_load_b32 v24, v6
.LBB21_165:                             ;   in Loop: Header=BB21_163 Depth=2
	s_or_b32 exec_lo, exec_lo, s21
	s_and_saveexec_b32 s21, vcc_lo
	s_cbranch_execz .LBB21_162
; %bb.166:                              ;   in Loop: Header=BB21_163 Depth=2
	s_waitcnt lgkmcnt(0)
	v_xor_b32_e32 v7, 0x80000000, v24
	s_delay_alu instid0(VALU_DEP_1) | instskip(NEXT) | instid1(VALU_DEP_1)
	v_and_b32_e32 v7, s97, v7
	v_cmp_eq_u32_e32 vcc_lo, s98, v7
	s_and_b32 exec_lo, exec_lo, vcc_lo
	s_cbranch_execz .LBB21_162
; %bb.167:                              ;   in Loop: Header=BB21_163 Depth=2
	ds_store_b64 v13, v[23:24] offset:3072
	s_branch .LBB21_162
.LBB21_168:                             ;   in Loop: Header=BB21_17 Depth=1
	s_set_inst_prefetch_distance 0x2
	s_or_b32 exec_lo, exec_lo, s14
	s_delay_alu instid0(SALU_CYCLE_1)
	s_and_b32 s24, s15, exec_lo
.LBB21_169:                             ;   in Loop: Header=BB21_17 Depth=1
	s_or_b32 exec_lo, exec_lo, s5
	s_mov_b32 s21, -1
	s_mov_b32 s15, 0
	s_mov_b32 s14, 0
.LBB21_170:                             ;   in Loop: Header=BB21_17 Depth=1
	s_mov_b32 s12, 0
                                        ; implicit-def: $sgpr5
	s_and_saveexec_b32 s22, s24
	s_cbranch_execz .LBB21_281
; %bb.171:                              ;   in Loop: Header=BB21_17 Depth=1
	s_xor_b32 s5, s23, -1
	s_delay_alu instid0(SALU_CYCLE_1)
	s_and_not1_b32 vcc_lo, exec_lo, s5
	s_mov_b32 s5, 1
	s_cbranch_vccnz .LBB21_182
; %bb.172:                              ;   in Loop: Header=BB21_17 Depth=1
	v_cmp_gt_i64_e64 s5, s[38:39], s[10:11]
	s_mov_b32 s12, -1
                                        ; implicit-def: $sgpr13
                                        ; implicit-def: $sgpr23
	s_delay_alu instid0(VALU_DEP_1)
	s_and_b32 vcc_lo, exec_lo, s5
                                        ; implicit-def: $sgpr5
	s_cbranch_vccnz .LBB21_178
; %bb.173:                              ;   in Loop: Header=BB21_17 Depth=1
	ds_load_b64 v[2:3], v13 offset:5120
	s_waitcnt lgkmcnt(0)
	v_cmp_ne_u64_e32 vcc_lo, 0, v[2:3]
	s_cbranch_vccnz .LBB21_177
; %bb.174:                              ;   in Loop: Header=BB21_17 Depth=1
	s_and_saveexec_b32 s5, s2
	s_cbranch_execz .LBB21_176
; %bb.175:                              ;   in Loop: Header=BB21_17 Depth=1
	v_dual_mov_b32 v2, s10 :: v_dual_mov_b32 v3, s11
	ds_store_b64 v13, v[2:3] offset:5128
.LBB21_176:                             ;   in Loop: Header=BB21_17 Depth=1
	s_or_b32 exec_lo, exec_lo, s5
	s_waitcnt lgkmcnt(0)
	s_barrier
	buffer_gl0_inv
.LBB21_177:                             ;   in Loop: Header=BB21_17 Depth=1
	s_lshl_b32 s5, 1, s19
	s_and_b32 s12, s98, s20
	s_or_b32 s23, s97, s18
	s_or_b32 s13, s12, s5
	s_mov_b32 s12, 0
	s_mov_b32 s5, 8
.LBB21_178:                             ;   in Loop: Header=BB21_17 Depth=1
	s_and_not1_b32 vcc_lo, exec_lo, s12
	s_cbranch_vccnz .LBB21_180
; %bb.179:                              ;   in Loop: Header=BB21_17 Depth=1
	s_sub_u32 s38, s38, s10
	s_subb_u32 s39, s39, s11
	s_mov_b32 s12, -1
	s_mov_b32 s5, 0
	s_mov_b32 s13, s98
	;; [unrolled: 1-line block ×3, first 2 shown]
.LBB21_180:                             ;   in Loop: Header=BB21_17 Depth=1
	s_delay_alu instid0(SALU_CYCLE_1)
	s_mov_b32 s97, s23
	s_mov_b32 s98, s13
	s_and_not1_b32 vcc_lo, exec_lo, s12
	s_mov_b32 s10, -1
	s_cbranch_vccz .LBB21_183
.LBB21_181:                             ;   in Loop: Header=BB21_17 Depth=1
                                        ; implicit-def: $sgpr13
                                        ; implicit-def: $sgpr23
                                        ; implicit-def: $sgpr12
	s_branch .LBB21_280
.LBB21_182:                             ;   in Loop: Header=BB21_17 Depth=1
	s_mov_b64 s[38:39], 1
	s_and_not1_b32 vcc_lo, exec_lo, s12
	s_mov_b32 s10, -1
	s_cbranch_vccnz .LBB21_181
.LBB21_183:                             ;   in Loop: Header=BB21_17 Depth=1
	s_cmp_eq_u64 s[8:9], 1
	s_mov_b32 s24, -1
	s_cselect_b32 s5, -1, 0
	s_cmp_eq_u64 s[38:39], 1
	s_cselect_b32 s10, -1, 0
	s_delay_alu instid0(SALU_CYCLE_1) | instskip(NEXT) | instid1(SALU_CYCLE_1)
	s_and_b32 s68, s5, s10
	s_and_b32 vcc_lo, exec_lo, s68
	s_cbranch_vccz .LBB21_198
; %bb.184:                              ;   in Loop: Header=BB21_17 Depth=1
	ds_load_b64 v[2:3], v13 offset:5120
	s_waitcnt lgkmcnt(0)
	s_barrier
	buffer_gl0_inv
	v_readfirstlane_b32 s10, v2
	v_readfirstlane_b32 s11, v3
	s_and_saveexec_b32 s5, s3
	s_cbranch_execz .LBB21_186
; %bb.185:                              ;   in Loop: Header=BB21_17 Depth=1
	ds_store_b32 v35, v13
.LBB21_186:                             ;   in Loop: Header=BB21_17 Depth=1
	s_or_b32 exec_lo, exec_lo, s5
	s_delay_alu instid0(VALU_DEP_1)
	v_cmp_gt_i64_e64 s13, s[10:11], 0
	s_lshl_b32 s5, 2, s19
	s_and_b32 s12, s98, s20
	s_or_b32 s97, s97, s18
	s_or_b32 s98, s12, s5
	s_waitcnt lgkmcnt(0)
	s_and_b32 vcc_lo, exec_lo, s13
	s_barrier
	buffer_gl0_inv
	s_cbranch_vccnz .LBB21_201
; %bb.187:                              ;   in Loop: Header=BB21_17 Depth=1
	s_mov_b32 s24, s57
	s_delay_alu instid0(SALU_CYCLE_1)
	s_cmp_lg_u64 s[24:25], 0
	s_cbranch_scc0 .LBB21_246
; %bb.188:                              ;   in Loop: Header=BB21_17 Depth=1
	v_cvt_f32_u32_e32 v2, s27
	s_sub_u32 s13, 0, s27
	s_subb_u32 s23, 0, 0
	s_delay_alu instid0(VALU_DEP_1) | instskip(NEXT) | instid1(VALU_DEP_1)
	v_fmac_f32_e32 v2, 0x4f800000, v43
	v_rcp_f32_e32 v2, v2
	s_waitcnt_depctr 0xfff
	v_mul_f32_e32 v2, 0x5f7ffffc, v2
	s_delay_alu instid0(VALU_DEP_1) | instskip(NEXT) | instid1(VALU_DEP_1)
	v_mul_f32_e32 v3, 0x2f800000, v2
	v_trunc_f32_e32 v3, v3
	s_delay_alu instid0(VALU_DEP_1) | instskip(SKIP_1) | instid1(VALU_DEP_2)
	v_fmac_f32_e32 v2, 0xcf800000, v3
	v_cvt_u32_f32_e32 v3, v3
	v_cvt_u32_f32_e32 v2, v2
	s_delay_alu instid0(VALU_DEP_2) | instskip(NEXT) | instid1(VALU_DEP_2)
	v_readfirstlane_b32 s5, v3
	v_readfirstlane_b32 s12, v2
	s_delay_alu instid0(VALU_DEP_2) | instskip(NEXT) | instid1(VALU_DEP_1)
	s_mul_i32 s24, s13, s5
	s_mul_hi_u32 s69, s13, s12
	s_mul_i32 s56, s23, s12
	s_add_i32 s24, s69, s24
	s_mul_i32 s70, s13, s12
	s_add_i32 s24, s24, s56
	s_mul_hi_u32 s69, s12, s70
	s_mul_hi_u32 s71, s5, s70
	s_mul_i32 s56, s5, s70
	s_mul_hi_u32 s70, s12, s24
	s_mul_i32 s12, s12, s24
	s_mul_hi_u32 s72, s5, s24
	s_add_u32 s12, s69, s12
	s_addc_u32 s69, 0, s70
	s_add_u32 s12, s12, s56
	s_mul_i32 s24, s5, s24
	s_addc_u32 s12, s69, s71
	s_addc_u32 s56, s72, 0
	s_add_u32 s12, s12, s24
	s_addc_u32 s24, 0, s56
	v_add_co_u32 v2, s12, v2, s12
	s_delay_alu instid0(VALU_DEP_1) | instskip(SKIP_1) | instid1(VALU_DEP_1)
	s_cmp_lg_u32 s12, 0
	s_addc_u32 s5, s5, s24
	v_readfirstlane_b32 s12, v2
	s_mul_i32 s24, s13, s5
	s_delay_alu instid0(VALU_DEP_1)
	s_mul_hi_u32 s56, s13, s12
	s_mul_i32 s23, s23, s12
	s_add_i32 s24, s56, s24
	s_mul_i32 s13, s13, s12
	s_add_i32 s24, s24, s23
	s_mul_hi_u32 s56, s5, s13
	s_mul_i32 s69, s5, s13
	s_mul_hi_u32 s13, s12, s13
	s_mul_hi_u32 s70, s12, s24
	s_mul_i32 s12, s12, s24
	s_mul_hi_u32 s23, s5, s24
	s_add_u32 s12, s13, s12
	s_addc_u32 s13, 0, s70
	s_add_u32 s12, s12, s69
	s_mul_i32 s24, s5, s24
	s_addc_u32 s12, s13, s56
	s_addc_u32 s13, s23, 0
	s_add_u32 s12, s12, s24
	s_addc_u32 s13, 0, s13
	v_add_co_u32 v2, s12, v2, s12
	s_delay_alu instid0(VALU_DEP_1) | instskip(SKIP_2) | instid1(VALU_DEP_1)
	s_cmp_lg_u32 s12, 0
	s_addc_u32 s5, s5, s13
	s_ashr_i32 s12, s25, 31
	v_readfirstlane_b32 s23, v2
	s_add_u32 s70, s81, s12
	s_mov_b32 s13, s12
	s_addc_u32 s71, s25, s12
	s_delay_alu instid0(SALU_CYCLE_1) | instskip(NEXT) | instid1(SALU_CYCLE_1)
	s_xor_b64 s[70:71], s[70:71], s[12:13]
	s_mul_i32 s24, s70, s5
	s_mul_hi_u32 s56, s70, s23
	s_mul_hi_u32 s13, s70, s5
	;; [unrolled: 1-line block ×3, first 2 shown]
	s_mul_i32 s23, s71, s23
	s_add_u32 s24, s56, s24
	s_addc_u32 s13, 0, s13
	s_mul_hi_u32 s69, s71, s5
	s_add_u32 s23, s24, s23
	s_mul_i32 s5, s71, s5
	s_addc_u32 s13, s13, s72
	s_addc_u32 s23, s69, 0
	s_add_u32 s5, s13, s5
	s_addc_u32 s13, 0, s23
	s_mul_hi_u32 s23, s27, s5
	s_mul_i32 s5, s27, s5
	s_mul_i32 s13, s27, s13
	v_sub_co_u32 v2, s5, s70, s5
	s_add_i32 s23, s23, s13
	s_cmp_lg_u32 s5, 0
	s_delay_alu instid0(VALU_DEP_1) | instskip(SKIP_2) | instid1(VALU_DEP_1)
	v_sub_co_u32 v3, s5, v2, s27
	s_subb_u32 s13, s71, s23
	s_cmp_lg_u32 s5, 0
	v_cmp_le_u32_e32 vcc_lo, s27, v3
	v_sub_co_u32 v4, s5, v3, s27
	s_subb_u32 s23, s13, 0
	s_cmp_lg_u32 s5, 0
	v_cndmask_b32_e64 v5, 0, -1, vcc_lo
	s_subb_u32 s5, s23, 0
	s_cmp_eq_u32 s23, 0
	v_mov_b32_e32 v7, s5
	s_cselect_b32 vcc_lo, -1, 0
	s_cmp_eq_u32 s13, 0
	v_cndmask_b32_e32 v5, -1, v5, vcc_lo
	v_cmp_le_u32_e32 vcc_lo, s27, v2
	s_cselect_b32 s5, -1, 0
	v_cndmask_b32_e64 v6, 0, -1, vcc_lo
	s_delay_alu instid0(VALU_DEP_3) | instskip(NEXT) | instid1(VALU_DEP_2)
	v_cmp_ne_u32_e32 vcc_lo, 0, v5
	v_cndmask_b32_e64 v5, -1, v6, s5
	v_cndmask_b32_e32 v3, v3, v4, vcc_lo
	v_cndmask_b32_e32 v6, s23, v7, vcc_lo
	s_delay_alu instid0(VALU_DEP_3) | instskip(NEXT) | instid1(VALU_DEP_3)
	v_cmp_ne_u32_e32 vcc_lo, 0, v5
	v_cndmask_b32_e32 v2, v2, v3, vcc_lo
	s_delay_alu instid0(VALU_DEP_3) | instskip(NEXT) | instid1(VALU_DEP_2)
	v_cndmask_b32_e32 v4, s13, v6, vcc_lo
	v_xor_b32_e32 v2, s12, v2
	s_delay_alu instid0(VALU_DEP_2) | instskip(NEXT) | instid1(VALU_DEP_2)
	v_xor_b32_e32 v3, s12, v4
	v_sub_co_u32 v2, vcc_lo, v2, s12
	s_delay_alu instid0(VALU_DEP_2)
	v_subrev_co_ci_u32_e32 v3, vcc_lo, s12, v3, vcc_lo
	s_cbranch_execnz .LBB21_190
.LBB21_189:                             ;   in Loop: Header=BB21_17 Depth=1
	v_cvt_f32_u32_e32 v2, s27
	s_sub_i32 s5, 0, s27
	s_delay_alu instid0(VALU_DEP_1) | instskip(SKIP_2) | instid1(VALU_DEP_1)
	v_rcp_iflag_f32_e32 v2, v2
	s_waitcnt_depctr 0xfff
	v_mul_f32_e32 v2, 0x4f7ffffe, v2
	v_cvt_u32_f32_e32 v2, v2
	s_delay_alu instid0(VALU_DEP_1) | instskip(NEXT) | instid1(VALU_DEP_1)
	v_mul_lo_u32 v3, s5, v2
	v_mul_hi_u32 v3, v2, v3
	s_delay_alu instid0(VALU_DEP_1) | instskip(NEXT) | instid1(VALU_DEP_1)
	v_add_nc_u32_e32 v2, v2, v3
	v_mul_hi_u32 v2, s81, v2
	s_delay_alu instid0(VALU_DEP_1) | instskip(NEXT) | instid1(VALU_DEP_1)
	v_mul_lo_u32 v2, v2, s27
	v_sub_nc_u32_e32 v2, s81, v2
	s_delay_alu instid0(VALU_DEP_1) | instskip(SKIP_1) | instid1(VALU_DEP_2)
	v_subrev_nc_u32_e32 v3, s27, v2
	v_cmp_le_u32_e32 vcc_lo, s27, v2
	v_cndmask_b32_e32 v2, v2, v3, vcc_lo
	s_delay_alu instid0(VALU_DEP_1) | instskip(SKIP_1) | instid1(VALU_DEP_2)
	v_subrev_nc_u32_e32 v3, s27, v2
	v_cmp_le_u32_e32 vcc_lo, s27, v2
	v_cndmask_b32_e32 v12, v2, v3, vcc_lo
	s_delay_alu instid0(VALU_DEP_1)
	v_dual_mov_b32 v2, v12 :: v_dual_mov_b32 v3, v13
.LBB21_190:                             ;   in Loop: Header=BB21_17 Depth=1
	s_delay_alu instid0(VALU_DEP_1) | instskip(NEXT) | instid1(VALU_DEP_2)
	v_sub_co_u32 v2, vcc_lo, s81, v2
	v_sub_co_ci_u32_e32 v3, vcc_lo, s25, v3, vcc_lo
	s_mov_b32 s24, 0
	s_mov_b32 s5, exec_lo
                                        ; implicit-def: $vgpr25
	s_delay_alu instid0(VALU_DEP_1)
	v_cmpx_gt_i64_e64 v[2:3], v[0:1]
	s_cbranch_execz .LBB21_203
; %bb.191:                              ;   in Loop: Header=BB21_17 Depth=1
	v_dual_mov_b32 v4, v10 :: v_dual_mov_b32 v5, v11
	v_dual_mov_b32 v7, v1 :: v_dual_mov_b32 v6, v0
	s_mov_b32 s12, 0
                                        ; implicit-def: $sgpr13
	s_set_inst_prefetch_distance 0x1
	s_branch .LBB21_193
	.p2align	6
.LBB21_192:                             ;   in Loop: Header=BB21_193 Depth=2
	s_or_b32 exec_lo, exec_lo, s23
	s_waitcnt vmcnt(0) lgkmcnt(0)
	s_barrier
	buffer_gl0_inv
	ds_load_b64 v[24:25], v13 offset:3072
	v_add_co_u32 v6, vcc_lo, v6, s27
	v_add_co_ci_u32_e32 v7, vcc_lo, 0, v7, vcc_lo
	s_waitcnt lgkmcnt(0)
	s_barrier
	buffer_gl0_inv
	v_cmp_ge_i64_e32 vcc_lo, v[6:7], v[2:3]
	v_readfirstlane_b32 s23, v24
	s_delay_alu instid0(VALU_DEP_1) | instskip(SKIP_1) | instid1(SALU_CYCLE_1)
	s_cmp_lg_u32 s23, 0
	s_cselect_b32 s23, -1, 0
	s_or_b32 s24, s23, vcc_lo
	v_add_co_u32 v4, vcc_lo, v4, s58
	s_and_b32 s24, exec_lo, s24
	v_add_co_ci_u32_e32 v5, vcc_lo, s59, v5, vcc_lo
	s_or_b32 s12, s24, s12
	s_and_not1_b32 s13, s13, exec_lo
	s_and_b32 s23, s23, exec_lo
	s_delay_alu instid0(SALU_CYCLE_1)
	s_or_b32 s13, s13, s23
	s_and_not1_b32 exec_lo, exec_lo, s12
	s_cbranch_execz .LBB21_202
.LBB21_193:                             ;   Parent Loop BB21_17 Depth=1
                                        ; =>  This Inner Loop Header: Depth=2
	s_delay_alu instid0(VALU_DEP_1)
	v_cmp_gt_i64_e32 vcc_lo, s[36:37], v[6:7]
	v_mov_b32_e32 v24, 0
	s_and_saveexec_b32 s23, vcc_lo
	s_cbranch_execz .LBB21_195
; %bb.194:                              ;   in Loop: Header=BB21_193 Depth=2
	global_load_b32 v24, v[4:5], off
.LBB21_195:                             ;   in Loop: Header=BB21_193 Depth=2
	s_or_b32 exec_lo, exec_lo, s23
	s_and_saveexec_b32 s23, vcc_lo
	s_cbranch_execz .LBB21_192
; %bb.196:                              ;   in Loop: Header=BB21_193 Depth=2
	s_waitcnt vmcnt(0)
	v_xor_b32_e32 v8, 0x80000000, v24
	s_delay_alu instid0(VALU_DEP_1) | instskip(NEXT) | instid1(VALU_DEP_1)
	v_and_b32_e32 v8, s97, v8
	v_cmp_eq_u32_e32 vcc_lo, s98, v8
	s_and_b32 exec_lo, exec_lo, vcc_lo
	s_cbranch_execz .LBB21_192
; %bb.197:                              ;   in Loop: Header=BB21_193 Depth=2
	ds_store_b64 v13, v[23:24] offset:3072
	s_branch .LBB21_192
.LBB21_198:                             ;   in Loop: Header=BB21_17 Depth=1
                                        ; implicit-def: $sgpr12
                                        ; implicit-def: $sgpr23
                                        ; implicit-def: $sgpr13
	s_branch .LBB21_217
.LBB21_199:                             ;   in Loop: Header=BB21_17 Depth=1
                                        ; implicit-def: $vgpr2_vgpr3
	s_branch .LBB21_142
.LBB21_200:                             ;   in Loop: Header=BB21_17 Depth=1
                                        ; implicit-def: $vgpr2_vgpr3
	s_branch .LBB21_159
.LBB21_201:                             ;   in Loop: Header=BB21_17 Depth=1
	s_mov_b32 s12, -1
	s_mov_b32 s24, 0
                                        ; implicit-def: $sgpr13
                                        ; implicit-def: $vgpr25
	s_mov_b32 s23, s12
	s_cbranch_execnz .LBB21_204
	s_branch .LBB21_217
.LBB21_202:                             ;   in Loop: Header=BB21_17 Depth=1
	s_set_inst_prefetch_distance 0x2
	s_or_b32 exec_lo, exec_lo, s12
	s_delay_alu instid0(SALU_CYCLE_1)
	s_and_b32 s24, s13, exec_lo
.LBB21_203:                             ;   in Loop: Header=BB21_17 Depth=1
	s_or_b32 exec_lo, exec_lo, s5
	s_mov_b32 s13, -1
	s_mov_b32 s12, 0
	s_delay_alu instid0(SALU_CYCLE_1)
	s_mov_b32 s23, s12
	s_branch .LBB21_217
.LBB21_204:                             ;   in Loop: Header=BB21_17 Depth=1
	s_add_u32 s23, s79, s10
	s_addc_u32 s13, s80, s11
	s_mov_b32 s12, s57
	s_delay_alu instid0(SALU_CYCLE_1)
	s_cmp_lg_u64 s[12:13], 0
	s_cbranch_scc0 .LBB21_247
; %bb.205:                              ;   in Loop: Header=BB21_17 Depth=1
	v_cvt_f32_u32_e32 v2, s27
	s_sub_u32 s24, 0, s27
	s_subb_u32 s56, 0, 0
	s_delay_alu instid0(VALU_DEP_1) | instskip(NEXT) | instid1(VALU_DEP_1)
	v_fmac_f32_e32 v2, 0x4f800000, v43
	v_rcp_f32_e32 v2, v2
	s_waitcnt_depctr 0xfff
	v_mul_f32_e32 v2, 0x5f7ffffc, v2
	s_delay_alu instid0(VALU_DEP_1) | instskip(NEXT) | instid1(VALU_DEP_1)
	v_mul_f32_e32 v3, 0x2f800000, v2
	v_trunc_f32_e32 v3, v3
	s_delay_alu instid0(VALU_DEP_1) | instskip(SKIP_1) | instid1(VALU_DEP_2)
	v_fmac_f32_e32 v2, 0xcf800000, v3
	v_cvt_u32_f32_e32 v3, v3
	v_cvt_u32_f32_e32 v2, v2
	s_delay_alu instid0(VALU_DEP_2) | instskip(NEXT) | instid1(VALU_DEP_2)
	v_readfirstlane_b32 s5, v3
	v_readfirstlane_b32 s12, v2
	s_delay_alu instid0(VALU_DEP_2) | instskip(NEXT) | instid1(VALU_DEP_1)
	s_mul_i32 s69, s24, s5
	s_mul_hi_u32 s71, s24, s12
	s_mul_i32 s70, s56, s12
	s_add_i32 s69, s71, s69
	s_mul_i32 s72, s24, s12
	s_add_i32 s69, s69, s70
	s_mul_hi_u32 s71, s12, s72
	s_mul_hi_u32 s73, s5, s72
	s_mul_i32 s70, s5, s72
	s_mul_hi_u32 s72, s12, s69
	s_mul_i32 s12, s12, s69
	s_mul_hi_u32 s74, s5, s69
	s_add_u32 s12, s71, s12
	s_addc_u32 s71, 0, s72
	s_add_u32 s12, s12, s70
	s_mul_i32 s69, s5, s69
	s_addc_u32 s12, s71, s73
	s_addc_u32 s70, s74, 0
	s_add_u32 s12, s12, s69
	s_addc_u32 s69, 0, s70
	v_add_co_u32 v2, s12, v2, s12
	s_delay_alu instid0(VALU_DEP_1) | instskip(SKIP_1) | instid1(VALU_DEP_1)
	s_cmp_lg_u32 s12, 0
	s_addc_u32 s5, s5, s69
	v_readfirstlane_b32 s12, v2
	s_mul_i32 s69, s24, s5
	s_delay_alu instid0(VALU_DEP_1)
	s_mul_hi_u32 s70, s24, s12
	s_mul_i32 s56, s56, s12
	s_add_i32 s69, s70, s69
	s_mul_i32 s24, s24, s12
	s_add_i32 s69, s69, s56
	s_mul_hi_u32 s70, s5, s24
	s_mul_i32 s71, s5, s24
	s_mul_hi_u32 s24, s12, s24
	s_mul_hi_u32 s72, s12, s69
	s_mul_i32 s12, s12, s69
	s_mul_hi_u32 s56, s5, s69
	s_add_u32 s12, s24, s12
	s_addc_u32 s24, 0, s72
	s_add_u32 s12, s12, s71
	s_mul_i32 s69, s5, s69
	s_addc_u32 s12, s24, s70
	s_addc_u32 s24, s56, 0
	s_add_u32 s12, s12, s69
	s_addc_u32 s24, 0, s24
	v_add_co_u32 v2, s12, v2, s12
	s_delay_alu instid0(VALU_DEP_1) | instskip(SKIP_2) | instid1(VALU_DEP_1)
	s_cmp_lg_u32 s12, 0
	s_addc_u32 s5, s5, s24
	s_ashr_i32 s70, s13, 31
	v_readfirstlane_b32 s12, v2
	s_add_u32 s72, s23, s70
	s_mov_b32 s71, s70
	s_addc_u32 s73, s13, s70
	s_delay_alu instid0(SALU_CYCLE_1) | instskip(NEXT) | instid1(SALU_CYCLE_1)
	s_xor_b64 s[72:73], s[72:73], s[70:71]
	s_mul_i32 s56, s72, s5
	s_mul_hi_u32 s69, s72, s12
	s_mul_hi_u32 s24, s72, s5
	;; [unrolled: 1-line block ×3, first 2 shown]
	s_mul_i32 s12, s73, s12
	s_add_u32 s56, s69, s56
	s_addc_u32 s24, 0, s24
	s_mul_hi_u32 s71, s73, s5
	s_add_u32 s12, s56, s12
	s_mul_i32 s5, s73, s5
	s_addc_u32 s12, s24, s74
	s_addc_u32 s24, s71, 0
	s_add_u32 s5, s12, s5
	s_addc_u32 s12, 0, s24
	s_mul_hi_u32 s24, s27, s5
	s_mul_i32 s5, s27, s5
	s_mul_i32 s12, s27, s12
	v_sub_co_u32 v2, s5, s72, s5
	s_add_i32 s24, s24, s12
	s_cmp_lg_u32 s5, 0
	s_delay_alu instid0(VALU_DEP_1) | instskip(SKIP_2) | instid1(VALU_DEP_1)
	v_sub_co_u32 v3, s5, v2, s27
	s_subb_u32 s12, s73, s24
	s_cmp_lg_u32 s5, 0
	v_cmp_le_u32_e32 vcc_lo, s27, v3
	v_sub_co_u32 v4, s5, v3, s27
	s_subb_u32 s24, s12, 0
	s_cmp_lg_u32 s5, 0
	v_cndmask_b32_e64 v5, 0, -1, vcc_lo
	s_subb_u32 s5, s24, 0
	s_cmp_eq_u32 s24, 0
	v_mov_b32_e32 v7, s5
	s_cselect_b32 vcc_lo, -1, 0
	s_cmp_eq_u32 s12, 0
	v_cndmask_b32_e32 v5, -1, v5, vcc_lo
	v_cmp_le_u32_e32 vcc_lo, s27, v2
	s_cselect_b32 s5, -1, 0
	v_cndmask_b32_e64 v6, 0, -1, vcc_lo
	s_delay_alu instid0(VALU_DEP_3) | instskip(NEXT) | instid1(VALU_DEP_2)
	v_cmp_ne_u32_e32 vcc_lo, 0, v5
	v_cndmask_b32_e64 v5, -1, v6, s5
	v_cndmask_b32_e32 v3, v3, v4, vcc_lo
	v_cndmask_b32_e32 v6, s24, v7, vcc_lo
	s_delay_alu instid0(VALU_DEP_3) | instskip(NEXT) | instid1(VALU_DEP_3)
	v_cmp_ne_u32_e32 vcc_lo, 0, v5
	v_cndmask_b32_e32 v2, v2, v3, vcc_lo
	s_delay_alu instid0(VALU_DEP_3) | instskip(NEXT) | instid1(VALU_DEP_2)
	v_cndmask_b32_e32 v4, s12, v6, vcc_lo
	v_xor_b32_e32 v2, s70, v2
	s_delay_alu instid0(VALU_DEP_2) | instskip(NEXT) | instid1(VALU_DEP_2)
	v_xor_b32_e32 v3, s70, v4
	v_sub_co_u32 v2, vcc_lo, v2, s70
	s_delay_alu instid0(VALU_DEP_2)
	v_subrev_co_ci_u32_e32 v3, vcc_lo, s70, v3, vcc_lo
	s_cbranch_execnz .LBB21_207
.LBB21_206:                             ;   in Loop: Header=BB21_17 Depth=1
	v_cvt_f32_u32_e32 v2, s27
	s_sub_i32 s5, 0, s27
	s_delay_alu instid0(VALU_DEP_1) | instskip(SKIP_2) | instid1(VALU_DEP_1)
	v_rcp_iflag_f32_e32 v2, v2
	s_waitcnt_depctr 0xfff
	v_mul_f32_e32 v2, 0x4f7ffffe, v2
	v_cvt_u32_f32_e32 v2, v2
	s_delay_alu instid0(VALU_DEP_1) | instskip(NEXT) | instid1(VALU_DEP_1)
	v_mul_lo_u32 v3, s5, v2
	v_mul_hi_u32 v3, v2, v3
	s_delay_alu instid0(VALU_DEP_1) | instskip(NEXT) | instid1(VALU_DEP_1)
	v_add_nc_u32_e32 v2, v2, v3
	v_mul_hi_u32 v2, s23, v2
	s_delay_alu instid0(VALU_DEP_1) | instskip(NEXT) | instid1(VALU_DEP_1)
	v_mul_lo_u32 v2, v2, s27
	v_sub_nc_u32_e32 v2, s23, v2
	s_delay_alu instid0(VALU_DEP_1) | instskip(SKIP_1) | instid1(VALU_DEP_2)
	v_subrev_nc_u32_e32 v3, s27, v2
	v_cmp_le_u32_e32 vcc_lo, s27, v2
	v_cndmask_b32_e32 v2, v2, v3, vcc_lo
	s_delay_alu instid0(VALU_DEP_1) | instskip(SKIP_1) | instid1(VALU_DEP_2)
	v_subrev_nc_u32_e32 v3, s27, v2
	v_cmp_le_u32_e32 vcc_lo, s27, v2
	v_cndmask_b32_e32 v12, v2, v3, vcc_lo
	s_delay_alu instid0(VALU_DEP_1)
	v_dual_mov_b32 v2, v12 :: v_dual_mov_b32 v3, v13
.LBB21_207:                             ;   in Loop: Header=BB21_17 Depth=1
	s_delay_alu instid0(VALU_DEP_1) | instskip(NEXT) | instid1(VALU_DEP_2)
	v_sub_co_u32 v2, vcc_lo, s23, v2
	v_sub_co_ci_u32_e32 v3, vcc_lo, s13, v3, vcc_lo
	s_mov_b32 s24, 0
	s_mov_b32 s5, exec_lo
                                        ; implicit-def: $vgpr25
	s_delay_alu instid0(VALU_DEP_1)
	v_cmpx_gt_i64_e64 v[2:3], v[0:1]
	s_cbranch_execz .LBB21_216
; %bb.208:                              ;   in Loop: Header=BB21_17 Depth=1
	v_dual_mov_b32 v6, v14 :: v_dual_mov_b32 v5, v1
	v_mov_b32_e32 v4, v0
	s_mov_b32 s12, 0
                                        ; implicit-def: $sgpr13
	s_set_inst_prefetch_distance 0x1
	s_branch .LBB21_210
	.p2align	6
.LBB21_209:                             ;   in Loop: Header=BB21_210 Depth=2
	s_or_b32 exec_lo, exec_lo, s23
	s_waitcnt lgkmcnt(0)
	s_barrier
	buffer_gl0_inv
	ds_load_b64 v[24:25], v13 offset:3072
	v_add_co_u32 v4, vcc_lo, v4, s27
	v_add_co_ci_u32_e32 v5, vcc_lo, 0, v5, vcc_lo
	v_add_nc_u32_e32 v6, s87, v6
	s_waitcnt lgkmcnt(0)
	s_barrier
	s_delay_alu instid0(VALU_DEP_2) | instskip(SKIP_2) | instid1(VALU_DEP_1)
	v_cmp_ge_i64_e32 vcc_lo, v[4:5], v[2:3]
	buffer_gl0_inv
	v_readfirstlane_b32 s23, v24
	s_cmp_lg_u32 s23, 0
	s_cselect_b32 s23, -1, 0
	s_delay_alu instid0(SALU_CYCLE_1) | instskip(NEXT) | instid1(SALU_CYCLE_1)
	s_or_b32 s24, s23, vcc_lo
	s_and_b32 s24, exec_lo, s24
	s_delay_alu instid0(SALU_CYCLE_1) | instskip(SKIP_2) | instid1(SALU_CYCLE_1)
	s_or_b32 s12, s24, s12
	s_and_not1_b32 s13, s13, exec_lo
	s_and_b32 s23, s23, exec_lo
	s_or_b32 s13, s13, s23
	s_and_not1_b32 exec_lo, exec_lo, s12
	s_cbranch_execz .LBB21_215
.LBB21_210:                             ;   Parent Loop BB21_17 Depth=1
                                        ; =>  This Inner Loop Header: Depth=2
	s_delay_alu instid0(VALU_DEP_1)
	v_cmp_gt_i64_e32 vcc_lo, s[10:11], v[4:5]
	v_mov_b32_e32 v24, 0
	s_and_saveexec_b32 s23, vcc_lo
	s_cbranch_execz .LBB21_212
; %bb.211:                              ;   in Loop: Header=BB21_210 Depth=2
	ds_load_b32 v24, v6
.LBB21_212:                             ;   in Loop: Header=BB21_210 Depth=2
	s_or_b32 exec_lo, exec_lo, s23
	s_and_saveexec_b32 s23, vcc_lo
	s_cbranch_execz .LBB21_209
; %bb.213:                              ;   in Loop: Header=BB21_210 Depth=2
	s_waitcnt lgkmcnt(0)
	v_xor_b32_e32 v7, 0x80000000, v24
	s_delay_alu instid0(VALU_DEP_1) | instskip(NEXT) | instid1(VALU_DEP_1)
	v_and_b32_e32 v7, s97, v7
	v_cmp_eq_u32_e32 vcc_lo, s98, v7
	s_and_b32 exec_lo, exec_lo, vcc_lo
	s_cbranch_execz .LBB21_209
; %bb.214:                              ;   in Loop: Header=BB21_210 Depth=2
	ds_store_b64 v13, v[23:24] offset:3072
	s_branch .LBB21_209
.LBB21_215:                             ;   in Loop: Header=BB21_17 Depth=1
	s_set_inst_prefetch_distance 0x2
	s_or_b32 exec_lo, exec_lo, s12
	s_delay_alu instid0(SALU_CYCLE_1)
	s_and_b32 s24, s13, exec_lo
.LBB21_216:                             ;   in Loop: Header=BB21_17 Depth=1
	s_or_b32 exec_lo, exec_lo, s5
	s_mov_b32 s23, -1
	s_mov_b32 s12, 0
	s_mov_b32 s13, 0
.LBB21_217:                             ;   in Loop: Header=BB21_17 Depth=1
	s_mov_b32 s10, 0
                                        ; implicit-def: $sgpr5
	s_and_saveexec_b32 s56, s24
	s_cbranch_execz .LBB21_279
; %bb.218:                              ;   in Loop: Header=BB21_17 Depth=1
	s_xor_b32 s5, s68, -1
	s_delay_alu instid0(SALU_CYCLE_1)
	s_and_not1_b32 vcc_lo, exec_lo, s5
	s_mov_b32 s5, 1
	s_cbranch_vccnz .LBB21_229
; %bb.219:                              ;   in Loop: Header=BB21_17 Depth=1
	v_cmp_gt_i64_e64 s5, s[38:39], s[8:9]
	s_mov_b32 s10, -1
                                        ; implicit-def: $sgpr11
                                        ; implicit-def: $sgpr24
	s_delay_alu instid0(VALU_DEP_1)
	s_and_b32 vcc_lo, exec_lo, s5
                                        ; implicit-def: $sgpr5
	s_cbranch_vccnz .LBB21_225
; %bb.220:                              ;   in Loop: Header=BB21_17 Depth=1
	ds_load_b64 v[2:3], v13 offset:5120
	s_waitcnt lgkmcnt(0)
	v_cmp_ne_u64_e32 vcc_lo, 0, v[2:3]
	s_cbranch_vccnz .LBB21_224
; %bb.221:                              ;   in Loop: Header=BB21_17 Depth=1
	s_and_saveexec_b32 s5, s2
	s_cbranch_execz .LBB21_223
; %bb.222:                              ;   in Loop: Header=BB21_17 Depth=1
	v_dual_mov_b32 v2, s8 :: v_dual_mov_b32 v3, s9
	ds_store_b64 v13, v[2:3] offset:5128
.LBB21_223:                             ;   in Loop: Header=BB21_17 Depth=1
	s_or_b32 exec_lo, exec_lo, s5
	s_waitcnt lgkmcnt(0)
	s_barrier
	buffer_gl0_inv
.LBB21_224:                             ;   in Loop: Header=BB21_17 Depth=1
	s_lshl_b32 s5, 2, s19
	s_and_b32 s10, s98, s20
	s_or_b32 s24, s97, s18
	s_or_b32 s11, s10, s5
	s_mov_b32 s10, 0
	s_mov_b32 s5, 8
.LBB21_225:                             ;   in Loop: Header=BB21_17 Depth=1
	s_and_not1_b32 vcc_lo, exec_lo, s10
	s_cbranch_vccnz .LBB21_227
; %bb.226:                              ;   in Loop: Header=BB21_17 Depth=1
	s_sub_u32 s38, s38, s8
	s_subb_u32 s39, s39, s9
	s_mov_b32 s10, -1
	s_mov_b32 s5, 0
	s_mov_b32 s11, s98
	;; [unrolled: 1-line block ×3, first 2 shown]
.LBB21_227:                             ;   in Loop: Header=BB21_17 Depth=1
	s_delay_alu instid0(SALU_CYCLE_1)
	s_mov_b32 s97, s24
	s_mov_b32 s98, s11
	s_and_not1_b32 vcc_lo, exec_lo, s10
	s_mov_b32 s69, -1
	s_cbranch_vccz .LBB21_230
.LBB21_228:                             ;   in Loop: Header=BB21_17 Depth=1
                                        ; implicit-def: $sgpr10
                                        ; implicit-def: $sgpr20
                                        ; implicit-def: $sgpr11
	s_branch .LBB21_278
.LBB21_229:                             ;   in Loop: Header=BB21_17 Depth=1
	s_mov_b64 s[38:39], 1
	s_and_not1_b32 vcc_lo, exec_lo, s10
	s_mov_b32 s69, -1
	s_cbranch_vccnz .LBB21_228
.LBB21_230:                             ;   in Loop: Header=BB21_17 Depth=1
	s_cmp_eq_u64 s[6:7], 1
	s_mov_b32 s24, -1
	s_cselect_b32 s5, -1, 0
	s_cmp_eq_u64 s[38:39], 1
	s_cselect_b32 s8, -1, 0
	s_delay_alu instid0(SALU_CYCLE_1) | instskip(NEXT) | instid1(SALU_CYCLE_1)
	s_and_b32 s19, s5, s8
	s_and_b32 vcc_lo, exec_lo, s19
	s_cbranch_vccz .LBB21_245
; %bb.231:                              ;   in Loop: Header=BB21_17 Depth=1
	ds_load_b64 v[2:3], v13 offset:5120
	s_waitcnt lgkmcnt(0)
	s_barrier
	buffer_gl0_inv
	v_readfirstlane_b32 s8, v2
	v_readfirstlane_b32 s9, v3
	s_and_saveexec_b32 s5, s3
	s_cbranch_execz .LBB21_233
; %bb.232:                              ;   in Loop: Header=BB21_17 Depth=1
	ds_store_b32 v35, v13
.LBB21_233:                             ;   in Loop: Header=BB21_17 Depth=1
	s_or_b32 exec_lo, exec_lo, s5
	s_delay_alu instid0(VALU_DEP_1)
	v_cmp_gt_i64_e64 s5, s[8:9], 0
	s_or_b32 s98, s98, s18
	s_or_b32 s97, s97, s18
	s_waitcnt lgkmcnt(0)
	s_barrier
	buffer_gl0_inv
	s_and_b32 vcc_lo, exec_lo, s5
	s_cbranch_vccnz .LBB21_248
; %bb.234:                              ;   in Loop: Header=BB21_17 Depth=1
	s_mov_b32 s24, s57
	s_delay_alu instid0(SALU_CYCLE_1)
	s_cmp_lg_u64 s[24:25], 0
	s_cbranch_scc0 .LBB21_284
; %bb.235:                              ;   in Loop: Header=BB21_17 Depth=1
	v_cvt_f32_u32_e32 v2, s27
	s_sub_u32 s11, 0, s27
	s_subb_u32 s20, 0, 0
	s_delay_alu instid0(VALU_DEP_1) | instskip(NEXT) | instid1(VALU_DEP_1)
	v_fmac_f32_e32 v2, 0x4f800000, v43
	v_rcp_f32_e32 v2, v2
	s_waitcnt_depctr 0xfff
	v_mul_f32_e32 v2, 0x5f7ffffc, v2
	s_delay_alu instid0(VALU_DEP_1) | instskip(NEXT) | instid1(VALU_DEP_1)
	v_mul_f32_e32 v3, 0x2f800000, v2
	v_trunc_f32_e32 v3, v3
	s_delay_alu instid0(VALU_DEP_1) | instskip(SKIP_1) | instid1(VALU_DEP_2)
	v_fmac_f32_e32 v2, 0xcf800000, v3
	v_cvt_u32_f32_e32 v3, v3
	v_cvt_u32_f32_e32 v2, v2
	s_delay_alu instid0(VALU_DEP_2) | instskip(NEXT) | instid1(VALU_DEP_2)
	v_readfirstlane_b32 s5, v3
	v_readfirstlane_b32 s10, v2
	s_delay_alu instid0(VALU_DEP_2) | instskip(NEXT) | instid1(VALU_DEP_1)
	s_mul_i32 s24, s11, s5
	s_mul_hi_u32 s69, s11, s10
	s_mul_i32 s68, s20, s10
	s_add_i32 s24, s69, s24
	s_mul_i32 s70, s11, s10
	s_add_i32 s24, s24, s68
	s_mul_hi_u32 s69, s10, s70
	s_mul_hi_u32 s71, s5, s70
	s_mul_i32 s68, s5, s70
	s_mul_hi_u32 s70, s10, s24
	s_mul_i32 s10, s10, s24
	s_mul_hi_u32 s72, s5, s24
	s_add_u32 s10, s69, s10
	s_addc_u32 s69, 0, s70
	s_add_u32 s10, s10, s68
	s_mul_i32 s24, s5, s24
	s_addc_u32 s10, s69, s71
	s_addc_u32 s68, s72, 0
	s_add_u32 s10, s10, s24
	s_addc_u32 s24, 0, s68
	v_add_co_u32 v2, s10, v2, s10
	s_delay_alu instid0(VALU_DEP_1) | instskip(SKIP_1) | instid1(VALU_DEP_1)
	s_cmp_lg_u32 s10, 0
	s_addc_u32 s5, s5, s24
	v_readfirstlane_b32 s10, v2
	s_mul_i32 s24, s11, s5
	s_delay_alu instid0(VALU_DEP_1)
	s_mul_hi_u32 s68, s11, s10
	s_mul_i32 s20, s20, s10
	s_add_i32 s24, s68, s24
	s_mul_i32 s11, s11, s10
	s_add_i32 s24, s24, s20
	s_mul_hi_u32 s68, s5, s11
	s_mul_i32 s69, s5, s11
	s_mul_hi_u32 s11, s10, s11
	s_mul_hi_u32 s70, s10, s24
	s_mul_i32 s10, s10, s24
	s_mul_hi_u32 s20, s5, s24
	s_add_u32 s10, s11, s10
	s_addc_u32 s11, 0, s70
	s_add_u32 s10, s10, s69
	s_mul_i32 s24, s5, s24
	s_addc_u32 s10, s11, s68
	s_addc_u32 s11, s20, 0
	s_add_u32 s10, s10, s24
	s_addc_u32 s11, 0, s11
	v_add_co_u32 v2, s10, v2, s10
	s_delay_alu instid0(VALU_DEP_1) | instskip(SKIP_2) | instid1(VALU_DEP_1)
	s_cmp_lg_u32 s10, 0
	s_addc_u32 s5, s5, s11
	s_ashr_i32 s10, s25, 31
	v_readfirstlane_b32 s20, v2
	s_add_u32 s68, s81, s10
	s_mov_b32 s11, s10
	s_addc_u32 s69, s25, s10
	s_delay_alu instid0(SALU_CYCLE_1) | instskip(NEXT) | instid1(SALU_CYCLE_1)
	s_xor_b64 s[68:69], s[68:69], s[10:11]
	s_mul_i32 s24, s68, s5
	s_mul_hi_u32 s70, s68, s20
	s_mul_hi_u32 s11, s68, s5
	;; [unrolled: 1-line block ×3, first 2 shown]
	s_mul_i32 s20, s69, s20
	s_add_u32 s24, s70, s24
	s_addc_u32 s11, 0, s11
	s_mul_hi_u32 s71, s69, s5
	s_add_u32 s20, s24, s20
	s_mul_i32 s5, s69, s5
	s_addc_u32 s11, s11, s72
	s_addc_u32 s20, s71, 0
	s_add_u32 s5, s11, s5
	s_addc_u32 s11, 0, s20
	s_mul_hi_u32 s20, s27, s5
	s_mul_i32 s5, s27, s5
	s_mul_i32 s11, s27, s11
	v_sub_co_u32 v2, s5, s68, s5
	s_add_i32 s20, s20, s11
	s_cmp_lg_u32 s5, 0
	s_delay_alu instid0(VALU_DEP_1) | instskip(SKIP_2) | instid1(VALU_DEP_1)
	v_sub_co_u32 v3, s5, v2, s27
	s_subb_u32 s11, s69, s20
	s_cmp_lg_u32 s5, 0
	v_cmp_le_u32_e32 vcc_lo, s27, v3
	v_sub_co_u32 v4, s5, v3, s27
	s_subb_u32 s20, s11, 0
	s_cmp_lg_u32 s5, 0
	v_cndmask_b32_e64 v5, 0, -1, vcc_lo
	s_subb_u32 s5, s20, 0
	s_cmp_eq_u32 s20, 0
	v_mov_b32_e32 v7, s5
	s_cselect_b32 vcc_lo, -1, 0
	s_cmp_eq_u32 s11, 0
	v_cndmask_b32_e32 v5, -1, v5, vcc_lo
	v_cmp_le_u32_e32 vcc_lo, s27, v2
	s_cselect_b32 s5, -1, 0
	v_cndmask_b32_e64 v6, 0, -1, vcc_lo
	s_delay_alu instid0(VALU_DEP_3) | instskip(NEXT) | instid1(VALU_DEP_2)
	v_cmp_ne_u32_e32 vcc_lo, 0, v5
	v_cndmask_b32_e64 v5, -1, v6, s5
	v_cndmask_b32_e32 v3, v3, v4, vcc_lo
	v_cndmask_b32_e32 v6, s20, v7, vcc_lo
	s_delay_alu instid0(VALU_DEP_3) | instskip(NEXT) | instid1(VALU_DEP_3)
	v_cmp_ne_u32_e32 vcc_lo, 0, v5
	v_cndmask_b32_e32 v2, v2, v3, vcc_lo
	s_delay_alu instid0(VALU_DEP_3) | instskip(NEXT) | instid1(VALU_DEP_2)
	v_cndmask_b32_e32 v4, s11, v6, vcc_lo
	v_xor_b32_e32 v2, s10, v2
	s_delay_alu instid0(VALU_DEP_2) | instskip(NEXT) | instid1(VALU_DEP_2)
	v_xor_b32_e32 v3, s10, v4
	v_sub_co_u32 v2, vcc_lo, v2, s10
	s_delay_alu instid0(VALU_DEP_2)
	v_subrev_co_ci_u32_e32 v3, vcc_lo, s10, v3, vcc_lo
	s_cbranch_execnz .LBB21_237
.LBB21_236:                             ;   in Loop: Header=BB21_17 Depth=1
	v_cvt_f32_u32_e32 v2, s27
	s_sub_i32 s5, 0, s27
	s_delay_alu instid0(VALU_DEP_1) | instskip(SKIP_2) | instid1(VALU_DEP_1)
	v_rcp_iflag_f32_e32 v2, v2
	s_waitcnt_depctr 0xfff
	v_mul_f32_e32 v2, 0x4f7ffffe, v2
	v_cvt_u32_f32_e32 v2, v2
	s_delay_alu instid0(VALU_DEP_1) | instskip(NEXT) | instid1(VALU_DEP_1)
	v_mul_lo_u32 v3, s5, v2
	v_mul_hi_u32 v3, v2, v3
	s_delay_alu instid0(VALU_DEP_1) | instskip(NEXT) | instid1(VALU_DEP_1)
	v_add_nc_u32_e32 v2, v2, v3
	v_mul_hi_u32 v2, s81, v2
	s_delay_alu instid0(VALU_DEP_1) | instskip(NEXT) | instid1(VALU_DEP_1)
	v_mul_lo_u32 v2, v2, s27
	v_sub_nc_u32_e32 v2, s81, v2
	s_delay_alu instid0(VALU_DEP_1) | instskip(SKIP_1) | instid1(VALU_DEP_2)
	v_subrev_nc_u32_e32 v3, s27, v2
	v_cmp_le_u32_e32 vcc_lo, s27, v2
	v_cndmask_b32_e32 v2, v2, v3, vcc_lo
	s_delay_alu instid0(VALU_DEP_1) | instskip(SKIP_1) | instid1(VALU_DEP_2)
	v_subrev_nc_u32_e32 v3, s27, v2
	v_cmp_le_u32_e32 vcc_lo, s27, v2
	v_cndmask_b32_e32 v12, v2, v3, vcc_lo
	s_delay_alu instid0(VALU_DEP_1)
	v_dual_mov_b32 v2, v12 :: v_dual_mov_b32 v3, v13
.LBB21_237:                             ;   in Loop: Header=BB21_17 Depth=1
	s_delay_alu instid0(VALU_DEP_1) | instskip(NEXT) | instid1(VALU_DEP_2)
	v_sub_co_u32 v2, vcc_lo, s81, v2
	v_sub_co_ci_u32_e32 v3, vcc_lo, s25, v3, vcc_lo
	s_mov_b32 s24, 0
	s_mov_b32 s5, exec_lo
                                        ; implicit-def: $vgpr25
	s_delay_alu instid0(VALU_DEP_1)
	v_cmpx_gt_i64_e64 v[2:3], v[0:1]
	s_cbranch_execz .LBB21_250
; %bb.238:                              ;   in Loop: Header=BB21_17 Depth=1
	v_dual_mov_b32 v4, v10 :: v_dual_mov_b32 v5, v11
	v_dual_mov_b32 v7, v1 :: v_dual_mov_b32 v6, v0
	s_mov_b32 s10, 0
                                        ; implicit-def: $sgpr11
	s_set_inst_prefetch_distance 0x1
	s_branch .LBB21_240
	.p2align	6
.LBB21_239:                             ;   in Loop: Header=BB21_240 Depth=2
	s_or_b32 exec_lo, exec_lo, s20
	s_waitcnt vmcnt(0) lgkmcnt(0)
	s_barrier
	buffer_gl0_inv
	ds_load_b64 v[24:25], v13 offset:3072
	v_add_co_u32 v6, vcc_lo, v6, s27
	v_add_co_ci_u32_e32 v7, vcc_lo, 0, v7, vcc_lo
	s_waitcnt lgkmcnt(0)
	s_barrier
	buffer_gl0_inv
	v_cmp_ge_i64_e32 vcc_lo, v[6:7], v[2:3]
	v_readfirstlane_b32 s20, v24
	s_delay_alu instid0(VALU_DEP_1) | instskip(SKIP_1) | instid1(SALU_CYCLE_1)
	s_cmp_lg_u32 s20, 0
	s_cselect_b32 s20, -1, 0
	s_or_b32 s24, s20, vcc_lo
	v_add_co_u32 v4, vcc_lo, v4, s58
	s_and_b32 s24, exec_lo, s24
	v_add_co_ci_u32_e32 v5, vcc_lo, s59, v5, vcc_lo
	s_or_b32 s10, s24, s10
	s_and_not1_b32 s11, s11, exec_lo
	s_and_b32 s20, s20, exec_lo
	s_delay_alu instid0(SALU_CYCLE_1)
	s_or_b32 s11, s11, s20
	s_and_not1_b32 exec_lo, exec_lo, s10
	s_cbranch_execz .LBB21_249
.LBB21_240:                             ;   Parent Loop BB21_17 Depth=1
                                        ; =>  This Inner Loop Header: Depth=2
	s_delay_alu instid0(VALU_DEP_1)
	v_cmp_gt_i64_e32 vcc_lo, s[36:37], v[6:7]
	v_mov_b32_e32 v24, 0
	s_and_saveexec_b32 s20, vcc_lo
	s_cbranch_execz .LBB21_242
; %bb.241:                              ;   in Loop: Header=BB21_240 Depth=2
	global_load_b32 v24, v[4:5], off
.LBB21_242:                             ;   in Loop: Header=BB21_240 Depth=2
	s_or_b32 exec_lo, exec_lo, s20
	s_and_saveexec_b32 s20, vcc_lo
	s_cbranch_execz .LBB21_239
; %bb.243:                              ;   in Loop: Header=BB21_240 Depth=2
	s_waitcnt vmcnt(0)
	v_xor_b32_e32 v8, 0x80000000, v24
	s_delay_alu instid0(VALU_DEP_1) | instskip(NEXT) | instid1(VALU_DEP_1)
	v_and_b32_e32 v8, s97, v8
	v_cmp_eq_u32_e32 vcc_lo, s98, v8
	s_and_b32 exec_lo, exec_lo, vcc_lo
	s_cbranch_execz .LBB21_239
; %bb.244:                              ;   in Loop: Header=BB21_240 Depth=2
	ds_store_b64 v13, v[23:24] offset:3072
	s_branch .LBB21_239
.LBB21_245:                             ;   in Loop: Header=BB21_17 Depth=1
                                        ; implicit-def: $sgpr10
                                        ; implicit-def: $sgpr20
                                        ; implicit-def: $sgpr11
	s_branch .LBB21_264
.LBB21_246:                             ;   in Loop: Header=BB21_17 Depth=1
                                        ; implicit-def: $vgpr2_vgpr3
	s_branch .LBB21_189
.LBB21_247:                             ;   in Loop: Header=BB21_17 Depth=1
                                        ; implicit-def: $vgpr2_vgpr3
	s_branch .LBB21_206
.LBB21_248:                             ;   in Loop: Header=BB21_17 Depth=1
	s_mov_b32 s10, -1
	s_mov_b32 s24, 0
                                        ; implicit-def: $sgpr11
                                        ; implicit-def: $vgpr25
	s_mov_b32 s20, s10
	s_cbranch_execnz .LBB21_251
	s_branch .LBB21_264
.LBB21_249:                             ;   in Loop: Header=BB21_17 Depth=1
	s_set_inst_prefetch_distance 0x2
	s_or_b32 exec_lo, exec_lo, s10
	s_delay_alu instid0(SALU_CYCLE_1)
	s_and_b32 s24, s11, exec_lo
.LBB21_250:                             ;   in Loop: Header=BB21_17 Depth=1
	s_or_b32 exec_lo, exec_lo, s5
	s_mov_b32 s11, -1
	s_mov_b32 s10, 0
	s_delay_alu instid0(SALU_CYCLE_1)
	s_mov_b32 s20, s10
	s_branch .LBB21_264
.LBB21_251:                             ;   in Loop: Header=BB21_17 Depth=1
	s_add_u32 s20, s79, s8
	s_addc_u32 s11, s80, s9
	s_mov_b32 s10, s57
	s_delay_alu instid0(SALU_CYCLE_1)
	s_cmp_lg_u64 s[10:11], 0
	s_cbranch_scc0 .LBB21_285
; %bb.252:                              ;   in Loop: Header=BB21_17 Depth=1
	v_cvt_f32_u32_e32 v2, s27
	s_sub_u32 s24, 0, s27
	s_subb_u32 s68, 0, 0
	s_delay_alu instid0(VALU_DEP_1) | instskip(NEXT) | instid1(VALU_DEP_1)
	v_fmac_f32_e32 v2, 0x4f800000, v43
	v_rcp_f32_e32 v2, v2
	s_waitcnt_depctr 0xfff
	v_mul_f32_e32 v2, 0x5f7ffffc, v2
	s_delay_alu instid0(VALU_DEP_1) | instskip(NEXT) | instid1(VALU_DEP_1)
	v_mul_f32_e32 v3, 0x2f800000, v2
	v_trunc_f32_e32 v3, v3
	s_delay_alu instid0(VALU_DEP_1) | instskip(SKIP_1) | instid1(VALU_DEP_2)
	v_fmac_f32_e32 v2, 0xcf800000, v3
	v_cvt_u32_f32_e32 v3, v3
	v_cvt_u32_f32_e32 v2, v2
	s_delay_alu instid0(VALU_DEP_2) | instskip(NEXT) | instid1(VALU_DEP_2)
	v_readfirstlane_b32 s5, v3
	v_readfirstlane_b32 s10, v2
	s_delay_alu instid0(VALU_DEP_2) | instskip(NEXT) | instid1(VALU_DEP_1)
	s_mul_i32 s69, s24, s5
	s_mul_hi_u32 s71, s24, s10
	s_mul_i32 s70, s68, s10
	s_add_i32 s69, s71, s69
	s_mul_i32 s72, s24, s10
	s_add_i32 s69, s69, s70
	s_mul_hi_u32 s71, s10, s72
	s_mul_hi_u32 s73, s5, s72
	s_mul_i32 s70, s5, s72
	s_mul_hi_u32 s72, s10, s69
	s_mul_i32 s10, s10, s69
	s_mul_hi_u32 s74, s5, s69
	s_add_u32 s10, s71, s10
	s_addc_u32 s71, 0, s72
	s_add_u32 s10, s10, s70
	s_mul_i32 s69, s5, s69
	s_addc_u32 s10, s71, s73
	s_addc_u32 s70, s74, 0
	s_add_u32 s10, s10, s69
	s_addc_u32 s69, 0, s70
	v_add_co_u32 v2, s10, v2, s10
	s_delay_alu instid0(VALU_DEP_1) | instskip(SKIP_1) | instid1(VALU_DEP_1)
	s_cmp_lg_u32 s10, 0
	s_addc_u32 s5, s5, s69
	v_readfirstlane_b32 s10, v2
	s_mul_i32 s69, s24, s5
	s_delay_alu instid0(VALU_DEP_1)
	s_mul_hi_u32 s70, s24, s10
	s_mul_i32 s68, s68, s10
	s_add_i32 s69, s70, s69
	s_mul_i32 s24, s24, s10
	s_add_i32 s69, s69, s68
	s_mul_hi_u32 s70, s5, s24
	s_mul_i32 s71, s5, s24
	s_mul_hi_u32 s24, s10, s24
	s_mul_hi_u32 s72, s10, s69
	s_mul_i32 s10, s10, s69
	s_mul_hi_u32 s68, s5, s69
	s_add_u32 s10, s24, s10
	s_addc_u32 s24, 0, s72
	s_add_u32 s10, s10, s71
	s_mul_i32 s69, s5, s69
	s_addc_u32 s10, s24, s70
	s_addc_u32 s24, s68, 0
	s_add_u32 s10, s10, s69
	s_addc_u32 s24, 0, s24
	v_add_co_u32 v2, s10, v2, s10
	s_delay_alu instid0(VALU_DEP_1) | instskip(SKIP_2) | instid1(VALU_DEP_1)
	s_cmp_lg_u32 s10, 0
	s_addc_u32 s5, s5, s24
	s_ashr_i32 s68, s11, 31
	v_readfirstlane_b32 s10, v2
	s_add_u32 s70, s20, s68
	s_mov_b32 s69, s68
	s_addc_u32 s71, s11, s68
	s_delay_alu instid0(SALU_CYCLE_1) | instskip(NEXT) | instid1(SALU_CYCLE_1)
	s_xor_b64 s[70:71], s[70:71], s[68:69]
	s_mul_i32 s69, s70, s5
	s_mul_hi_u32 s72, s70, s10
	s_mul_hi_u32 s24, s70, s5
	;; [unrolled: 1-line block ×3, first 2 shown]
	s_mul_i32 s10, s71, s10
	s_add_u32 s69, s72, s69
	s_addc_u32 s24, 0, s24
	s_mul_hi_u32 s73, s71, s5
	s_add_u32 s10, s69, s10
	s_mul_i32 s5, s71, s5
	s_addc_u32 s10, s24, s74
	s_addc_u32 s24, s73, 0
	s_add_u32 s5, s10, s5
	s_addc_u32 s10, 0, s24
	s_mul_hi_u32 s24, s27, s5
	s_mul_i32 s5, s27, s5
	s_mul_i32 s10, s27, s10
	v_sub_co_u32 v2, s5, s70, s5
	s_add_i32 s24, s24, s10
	s_cmp_lg_u32 s5, 0
	s_delay_alu instid0(VALU_DEP_1) | instskip(SKIP_2) | instid1(VALU_DEP_1)
	v_sub_co_u32 v3, s5, v2, s27
	s_subb_u32 s10, s71, s24
	s_cmp_lg_u32 s5, 0
	v_cmp_le_u32_e32 vcc_lo, s27, v3
	v_sub_co_u32 v4, s5, v3, s27
	s_subb_u32 s24, s10, 0
	s_cmp_lg_u32 s5, 0
	v_cndmask_b32_e64 v5, 0, -1, vcc_lo
	s_subb_u32 s5, s24, 0
	s_cmp_eq_u32 s24, 0
	v_mov_b32_e32 v7, s5
	s_cselect_b32 vcc_lo, -1, 0
	s_cmp_eq_u32 s10, 0
	v_cndmask_b32_e32 v5, -1, v5, vcc_lo
	v_cmp_le_u32_e32 vcc_lo, s27, v2
	s_cselect_b32 s5, -1, 0
	v_cndmask_b32_e64 v6, 0, -1, vcc_lo
	s_delay_alu instid0(VALU_DEP_3) | instskip(NEXT) | instid1(VALU_DEP_2)
	v_cmp_ne_u32_e32 vcc_lo, 0, v5
	v_cndmask_b32_e64 v5, -1, v6, s5
	v_cndmask_b32_e32 v3, v3, v4, vcc_lo
	v_cndmask_b32_e32 v6, s24, v7, vcc_lo
	s_delay_alu instid0(VALU_DEP_3) | instskip(NEXT) | instid1(VALU_DEP_3)
	v_cmp_ne_u32_e32 vcc_lo, 0, v5
	v_cndmask_b32_e32 v2, v2, v3, vcc_lo
	s_delay_alu instid0(VALU_DEP_3) | instskip(NEXT) | instid1(VALU_DEP_2)
	v_cndmask_b32_e32 v4, s10, v6, vcc_lo
	v_xor_b32_e32 v2, s68, v2
	s_delay_alu instid0(VALU_DEP_2) | instskip(NEXT) | instid1(VALU_DEP_2)
	v_xor_b32_e32 v3, s68, v4
	v_sub_co_u32 v2, vcc_lo, v2, s68
	s_delay_alu instid0(VALU_DEP_2)
	v_subrev_co_ci_u32_e32 v3, vcc_lo, s68, v3, vcc_lo
	s_cbranch_execnz .LBB21_254
.LBB21_253:                             ;   in Loop: Header=BB21_17 Depth=1
	v_cvt_f32_u32_e32 v2, s27
	s_sub_i32 s5, 0, s27
	s_delay_alu instid0(VALU_DEP_1) | instskip(SKIP_2) | instid1(VALU_DEP_1)
	v_rcp_iflag_f32_e32 v2, v2
	s_waitcnt_depctr 0xfff
	v_mul_f32_e32 v2, 0x4f7ffffe, v2
	v_cvt_u32_f32_e32 v2, v2
	s_delay_alu instid0(VALU_DEP_1) | instskip(NEXT) | instid1(VALU_DEP_1)
	v_mul_lo_u32 v3, s5, v2
	v_mul_hi_u32 v3, v2, v3
	s_delay_alu instid0(VALU_DEP_1) | instskip(NEXT) | instid1(VALU_DEP_1)
	v_add_nc_u32_e32 v2, v2, v3
	v_mul_hi_u32 v2, s20, v2
	s_delay_alu instid0(VALU_DEP_1) | instskip(NEXT) | instid1(VALU_DEP_1)
	v_mul_lo_u32 v2, v2, s27
	v_sub_nc_u32_e32 v2, s20, v2
	s_delay_alu instid0(VALU_DEP_1) | instskip(SKIP_1) | instid1(VALU_DEP_2)
	v_subrev_nc_u32_e32 v3, s27, v2
	v_cmp_le_u32_e32 vcc_lo, s27, v2
	v_cndmask_b32_e32 v2, v2, v3, vcc_lo
	s_delay_alu instid0(VALU_DEP_1) | instskip(SKIP_1) | instid1(VALU_DEP_2)
	v_subrev_nc_u32_e32 v3, s27, v2
	v_cmp_le_u32_e32 vcc_lo, s27, v2
	v_cndmask_b32_e32 v12, v2, v3, vcc_lo
	s_delay_alu instid0(VALU_DEP_1)
	v_dual_mov_b32 v2, v12 :: v_dual_mov_b32 v3, v13
.LBB21_254:                             ;   in Loop: Header=BB21_17 Depth=1
	s_delay_alu instid0(VALU_DEP_1) | instskip(NEXT) | instid1(VALU_DEP_2)
	v_sub_co_u32 v2, vcc_lo, s20, v2
	v_sub_co_ci_u32_e32 v3, vcc_lo, s11, v3, vcc_lo
	s_mov_b32 s24, 0
	s_mov_b32 s5, exec_lo
                                        ; implicit-def: $vgpr25
	s_delay_alu instid0(VALU_DEP_1)
	v_cmpx_gt_i64_e64 v[2:3], v[0:1]
	s_cbranch_execz .LBB21_263
; %bb.255:                              ;   in Loop: Header=BB21_17 Depth=1
	v_dual_mov_b32 v6, v14 :: v_dual_mov_b32 v5, v1
	v_mov_b32_e32 v4, v0
	s_mov_b32 s10, 0
                                        ; implicit-def: $sgpr11
	s_set_inst_prefetch_distance 0x1
	s_branch .LBB21_257
	.p2align	6
.LBB21_256:                             ;   in Loop: Header=BB21_257 Depth=2
	s_or_b32 exec_lo, exec_lo, s20
	s_waitcnt lgkmcnt(0)
	s_barrier
	buffer_gl0_inv
	ds_load_b64 v[24:25], v13 offset:3072
	v_add_co_u32 v4, vcc_lo, v4, s27
	v_add_co_ci_u32_e32 v5, vcc_lo, 0, v5, vcc_lo
	v_add_nc_u32_e32 v6, s87, v6
	s_waitcnt lgkmcnt(0)
	s_barrier
	s_delay_alu instid0(VALU_DEP_2) | instskip(SKIP_2) | instid1(VALU_DEP_1)
	v_cmp_ge_i64_e32 vcc_lo, v[4:5], v[2:3]
	buffer_gl0_inv
	v_readfirstlane_b32 s20, v24
	s_cmp_lg_u32 s20, 0
	s_cselect_b32 s20, -1, 0
	s_delay_alu instid0(SALU_CYCLE_1) | instskip(NEXT) | instid1(SALU_CYCLE_1)
	s_or_b32 s24, s20, vcc_lo
	s_and_b32 s24, exec_lo, s24
	s_delay_alu instid0(SALU_CYCLE_1) | instskip(SKIP_2) | instid1(SALU_CYCLE_1)
	s_or_b32 s10, s24, s10
	s_and_not1_b32 s11, s11, exec_lo
	s_and_b32 s20, s20, exec_lo
	s_or_b32 s11, s11, s20
	s_and_not1_b32 exec_lo, exec_lo, s10
	s_cbranch_execz .LBB21_262
.LBB21_257:                             ;   Parent Loop BB21_17 Depth=1
                                        ; =>  This Inner Loop Header: Depth=2
	s_delay_alu instid0(VALU_DEP_1)
	v_cmp_gt_i64_e32 vcc_lo, s[8:9], v[4:5]
	v_mov_b32_e32 v24, 0
	s_and_saveexec_b32 s20, vcc_lo
	s_cbranch_execz .LBB21_259
; %bb.258:                              ;   in Loop: Header=BB21_257 Depth=2
	ds_load_b32 v24, v6
.LBB21_259:                             ;   in Loop: Header=BB21_257 Depth=2
	s_or_b32 exec_lo, exec_lo, s20
	s_and_saveexec_b32 s20, vcc_lo
	s_cbranch_execz .LBB21_256
; %bb.260:                              ;   in Loop: Header=BB21_257 Depth=2
	s_waitcnt lgkmcnt(0)
	v_xor_b32_e32 v7, 0x80000000, v24
	s_delay_alu instid0(VALU_DEP_1) | instskip(NEXT) | instid1(VALU_DEP_1)
	v_and_b32_e32 v7, s97, v7
	v_cmp_eq_u32_e32 vcc_lo, s98, v7
	s_and_b32 exec_lo, exec_lo, vcc_lo
	s_cbranch_execz .LBB21_256
; %bb.261:                              ;   in Loop: Header=BB21_257 Depth=2
	ds_store_b64 v13, v[23:24] offset:3072
	s_branch .LBB21_256
.LBB21_262:                             ;   in Loop: Header=BB21_17 Depth=1
	s_set_inst_prefetch_distance 0x2
	s_or_b32 exec_lo, exec_lo, s10
	s_delay_alu instid0(SALU_CYCLE_1)
	s_and_b32 s24, s11, exec_lo
.LBB21_263:                             ;   in Loop: Header=BB21_17 Depth=1
	s_or_b32 exec_lo, exec_lo, s5
	s_mov_b32 s20, -1
	s_mov_b32 s10, 0
	s_mov_b32 s11, 0
.LBB21_264:                             ;   in Loop: Header=BB21_17 Depth=1
	s_mov_b32 s69, 0
                                        ; implicit-def: $sgpr5
                                        ; implicit-def: $sgpr8_sgpr9
	s_and_saveexec_b32 s68, s24
	s_cbranch_execz .LBB21_277
; %bb.265:                              ;   in Loop: Header=BB21_17 Depth=1
	s_xor_b32 s5, s19, -1
	s_mov_b64 s[8:9], 1
	s_and_not1_b32 vcc_lo, exec_lo, s5
	s_mov_b32 s5, 1
	s_cbranch_vccnz .LBB21_276
; %bb.266:                              ;   in Loop: Header=BB21_17 Depth=1
	v_cmp_gt_i64_e64 s5, s[38:39], s[6:7]
	s_delay_alu instid0(VALU_DEP_1)
	s_and_b32 vcc_lo, exec_lo, s5
	s_cbranch_vccnz .LBB21_272
; %bb.267:                              ;   in Loop: Header=BB21_17 Depth=1
	ds_load_b64 v[2:3], v13 offset:5120
	s_waitcnt lgkmcnt(0)
	v_cmp_ne_u64_e32 vcc_lo, 0, v[2:3]
	s_cbranch_vccnz .LBB21_271
; %bb.268:                              ;   in Loop: Header=BB21_17 Depth=1
	s_and_saveexec_b32 s5, s2
	s_cbranch_execz .LBB21_270
; %bb.269:                              ;   in Loop: Header=BB21_17 Depth=1
	v_dual_mov_b32 v2, s6 :: v_dual_mov_b32 v3, s7
	ds_store_b64 v13, v[2:3] offset:5128
.LBB21_270:                             ;   in Loop: Header=BB21_17 Depth=1
	s_or_b32 exec_lo, exec_lo, s5
	s_waitcnt lgkmcnt(0)
	s_barrier
	buffer_gl0_inv
.LBB21_271:                             ;   in Loop: Header=BB21_17 Depth=1
	s_or_b32 s19, s98, s18
	s_or_b32 s18, s97, s18
	s_mov_b32 s8, 0
	s_mov_b32 s5, 8
	s_branch .LBB21_273
.LBB21_272:                             ;   in Loop: Header=BB21_17 Depth=1
	s_mov_b32 s8, -1
                                        ; implicit-def: $sgpr5
                                        ; implicit-def: $sgpr19
                                        ; implicit-def: $sgpr18
.LBB21_273:                             ;   in Loop: Header=BB21_17 Depth=1
	s_delay_alu instid0(SALU_CYCLE_1)
	s_and_not1_b32 vcc_lo, exec_lo, s8
	s_cbranch_vccnz .LBB21_275
; %bb.274:                              ;   in Loop: Header=BB21_17 Depth=1
	s_sub_u32 s38, s38, s6
	s_subb_u32 s39, s39, s7
	s_mov_b32 s5, 8
	s_mov_b32 s19, s98
	;; [unrolled: 1-line block ×3, first 2 shown]
.LBB21_275:                             ;   in Loop: Header=BB21_17 Depth=1
	s_mov_b64 s[8:9], s[38:39]
	s_mov_b32 s98, s19
	s_mov_b32 s97, s18
.LBB21_276:                             ;   in Loop: Header=BB21_17 Depth=1
	s_mov_b32 s69, exec_lo
.LBB21_277:                             ;   in Loop: Header=BB21_17 Depth=1
	s_or_b32 exec_lo, exec_lo, s68
	s_mov_b64 s[38:39], s[8:9]
.LBB21_278:                             ;   in Loop: Header=BB21_17 Depth=1
	s_and_not1_b32 s6, s12, exec_lo
	s_and_b32 s7, s10, exec_lo
	s_and_not1_b32 s8, s13, exec_lo
	s_or_b32 s12, s6, s7
	s_and_not1_b32 s6, s23, exec_lo
	s_and_b32 s7, s20, exec_lo
	s_and_b32 s9, s11, exec_lo
	s_or_b32 s23, s6, s7
	s_or_b32 s13, s8, s9
	s_and_b32 s10, s69, exec_lo
.LBB21_279:                             ;   in Loop: Header=BB21_17 Depth=1
	s_or_b32 exec_lo, exec_lo, s56
.LBB21_280:                             ;   in Loop: Header=BB21_17 Depth=1
	s_delay_alu instid0(SALU_CYCLE_1)
	s_and_not1_b32 s6, s15, exec_lo
	s_and_b32 s7, s12, exec_lo
	s_and_not1_b32 s8, s14, exec_lo
	s_or_b32 s15, s6, s7
	s_and_not1_b32 s6, s21, exec_lo
	s_and_b32 s7, s23, exec_lo
	s_and_b32 s9, s13, exec_lo
	s_or_b32 s21, s6, s7
	s_or_b32 s14, s8, s9
	s_and_b32 s12, s10, exec_lo
.LBB21_281:                             ;   in Loop: Header=BB21_17 Depth=1
	s_or_b32 exec_lo, exec_lo, s22
	s_and_saveexec_b32 s6, s12
	s_delay_alu instid0(SALU_CYCLE_1)
	s_xor_b32 s6, exec_lo, s6
	s_cbranch_execz .LBB21_15
.LBB21_282:                             ;   in Loop: Header=BB21_17 Depth=1
	s_and_b32 s5, s5, -9
	s_delay_alu instid0(SALU_CYCLE_1)
	s_cmp_eq_u32 s5, 0
	s_cbranch_scc1 .LBB21_13
; %bb.283:                              ;   in Loop: Header=BB21_17 Depth=1
	s_mov_b32 s5, -1
	s_mov_b32 s7, -1
                                        ; implicit-def: $sgpr97
                                        ; implicit-def: $sgpr91
                                        ; implicit-def: $sgpr93
	s_branch .LBB21_14
.LBB21_284:                             ;   in Loop: Header=BB21_17 Depth=1
                                        ; implicit-def: $vgpr2_vgpr3
	s_branch .LBB21_236
.LBB21_285:                             ;   in Loop: Header=BB21_17 Depth=1
                                        ; implicit-def: $vgpr2_vgpr3
	s_branch .LBB21_253
.LBB21_286:
	s_or_b32 exec_lo, exec_lo, s88
	s_xor_b32 s5, s92, -1
	s_xor_b32 s1, s89, -1
	;; [unrolled: 1-line block ×3, first 2 shown]
	s_mov_b32 s3, 0
	s_and_saveexec_b32 s6, s1
	s_delay_alu instid0(SALU_CYCLE_1)
	s_xor_b32 s1, exec_lo, s6
	s_cbranch_execz .LBB21_312
; %bb.287:
	s_and_saveexec_b32 s3, s5
	s_delay_alu instid0(SALU_CYCLE_1)
	s_xor_b32 s3, exec_lo, s3
	s_cbranch_execz .LBB21_310
; %bb.288:
	s_and_saveexec_b32 s5, s4
	s_delay_alu instid0(SALU_CYCLE_1)
	s_xor_b32 s4, exec_lo, s5
; %bb.289:
	v_xor_b32_e32 v25, 0x80000000, v2
; %bb.290:
	s_or_b32 exec_lo, exec_lo, s4
	s_and_saveexec_b32 s4, s2
	s_cbranch_execz .LBB21_292
; %bb.291:
	v_dual_mov_b32 v2, 0 :: v_dual_mov_b32 v3, s36
	ds_store_b32 v2, v3 offset:5140
.LBB21_292:
	s_or_b32 exec_lo, exec_lo, s4
	s_waitcnt lgkmcnt(0)
	s_barrier
	buffer_gl0_inv
	s_and_saveexec_b32 s4, s0
	s_cbranch_execz .LBB21_307
; %bb.293:
	v_mov_b32_e32 v2, 0
	s_mov_b32 s5, 0
                                        ; implicit-def: $sgpr6
                                        ; implicit-def: $sgpr7
                                        ; implicit-def: $sgpr8
	ds_load_b32 v4, v2 offset:5140
	s_waitcnt lgkmcnt(0)
	v_ashrrev_i32_e32 v5, 31, v4
	s_set_inst_prefetch_distance 0x1
	s_branch .LBB21_296
	.p2align	6
.LBB21_294:                             ;   in Loop: Header=BB21_296 Depth=1
	s_or_b32 exec_lo, exec_lo, s11
	s_delay_alu instid0(SALU_CYCLE_1)
	s_and_not1_b32 s8, s8, exec_lo
	s_and_b32 s10, s10, exec_lo
	s_and_not1_b32 s7, s7, exec_lo
	s_and_b32 s0, s0, exec_lo
	s_or_b32 s8, s8, s10
	s_or_b32 s7, s7, s0
.LBB21_295:                             ;   in Loop: Header=BB21_296 Depth=1
	s_or_b32 exec_lo, exec_lo, s9
	s_delay_alu instid0(SALU_CYCLE_1) | instskip(NEXT) | instid1(SALU_CYCLE_1)
	s_and_b32 s0, exec_lo, s7
	s_or_b32 s5, s0, s5
	s_and_not1_b32 s0, s6, exec_lo
	s_and_b32 s6, s8, exec_lo
	s_delay_alu instid0(SALU_CYCLE_1)
	s_or_b32 s6, s0, s6
	s_and_not1_b32 exec_lo, exec_lo, s5
	s_cbranch_execz .LBB21_302
.LBB21_296:                             ; =>This Inner Loop Header: Depth=1
	v_dual_mov_b32 v3, v1 :: v_dual_mov_b32 v2, v0
	s_or_b32 s8, s8, exec_lo
	s_or_b32 s7, s7, exec_lo
	s_mov_b32 s9, exec_lo
                                        ; implicit-def: $vgpr0_vgpr1
	s_delay_alu instid0(VALU_DEP_1)
	v_cmpx_lt_i64_e64 v[2:3], v[4:5]
	s_cbranch_execz .LBB21_295
; %bb.297:                              ;   in Loop: Header=BB21_296 Depth=1
	global_load_b32 v0, v[10:11], off
	s_mov_b32 s0, -1
	s_mov_b32 s10, 0
	s_waitcnt vmcnt(0)
	v_cmp_ne_u32_e32 vcc_lo, v0, v25
                                        ; implicit-def: $vgpr0_vgpr1
	s_and_saveexec_b32 s11, vcc_lo
	s_cbranch_execz .LBB21_294
; %bb.298:                              ;   in Loop: Header=BB21_296 Depth=1
	v_add_co_u32 v0, vcc_lo, v2, s27
	v_add_co_ci_u32_e32 v1, vcc_lo, 0, v3, vcc_lo
	v_add_co_u32 v10, s0, v10, s58
	s_delay_alu instid0(VALU_DEP_1) | instskip(NEXT) | instid1(VALU_DEP_3)
	v_add_co_ci_u32_e64 v11, s0, s59, v11, s0
	v_cmp_le_i64_e32 vcc_lo, s[36:37], v[0:1]
	s_mov_b32 s10, exec_lo
	s_or_not1_b32 s0, vcc_lo, exec_lo
	s_branch .LBB21_294
.LBB21_299:
                                        ; implicit-def: $sgpr16_sgpr17
	s_branch .LBB21_3
.LBB21_300:
                                        ; implicit-def: $sgpr48_sgpr49
	s_branch .LBB21_6
.LBB21_301:
                                        ; implicit-def: $sgpr50_sgpr51
	s_load_b64 s[18:19], s[0:1], 0x0
	s_branch .LBB21_9
.LBB21_302:
	s_set_inst_prefetch_distance 0x2
	s_or_b32 exec_lo, exec_lo, s5
	s_xor_b32 s0, s6, -1
	s_delay_alu instid0(SALU_CYCLE_1) | instskip(NEXT) | instid1(SALU_CYCLE_1)
	s_and_saveexec_b32 s5, s0
	s_xor_b32 s5, exec_lo, s5
	s_cbranch_execz .LBB21_307
; %bb.303:
	s_mov_b32 s5, exec_lo
	s_brev_b32 s0, -2
.LBB21_304:                             ; =>This Inner Loop Header: Depth=1
	s_ctz_i32_b32 s6, s5
	s_delay_alu instid0(SALU_CYCLE_1) | instskip(SKIP_1) | instid1(SALU_CYCLE_1)
	v_readlane_b32 s7, v2, s6
	s_lshl_b32 s6, 1, s6
	s_and_not1_b32 s5, s5, s6
	s_delay_alu instid0(VALU_DEP_1)
	s_min_i32 s0, s0, s7
	s_cmp_lg_u32 s5, 0
	s_cbranch_scc1 .LBB21_304
; %bb.305:
	v_mbcnt_lo_u32_b32 v0, exec_lo, 0
	s_mov_b32 s5, exec_lo
	s_delay_alu instid0(VALU_DEP_1)
	v_cmpx_eq_u32_e32 0, v0
	s_xor_b32 s5, exec_lo, s5
	s_cbranch_execz .LBB21_307
; %bb.306:
	v_dual_mov_b32 v0, 0 :: v_dual_mov_b32 v1, s0
	ds_min_i32 v0, v1 offset:5140
.LBB21_307:
	s_or_b32 exec_lo, exec_lo, s4
	s_waitcnt lgkmcnt(0)
	s_barrier
	buffer_gl0_inv
	s_and_saveexec_b32 s0, s2
	s_cbranch_execz .LBB21_309
; %bb.308:
	s_mul_i32 s2, s48, s35
	s_mul_hi_u32 s4, s48, s34
	s_mul_i32 s5, s48, s34
	s_add_i32 s2, s4, s2
	s_mul_i32 s4, s49, s34
	s_mul_hi_u32 s7, s48, s44
	s_add_i32 s2, s2, s4
	s_sub_u32 s4, s26, s5
	s_subb_u32 s2, 0, s2
	s_mul_i32 s5, s4, s47
	s_mul_hi_u32 s6, s4, s46
	s_mul_i32 s2, s2, s46
	s_add_i32 s5, s6, s5
	s_mul_i32 s6, s48, s45
	v_mov_b32_e32 v2, 0
	s_add_i32 s5, s5, s2
	s_add_i32 s2, s7, s6
	s_mul_i32 s6, s49, s44
	s_mul_hi_u32 s8, s50, s40
	s_add_i32 s7, s2, s6
	s_mul_i32 s2, s50, s41
	ds_load_b32 v0, v2 offset:5140
	s_add_i32 s2, s8, s2
	s_mul_i32 s8, s51, s40
	s_mul_i32 s9, s50, s40
	s_add_i32 s2, s2, s8
	s_sub_u32 s8, s26, s9
	s_subb_u32 s2, 0, s2
	s_mul_i32 s9, s8, s31
	s_mul_hi_u32 s10, s8, s30
	s_mul_i32 s2, s2, s30
	s_add_i32 s9, s10, s9
	s_mul_i32 s10, s50, s29
	s_mul_hi_u32 s11, s50, s28
	s_mul_i32 s6, s48, s44
	s_add_i32 s9, s9, s2
	s_add_i32 s2, s11, s10
	s_mul_i32 s10, s51, s28
	s_lshl_b64 s[6:7], s[6:7], 2
	s_mul_i32 s4, s4, s46
	s_add_i32 s11, s2, s10
	s_add_u32 s2, s54, s6
	s_addc_u32 s6, s55, s7
	s_lshl_b64 s[4:5], s[4:5], 2
	s_mul_i32 s10, s50, s28
	s_add_u32 s4, s2, s4
	s_addc_u32 s5, s6, s5
	s_lshl_b64 s[6:7], s[10:11], 3
	s_mul_i32 s8, s8, s30
	s_add_u32 s2, s52, s6
	s_addc_u32 s10, s53, s7
	s_lshl_b64 s[6:7], s[8:9], 3
	s_waitcnt lgkmcnt(0)
	v_ashrrev_i32_e32 v1, 31, v0
	s_add_u32 s6, s2, s6
	s_addc_u32 s7, s10, s7
	s_clause 0x1
	global_store_b64 v2, v[0:1], s[6:7]
	global_store_b32 v2, v25, s[4:5]
.LBB21_309:
	s_or_b32 exec_lo, exec_lo, s0
.LBB21_310:
	s_or_saveexec_b32 s0, s3
	s_mov_b32 s2, 0
	s_xor_b32 exec_lo, exec_lo, s0
	s_cbranch_execnz .LBB21_318
.LBB21_311:
	s_or_b32 exec_lo, exec_lo, s0
	s_delay_alu instid0(SALU_CYCLE_1)
	s_and_b32 s3, s2, exec_lo
.LBB21_312:
	s_and_not1_saveexec_b32 s0, s1
	s_cbranch_execnz .LBB21_316
; %bb.313:
	s_or_b32 exec_lo, exec_lo, s0
	s_and_saveexec_b32 s0, s3
.LBB21_314:
	; divergent unreachable
.LBB21_315:
	s_nop 0
	s_sendmsg sendmsg(MSG_DEALLOC_VGPRS)
	s_endpgm
.LBB21_316:
	s_cbranch_execnz .LBB21_320
; %bb.317:
	s_or_b32 s3, s3, exec_lo
	s_or_b32 exec_lo, exec_lo, s0
	s_and_saveexec_b32 s0, s3
	s_cbranch_execnz .LBB21_314
	s_branch .LBB21_315
.LBB21_318:
	s_cbranch_execnz .LBB21_322
; %bb.319:
	s_mov_b32 s2, exec_lo
	s_branch .LBB21_311
.LBB21_320:
	s_trap 2
	s_sendmsg_rtn_b32 s0, sendmsg(MSG_RTN_GET_DOORBELL)
	s_mov_b32 ttmp2, m0
	s_waitcnt lgkmcnt(0)
	s_and_b32 s0, s0, 0x3ff
	s_delay_alu instid0(SALU_CYCLE_1) | instskip(NEXT) | instid1(SALU_CYCLE_1)
	s_bitset1_b32 s0, 10
	s_mov_b32 m0, s0
	s_sendmsg sendmsg(MSG_INTERRUPT)
	s_mov_b32 m0, ttmp2
.LBB21_321:                             ; =>This Inner Loop Header: Depth=1
	s_sethalt 5
	s_branch .LBB21_321
.LBB21_322:
	s_trap 2
	s_sendmsg_rtn_b32 s0, sendmsg(MSG_RTN_GET_DOORBELL)
	s_mov_b32 ttmp2, m0
	s_waitcnt lgkmcnt(0)
	s_and_b32 s0, s0, 0x3ff
	s_delay_alu instid0(SALU_CYCLE_1) | instskip(NEXT) | instid1(SALU_CYCLE_1)
	s_bitset1_b32 s0, 10
	s_mov_b32 m0, s0
	s_sendmsg sendmsg(MSG_INTERRUPT)
	s_mov_b32 m0, ttmp2
.LBB21_323:                             ; =>This Inner Loop Header: Depth=1
	s_sethalt 5
	s_branch .LBB21_323
	.section	.rodata,"a",@progbits
	.p2align	6, 0x0
	.amdhsa_kernel _ZN2at6native12_GLOBAL__N_114gatherKthValueIilLi2EEEvNS_4cuda6detail10TensorInfoIKT_T0_EES8_S8_S8_S8_NS5_IS6_S8_EENS5_IlS8_EE
		.amdhsa_group_segment_fixed_size 5144
		.amdhsa_private_segment_fixed_size 0
		.amdhsa_kernarg_size 1536
		.amdhsa_user_sgpr_count 13
		.amdhsa_user_sgpr_dispatch_ptr 0
		.amdhsa_user_sgpr_queue_ptr 0
		.amdhsa_user_sgpr_kernarg_segment_ptr 1
		.amdhsa_user_sgpr_dispatch_id 0
		.amdhsa_user_sgpr_private_segment_size 0
		.amdhsa_wavefront_size32 1
		.amdhsa_uses_dynamic_stack 0
		.amdhsa_enable_private_segment 0
		.amdhsa_system_sgpr_workgroup_id_x 1
		.amdhsa_system_sgpr_workgroup_id_y 1
		.amdhsa_system_sgpr_workgroup_id_z 1
		.amdhsa_system_sgpr_workgroup_info 0
		.amdhsa_system_vgpr_workitem_id 0
		.amdhsa_next_free_vgpr 45
		.amdhsa_next_free_sgpr 102
		.amdhsa_reserve_vcc 1
		.amdhsa_float_round_mode_32 0
		.amdhsa_float_round_mode_16_64 0
		.amdhsa_float_denorm_mode_32 3
		.amdhsa_float_denorm_mode_16_64 3
		.amdhsa_dx10_clamp 1
		.amdhsa_ieee_mode 1
		.amdhsa_fp16_overflow 0
		.amdhsa_workgroup_processor_mode 1
		.amdhsa_memory_ordered 1
		.amdhsa_forward_progress 0
		.amdhsa_shared_vgpr_count 0
		.amdhsa_exception_fp_ieee_invalid_op 0
		.amdhsa_exception_fp_denorm_src 0
		.amdhsa_exception_fp_ieee_div_zero 0
		.amdhsa_exception_fp_ieee_overflow 0
		.amdhsa_exception_fp_ieee_underflow 0
		.amdhsa_exception_fp_ieee_inexact 0
		.amdhsa_exception_int_div_zero 0
	.end_amdhsa_kernel
	.section	.text._ZN2at6native12_GLOBAL__N_114gatherKthValueIilLi2EEEvNS_4cuda6detail10TensorInfoIKT_T0_EES8_S8_S8_S8_NS5_IS6_S8_EENS5_IlS8_EE,"axG",@progbits,_ZN2at6native12_GLOBAL__N_114gatherKthValueIilLi2EEEvNS_4cuda6detail10TensorInfoIKT_T0_EES8_S8_S8_S8_NS5_IS6_S8_EENS5_IlS8_EE,comdat
.Lfunc_end21:
	.size	_ZN2at6native12_GLOBAL__N_114gatherKthValueIilLi2EEEvNS_4cuda6detail10TensorInfoIKT_T0_EES8_S8_S8_S8_NS5_IS6_S8_EENS5_IlS8_EE, .Lfunc_end21-_ZN2at6native12_GLOBAL__N_114gatherKthValueIilLi2EEEvNS_4cuda6detail10TensorInfoIKT_T0_EES8_S8_S8_S8_NS5_IS6_S8_EENS5_IlS8_EE
                                        ; -- End function
	.section	.AMDGPU.csdata,"",@progbits
; Kernel info:
; codeLenInByte = 19552
; NumSgprs: 104
; NumVgprs: 45
; ScratchSize: 0
; MemoryBound: 0
; FloatMode: 240
; IeeeMode: 1
; LDSByteSize: 5144 bytes/workgroup (compile time only)
; SGPRBlocks: 12
; VGPRBlocks: 5
; NumSGPRsForWavesPerEU: 104
; NumVGPRsForWavesPerEU: 45
; Occupancy: 16
; WaveLimiterHint : 1
; COMPUTE_PGM_RSRC2:SCRATCH_EN: 0
; COMPUTE_PGM_RSRC2:USER_SGPR: 13
; COMPUTE_PGM_RSRC2:TRAP_HANDLER: 0
; COMPUTE_PGM_RSRC2:TGID_X_EN: 1
; COMPUTE_PGM_RSRC2:TGID_Y_EN: 1
; COMPUTE_PGM_RSRC2:TGID_Z_EN: 1
; COMPUTE_PGM_RSRC2:TIDIG_COMP_CNT: 0
	.section	.text._ZN2at6native12_GLOBAL__N_114gatherKthValueIilLi3EEEvNS_4cuda6detail10TensorInfoIKT_T0_EES8_S8_S8_S8_NS5_IS6_S8_EENS5_IlS8_EE,"axG",@progbits,_ZN2at6native12_GLOBAL__N_114gatherKthValueIilLi3EEEvNS_4cuda6detail10TensorInfoIKT_T0_EES8_S8_S8_S8_NS5_IS6_S8_EENS5_IlS8_EE,comdat
	.globl	_ZN2at6native12_GLOBAL__N_114gatherKthValueIilLi3EEEvNS_4cuda6detail10TensorInfoIKT_T0_EES8_S8_S8_S8_NS5_IS6_S8_EENS5_IlS8_EE ; -- Begin function _ZN2at6native12_GLOBAL__N_114gatherKthValueIilLi3EEEvNS_4cuda6detail10TensorInfoIKT_T0_EES8_S8_S8_S8_NS5_IS6_S8_EENS5_IlS8_EE
	.p2align	8
	.type	_ZN2at6native12_GLOBAL__N_114gatherKthValueIilLi3EEEvNS_4cuda6detail10TensorInfoIKT_T0_EES8_S8_S8_S8_NS5_IS6_S8_EENS5_IlS8_EE,@function
_ZN2at6native12_GLOBAL__N_114gatherKthValueIilLi3EEEvNS_4cuda6detail10TensorInfoIKT_T0_EES8_S8_S8_S8_NS5_IS6_S8_EENS5_IlS8_EE: ; @_ZN2at6native12_GLOBAL__N_114gatherKthValueIilLi3EEEvNS_4cuda6detail10TensorInfoIKT_T0_EES8_S8_S8_S8_NS5_IS6_S8_EENS5_IlS8_EE
; %bb.0:
	s_clause 0x1
	s_load_b64 s[18:19], s[0:1], 0x500
	s_load_b256 s[36:43], s[0:1], 0x1a0
	s_add_u32 s16, s0, 0x500
	s_addc_u32 s17, s1, 0
	s_mov_b32 s27, 0
	s_waitcnt lgkmcnt(0)
	s_mul_i32 s2, s19, s15
	s_delay_alu instid0(SALU_CYCLE_1) | instskip(NEXT) | instid1(SALU_CYCLE_1)
	s_add_i32 s2, s2, s14
	s_mul_i32 s2, s2, s18
	s_delay_alu instid0(SALU_CYCLE_1) | instskip(NEXT) | instid1(SALU_CYCLE_1)
	s_add_i32 s26, s2, s13
	v_cmp_ge_i64_e64 s2, s[26:27], s[40:41]
	s_delay_alu instid0(VALU_DEP_1)
	s_and_b32 vcc_lo, exec_lo, s2
	s_cbranch_vccnz .LBB22_328
; %bb.1:
	s_load_b128 s[4:7], s[0:1], 0x10
	s_mov_b32 s2, s27
	s_waitcnt lgkmcnt(0)
	s_mov_b32 s3, s7
	s_delay_alu instid0(SALU_CYCLE_1)
	s_cmp_lg_u64 s[2:3], 0
	s_cbranch_scc0 .LBB22_18
; %bb.2:
	s_ashr_i32 s2, s7, 31
	s_delay_alu instid0(SALU_CYCLE_1) | instskip(SKIP_2) | instid1(SALU_CYCLE_1)
	s_add_u32 s8, s6, s2
	s_mov_b32 s3, s2
	s_addc_u32 s9, s7, s2
	s_xor_b64 s[8:9], s[8:9], s[2:3]
	s_delay_alu instid0(SALU_CYCLE_1) | instskip(SKIP_3) | instid1(VALU_DEP_1)
	v_cvt_f32_u32_e32 v1, s8
	v_cvt_f32_u32_e32 v2, s9
	s_sub_u32 s12, 0, s8
	s_subb_u32 s14, 0, s9
	v_fmamk_f32 v1, v2, 0x4f800000, v1
	s_delay_alu instid0(VALU_DEP_1) | instskip(SKIP_2) | instid1(VALU_DEP_1)
	v_rcp_f32_e32 v1, v1
	s_waitcnt_depctr 0xfff
	v_mul_f32_e32 v1, 0x5f7ffffc, v1
	v_mul_f32_e32 v2, 0x2f800000, v1
	s_delay_alu instid0(VALU_DEP_1) | instskip(NEXT) | instid1(VALU_DEP_1)
	v_trunc_f32_e32 v2, v2
	v_fmamk_f32 v1, v2, 0xcf800000, v1
	v_cvt_u32_f32_e32 v2, v2
	s_delay_alu instid0(VALU_DEP_2) | instskip(NEXT) | instid1(VALU_DEP_2)
	v_cvt_u32_f32_e32 v1, v1
	v_readfirstlane_b32 s10, v2
	s_delay_alu instid0(VALU_DEP_2) | instskip(NEXT) | instid1(VALU_DEP_2)
	v_readfirstlane_b32 s11, v1
	s_mul_i32 s15, s12, s10
	s_delay_alu instid0(VALU_DEP_1)
	s_mul_hi_u32 s20, s12, s11
	s_mul_i32 s19, s14, s11
	s_add_i32 s15, s20, s15
	s_mul_i32 s21, s12, s11
	s_add_i32 s15, s15, s19
	s_mul_hi_u32 s20, s11, s21
	s_mul_hi_u32 s22, s10, s21
	s_mul_i32 s19, s10, s21
	s_mul_hi_u32 s21, s11, s15
	s_mul_i32 s11, s11, s15
	s_mul_hi_u32 s23, s10, s15
	s_add_u32 s11, s20, s11
	s_addc_u32 s20, 0, s21
	s_add_u32 s11, s11, s19
	s_mul_i32 s15, s10, s15
	s_addc_u32 s11, s20, s22
	s_addc_u32 s19, s23, 0
	s_add_u32 s11, s11, s15
	s_addc_u32 s15, 0, s19
	v_add_co_u32 v1, s11, v1, s11
	s_delay_alu instid0(VALU_DEP_1) | instskip(SKIP_1) | instid1(VALU_DEP_1)
	s_cmp_lg_u32 s11, 0
	s_addc_u32 s10, s10, s15
	v_readfirstlane_b32 s11, v1
	s_mul_i32 s15, s12, s10
	s_delay_alu instid0(VALU_DEP_1)
	s_mul_hi_u32 s19, s12, s11
	s_mul_i32 s14, s14, s11
	s_add_i32 s15, s19, s15
	s_mul_i32 s12, s12, s11
	s_add_i32 s15, s15, s14
	s_mul_hi_u32 s19, s10, s12
	s_mul_i32 s20, s10, s12
	s_mul_hi_u32 s12, s11, s12
	s_mul_hi_u32 s21, s11, s15
	s_mul_i32 s11, s11, s15
	s_mul_hi_u32 s14, s10, s15
	s_add_u32 s11, s12, s11
	s_addc_u32 s12, 0, s21
	s_add_u32 s11, s11, s20
	s_mul_i32 s15, s10, s15
	s_addc_u32 s11, s12, s19
	s_addc_u32 s12, s14, 0
	s_add_u32 s11, s11, s15
	s_addc_u32 s12, 0, s12
	v_add_co_u32 v1, s11, v1, s11
	s_delay_alu instid0(VALU_DEP_1) | instskip(SKIP_2) | instid1(VALU_DEP_1)
	s_cmp_lg_u32 s11, 0
	s_addc_u32 s12, s10, s12
	s_ashr_i32 s10, 0, 31
	v_readfirstlane_b32 s19, v1
	s_add_u32 s14, s26, s10
	s_mov_b32 s11, s10
	s_addc_u32 s15, 0, s10
	s_delay_alu instid0(SALU_CYCLE_1) | instskip(NEXT) | instid1(SALU_CYCLE_1)
	s_xor_b64 s[14:15], s[14:15], s[10:11]
	s_mul_i32 s21, s14, s12
	s_mul_hi_u32 s22, s14, s19
	s_mul_hi_u32 s20, s14, s12
	;; [unrolled: 1-line block ×3, first 2 shown]
	s_mul_i32 s19, s15, s19
	s_add_u32 s21, s22, s21
	s_addc_u32 s20, 0, s20
	s_mul_hi_u32 s23, s15, s12
	s_add_u32 s19, s21, s19
	s_mul_i32 s12, s15, s12
	s_addc_u32 s19, s20, s24
	s_addc_u32 s20, s23, 0
	s_add_u32 s12, s19, s12
	s_addc_u32 s19, 0, s20
	s_mul_i32 s23, s8, s12
	s_mul_hi_u32 s20, s8, s12
	s_mul_i32 s22, s8, s19
	v_sub_co_u32 v1, s14, s14, s23
	s_mul_i32 s21, s9, s12
	s_add_i32 s20, s20, s22
	s_delay_alu instid0(SALU_CYCLE_1) | instskip(NEXT) | instid1(VALU_DEP_1)
	s_add_i32 s20, s20, s21
	v_sub_co_u32 v2, s22, v1, s8
	s_sub_i32 s21, s15, s20
	s_cmp_lg_u32 s14, 0
	s_subb_u32 s21, s21, s9
	s_cmp_lg_u32 s22, 0
	v_readfirstlane_b32 s22, v2
	s_subb_u32 s21, s21, 0
	s_delay_alu instid0(SALU_CYCLE_1) | instskip(SKIP_1) | instid1(VALU_DEP_1)
	s_cmp_ge_u32 s21, s9
	s_cselect_b32 s23, -1, 0
	s_cmp_ge_u32 s22, s8
	s_cselect_b32 s22, -1, 0
	s_cmp_eq_u32 s21, s9
	s_cselect_b32 s21, s22, s23
	s_add_u32 s22, s12, 1
	s_addc_u32 s23, s19, 0
	s_add_u32 s24, s12, 2
	s_addc_u32 s25, s19, 0
	s_cmp_lg_u32 s21, 0
	s_cselect_b32 s21, s24, s22
	s_cselect_b32 s22, s25, s23
	s_cmp_lg_u32 s14, 0
	v_readfirstlane_b32 s14, v1
	s_subb_u32 s15, s15, s20
	s_delay_alu instid0(SALU_CYCLE_1) | instskip(SKIP_1) | instid1(VALU_DEP_1)
	s_cmp_ge_u32 s15, s9
	s_cselect_b32 s20, -1, 0
	s_cmp_ge_u32 s14, s8
	s_cselect_b32 s8, -1, 0
	s_cmp_eq_u32 s15, s9
	s_cselect_b32 s8, s8, s20
	s_delay_alu instid0(SALU_CYCLE_1) | instskip(SKIP_3) | instid1(SALU_CYCLE_1)
	s_cmp_lg_u32 s8, 0
	s_cselect_b32 s9, s22, s19
	s_cselect_b32 s8, s21, s12
	s_xor_b64 s[2:3], s[10:11], s[2:3]
	s_xor_b64 s[10:11], s[8:9], s[2:3]
	s_delay_alu instid0(SALU_CYCLE_1)
	s_sub_u32 s2, s10, s2
	s_subb_u32 s3, s11, s3
	s_cbranch_execnz .LBB22_4
.LBB22_3:
	v_cvt_f32_u32_e32 v1, s6
	s_sub_i32 s3, 0, s6
	s_delay_alu instid0(VALU_DEP_1) | instskip(SKIP_2) | instid1(VALU_DEP_1)
	v_rcp_iflag_f32_e32 v1, v1
	s_waitcnt_depctr 0xfff
	v_mul_f32_e32 v1, 0x4f7ffffe, v1
	v_cvt_u32_f32_e32 v1, v1
	s_delay_alu instid0(VALU_DEP_1) | instskip(NEXT) | instid1(VALU_DEP_1)
	v_readfirstlane_b32 s2, v1
	s_mul_i32 s3, s3, s2
	s_delay_alu instid0(SALU_CYCLE_1) | instskip(NEXT) | instid1(SALU_CYCLE_1)
	s_mul_hi_u32 s3, s2, s3
	s_add_i32 s2, s2, s3
	s_delay_alu instid0(SALU_CYCLE_1) | instskip(NEXT) | instid1(SALU_CYCLE_1)
	s_mul_hi_u32 s2, s26, s2
	s_mul_i32 s3, s2, s6
	s_add_i32 s8, s2, 1
	s_sub_i32 s3, s26, s3
	s_delay_alu instid0(SALU_CYCLE_1)
	s_sub_i32 s9, s3, s6
	s_cmp_ge_u32 s3, s6
	s_cselect_b32 s2, s8, s2
	s_cselect_b32 s3, s9, s3
	s_add_i32 s8, s2, 1
	s_cmp_ge_u32 s3, s6
	s_mov_b32 s3, 0
	s_cselect_b32 s2, s8, s2
.LBB22_4:
	s_delay_alu instid0(SALU_CYCLE_1) | instskip(SKIP_1) | instid1(SALU_CYCLE_1)
	s_or_b64 s[8:9], s[2:3], s[4:5]
	s_mov_b32 s8, 0
	s_cmp_lg_u64 s[8:9], 0
	s_cbranch_scc0 .LBB22_19
; %bb.5:
	s_ashr_i32 s10, s5, 31
	s_delay_alu instid0(SALU_CYCLE_1) | instskip(SKIP_2) | instid1(SALU_CYCLE_1)
	s_add_u32 s14, s4, s10
	s_mov_b32 s11, s10
	s_addc_u32 s15, s5, s10
	s_xor_b64 s[14:15], s[14:15], s[10:11]
	s_delay_alu instid0(SALU_CYCLE_1) | instskip(SKIP_3) | instid1(VALU_DEP_1)
	v_cvt_f32_u32_e32 v1, s14
	v_cvt_f32_u32_e32 v2, s15
	s_sub_u32 s19, 0, s14
	s_subb_u32 s20, 0, s15
	v_fmamk_f32 v1, v2, 0x4f800000, v1
	s_delay_alu instid0(VALU_DEP_1) | instskip(SKIP_2) | instid1(VALU_DEP_1)
	v_rcp_f32_e32 v1, v1
	s_waitcnt_depctr 0xfff
	v_mul_f32_e32 v1, 0x5f7ffffc, v1
	v_mul_f32_e32 v2, 0x2f800000, v1
	s_delay_alu instid0(VALU_DEP_1) | instskip(NEXT) | instid1(VALU_DEP_1)
	v_trunc_f32_e32 v2, v2
	v_fmamk_f32 v1, v2, 0xcf800000, v1
	v_cvt_u32_f32_e32 v2, v2
	s_delay_alu instid0(VALU_DEP_2) | instskip(NEXT) | instid1(VALU_DEP_2)
	v_cvt_u32_f32_e32 v1, v1
	v_readfirstlane_b32 s9, v2
	s_delay_alu instid0(VALU_DEP_2) | instskip(NEXT) | instid1(VALU_DEP_2)
	v_readfirstlane_b32 s12, v1
	s_mul_i32 s21, s19, s9
	s_delay_alu instid0(VALU_DEP_1)
	s_mul_hi_u32 s23, s19, s12
	s_mul_i32 s22, s20, s12
	s_add_i32 s21, s23, s21
	s_mul_i32 s24, s19, s12
	s_add_i32 s21, s21, s22
	s_mul_hi_u32 s23, s12, s24
	s_mul_hi_u32 s25, s9, s24
	s_mul_i32 s22, s9, s24
	s_mul_hi_u32 s24, s12, s21
	s_mul_i32 s12, s12, s21
	s_mul_hi_u32 s27, s9, s21
	s_add_u32 s12, s23, s12
	s_addc_u32 s23, 0, s24
	s_add_u32 s12, s12, s22
	s_mul_i32 s21, s9, s21
	s_addc_u32 s12, s23, s25
	s_addc_u32 s22, s27, 0
	s_add_u32 s12, s12, s21
	s_addc_u32 s21, 0, s22
	v_add_co_u32 v1, s12, v1, s12
	s_delay_alu instid0(VALU_DEP_1) | instskip(SKIP_1) | instid1(VALU_DEP_1)
	s_cmp_lg_u32 s12, 0
	s_addc_u32 s9, s9, s21
	v_readfirstlane_b32 s12, v1
	s_mul_i32 s21, s19, s9
	s_delay_alu instid0(VALU_DEP_1)
	s_mul_hi_u32 s22, s19, s12
	s_mul_i32 s20, s20, s12
	s_add_i32 s21, s22, s21
	s_mul_i32 s19, s19, s12
	s_add_i32 s21, s21, s20
	s_mul_hi_u32 s22, s9, s19
	s_mul_i32 s23, s9, s19
	s_mul_hi_u32 s19, s12, s19
	s_mul_hi_u32 s24, s12, s21
	s_mul_i32 s12, s12, s21
	s_mul_hi_u32 s20, s9, s21
	s_add_u32 s12, s19, s12
	s_addc_u32 s19, 0, s24
	s_add_u32 s12, s12, s23
	s_mul_i32 s21, s9, s21
	s_addc_u32 s12, s19, s22
	s_addc_u32 s19, s20, 0
	s_add_u32 s12, s12, s21
	s_addc_u32 s19, 0, s19
	v_add_co_u32 v1, s12, v1, s12
	s_delay_alu instid0(VALU_DEP_1) | instskip(SKIP_2) | instid1(VALU_DEP_1)
	s_cmp_lg_u32 s12, 0
	s_addc_u32 s9, s9, s19
	s_ashr_i32 s20, s3, 31
	v_readfirstlane_b32 s12, v1
	s_add_u32 s22, s2, s20
	s_mov_b32 s21, s20
	s_addc_u32 s23, s3, s20
	s_delay_alu instid0(SALU_CYCLE_1) | instskip(NEXT) | instid1(SALU_CYCLE_1)
	s_xor_b64 s[22:23], s[22:23], s[20:21]
	s_mul_i32 s24, s22, s9
	s_mul_hi_u32 s25, s22, s12
	s_mul_hi_u32 s19, s22, s9
	;; [unrolled: 1-line block ×3, first 2 shown]
	s_mul_i32 s12, s23, s12
	s_add_u32 s24, s25, s24
	s_addc_u32 s19, 0, s19
	s_mul_hi_u32 s27, s23, s9
	s_add_u32 s12, s24, s12
	s_mul_i32 s9, s23, s9
	s_addc_u32 s12, s19, s28
	s_addc_u32 s19, s27, 0
	s_add_u32 s9, s12, s9
	s_addc_u32 s12, 0, s19
	s_mul_i32 s27, s14, s9
	s_mul_hi_u32 s19, s14, s9
	s_mul_i32 s25, s14, s12
	v_sub_co_u32 v1, s22, s22, s27
	s_mul_i32 s24, s15, s9
	s_add_i32 s19, s19, s25
	s_delay_alu instid0(SALU_CYCLE_1) | instskip(NEXT) | instid1(VALU_DEP_1)
	s_add_i32 s19, s19, s24
	v_sub_co_u32 v2, s25, v1, s14
	s_sub_i32 s24, s23, s19
	s_cmp_lg_u32 s22, 0
	s_subb_u32 s24, s24, s15
	s_cmp_lg_u32 s25, 0
	v_readfirstlane_b32 s25, v2
	s_subb_u32 s24, s24, 0
	s_delay_alu instid0(SALU_CYCLE_1) | instskip(SKIP_1) | instid1(VALU_DEP_1)
	s_cmp_ge_u32 s24, s15
	s_cselect_b32 s27, -1, 0
	s_cmp_ge_u32 s25, s14
	s_cselect_b32 s25, -1, 0
	s_cmp_eq_u32 s24, s15
	s_cselect_b32 s24, s25, s27
	s_add_u32 s25, s9, 1
	s_addc_u32 s27, s12, 0
	s_add_u32 s28, s9, 2
	s_addc_u32 s29, s12, 0
	s_cmp_lg_u32 s24, 0
	s_cselect_b32 s24, s28, s25
	s_cselect_b32 s25, s29, s27
	s_cmp_lg_u32 s22, 0
	v_readfirstlane_b32 s22, v1
	s_subb_u32 s19, s23, s19
	s_delay_alu instid0(SALU_CYCLE_1) | instskip(SKIP_1) | instid1(VALU_DEP_1)
	s_cmp_ge_u32 s19, s15
	s_cselect_b32 s23, -1, 0
	s_cmp_ge_u32 s22, s14
	s_cselect_b32 s14, -1, 0
	s_cmp_eq_u32 s19, s15
	s_cselect_b32 s14, s14, s23
	s_delay_alu instid0(SALU_CYCLE_1) | instskip(SKIP_3) | instid1(SALU_CYCLE_1)
	s_cmp_lg_u32 s14, 0
	s_cselect_b32 s15, s25, s12
	s_cselect_b32 s14, s24, s9
	s_xor_b64 s[10:11], s[20:21], s[10:11]
	s_xor_b64 s[14:15], s[14:15], s[10:11]
	s_delay_alu instid0(SALU_CYCLE_1)
	s_sub_u32 s14, s14, s10
	s_subb_u32 s15, s15, s11
	s_load_b128 s[28:31], s[0:1], 0x1d0
	s_and_not1_b32 vcc_lo, exec_lo, s8
	s_cbranch_vccnz .LBB22_7
.LBB22_6:
	v_cvt_f32_u32_e32 v1, s4
	s_sub_i32 s9, 0, s4
	s_mov_b32 s15, 0
	s_delay_alu instid0(VALU_DEP_1) | instskip(SKIP_2) | instid1(VALU_DEP_1)
	v_rcp_iflag_f32_e32 v1, v1
	s_waitcnt_depctr 0xfff
	v_mul_f32_e32 v1, 0x4f7ffffe, v1
	v_cvt_u32_f32_e32 v1, v1
	s_delay_alu instid0(VALU_DEP_1) | instskip(NEXT) | instid1(VALU_DEP_1)
	v_readfirstlane_b32 s8, v1
	s_mul_i32 s9, s9, s8
	s_delay_alu instid0(SALU_CYCLE_1) | instskip(NEXT) | instid1(SALU_CYCLE_1)
	s_mul_hi_u32 s9, s8, s9
	s_add_i32 s8, s8, s9
	s_delay_alu instid0(SALU_CYCLE_1) | instskip(NEXT) | instid1(SALU_CYCLE_1)
	s_mul_hi_u32 s8, s2, s8
	s_mul_i32 s9, s8, s4
	s_add_i32 s10, s8, 1
	s_sub_i32 s9, s2, s9
	s_delay_alu instid0(SALU_CYCLE_1)
	s_sub_i32 s11, s9, s4
	s_cmp_ge_u32 s9, s4
	s_cselect_b32 s8, s10, s8
	s_cselect_b32 s9, s11, s9
	s_add_i32 s10, s8, 1
	s_cmp_ge_u32 s9, s4
	s_cselect_b32 s14, s10, s8
.LBB22_7:
	s_mov_b32 s8, 0
	s_waitcnt lgkmcnt(0)
	s_mov_b32 s9, s31
	s_delay_alu instid0(SALU_CYCLE_1)
	s_cmp_lg_u64 s[8:9], 0
	s_cbranch_scc0 .LBB22_20
; %bb.8:
	s_ashr_i32 s10, s31, 31
	s_delay_alu instid0(SALU_CYCLE_1) | instskip(SKIP_2) | instid1(SALU_CYCLE_1)
	s_add_u32 s20, s30, s10
	s_mov_b32 s11, s10
	s_addc_u32 s21, s31, s10
	s_xor_b64 s[20:21], s[20:21], s[10:11]
	s_delay_alu instid0(SALU_CYCLE_1) | instskip(SKIP_3) | instid1(VALU_DEP_1)
	v_cvt_f32_u32_e32 v1, s20
	v_cvt_f32_u32_e32 v2, s21
	s_sub_u32 s19, 0, s20
	s_subb_u32 s22, 0, s21
	v_fmamk_f32 v1, v2, 0x4f800000, v1
	s_delay_alu instid0(VALU_DEP_1) | instskip(SKIP_2) | instid1(VALU_DEP_1)
	v_rcp_f32_e32 v1, v1
	s_waitcnt_depctr 0xfff
	v_mul_f32_e32 v1, 0x5f7ffffc, v1
	v_mul_f32_e32 v2, 0x2f800000, v1
	s_delay_alu instid0(VALU_DEP_1) | instskip(NEXT) | instid1(VALU_DEP_1)
	v_trunc_f32_e32 v2, v2
	v_fmamk_f32 v1, v2, 0xcf800000, v1
	v_cvt_u32_f32_e32 v2, v2
	s_delay_alu instid0(VALU_DEP_2) | instskip(NEXT) | instid1(VALU_DEP_2)
	v_cvt_u32_f32_e32 v1, v1
	v_readfirstlane_b32 s9, v2
	s_delay_alu instid0(VALU_DEP_2) | instskip(NEXT) | instid1(VALU_DEP_2)
	v_readfirstlane_b32 s12, v1
	s_mul_i32 s23, s19, s9
	s_delay_alu instid0(VALU_DEP_1)
	s_mul_hi_u32 s25, s19, s12
	s_mul_i32 s24, s22, s12
	s_add_i32 s23, s25, s23
	s_mul_i32 s27, s19, s12
	s_add_i32 s23, s23, s24
	s_mul_hi_u32 s25, s12, s27
	s_mul_hi_u32 s33, s9, s27
	s_mul_i32 s24, s9, s27
	s_mul_hi_u32 s27, s12, s23
	s_mul_i32 s12, s12, s23
	s_mul_hi_u32 s34, s9, s23
	s_add_u32 s12, s25, s12
	s_addc_u32 s25, 0, s27
	s_add_u32 s12, s12, s24
	s_mul_i32 s23, s9, s23
	s_addc_u32 s12, s25, s33
	s_addc_u32 s24, s34, 0
	s_add_u32 s12, s12, s23
	s_addc_u32 s23, 0, s24
	v_add_co_u32 v1, s12, v1, s12
	s_delay_alu instid0(VALU_DEP_1) | instskip(SKIP_1) | instid1(VALU_DEP_1)
	s_cmp_lg_u32 s12, 0
	s_addc_u32 s9, s9, s23
	v_readfirstlane_b32 s12, v1
	s_mul_i32 s23, s19, s9
	s_delay_alu instid0(VALU_DEP_1)
	s_mul_hi_u32 s24, s19, s12
	s_mul_i32 s22, s22, s12
	s_add_i32 s23, s24, s23
	s_mul_i32 s19, s19, s12
	s_add_i32 s23, s23, s22
	s_mul_hi_u32 s24, s9, s19
	s_mul_i32 s25, s9, s19
	s_mul_hi_u32 s19, s12, s19
	s_mul_hi_u32 s27, s12, s23
	s_mul_i32 s12, s12, s23
	s_mul_hi_u32 s22, s9, s23
	s_add_u32 s12, s19, s12
	s_addc_u32 s19, 0, s27
	s_add_u32 s12, s12, s25
	s_mul_i32 s23, s9, s23
	s_addc_u32 s12, s19, s24
	s_addc_u32 s19, s22, 0
	s_add_u32 s12, s12, s23
	s_addc_u32 s19, 0, s19
	v_add_co_u32 v1, s12, v1, s12
	s_delay_alu instid0(VALU_DEP_1) | instskip(SKIP_2) | instid1(VALU_DEP_1)
	s_cmp_lg_u32 s12, 0
	s_addc_u32 s9, s9, s19
	s_ashr_i32 s22, 0, 31
	v_readfirstlane_b32 s12, v1
	s_add_u32 s24, s26, s22
	s_mov_b32 s23, s22
	s_addc_u32 s25, 0, s22
	s_delay_alu instid0(SALU_CYCLE_1) | instskip(NEXT) | instid1(SALU_CYCLE_1)
	s_xor_b64 s[24:25], s[24:25], s[22:23]
	s_mul_i32 s27, s24, s9
	s_mul_hi_u32 s33, s24, s12
	s_mul_hi_u32 s19, s24, s9
	;; [unrolled: 1-line block ×3, first 2 shown]
	s_mul_i32 s12, s25, s12
	s_add_u32 s27, s33, s27
	s_addc_u32 s19, 0, s19
	s_mul_hi_u32 s34, s25, s9
	s_add_u32 s12, s27, s12
	s_mul_i32 s9, s25, s9
	s_addc_u32 s12, s19, s35
	s_addc_u32 s19, s34, 0
	s_add_u32 s9, s12, s9
	s_addc_u32 s12, 0, s19
	s_mul_i32 s34, s20, s9
	s_mul_hi_u32 s19, s20, s9
	s_mul_i32 s33, s20, s12
	v_sub_co_u32 v1, s24, s24, s34
	s_mul_i32 s27, s21, s9
	s_add_i32 s19, s19, s33
	s_delay_alu instid0(SALU_CYCLE_1) | instskip(NEXT) | instid1(VALU_DEP_1)
	s_add_i32 s19, s19, s27
	v_sub_co_u32 v2, s33, v1, s20
	s_sub_i32 s27, s25, s19
	s_cmp_lg_u32 s24, 0
	s_subb_u32 s27, s27, s21
	s_cmp_lg_u32 s33, 0
	v_readfirstlane_b32 s33, v2
	s_subb_u32 s27, s27, 0
	s_delay_alu instid0(SALU_CYCLE_1) | instskip(SKIP_1) | instid1(VALU_DEP_1)
	s_cmp_ge_u32 s27, s21
	s_cselect_b32 s34, -1, 0
	s_cmp_ge_u32 s33, s20
	s_cselect_b32 s33, -1, 0
	s_cmp_eq_u32 s27, s21
	s_cselect_b32 s27, s33, s34
	s_add_u32 s33, s9, 1
	s_addc_u32 s34, s12, 0
	s_add_u32 s35, s9, 2
	s_addc_u32 s40, s12, 0
	s_cmp_lg_u32 s27, 0
	s_cselect_b32 s27, s35, s33
	s_cselect_b32 s33, s40, s34
	s_cmp_lg_u32 s24, 0
	v_readfirstlane_b32 s24, v1
	s_subb_u32 s19, s25, s19
	s_delay_alu instid0(SALU_CYCLE_1) | instskip(SKIP_1) | instid1(VALU_DEP_1)
	s_cmp_ge_u32 s19, s21
	s_cselect_b32 s25, -1, 0
	s_cmp_ge_u32 s24, s20
	s_cselect_b32 s20, -1, 0
	s_cmp_eq_u32 s19, s21
	s_cselect_b32 s19, s20, s25
	s_delay_alu instid0(SALU_CYCLE_1) | instskip(SKIP_3) | instid1(SALU_CYCLE_1)
	s_cmp_lg_u32 s19, 0
	s_cselect_b32 s21, s33, s12
	s_cselect_b32 s20, s27, s9
	s_xor_b64 s[10:11], s[22:23], s[10:11]
	s_xor_b64 s[20:21], s[20:21], s[10:11]
	s_delay_alu instid0(SALU_CYCLE_1)
	s_sub_u32 s34, s20, s10
	s_subb_u32 s35, s21, s11
	s_and_not1_b32 vcc_lo, exec_lo, s8
	s_cbranch_vccnz .LBB22_10
.LBB22_9:
	v_cvt_f32_u32_e32 v1, s30
	s_sub_i32 s9, 0, s30
	s_mov_b32 s35, 0
	s_delay_alu instid0(VALU_DEP_1) | instskip(SKIP_2) | instid1(VALU_DEP_1)
	v_rcp_iflag_f32_e32 v1, v1
	s_waitcnt_depctr 0xfff
	v_mul_f32_e32 v1, 0x4f7ffffe, v1
	v_cvt_u32_f32_e32 v1, v1
	s_delay_alu instid0(VALU_DEP_1) | instskip(NEXT) | instid1(VALU_DEP_1)
	v_readfirstlane_b32 s8, v1
	s_mul_i32 s9, s9, s8
	s_delay_alu instid0(SALU_CYCLE_1) | instskip(NEXT) | instid1(SALU_CYCLE_1)
	s_mul_hi_u32 s9, s8, s9
	s_add_i32 s8, s8, s9
	s_delay_alu instid0(SALU_CYCLE_1) | instskip(NEXT) | instid1(SALU_CYCLE_1)
	s_mul_hi_u32 s8, s26, s8
	s_mul_i32 s9, s8, s30
	s_add_i32 s10, s8, 1
	s_sub_i32 s9, s26, s9
	s_delay_alu instid0(SALU_CYCLE_1)
	s_sub_i32 s11, s9, s30
	s_cmp_ge_u32 s9, s30
	s_cselect_b32 s8, s10, s8
	s_cselect_b32 s9, s11, s9
	s_add_i32 s10, s8, 1
	s_cmp_ge_u32 s9, s30
	s_cselect_b32 s34, s10, s8
.LBB22_10:
	s_delay_alu instid0(SALU_CYCLE_1) | instskip(SKIP_1) | instid1(SALU_CYCLE_1)
	s_or_b64 s[8:9], s[34:35], s[28:29]
	s_mov_b32 s8, 0
	s_cmp_lg_u64 s[8:9], 0
	s_cbranch_scc0 .LBB22_21
; %bb.11:
	s_ashr_i32 s10, s29, 31
	s_delay_alu instid0(SALU_CYCLE_1) | instskip(SKIP_2) | instid1(SALU_CYCLE_1)
	s_add_u32 s20, s28, s10
	s_mov_b32 s11, s10
	s_addc_u32 s21, s29, s10
	s_xor_b64 s[20:21], s[20:21], s[10:11]
	s_delay_alu instid0(SALU_CYCLE_1) | instskip(SKIP_3) | instid1(VALU_DEP_1)
	v_cvt_f32_u32_e32 v1, s20
	v_cvt_f32_u32_e32 v2, s21
	s_sub_u32 s19, 0, s20
	s_subb_u32 s22, 0, s21
	v_fmamk_f32 v1, v2, 0x4f800000, v1
	s_delay_alu instid0(VALU_DEP_1) | instskip(SKIP_2) | instid1(VALU_DEP_1)
	v_rcp_f32_e32 v1, v1
	s_waitcnt_depctr 0xfff
	v_mul_f32_e32 v1, 0x5f7ffffc, v1
	v_mul_f32_e32 v2, 0x2f800000, v1
	s_delay_alu instid0(VALU_DEP_1) | instskip(NEXT) | instid1(VALU_DEP_1)
	v_trunc_f32_e32 v2, v2
	v_fmamk_f32 v1, v2, 0xcf800000, v1
	v_cvt_u32_f32_e32 v2, v2
	s_delay_alu instid0(VALU_DEP_2) | instskip(NEXT) | instid1(VALU_DEP_2)
	v_cvt_u32_f32_e32 v1, v1
	v_readfirstlane_b32 s9, v2
	s_delay_alu instid0(VALU_DEP_2) | instskip(NEXT) | instid1(VALU_DEP_2)
	v_readfirstlane_b32 s12, v1
	s_mul_i32 s23, s19, s9
	s_delay_alu instid0(VALU_DEP_1)
	s_mul_hi_u32 s25, s19, s12
	s_mul_i32 s24, s22, s12
	s_add_i32 s23, s25, s23
	s_mul_i32 s27, s19, s12
	s_add_i32 s23, s23, s24
	s_mul_hi_u32 s25, s12, s27
	s_mul_hi_u32 s33, s9, s27
	s_mul_i32 s24, s9, s27
	s_mul_hi_u32 s27, s12, s23
	s_mul_i32 s12, s12, s23
	s_mul_hi_u32 s40, s9, s23
	s_add_u32 s12, s25, s12
	s_addc_u32 s25, 0, s27
	s_add_u32 s12, s12, s24
	s_mul_i32 s23, s9, s23
	s_addc_u32 s12, s25, s33
	s_addc_u32 s24, s40, 0
	s_add_u32 s12, s12, s23
	s_addc_u32 s23, 0, s24
	v_add_co_u32 v1, s12, v1, s12
	s_delay_alu instid0(VALU_DEP_1) | instskip(SKIP_1) | instid1(VALU_DEP_1)
	s_cmp_lg_u32 s12, 0
	s_addc_u32 s9, s9, s23
	v_readfirstlane_b32 s12, v1
	s_mul_i32 s23, s19, s9
	s_delay_alu instid0(VALU_DEP_1)
	s_mul_hi_u32 s24, s19, s12
	s_mul_i32 s22, s22, s12
	s_add_i32 s23, s24, s23
	s_mul_i32 s19, s19, s12
	s_add_i32 s23, s23, s22
	s_mul_hi_u32 s24, s9, s19
	s_mul_i32 s25, s9, s19
	s_mul_hi_u32 s19, s12, s19
	s_mul_hi_u32 s27, s12, s23
	s_mul_i32 s12, s12, s23
	s_mul_hi_u32 s22, s9, s23
	s_add_u32 s12, s19, s12
	s_addc_u32 s19, 0, s27
	s_add_u32 s12, s12, s25
	s_mul_i32 s23, s9, s23
	s_addc_u32 s12, s19, s24
	s_addc_u32 s19, s22, 0
	s_add_u32 s12, s12, s23
	s_addc_u32 s19, 0, s19
	v_add_co_u32 v1, s12, v1, s12
	s_delay_alu instid0(VALU_DEP_1) | instskip(SKIP_2) | instid1(VALU_DEP_1)
	s_cmp_lg_u32 s12, 0
	s_addc_u32 s9, s9, s19
	s_ashr_i32 s22, s35, 31
	v_readfirstlane_b32 s12, v1
	s_add_u32 s24, s34, s22
	s_mov_b32 s23, s22
	s_addc_u32 s25, s35, s22
	s_delay_alu instid0(SALU_CYCLE_1) | instskip(NEXT) | instid1(SALU_CYCLE_1)
	s_xor_b64 s[24:25], s[24:25], s[22:23]
	s_mul_i32 s27, s24, s9
	s_mul_hi_u32 s33, s24, s12
	s_mul_hi_u32 s19, s24, s9
	;; [unrolled: 1-line block ×3, first 2 shown]
	s_mul_i32 s12, s25, s12
	s_add_u32 s27, s33, s27
	s_addc_u32 s19, 0, s19
	s_mul_hi_u32 s40, s25, s9
	s_add_u32 s12, s27, s12
	s_mul_i32 s9, s25, s9
	s_addc_u32 s12, s19, s41
	s_addc_u32 s19, s40, 0
	s_add_u32 s9, s12, s9
	s_addc_u32 s12, 0, s19
	s_mul_i32 s40, s20, s9
	s_mul_hi_u32 s19, s20, s9
	s_mul_i32 s33, s20, s12
	v_sub_co_u32 v1, s24, s24, s40
	s_mul_i32 s27, s21, s9
	s_add_i32 s19, s19, s33
	s_delay_alu instid0(SALU_CYCLE_1) | instskip(NEXT) | instid1(VALU_DEP_1)
	s_add_i32 s19, s19, s27
	v_sub_co_u32 v2, s33, v1, s20
	s_sub_i32 s27, s25, s19
	s_cmp_lg_u32 s24, 0
	s_subb_u32 s27, s27, s21
	s_cmp_lg_u32 s33, 0
	v_readfirstlane_b32 s33, v2
	s_subb_u32 s27, s27, 0
	s_delay_alu instid0(SALU_CYCLE_1) | instskip(SKIP_1) | instid1(VALU_DEP_1)
	s_cmp_ge_u32 s27, s21
	s_cselect_b32 s40, -1, 0
	s_cmp_ge_u32 s33, s20
	s_cselect_b32 s33, -1, 0
	s_cmp_eq_u32 s27, s21
	s_cselect_b32 s27, s33, s40
	s_add_u32 s33, s9, 1
	s_addc_u32 s40, s12, 0
	s_add_u32 s41, s9, 2
	s_addc_u32 s44, s12, 0
	s_cmp_lg_u32 s27, 0
	s_cselect_b32 s27, s41, s33
	s_cselect_b32 s33, s44, s40
	s_cmp_lg_u32 s24, 0
	v_readfirstlane_b32 s24, v1
	s_subb_u32 s19, s25, s19
	s_delay_alu instid0(SALU_CYCLE_1) | instskip(SKIP_1) | instid1(VALU_DEP_1)
	s_cmp_ge_u32 s19, s21
	s_cselect_b32 s25, -1, 0
	s_cmp_ge_u32 s24, s20
	s_cselect_b32 s20, -1, 0
	s_cmp_eq_u32 s19, s21
	s_cselect_b32 s19, s20, s25
	s_delay_alu instid0(SALU_CYCLE_1) | instskip(SKIP_3) | instid1(SALU_CYCLE_1)
	s_cmp_lg_u32 s19, 0
	s_cselect_b32 s21, s33, s12
	s_cselect_b32 s20, s27, s9
	s_xor_b64 s[10:11], s[22:23], s[10:11]
	s_xor_b64 s[20:21], s[20:21], s[10:11]
	s_delay_alu instid0(SALU_CYCLE_1)
	s_sub_u32 s40, s20, s10
	s_subb_u32 s41, s21, s11
	s_load_b128 s[44:47], s[0:1], 0x370
	s_and_not1_b32 vcc_lo, exec_lo, s8
	s_cbranch_vccnz .LBB22_13
.LBB22_12:
	v_cvt_f32_u32_e32 v1, s28
	s_sub_i32 s9, 0, s28
	s_mov_b32 s41, 0
	s_delay_alu instid0(VALU_DEP_1) | instskip(SKIP_2) | instid1(VALU_DEP_1)
	v_rcp_iflag_f32_e32 v1, v1
	s_waitcnt_depctr 0xfff
	v_mul_f32_e32 v1, 0x4f7ffffe, v1
	v_cvt_u32_f32_e32 v1, v1
	s_delay_alu instid0(VALU_DEP_1) | instskip(NEXT) | instid1(VALU_DEP_1)
	v_readfirstlane_b32 s8, v1
	s_mul_i32 s9, s9, s8
	s_delay_alu instid0(SALU_CYCLE_1) | instskip(NEXT) | instid1(SALU_CYCLE_1)
	s_mul_hi_u32 s9, s8, s9
	s_add_i32 s8, s8, s9
	s_delay_alu instid0(SALU_CYCLE_1) | instskip(NEXT) | instid1(SALU_CYCLE_1)
	s_mul_hi_u32 s8, s34, s8
	s_mul_i32 s9, s8, s28
	s_add_i32 s10, s8, 1
	s_sub_i32 s9, s34, s9
	s_delay_alu instid0(SALU_CYCLE_1)
	s_sub_i32 s11, s9, s28
	s_cmp_ge_u32 s9, s28
	s_cselect_b32 s8, s10, s8
	s_cselect_b32 s9, s11, s9
	s_add_i32 s10, s8, 1
	s_cmp_ge_u32 s9, s28
	s_cselect_b32 s40, s10, s8
.LBB22_13:
	s_mov_b32 s8, 0
	s_waitcnt lgkmcnt(0)
	s_mov_b32 s9, s47
	s_delay_alu instid0(SALU_CYCLE_1)
	s_cmp_lg_u64 s[8:9], 0
	s_cbranch_scc0 .LBB22_22
; %bb.14:
	s_ashr_i32 s10, s47, 31
	s_delay_alu instid0(SALU_CYCLE_1) | instskip(SKIP_2) | instid1(SALU_CYCLE_1)
	s_add_u32 s20, s46, s10
	s_mov_b32 s11, s10
	s_addc_u32 s21, s47, s10
	s_xor_b64 s[20:21], s[20:21], s[10:11]
	s_delay_alu instid0(SALU_CYCLE_1) | instskip(SKIP_3) | instid1(VALU_DEP_1)
	v_cvt_f32_u32_e32 v1, s20
	v_cvt_f32_u32_e32 v2, s21
	s_sub_u32 s19, 0, s20
	s_subb_u32 s22, 0, s21
	v_fmamk_f32 v1, v2, 0x4f800000, v1
	s_delay_alu instid0(VALU_DEP_1) | instskip(SKIP_2) | instid1(VALU_DEP_1)
	v_rcp_f32_e32 v1, v1
	s_waitcnt_depctr 0xfff
	v_mul_f32_e32 v1, 0x5f7ffffc, v1
	v_mul_f32_e32 v2, 0x2f800000, v1
	s_delay_alu instid0(VALU_DEP_1) | instskip(NEXT) | instid1(VALU_DEP_1)
	v_trunc_f32_e32 v2, v2
	v_fmamk_f32 v1, v2, 0xcf800000, v1
	v_cvt_u32_f32_e32 v2, v2
	s_delay_alu instid0(VALU_DEP_2) | instskip(NEXT) | instid1(VALU_DEP_2)
	v_cvt_u32_f32_e32 v1, v1
	v_readfirstlane_b32 s9, v2
	s_delay_alu instid0(VALU_DEP_2) | instskip(NEXT) | instid1(VALU_DEP_2)
	v_readfirstlane_b32 s12, v1
	s_mul_i32 s23, s19, s9
	s_delay_alu instid0(VALU_DEP_1)
	s_mul_hi_u32 s25, s19, s12
	s_mul_i32 s24, s22, s12
	s_add_i32 s23, s25, s23
	s_mul_i32 s27, s19, s12
	s_add_i32 s23, s23, s24
	s_mul_hi_u32 s25, s12, s27
	s_mul_hi_u32 s33, s9, s27
	s_mul_i32 s24, s9, s27
	s_mul_hi_u32 s27, s12, s23
	s_mul_i32 s12, s12, s23
	s_mul_hi_u32 s48, s9, s23
	s_add_u32 s12, s25, s12
	s_addc_u32 s25, 0, s27
	s_add_u32 s12, s12, s24
	s_mul_i32 s23, s9, s23
	s_addc_u32 s12, s25, s33
	s_addc_u32 s24, s48, 0
	s_add_u32 s12, s12, s23
	s_addc_u32 s23, 0, s24
	v_add_co_u32 v1, s12, v1, s12
	s_delay_alu instid0(VALU_DEP_1) | instskip(SKIP_1) | instid1(VALU_DEP_1)
	s_cmp_lg_u32 s12, 0
	s_addc_u32 s9, s9, s23
	v_readfirstlane_b32 s12, v1
	s_mul_i32 s23, s19, s9
	s_delay_alu instid0(VALU_DEP_1)
	s_mul_hi_u32 s24, s19, s12
	s_mul_i32 s22, s22, s12
	s_add_i32 s23, s24, s23
	s_mul_i32 s19, s19, s12
	s_add_i32 s23, s23, s22
	s_mul_hi_u32 s24, s9, s19
	s_mul_i32 s25, s9, s19
	s_mul_hi_u32 s19, s12, s19
	s_mul_hi_u32 s27, s12, s23
	s_mul_i32 s12, s12, s23
	s_mul_hi_u32 s22, s9, s23
	s_add_u32 s12, s19, s12
	s_addc_u32 s19, 0, s27
	s_add_u32 s12, s12, s25
	s_mul_i32 s23, s9, s23
	s_addc_u32 s12, s19, s24
	s_addc_u32 s19, s22, 0
	s_add_u32 s12, s12, s23
	s_addc_u32 s19, 0, s19
	v_add_co_u32 v1, s12, v1, s12
	s_delay_alu instid0(VALU_DEP_1) | instskip(SKIP_2) | instid1(VALU_DEP_1)
	s_cmp_lg_u32 s12, 0
	s_addc_u32 s9, s9, s19
	s_ashr_i32 s22, 0, 31
	v_readfirstlane_b32 s12, v1
	s_add_u32 s24, s26, s22
	s_mov_b32 s23, s22
	s_addc_u32 s25, 0, s22
	s_delay_alu instid0(SALU_CYCLE_1) | instskip(NEXT) | instid1(SALU_CYCLE_1)
	s_xor_b64 s[24:25], s[24:25], s[22:23]
	s_mul_i32 s27, s24, s9
	s_mul_hi_u32 s33, s24, s12
	s_mul_hi_u32 s19, s24, s9
	;; [unrolled: 1-line block ×3, first 2 shown]
	s_mul_i32 s12, s25, s12
	s_add_u32 s27, s33, s27
	s_addc_u32 s19, 0, s19
	s_mul_hi_u32 s48, s25, s9
	s_add_u32 s12, s27, s12
	s_mul_i32 s9, s25, s9
	s_addc_u32 s12, s19, s49
	s_addc_u32 s19, s48, 0
	s_add_u32 s9, s12, s9
	s_addc_u32 s12, 0, s19
	s_mul_i32 s48, s20, s9
	s_mul_hi_u32 s19, s20, s9
	s_mul_i32 s33, s20, s12
	v_sub_co_u32 v1, s24, s24, s48
	s_mul_i32 s27, s21, s9
	s_add_i32 s19, s19, s33
	s_delay_alu instid0(SALU_CYCLE_1) | instskip(NEXT) | instid1(VALU_DEP_1)
	s_add_i32 s19, s19, s27
	v_sub_co_u32 v2, s33, v1, s20
	s_sub_i32 s27, s25, s19
	s_cmp_lg_u32 s24, 0
	s_subb_u32 s27, s27, s21
	s_cmp_lg_u32 s33, 0
	v_readfirstlane_b32 s33, v2
	s_subb_u32 s27, s27, 0
	s_delay_alu instid0(SALU_CYCLE_1) | instskip(SKIP_1) | instid1(VALU_DEP_1)
	s_cmp_ge_u32 s27, s21
	s_cselect_b32 s48, -1, 0
	s_cmp_ge_u32 s33, s20
	s_cselect_b32 s33, -1, 0
	s_cmp_eq_u32 s27, s21
	s_cselect_b32 s27, s33, s48
	s_add_u32 s33, s9, 1
	s_addc_u32 s48, s12, 0
	s_add_u32 s49, s9, 2
	s_addc_u32 s50, s12, 0
	s_cmp_lg_u32 s27, 0
	s_cselect_b32 s27, s49, s33
	s_cselect_b32 s33, s50, s48
	s_cmp_lg_u32 s24, 0
	v_readfirstlane_b32 s24, v1
	s_subb_u32 s19, s25, s19
	s_delay_alu instid0(SALU_CYCLE_1) | instskip(SKIP_1) | instid1(VALU_DEP_1)
	s_cmp_ge_u32 s19, s21
	s_cselect_b32 s25, -1, 0
	s_cmp_ge_u32 s24, s20
	s_cselect_b32 s20, -1, 0
	s_cmp_eq_u32 s19, s21
	s_cselect_b32 s19, s20, s25
	s_delay_alu instid0(SALU_CYCLE_1) | instskip(SKIP_3) | instid1(SALU_CYCLE_1)
	s_cmp_lg_u32 s19, 0
	s_cselect_b32 s21, s33, s12
	s_cselect_b32 s20, s27, s9
	s_xor_b64 s[10:11], s[22:23], s[10:11]
	s_xor_b64 s[20:21], s[20:21], s[10:11]
	s_delay_alu instid0(SALU_CYCLE_1)
	s_sub_u32 s56, s20, s10
	s_subb_u32 s57, s21, s11
	s_and_not1_b32 vcc_lo, exec_lo, s8
	s_cbranch_vccnz .LBB22_16
.LBB22_15:
	v_cvt_f32_u32_e32 v1, s46
	s_sub_i32 s9, 0, s46
	s_mov_b32 s57, 0
	s_delay_alu instid0(VALU_DEP_1) | instskip(SKIP_2) | instid1(VALU_DEP_1)
	v_rcp_iflag_f32_e32 v1, v1
	s_waitcnt_depctr 0xfff
	v_mul_f32_e32 v1, 0x4f7ffffe, v1
	v_cvt_u32_f32_e32 v1, v1
	s_delay_alu instid0(VALU_DEP_1) | instskip(NEXT) | instid1(VALU_DEP_1)
	v_readfirstlane_b32 s8, v1
	s_mul_i32 s9, s9, s8
	s_delay_alu instid0(SALU_CYCLE_1) | instskip(NEXT) | instid1(SALU_CYCLE_1)
	s_mul_hi_u32 s9, s8, s9
	s_add_i32 s8, s8, s9
	s_delay_alu instid0(SALU_CYCLE_1) | instskip(NEXT) | instid1(SALU_CYCLE_1)
	s_mul_hi_u32 s8, s26, s8
	s_mul_i32 s9, s8, s46
	s_add_i32 s10, s8, 1
	s_sub_i32 s9, s26, s9
	s_delay_alu instid0(SALU_CYCLE_1)
	s_sub_i32 s11, s9, s46
	s_cmp_ge_u32 s9, s46
	s_cselect_b32 s8, s10, s8
	s_cselect_b32 s9, s11, s9
	s_add_i32 s10, s8, 1
	s_cmp_ge_u32 s9, s46
	s_cselect_b32 s56, s10, s8
.LBB22_16:
	s_clause 0x1
	s_load_b64 s[20:21], s[0:1], 0xe0
	s_load_b128 s[8:11], s[0:1], 0xd0
	s_or_b64 s[24:25], s[56:57], s[44:45]
	s_mov_b32 s24, 0
	s_delay_alu instid0(SALU_CYCLE_1)
	s_cmp_lg_u64 s[24:25], 0
	s_cbranch_scc0 .LBB22_23
; %bb.17:
	s_ashr_i32 s22, s45, 31
	s_delay_alu instid0(SALU_CYCLE_1) | instskip(SKIP_2) | instid1(SALU_CYCLE_1)
	s_add_u32 s48, s44, s22
	s_mov_b32 s23, s22
	s_addc_u32 s49, s45, s22
	s_xor_b64 s[48:49], s[48:49], s[22:23]
	s_delay_alu instid0(SALU_CYCLE_1) | instskip(SKIP_3) | instid1(VALU_DEP_1)
	v_cvt_f32_u32_e32 v1, s48
	v_cvt_f32_u32_e32 v2, s49
	s_sub_u32 s25, 0, s48
	s_subb_u32 s27, 0, s49
	v_fmamk_f32 v1, v2, 0x4f800000, v1
	s_delay_alu instid0(VALU_DEP_1) | instskip(SKIP_2) | instid1(VALU_DEP_1)
	v_rcp_f32_e32 v1, v1
	s_waitcnt_depctr 0xfff
	v_mul_f32_e32 v1, 0x5f7ffffc, v1
	v_mul_f32_e32 v2, 0x2f800000, v1
	s_delay_alu instid0(VALU_DEP_1) | instskip(NEXT) | instid1(VALU_DEP_1)
	v_trunc_f32_e32 v2, v2
	v_fmamk_f32 v1, v2, 0xcf800000, v1
	v_cvt_u32_f32_e32 v2, v2
	s_delay_alu instid0(VALU_DEP_2) | instskip(NEXT) | instid1(VALU_DEP_2)
	v_cvt_u32_f32_e32 v1, v1
	v_readfirstlane_b32 s12, v2
	s_delay_alu instid0(VALU_DEP_2) | instskip(NEXT) | instid1(VALU_DEP_2)
	v_readfirstlane_b32 s19, v1
	s_mul_i32 s33, s25, s12
	s_delay_alu instid0(VALU_DEP_1)
	s_mul_hi_u32 s51, s25, s19
	s_mul_i32 s50, s27, s19
	s_add_i32 s33, s51, s33
	s_mul_i32 s52, s25, s19
	s_add_i32 s33, s33, s50
	s_mul_hi_u32 s51, s19, s52
	s_mul_hi_u32 s53, s12, s52
	s_mul_i32 s50, s12, s52
	s_mul_hi_u32 s52, s19, s33
	s_mul_i32 s19, s19, s33
	s_mul_hi_u32 s54, s12, s33
	s_add_u32 s19, s51, s19
	s_addc_u32 s51, 0, s52
	s_add_u32 s19, s19, s50
	s_mul_i32 s33, s12, s33
	s_addc_u32 s19, s51, s53
	s_addc_u32 s50, s54, 0
	s_add_u32 s19, s19, s33
	s_addc_u32 s33, 0, s50
	v_add_co_u32 v1, s19, v1, s19
	s_delay_alu instid0(VALU_DEP_1) | instskip(SKIP_1) | instid1(VALU_DEP_1)
	s_cmp_lg_u32 s19, 0
	s_addc_u32 s12, s12, s33
	v_readfirstlane_b32 s19, v1
	s_mul_i32 s33, s25, s12
	s_delay_alu instid0(VALU_DEP_1)
	s_mul_hi_u32 s50, s25, s19
	s_mul_i32 s27, s27, s19
	s_add_i32 s33, s50, s33
	s_mul_i32 s25, s25, s19
	s_add_i32 s33, s33, s27
	s_mul_hi_u32 s50, s12, s25
	s_mul_i32 s51, s12, s25
	s_mul_hi_u32 s25, s19, s25
	s_mul_hi_u32 s52, s19, s33
	s_mul_i32 s19, s19, s33
	s_mul_hi_u32 s27, s12, s33
	s_add_u32 s19, s25, s19
	s_addc_u32 s25, 0, s52
	s_add_u32 s19, s19, s51
	s_mul_i32 s33, s12, s33
	s_addc_u32 s19, s25, s50
	s_addc_u32 s25, s27, 0
	s_add_u32 s19, s19, s33
	s_addc_u32 s25, 0, s25
	v_add_co_u32 v1, s19, v1, s19
	s_delay_alu instid0(VALU_DEP_1) | instskip(SKIP_2) | instid1(VALU_DEP_1)
	s_cmp_lg_u32 s19, 0
	s_addc_u32 s12, s12, s25
	s_ashr_i32 s50, s57, 31
	v_readfirstlane_b32 s19, v1
	s_add_u32 s52, s56, s50
	s_mov_b32 s51, s50
	s_addc_u32 s53, s57, s50
	s_delay_alu instid0(SALU_CYCLE_1) | instskip(NEXT) | instid1(SALU_CYCLE_1)
	s_xor_b64 s[52:53], s[52:53], s[50:51]
	s_mul_i32 s27, s52, s12
	s_mul_hi_u32 s33, s52, s19
	s_mul_hi_u32 s25, s52, s12
	;; [unrolled: 1-line block ×3, first 2 shown]
	s_mul_i32 s19, s53, s19
	s_add_u32 s27, s33, s27
	s_addc_u32 s25, 0, s25
	s_mul_hi_u32 s54, s53, s12
	s_add_u32 s19, s27, s19
	s_mul_i32 s12, s53, s12
	s_addc_u32 s19, s25, s55
	s_addc_u32 s25, s54, 0
	s_add_u32 s12, s19, s12
	s_addc_u32 s19, 0, s25
	s_mul_hi_u32 s25, s48, s12
	s_mul_i32 s33, s48, s19
	s_mul_i32 s54, s48, s12
	s_add_i32 s25, s25, s33
	v_sub_co_u32 v1, s33, s52, s54
	s_mul_i32 s27, s49, s12
	s_delay_alu instid0(SALU_CYCLE_1) | instskip(NEXT) | instid1(VALU_DEP_1)
	s_add_i32 s25, s25, s27
	v_sub_co_u32 v2, s52, v1, s48
	s_sub_i32 s27, s53, s25
	s_cmp_lg_u32 s33, 0
	s_subb_u32 s27, s27, s49
	s_cmp_lg_u32 s52, 0
	v_readfirstlane_b32 s52, v2
	s_subb_u32 s27, s27, 0
	s_delay_alu instid0(SALU_CYCLE_1) | instskip(SKIP_1) | instid1(VALU_DEP_1)
	s_cmp_ge_u32 s27, s49
	s_cselect_b32 s54, -1, 0
	s_cmp_ge_u32 s52, s48
	s_cselect_b32 s52, -1, 0
	s_cmp_eq_u32 s27, s49
	s_cselect_b32 s27, s52, s54
	s_add_u32 s52, s12, 1
	s_addc_u32 s54, s19, 0
	s_add_u32 s55, s12, 2
	s_addc_u32 s58, s19, 0
	s_cmp_lg_u32 s27, 0
	s_cselect_b32 s27, s55, s52
	s_cselect_b32 s52, s58, s54
	s_cmp_lg_u32 s33, 0
	v_readfirstlane_b32 s33, v1
	s_subb_u32 s25, s53, s25
	s_delay_alu instid0(SALU_CYCLE_1) | instskip(SKIP_1) | instid1(VALU_DEP_1)
	s_cmp_ge_u32 s25, s49
	s_cselect_b32 s53, -1, 0
	s_cmp_ge_u32 s33, s48
	s_cselect_b32 s33, -1, 0
	s_cmp_eq_u32 s25, s49
	s_cselect_b32 s25, s33, s53
	s_delay_alu instid0(SALU_CYCLE_1) | instskip(SKIP_3) | instid1(SALU_CYCLE_1)
	s_cmp_lg_u32 s25, 0
	s_cselect_b32 s49, s52, s19
	s_cselect_b32 s48, s27, s12
	s_xor_b64 s[22:23], s[50:51], s[22:23]
	s_xor_b64 s[48:49], s[48:49], s[22:23]
	s_delay_alu instid0(SALU_CYCLE_1)
	s_sub_u32 s62, s48, s22
	s_subb_u32 s63, s49, s23
	s_branch .LBB22_24
.LBB22_18:
                                        ; implicit-def: $sgpr2_sgpr3
	s_branch .LBB22_3
.LBB22_19:
                                        ; implicit-def: $sgpr14_sgpr15
	s_load_b128 s[28:31], s[0:1], 0x1d0
	s_branch .LBB22_6
.LBB22_20:
                                        ; implicit-def: $sgpr34_sgpr35
	s_branch .LBB22_9
.LBB22_21:
                                        ; implicit-def: $sgpr40_sgpr41
	s_load_b128 s[44:47], s[0:1], 0x370
	s_branch .LBB22_12
.LBB22_22:
                                        ; implicit-def: $sgpr56_sgpr57
	s_branch .LBB22_15
.LBB22_23:
	s_mov_b32 s24, -1
                                        ; implicit-def: $sgpr62_sgpr63
.LBB22_24:
	s_clause 0x1
	s_load_b64 s[22:23], s[0:1], 0x440
	s_load_b128 s[48:51], s[0:1], 0x430
                                        ; implicit-def: $vgpr47 : SGPR spill to VGPR lane
	s_and_not1_b32 vcc_lo, exec_lo, s24
	s_waitcnt lgkmcnt(0)
	v_writelane_b32 v47, s22, 0
	v_writelane_b32 v47, s23, 1
	s_load_b64 s[22:23], s[0:1], 0x2a0
	v_writelane_b32 v47, s48, 2
	v_writelane_b32 v47, s49, 3
	;; [unrolled: 1-line block ×4, first 2 shown]
	s_waitcnt lgkmcnt(0)
	v_writelane_b32 v47, s22, 6
	v_writelane_b32 v47, s23, 7
	s_clause 0x1
	s_load_b128 s[52:55], s[0:1], 0x290
	s_load_b64 s[22:23], s[0:1], 0x0
	s_cbranch_vccnz .LBB22_26
; %bb.25:
	v_cvt_f32_u32_e32 v1, s44
	s_sub_i32 s19, 0, s44
	s_mov_b32 s63, 0
	s_delay_alu instid0(VALU_DEP_1) | instskip(SKIP_2) | instid1(VALU_DEP_1)
	v_rcp_iflag_f32_e32 v1, v1
	s_waitcnt_depctr 0xfff
	v_mul_f32_e32 v1, 0x4f7ffffe, v1
	v_cvt_u32_f32_e32 v1, v1
	s_delay_alu instid0(VALU_DEP_1) | instskip(NEXT) | instid1(VALU_DEP_1)
	v_readfirstlane_b32 s12, v1
	s_mul_i32 s19, s19, s12
	s_delay_alu instid0(SALU_CYCLE_1) | instskip(NEXT) | instid1(SALU_CYCLE_1)
	s_mul_hi_u32 s19, s12, s19
	s_add_i32 s12, s12, s19
	s_delay_alu instid0(SALU_CYCLE_1) | instskip(NEXT) | instid1(SALU_CYCLE_1)
	s_mul_hi_u32 s12, s56, s12
	s_mul_i32 s19, s12, s44
	s_add_i32 s24, s12, 1
	s_sub_i32 s19, s56, s19
	s_delay_alu instid0(SALU_CYCLE_1)
	s_sub_i32 s25, s19, s44
	s_cmp_ge_u32 s19, s44
	s_cselect_b32 s12, s24, s12
	s_cselect_b32 s19, s25, s19
	s_add_i32 s24, s12, 1
	s_cmp_ge_u32 s19, s44
	s_cselect_b32 s62, s24, s12
.LBB22_26:
	s_clause 0x1
	s_load_b64 s[24:25], s[0:1], 0x360
	s_load_b64 s[0:1], s[0:1], 0x1c0
	s_mov_b32 s69, 0
	s_waitcnt lgkmcnt(0)
	v_writelane_b32 v47, s24, 8
	v_writelane_b32 v47, s25, 9
	;; [unrolled: 1-line block ×4, first 2 shown]
	v_cmp_eq_u32_e64 s0, 0, v0
	s_delay_alu instid0(VALU_DEP_1)
	s_and_saveexec_b32 s1, s0
	s_cbranch_execz .LBB22_28
; %bb.27:
	v_dual_mov_b32 v1, 0 :: v_dual_mov_b32 v4, s37
	s_delay_alu instid0(VALU_DEP_1)
	v_dual_mov_b32 v3, s36 :: v_dual_mov_b32 v2, v1
	ds_store_b32 v1, v1 offset:5136
	ds_store_b128 v1, v[1:4] offset:5120
.LBB22_28:
	s_or_b32 exec_lo, exec_lo, s1
	s_mul_i32 s1, s14, s5
	s_mul_hi_u32 s5, s14, s4
	s_mul_i32 s9, s14, s9
	s_add_i32 s1, s5, s1
	s_mul_i32 s5, s15, s4
	s_mul_i32 s4, s14, s4
	s_add_i32 s1, s1, s5
	s_sub_u32 s4, s2, s4
	s_subb_u32 s1, s3, s1
	s_mul_i32 s5, s4, s11
	s_mul_hi_u32 s11, s4, s10
	s_mul_i32 s1, s1, s10
	s_add_i32 s5, s11, s5
	s_mul_hi_u32 s11, s14, s8
	s_add_i32 s5, s5, s1
	s_add_i32 s1, s11, s9
	s_mul_i32 s9, s15, s8
	s_mul_i32 s11, s2, s7
	s_mul_hi_u32 s12, s2, s6
	s_add_i32 s7, s1, s9
	s_add_i32 s1, s12, s11
	s_mul_i32 s3, s3, s6
	s_mul_i32 s2, s2, s6
	s_add_i32 s1, s1, s3
	s_sub_u32 s2, s26, s2
	s_subb_u32 s1, 0, s1
	s_mul_i32 s3, s2, s21
	s_mul_hi_u32 s6, s2, s20
	s_mul_i32 s1, s1, s20
	s_add_i32 s3, s6, s3
	s_mul_i32 s6, s14, s8
	s_mul_i32 s4, s4, s10
	s_lshl_b64 s[6:7], s[6:7], 2
	s_add_i32 s3, s3, s1
	s_add_u32 s1, s22, s6
	s_addc_u32 s10, s23, s7
	s_lshl_b64 s[8:9], s[4:5], 2
	s_waitcnt lgkmcnt(0)
	s_barrier
	buffer_gl0_inv
	s_load_b32 s5, s[16:17], 0xc
	v_lshlrev_b32_e32 v39, 4, v0
	v_mbcnt_lo_u32_b32 v36, -1, 0
	v_mad_u64_u32 v[2:3], null, v0, s42, 0
	s_mul_i32 s2, s2, s20
	s_delay_alu instid0(VALU_DEP_3)
	v_or_b32_e32 v11, 12, v39
	v_or_b32_e32 v12, 8, v39
	s_add_u32 s1, s1, s8
	s_addc_u32 s4, s10, s9
	s_lshl_b64 s[10:11], s[2:3], 2
	v_lshrrev_b32_e32 v6, 3, v0
	s_add_u32 s72, s1, s10
	v_cmp_gt_u32_e32 vcc_lo, 32, v0
	v_cmp_gt_i32_e64 s1, 4, v36
	v_mad_u64_u32 v[18:19], null, s42, v11, 0
	v_mad_u64_u32 v[20:21], null, s42, v12, 0
	v_or_b32_e32 v24, 4, v39
	v_dual_mov_b32 v13, 0 :: v_dual_and_b32 v38, 0x7c, v6
	v_lshlrev_b64 v[6:7], v36, -1
	v_dual_mov_b32 v1, v3 :: v_dual_lshlrev_b32 v14, 2, v0
	s_addc_u32 s73, s4, s11
	s_waitcnt lgkmcnt(0)
	s_and_b32 s27, s5, 0xffff
	s_and_b32 s33, vcc_lo, s1
	s_bfe_u32 s12, s5, 0xb0005
	s_add_u32 s93, s27, -1
	s_addc_u32 s94, 0, -1
	v_mad_u64_u32 v[22:23], null, s42, v24, 0
	s_add_u32 s95, s93, s36
	v_mad_u64_u32 v[3:4], null, v0, s43, v[1:2]
	v_mov_b32_e32 v1, v13
	s_addc_u32 s25, s94, s37
	v_not_b32_e32 v40, v6
	v_dual_mov_b32 v6, v19 :: v_dual_mov_b32 v7, v21
	s_cmp_lt_u32 s13, s18
	v_dual_mov_b32 v8, v23 :: v_dual_add_nc_u32 v37, 0xc00, v14
	s_cselect_b32 s13, 12, 18
	s_delay_alu instid0(VALU_DEP_2)
	v_mad_u64_u32 v[9:10], null, s43, v11, v[6:7]
	s_add_u32 s74, s16, s13
	s_addc_u32 s75, s17, 0
	s_add_i32 s13, s12, -1
	s_bfe_u32 s96, s27, 0x30005
	s_cmp_gt_u32 s13, 6
	v_lshlrev_b64 v[4:5], 2, v[2:3]
	s_cselect_b32 s97, -1, 0
	s_and_b32 s98, s12, 0x7f8
	s_cmp_lg_u32 s96, 0
	v_mad_u64_u32 v[10:11], null, s43, v12, v[7:8]
	v_cmp_gt_u16_e64 s99, s5, 31
	s_cselect_b32 s100, -1, 0
	s_add_u32 s5, s6, s10
	v_mad_u64_u32 v[6:7], null, s43, v24, v[8:9]
	s_addc_u32 s6, s7, s11
	s_add_u32 s5, s5, s8
	v_add_co_u32 v16, vcc_lo, s72, v4
	s_addc_u32 s6, s6, s9
	s_add_u32 s76, s22, s5
	v_add_co_ci_u32_e32 v17, vcc_lo, s73, v5, vcc_lo
	v_add_co_u32 v42, s5, s36, v0
	s_addc_u32 s77, s23, s6
	v_mov_b32_e32 v21, v10
	v_add_co_u32 v10, vcc_lo, s76, v4
	v_cmp_lt_i64_e64 s92, 0x300, s[36:37]
	v_cmp_gt_u64_e64 s4, s[36:37], v[0:1]
	v_cmp_gt_i64_e64 s1, s[36:37], v[0:1]
	v_lshlrev_b64 v[23:24], 4, v[2:3]
	v_add_co_ci_u32_e64 v43, null, s37, 0, s5
	s_mul_i32 s5, s43, s27
	s_mul_hi_u32 s6, s42, s27
	v_cmp_eq_u32_e64 s2, 0, v36
	v_cmp_gt_u32_e64 s3, 2, v0
	v_mov_b32_e32 v15, v13
	v_mov_b32_e32 v19, v9
	;; [unrolled: 1-line block ×3, first 2 shown]
	v_lshl_or_b32 v44, v36, 3, 0xc00
	v_add_co_ci_u32_e32 v11, vcc_lo, s77, v5, vcc_lo
	v_mov_b32_e32 v25, 1
	v_cvt_f32_ubyte0_e32 v45, 0
	v_mov_b32_e32 v27, 0
	s_add_i32 s7, s6, s5
	s_mul_i32 s6, s42, s27
	s_lshl_b64 s[78:79], s[42:43], 2
	s_lshl_b64 s[80:81], s[42:43], 4
	;; [unrolled: 1-line block ×3, first 2 shown]
	s_lshl_b32 s101, s27, 2
	s_mov_b32 vcc_hi, 30
	s_mov_b32 s102, 0
	s_mov_b32 s65, 0
	s_mov_b32 s60, 0
	s_mov_b32 s59, 0
                                        ; implicit-def: $sgpr103
                                        ; implicit-def: $sgpr64
                                        ; implicit-def: $sgpr104
                                        ; implicit-def: $sgpr67
                                        ; implicit-def: $sgpr58
                                        ; implicit-def: $sgpr66
	s_branch .LBB22_33
.LBB22_29:                              ;   in Loop: Header=BB22_33 Depth=1
	s_xor_b32 s65, s65, 1
	s_add_i32 s8, vcc_hi, -2
	s_cmp_eq_u32 vcc_hi, 0
	s_mov_b32 s5, 0
	s_cselect_b32 s7, -1, 0
	s_mov_b32 vcc_hi, s8
.LBB22_30:                              ;   in Loop: Header=BB22_33 Depth=1
	s_and_not1_b32 s8, s15, exec_lo
	s_and_b32 s5, s5, exec_lo
	s_and_not1_b32 s21, s21, exec_lo
	s_or_b32 s15, s8, s5
	s_and_not1_b32 s14, s14, exec_lo
	s_or_not1_b32 s17, s7, exec_lo
.LBB22_31:                              ;   in Loop: Header=BB22_33 Depth=1
	s_or_b32 exec_lo, exec_lo, s6
	s_delay_alu instid0(SALU_CYCLE_1)
	s_and_not1_b32 s5, s66, exec_lo
	s_and_b32 s6, s15, exec_lo
	s_and_not1_b32 s7, s67, exec_lo
	s_or_b32 s66, s5, s6
	s_and_not1_b32 s5, s58, exec_lo
	s_and_b32 s6, s21, exec_lo
	s_and_b32 s8, s14, exec_lo
	s_or_b32 s58, s5, s6
	s_or_b32 s67, s7, s8
	s_or_not1_b32 s21, s17, exec_lo
.LBB22_32:                              ;   in Loop: Header=BB22_33 Depth=1
	s_or_b32 exec_lo, exec_lo, s16
	s_delay_alu instid0(SALU_CYCLE_1)
	s_and_b32 s5, exec_lo, s21
	v_mov_b32_e32 v2, s60
	s_or_b32 s102, s5, s102
	s_and_not1_b32 s5, s104, exec_lo
	s_and_b32 s6, s66, exec_lo
	s_and_not1_b32 s7, s103, exec_lo
	s_or_b32 s104, s5, s6
	s_and_not1_b32 s5, s64, exec_lo
	s_and_b32 s6, s58, exec_lo
	s_and_b32 s8, s67, exec_lo
	s_or_b32 s64, s5, s6
	s_or_b32 s103, s7, s8
	s_and_not1_b32 exec_lo, exec_lo, s102
	s_cbranch_execz .LBB22_302
.LBB22_33:                              ; =>This Loop Header: Depth=1
                                        ;     Child Loop BB22_41 Depth 2
                                        ;     Child Loop BB22_60 Depth 2
	;; [unrolled: 1-line block ×16, first 2 shown]
	ds_load_b128 v[2:5], v13 offset:5120
	s_waitcnt lgkmcnt(0)
	v_readfirstlane_b32 s83, v3
	v_readfirstlane_b32 s82, v2
	s_delay_alu instid0(VALU_DEP_1) | instskip(NEXT) | instid1(VALU_DEP_1)
	v_cmp_gt_i64_e64 s5, s[82:83], 0
	s_and_b32 vcc_lo, exec_lo, s5
	s_cbranch_vccnz .LBB22_67
; %bb.34:                               ;   in Loop: Header=BB22_33 Depth=1
	s_and_b32 vcc_lo, exec_lo, s92
	s_cbranch_vccz .LBB22_49
; %bb.35:                               ;   in Loop: Header=BB22_33 Depth=1
	v_cmp_gt_i64_e32 vcc_lo, 0x301, v[4:5]
	s_mov_b32 s7, 0
	s_mov_b32 s5, 0
	s_cbranch_vccz .LBB22_54
; %bb.36:                               ;   in Loop: Header=BB22_33 Depth=1
	v_mov_b32_e32 v6, 0
	s_and_saveexec_b32 s5, s4
	s_cbranch_execz .LBB22_38
; %bb.37:                               ;   in Loop: Header=BB22_33 Depth=1
	global_load_b32 v6, v[16:17], off
.LBB22_38:                              ;   in Loop: Header=BB22_33 Depth=1
	s_or_b32 exec_lo, exec_lo, s5
	s_and_saveexec_b32 s8, s4
	s_cbranch_execz .LBB22_50
; %bb.39:                               ;   in Loop: Header=BB22_33 Depth=1
	global_load_u16 v7, v13, s[74:75]
	s_mov_b32 s11, 0
	s_waitcnt vmcnt(0)
	v_readfirstlane_b32 s5, v7
	v_and_b32_e32 v7, 0xffff, v7
	s_delay_alu instid0(VALU_DEP_2) | instskip(NEXT) | instid1(SALU_CYCLE_1)
	s_and_b32 s5, 0xffff, s5
	v_add_nc_u32_e32 v8, s5, v0
	s_mul_i32 s6, s79, s5
	s_mul_hi_u32 s9, s78, s5
	s_mul_i32 s10, s78, s5
	s_add_i32 s9, s9, s6
	v_mad_u64_u32 v[2:3], null, s78, v8, s[76:77]
	s_delay_alu instid0(VALU_DEP_1) | instskip(NEXT) | instid1(VALU_DEP_1)
	v_mad_u64_u32 v[4:5], null, s79, v8, v[3:4]
	v_mov_b32_e32 v3, v4
	v_dual_mov_b32 v5, v1 :: v_dual_mov_b32 v4, v0
	s_branch .LBB22_41
.LBB22_40:                              ;   in Loop: Header=BB22_41 Depth=2
	s_or_b32 exec_lo, exec_lo, s6
	v_add_co_u32 v2, vcc_lo, v2, s10
	v_add_co_ci_u32_e32 v3, vcc_lo, s9, v3, vcc_lo
	s_waitcnt vmcnt(0)
	v_mov_b32_e32 v6, v8
	s_and_not1_b32 exec_lo, exec_lo, s11
	s_cbranch_execz .LBB22_50
.LBB22_41:                              ;   Parent Loop BB22_33 Depth=1
                                        ; =>  This Inner Loop Header: Depth=2
	s_delay_alu instid0(VALU_DEP_1) | instskip(NEXT) | instid1(VALU_DEP_2)
	v_add_co_u32 v4, vcc_lo, v4, v7
	v_add_co_ci_u32_e32 v5, vcc_lo, 0, v5, vcc_lo
	s_waitcnt lgkmcnt(0)
	v_dual_mov_b32 v9, 0 :: v_dual_mov_b32 v8, 0
	s_mov_b32 s6, exec_lo
	s_delay_alu instid0(VALU_DEP_2)
	v_cmp_le_i64_e32 vcc_lo, s[36:37], v[4:5]
	v_cmpx_gt_i64_e64 s[36:37], v[4:5]
	s_cbranch_execz .LBB22_43
; %bb.42:                               ;   in Loop: Header=BB22_41 Depth=2
	global_load_b32 v8, v[2:3], off
.LBB22_43:                              ;   in Loop: Header=BB22_41 Depth=2
	s_or_b32 exec_lo, exec_lo, s6
	v_xor_b32_e32 v12, 0x80000000, v6
	s_delay_alu instid0(VALU_DEP_1) | instskip(NEXT) | instid1(VALU_DEP_1)
	v_and_b32_e32 v12, s59, v12
	v_cmp_eq_u32_e64 s5, s60, v12
	s_delay_alu instid0(VALU_DEP_1) | instskip(SKIP_1) | instid1(SALU_CYCLE_1)
	s_cmp_lg_u32 s5, 0
	s_cselect_b32 s6, -1, 0
	s_and_b32 s6, s2, s6
	s_delay_alu instid0(SALU_CYCLE_1)
	s_and_saveexec_b32 s12, s6
	s_cbranch_execz .LBB22_47
; %bb.44:                               ;   in Loop: Header=BB22_41 Depth=2
	s_mov_b32 s15, exec_lo
	s_bcnt1_i32_b32 s13, s5
	v_mbcnt_lo_u32_b32 v9, s15, 0
	s_mov_b32 s14, exec_lo
                                        ; implicit-def: $vgpr12
	s_delay_alu instid0(VALU_DEP_1)
	v_cmpx_eq_u32_e32 0, v9
	s_cbranch_execz .LBB22_46
; %bb.45:                               ;   in Loop: Header=BB22_41 Depth=2
	s_bcnt1_i32_b32 s6, s15
	s_delay_alu instid0(SALU_CYCLE_1) | instskip(NEXT) | instid1(SALU_CYCLE_1)
	s_mul_i32 s6, s13, s6
	v_mov_b32_e32 v12, s6
	ds_add_rtn_u32 v12, v13, v12 offset:5136
.LBB22_46:                              ;   in Loop: Header=BB22_41 Depth=2
	s_or_b32 exec_lo, exec_lo, s14
	s_waitcnt lgkmcnt(0)
	v_readfirstlane_b32 s6, v12
	s_delay_alu instid0(VALU_DEP_1)
	v_mad_u32_u24 v9, s13, v9, s6
.LBB22_47:                              ;   in Loop: Header=BB22_41 Depth=2
	s_or_b32 exec_lo, exec_lo, s12
	ds_bpermute_b32 v9, v13, v9
	s_and_b32 s6, exec_lo, vcc_lo
	s_delay_alu instid0(SALU_CYCLE_1)
	s_or_b32 s11, s6, s11
	s_and_saveexec_b32 s6, s5
	s_cbranch_execz .LBB22_40
; %bb.48:                               ;   in Loop: Header=BB22_41 Depth=2
	v_and_b32_e32 v12, s5, v40
	s_delay_alu instid0(VALU_DEP_1) | instskip(NEXT) | instid1(VALU_DEP_1)
	v_bcnt_u32_b32 v12, v12, 0
	v_lshlrev_b32_e32 v12, 2, v12
	s_waitcnt lgkmcnt(0)
	s_delay_alu instid0(VALU_DEP_1)
	v_lshl_add_u32 v9, v9, 2, v12
	ds_store_b32 v9, v6
	s_branch .LBB22_40
.LBB22_49:                              ;   in Loop: Header=BB22_33 Depth=1
	s_mov_b32 s7, -1
	s_mov_b32 s5, 0
	s_branch .LBB22_53
.LBB22_50:                              ;   in Loop: Header=BB22_33 Depth=1
	s_or_b32 exec_lo, exec_lo, s8
	s_waitcnt vmcnt(0) lgkmcnt(0)
	s_barrier
	buffer_gl0_inv
	s_and_saveexec_b32 s5, s0
	s_cbranch_execz .LBB22_52
; %bb.51:                               ;   in Loop: Header=BB22_33 Depth=1
	ds_load_b32 v2, v13 offset:5136
	s_waitcnt lgkmcnt(0)
	v_ashrrev_i32_e32 v3, 31, v2
	ds_store_b64 v13, v[2:3] offset:5120
.LBB22_52:                              ;   in Loop: Header=BB22_33 Depth=1
	s_or_b32 exec_lo, exec_lo, s5
	s_waitcnt lgkmcnt(0)
	s_mov_b32 s5, -1
	s_barrier
.LBB22_53:                              ;   in Loop: Header=BB22_33 Depth=1
                                        ; implicit-def: $sgpr82_sgpr83
.LBB22_54:                              ;   in Loop: Header=BB22_33 Depth=1
	s_and_b32 vcc_lo, exec_lo, s7
	s_cbranch_vccz .LBB22_65
; %bb.55:                               ;   in Loop: Header=BB22_33 Depth=1
	v_mov_b32_e32 v6, 0
	s_and_saveexec_b32 s5, s1
	s_cbranch_execz .LBB22_57
; %bb.56:                               ;   in Loop: Header=BB22_33 Depth=1
	global_load_b32 v6, v[16:17], off
.LBB22_57:                              ;   in Loop: Header=BB22_33 Depth=1
	s_or_b32 exec_lo, exec_lo, s5
	s_and_saveexec_b32 s6, s1
	s_cbranch_execz .LBB22_62
; %bb.58:                               ;   in Loop: Header=BB22_33 Depth=1
	global_load_u16 v8, v13, s[74:75]
	s_mov_b32 s10, 0
	s_waitcnt vmcnt(0)
	v_readfirstlane_b32 s5, v8
	v_and_b32_e32 v8, 0xffff, v8
	s_delay_alu instid0(VALU_DEP_2) | instskip(NEXT) | instid1(SALU_CYCLE_1)
	s_and_b32 s5, 0xffff, s5
	v_add_nc_u32_e32 v7, s5, v0
	s_mul_i32 s8, s79, s5
	s_mul_hi_u32 s9, s78, s5
	s_lshl_b32 s7, s5, 2
	s_add_i32 s8, s9, s8
	v_mad_u64_u32 v[2:3], null, s78, v7, s[76:77]
	s_mul_i32 s9, s78, s5
	s_delay_alu instid0(VALU_DEP_1) | instskip(SKIP_1) | instid1(VALU_DEP_2)
	v_mad_u64_u32 v[4:5], null, s79, v7, v[3:4]
	v_mov_b32_e32 v7, v14
	v_mov_b32_e32 v3, v4
	v_dual_mov_b32 v5, v1 :: v_dual_mov_b32 v4, v0
	s_branch .LBB22_60
	.p2align	6
.LBB22_59:                              ;   in Loop: Header=BB22_60 Depth=2
	s_or_b32 exec_lo, exec_lo, s11
	s_delay_alu instid0(SALU_CYCLE_1)
	s_and_b32 s5, exec_lo, vcc_lo
	v_add_co_u32 v2, vcc_lo, v2, s9
	ds_store_b32 v7, v6
	s_waitcnt vmcnt(0)
	v_dual_mov_b32 v6, v9 :: v_dual_add_nc_u32 v7, s7, v7
	v_add_co_ci_u32_e32 v3, vcc_lo, s8, v3, vcc_lo
	s_or_b32 s10, s5, s10
	s_delay_alu instid0(SALU_CYCLE_1)
	s_and_not1_b32 exec_lo, exec_lo, s10
	s_cbranch_execz .LBB22_62
.LBB22_60:                              ;   Parent Loop BB22_33 Depth=1
                                        ; =>  This Inner Loop Header: Depth=2
	s_delay_alu instid0(VALU_DEP_1) | instskip(NEXT) | instid1(VALU_DEP_2)
	v_add_co_u32 v4, vcc_lo, v4, v8
	v_add_co_ci_u32_e32 v5, vcc_lo, 0, v5, vcc_lo
	v_mov_b32_e32 v9, 0
	s_mov_b32 s11, exec_lo
	s_delay_alu instid0(VALU_DEP_2)
	v_cmp_le_i64_e32 vcc_lo, s[36:37], v[4:5]
	v_cmpx_gt_i64_e64 s[36:37], v[4:5]
	s_cbranch_execz .LBB22_59
; %bb.61:                               ;   in Loop: Header=BB22_60 Depth=2
	global_load_b32 v9, v[2:3], off
	s_branch .LBB22_59
.LBB22_62:                              ;   in Loop: Header=BB22_33 Depth=1
	s_or_b32 exec_lo, exec_lo, s6
	s_waitcnt vmcnt(0) lgkmcnt(0)
	s_barrier
	buffer_gl0_inv
	s_and_saveexec_b32 s5, s0
	s_cbranch_execz .LBB22_64
; %bb.63:                               ;   in Loop: Header=BB22_33 Depth=1
	v_dual_mov_b32 v2, s36 :: v_dual_mov_b32 v3, s37
	ds_store_b64 v13, v[2:3] offset:5120
.LBB22_64:                              ;   in Loop: Header=BB22_33 Depth=1
	s_or_b32 exec_lo, exec_lo, s5
	s_mov_b32 s5, -1
	s_waitcnt lgkmcnt(0)
	s_barrier
                                        ; implicit-def: $sgpr82_sgpr83
.LBB22_65:                              ;   in Loop: Header=BB22_33 Depth=1
	s_and_b32 vcc_lo, exec_lo, s5
	s_cbranch_vccz .LBB22_67
; %bb.66:                               ;   in Loop: Header=BB22_33 Depth=1
	buffer_gl0_inv
	ds_load_b64 v[2:3], v13 offset:5120
	s_waitcnt lgkmcnt(0)
	v_readfirstlane_b32 s82, v2
.LBB22_67:                              ;   in Loop: Header=BB22_33 Depth=1
	s_delay_alu instid0(VALU_DEP_1)
	s_cmp_lt_i32 s82, 1
	s_cbranch_scc0 .LBB22_82
; %bb.68:                               ;   in Loop: Header=BB22_33 Depth=1
	global_load_u16 v4, v13, s[74:75]
	s_mov_b32 s6, s69
	s_mov_b32 s7, s37
	s_waitcnt vmcnt(0)
	v_readfirstlane_b32 s5, v4
	s_delay_alu instid0(VALU_DEP_1) | instskip(NEXT) | instid1(SALU_CYCLE_1)
	s_and_b32 s5, 0xffff, s5
	s_lshl_b32 s24, s5, 2
	s_cmp_lg_u64 s[6:7], 0
	s_cbranch_scc0 .LBB22_102
; %bb.69:                               ;   in Loop: Header=BB22_33 Depth=1
	v_cvt_f32_u32_e32 v2, s24
	s_sub_u32 s7, 0, s24
	s_subb_u32 s8, 0, 0
	s_delay_alu instid0(VALU_DEP_1) | instskip(NEXT) | instid1(VALU_DEP_1)
	v_fmac_f32_e32 v2, 0x4f800000, v45
	v_rcp_f32_e32 v2, v2
	s_waitcnt_depctr 0xfff
	v_mul_f32_e32 v2, 0x5f7ffffc, v2
	s_delay_alu instid0(VALU_DEP_1) | instskip(NEXT) | instid1(VALU_DEP_1)
	v_mul_f32_e32 v3, 0x2f800000, v2
	v_trunc_f32_e32 v3, v3
	s_delay_alu instid0(VALU_DEP_1) | instskip(SKIP_1) | instid1(VALU_DEP_2)
	v_fmac_f32_e32 v2, 0xcf800000, v3
	v_cvt_u32_f32_e32 v3, v3
	v_cvt_u32_f32_e32 v2, v2
	s_delay_alu instid0(VALU_DEP_2) | instskip(NEXT) | instid1(VALU_DEP_2)
	v_readfirstlane_b32 s5, v3
	v_readfirstlane_b32 s6, v2
	s_delay_alu instid0(VALU_DEP_2) | instskip(NEXT) | instid1(VALU_DEP_1)
	s_mul_i32 s9, s7, s5
	s_mul_hi_u32 s11, s7, s6
	s_mul_i32 s10, s8, s6
	s_add_i32 s9, s11, s9
	s_mul_i32 s12, s7, s6
	s_add_i32 s9, s9, s10
	s_mul_hi_u32 s11, s6, s12
	s_mul_hi_u32 s13, s5, s12
	s_mul_i32 s10, s5, s12
	s_mul_hi_u32 s12, s6, s9
	s_mul_i32 s6, s6, s9
	s_mul_hi_u32 s14, s5, s9
	s_add_u32 s6, s11, s6
	s_addc_u32 s11, 0, s12
	s_add_u32 s6, s6, s10
	s_mul_i32 s9, s5, s9
	s_addc_u32 s6, s11, s13
	s_addc_u32 s10, s14, 0
	s_add_u32 s6, s6, s9
	s_addc_u32 s9, 0, s10
	v_add_co_u32 v2, s6, v2, s6
	s_delay_alu instid0(VALU_DEP_1) | instskip(SKIP_1) | instid1(VALU_DEP_1)
	s_cmp_lg_u32 s6, 0
	s_addc_u32 s5, s5, s9
	v_readfirstlane_b32 s6, v2
	s_mul_i32 s9, s7, s5
	s_delay_alu instid0(VALU_DEP_1)
	s_mul_hi_u32 s10, s7, s6
	s_mul_i32 s8, s8, s6
	s_add_i32 s9, s10, s9
	s_mul_i32 s7, s7, s6
	s_add_i32 s9, s9, s8
	s_mul_hi_u32 s10, s5, s7
	s_mul_i32 s11, s5, s7
	s_mul_hi_u32 s7, s6, s7
	s_mul_hi_u32 s12, s6, s9
	s_mul_i32 s6, s6, s9
	s_mul_hi_u32 s8, s5, s9
	s_add_u32 s6, s7, s6
	s_addc_u32 s7, 0, s12
	s_add_u32 s6, s6, s11
	s_mul_i32 s9, s5, s9
	s_addc_u32 s6, s7, s10
	s_addc_u32 s7, s8, 0
	s_add_u32 s6, s6, s9
	s_addc_u32 s7, 0, s7
	v_add_co_u32 v2, s6, v2, s6
	s_delay_alu instid0(VALU_DEP_1) | instskip(SKIP_2) | instid1(VALU_DEP_1)
	s_cmp_lg_u32 s6, 0
	s_addc_u32 s5, s5, s7
	s_ashr_i32 s6, s37, 31
	v_readfirstlane_b32 s10, v2
	s_add_u32 s8, s36, s6
	s_mov_b32 s7, s6
	s_addc_u32 s9, s37, s6
	s_delay_alu instid0(SALU_CYCLE_1) | instskip(NEXT) | instid1(SALU_CYCLE_1)
	s_xor_b64 s[8:9], s[8:9], s[6:7]
	s_mul_i32 s11, s8, s5
	s_mul_hi_u32 s12, s8, s10
	s_mul_hi_u32 s7, s8, s5
	;; [unrolled: 1-line block ×3, first 2 shown]
	s_mul_i32 s10, s9, s10
	s_add_u32 s11, s12, s11
	s_addc_u32 s7, 0, s7
	s_mul_hi_u32 s13, s9, s5
	s_add_u32 s10, s11, s10
	s_mul_i32 s5, s9, s5
	s_addc_u32 s7, s7, s14
	s_addc_u32 s10, s13, 0
	s_add_u32 s5, s7, s5
	s_addc_u32 s7, 0, s10
	s_mul_hi_u32 s10, s24, s5
	s_mul_i32 s5, s24, s5
	s_mul_i32 s7, s24, s7
	v_sub_co_u32 v2, s5, s8, s5
	s_add_i32 s10, s10, s7
	s_cmp_lg_u32 s5, 0
	s_delay_alu instid0(VALU_DEP_1) | instskip(SKIP_2) | instid1(VALU_DEP_1)
	v_sub_co_u32 v3, s5, v2, s24
	s_subb_u32 s7, s9, s10
	s_cmp_lg_u32 s5, 0
	v_cmp_le_u32_e32 vcc_lo, s24, v3
	v_sub_co_u32 v5, s5, v3, s24
	s_subb_u32 s8, s7, 0
	s_cmp_lg_u32 s5, 0
	v_cndmask_b32_e64 v6, 0, -1, vcc_lo
	s_subb_u32 s5, s8, 0
	s_cmp_eq_u32 s8, 0
	v_mov_b32_e32 v8, s5
	s_cselect_b32 vcc_lo, -1, 0
	s_cmp_eq_u32 s7, 0
	v_cndmask_b32_e32 v6, -1, v6, vcc_lo
	v_cmp_le_u32_e32 vcc_lo, s24, v2
	s_cselect_b32 s5, -1, 0
	v_cndmask_b32_e64 v7, 0, -1, vcc_lo
	s_delay_alu instid0(VALU_DEP_3) | instskip(NEXT) | instid1(VALU_DEP_2)
	v_cmp_ne_u32_e32 vcc_lo, 0, v6
	v_cndmask_b32_e64 v6, -1, v7, s5
	v_cndmask_b32_e32 v7, s8, v8, vcc_lo
	v_cndmask_b32_e32 v3, v3, v5, vcc_lo
	s_delay_alu instid0(VALU_DEP_3) | instskip(NEXT) | instid1(VALU_DEP_2)
	v_cmp_ne_u32_e32 vcc_lo, 0, v6
	v_cndmask_b32_e32 v2, v2, v3, vcc_lo
	s_delay_alu instid0(VALU_DEP_4) | instskip(NEXT) | instid1(VALU_DEP_2)
	v_cndmask_b32_e32 v5, s7, v7, vcc_lo
	v_xor_b32_e32 v2, s6, v2
	s_delay_alu instid0(VALU_DEP_2) | instskip(NEXT) | instid1(VALU_DEP_2)
	v_xor_b32_e32 v3, s6, v5
	v_sub_co_u32 v28, vcc_lo, v2, s6
	s_delay_alu instid0(VALU_DEP_2)
	v_subrev_co_ci_u32_e32 v29, vcc_lo, s6, v3, vcc_lo
	s_cbranch_execnz .LBB22_71
.LBB22_70:                              ;   in Loop: Header=BB22_33 Depth=1
	v_cvt_f32_u32_e32 v2, s24
	s_sub_i32 s5, 0, s24
	s_delay_alu instid0(VALU_DEP_1) | instskip(SKIP_2) | instid1(VALU_DEP_1)
	v_rcp_iflag_f32_e32 v2, v2
	s_waitcnt_depctr 0xfff
	v_mul_f32_e32 v2, 0x4f7ffffe, v2
	v_cvt_u32_f32_e32 v2, v2
	s_delay_alu instid0(VALU_DEP_1) | instskip(NEXT) | instid1(VALU_DEP_1)
	v_mul_lo_u32 v3, s5, v2
	v_mul_hi_u32 v3, v2, v3
	s_delay_alu instid0(VALU_DEP_1) | instskip(NEXT) | instid1(VALU_DEP_1)
	v_add_nc_u32_e32 v2, v2, v3
	v_mul_hi_u32 v2, s36, v2
	s_delay_alu instid0(VALU_DEP_1) | instskip(NEXT) | instid1(VALU_DEP_1)
	v_mul_lo_u32 v2, v2, s24
	v_sub_nc_u32_e32 v2, s36, v2
	s_delay_alu instid0(VALU_DEP_1) | instskip(SKIP_1) | instid1(VALU_DEP_2)
	v_subrev_nc_u32_e32 v3, s24, v2
	v_cmp_le_u32_e32 vcc_lo, s24, v2
	v_cndmask_b32_e32 v2, v2, v3, vcc_lo
	s_delay_alu instid0(VALU_DEP_1) | instskip(SKIP_1) | instid1(VALU_DEP_2)
	v_subrev_nc_u32_e32 v3, s24, v2
	v_cmp_le_u32_e32 vcc_lo, s24, v2
	v_cndmask_b32_e32 v12, v2, v3, vcc_lo
	s_delay_alu instid0(VALU_DEP_1)
	v_dual_mov_b32 v29, v13 :: v_dual_mov_b32 v28, v12
.LBB22_71:                              ;   in Loop: Header=BB22_33 Depth=1
	v_mov_b32_e32 v2, 0
	v_dual_mov_b32 v3, 0 :: v_dual_and_b32 v12, 0xffff, v4
	s_delay_alu instid0(VALU_DEP_3) | instskip(NEXT) | instid1(VALU_DEP_4)
	v_sub_co_u32 v30, vcc_lo, s36, v28
	v_sub_co_ci_u32_e32 v31, vcc_lo, s37, v29, vcc_lo
	s_delay_alu instid0(VALU_DEP_3)
	v_dual_mov_b32 v5, v3 :: v_dual_mov_b32 v4, v2
	v_dual_mov_b32 v7, v3 :: v_dual_mov_b32 v6, v2
	;; [unrolled: 1-line block ×3, first 2 shown]
	s_mov_b64 s[84:85], 0
	s_mov_b32 s61, exec_lo
	v_cmpx_gt_i64_e64 v[30:31], v[14:15]
	s_cbranch_execz .LBB22_75
; %bb.72:                               ;   in Loop: Header=BB22_33 Depth=1
	v_mul_lo_u32 v2, s81, v12
	v_mul_hi_u32 v3, s80, v12
	v_mul_lo_u32 v26, s80, v12
	v_dual_mov_b32 v32, s72 :: v_dual_mov_b32 v33, s73
	v_dual_mov_b32 v35, v15 :: v_dual_mov_b32 v34, v14
	s_and_b32 s68, vcc_hi, 0xfe
	s_mov_b32 s83, 0
	s_delay_alu instid0(VALU_DEP_4)
	v_add_nc_u32_e32 v46, v3, v2
	s_mov_b64 s[86:87], 0
	s_mov_b64 s[88:89], 0
	;; [unrolled: 1-line block ×3, first 2 shown]
.LBB22_73:                              ;   Parent Loop BB22_33 Depth=1
                                        ; =>  This Inner Loop Header: Depth=2
	v_add_co_u32 v2, vcc_lo, v32, v23
	v_add_co_ci_u32_e32 v3, vcc_lo, v33, v24, vcc_lo
	global_load_b32 v4, v[2:3], off
	v_add_co_u32 v2, vcc_lo, v32, v22
	v_add_co_ci_u32_e32 v3, vcc_lo, v33, v41, vcc_lo
	global_load_b32 v5, v[2:3], off
	v_add_co_u32 v2, vcc_lo, v32, v20
	v_add_co_ci_u32_e32 v3, vcc_lo, v33, v21, vcc_lo
	global_load_b32 v6, v[2:3], off
	v_add_co_u32 v2, vcc_lo, v32, v18
	v_add_co_ci_u32_e32 v3, vcc_lo, v33, v19, vcc_lo
	global_load_b32 v2, v[2:3], off
	s_waitcnt vmcnt(3)
	v_xor_b32_e32 v3, 0x80000000, v4
	s_delay_alu instid0(VALU_DEP_1) | instskip(SKIP_1) | instid1(VALU_DEP_2)
	v_and_b32_e32 v4, s59, v3
	v_bfe_u32 v3, v3, s68, 2
	v_cmp_eq_u32_e32 vcc_lo, s60, v4
	s_waitcnt vmcnt(2)
	v_xor_b32_e32 v4, 0x80000000, v5
	s_delay_alu instid0(VALU_DEP_3)
	v_cmp_eq_u32_e64 s8, 0, v3
	v_cmp_eq_u32_e64 s9, 1, v3
	;; [unrolled: 1-line block ×4, first 2 shown]
	v_and_b32_e32 v5, s59, v4
	v_bfe_u32 v3, v4, s68, 2
	s_and_b32 s8, vcc_lo, s8
	s_delay_alu instid0(VALU_DEP_2)
	v_cmp_eq_u32_e64 s5, s60, v5
	s_waitcnt vmcnt(1)
	v_xor_b32_e32 v5, 0x80000000, v6
	v_cmp_eq_u32_e64 s12, 0, v3
	s_waitcnt vmcnt(0)
	v_xor_b32_e32 v2, 0x80000000, v2
	v_cmp_eq_u32_e64 s13, 1, v3
	v_cmp_eq_u32_e64 s14, 2, v3
	v_and_b32_e32 v6, s59, v5
	v_cmp_eq_u32_e64 s15, 3, v3
	v_bfe_u32 v3, v5, s68, 2
	s_and_b32 s12, s5, s12
	s_delay_alu instid0(VALU_DEP_3)
	v_cmp_eq_u32_e64 s6, s60, v6
	v_and_b32_e32 v6, s59, v2
	v_bfe_u32 v2, v2, s68, 2
	v_cmp_eq_u32_e64 s16, 0, v3
	v_cmp_eq_u32_e64 s17, 1, v3
	;; [unrolled: 1-line block ×8, first 2 shown]
	v_cndmask_b32_e64 v2, 0, 1, s8
	s_and_b32 s16, s6, s16
	s_and_b32 s20, s7, s20
	v_cmp_eq_u32_e64 s19, 3, v3
	s_delay_alu instid0(VALU_DEP_2) | instskip(SKIP_1) | instid1(VALU_DEP_2)
	v_cmp_ne_u32_e64 s8, 0, v2
	v_cndmask_b32_e64 v2, 0, 1, s12
	s_bcnt1_i32_b32 s8, s8
	s_delay_alu instid0(VALU_DEP_1) | instskip(SKIP_1) | instid1(VALU_DEP_2)
	v_cmp_ne_u32_e64 s12, 0, v2
	v_cndmask_b32_e64 v2, 0, 1, s16
	s_bcnt1_i32_b32 s12, s12
	s_delay_alu instid0(VALU_DEP_1) | instskip(SKIP_2) | instid1(VALU_DEP_2)
	v_cmp_ne_u32_e64 s16, 0, v2
	v_cndmask_b32_e64 v2, 0, 1, s20
	s_add_i32 s8, s12, s8
	s_bcnt1_i32_b32 s16, s16
	s_delay_alu instid0(VALU_DEP_1) | instskip(SKIP_1) | instid1(VALU_DEP_1)
	v_cmp_ne_u32_e64 s20, 0, v2
	s_add_i32 s8, s8, s16
	s_bcnt1_i32_b32 s20, s20
	s_delay_alu instid0(SALU_CYCLE_1) | instskip(NEXT) | instid1(SALU_CYCLE_1)
	s_add_i32 s8, s8, s20
	s_add_u32 s90, s90, s8
	s_addc_u32 s91, s91, 0
	s_and_b32 s8, vcc_lo, s9
	s_and_b32 s9, s5, s13
	v_cndmask_b32_e64 v2, 0, 1, s8
	s_and_b32 s12, s6, s17
	s_and_b32 s13, s7, s21
	s_delay_alu instid0(VALU_DEP_1) | instskip(SKIP_1) | instid1(VALU_DEP_2)
	v_cmp_ne_u32_e64 s8, 0, v2
	v_cndmask_b32_e64 v2, 0, 1, s9
	s_bcnt1_i32_b32 s8, s8
	s_delay_alu instid0(VALU_DEP_1) | instskip(SKIP_1) | instid1(VALU_DEP_2)
	v_cmp_ne_u32_e64 s9, 0, v2
	v_cndmask_b32_e64 v2, 0, 1, s12
	s_bcnt1_i32_b32 s9, s9
	s_delay_alu instid0(VALU_DEP_1) | instskip(SKIP_2) | instid1(VALU_DEP_2)
	v_cmp_ne_u32_e64 s12, 0, v2
	v_cndmask_b32_e64 v2, 0, 1, s13
	s_add_i32 s8, s9, s8
	s_bcnt1_i32_b32 s12, s12
	s_delay_alu instid0(VALU_DEP_1) | instskip(SKIP_1) | instid1(VALU_DEP_1)
	v_cmp_ne_u32_e64 s13, 0, v2
	s_add_i32 s8, s8, s12
	s_bcnt1_i32_b32 s13, s13
	s_delay_alu instid0(SALU_CYCLE_1) | instskip(NEXT) | instid1(SALU_CYCLE_1)
	s_add_i32 s8, s8, s13
	s_add_u32 s88, s88, s8
	s_addc_u32 s89, s89, 0
	s_and_b32 s8, vcc_lo, s10
	s_and_b32 s9, s5, s14
	v_cndmask_b32_e64 v2, 0, 1, s8
	s_and_b32 s10, s6, s18
	s_and_b32 s12, s7, s22
	s_delay_alu instid0(VALU_DEP_1) | instskip(SKIP_1) | instid1(VALU_DEP_2)
	v_cmp_ne_u32_e64 s8, 0, v2
	v_cndmask_b32_e64 v2, 0, 1, s9
	s_bcnt1_i32_b32 s8, s8
	s_delay_alu instid0(VALU_DEP_1) | instskip(SKIP_1) | instid1(VALU_DEP_2)
	v_cmp_ne_u32_e64 s9, 0, v2
	v_cndmask_b32_e64 v2, 0, 1, s10
	s_bcnt1_i32_b32 s9, s9
	s_delay_alu instid0(VALU_DEP_1) | instskip(SKIP_3) | instid1(VALU_DEP_3)
	v_cmp_ne_u32_e64 s10, 0, v2
	v_cndmask_b32_e64 v2, 0, 1, s12
	s_add_i32 s8, s9, s8
	v_add_co_u32 v32, s9, v32, v26
	s_bcnt1_i32_b32 s10, s10
	s_delay_alu instid0(VALU_DEP_2) | instskip(SKIP_1) | instid1(VALU_DEP_1)
	v_cmp_ne_u32_e64 s12, 0, v2
	s_add_i32 s8, s8, s10
	s_bcnt1_i32_b32 s12, s12
	s_delay_alu instid0(SALU_CYCLE_1) | instskip(NEXT) | instid1(SALU_CYCLE_1)
	s_add_i32 s8, s8, s12
	s_add_u32 s86, s86, s8
	s_addc_u32 s87, s87, 0
	s_and_b32 s8, vcc_lo, s11
	s_and_b32 s5, s5, s15
	v_cndmask_b32_e64 v2, 0, 1, s8
	s_and_b32 s6, s6, s19
	s_and_b32 s7, s7, s23
	v_add_co_u32 v34, s8, v34, s24
	s_delay_alu instid0(VALU_DEP_2) | instskip(SKIP_3) | instid1(VALU_DEP_3)
	v_cmp_ne_u32_e32 vcc_lo, 0, v2
	v_cndmask_b32_e64 v2, 0, 1, s5
	v_add_co_ci_u32_e64 v35, s8, 0, v35, s8
	v_add_co_ci_u32_e64 v33, s8, v33, v46, s9
	v_cmp_ne_u32_e64 s5, 0, v2
	v_cndmask_b32_e64 v2, 0, 1, s6
	s_bcnt1_i32_b32 s9, vcc_lo
	v_cmp_ge_i64_e64 s8, v[34:35], v[30:31]
	v_dual_mov_b32 v6, s86 :: v_dual_mov_b32 v7, s87
	s_delay_alu instid0(VALU_DEP_3) | instskip(SKIP_2) | instid1(SALU_CYCLE_1)
	v_cmp_ne_u32_e64 s6, 0, v2
	v_cndmask_b32_e64 v2, 0, 1, s7
	s_bcnt1_i32_b32 s5, s5
	s_add_i32 s5, s5, s9
	s_delay_alu instid0(VALU_DEP_2) | instskip(NEXT) | instid1(VALU_DEP_1)
	s_bcnt1_i32_b32 s6, s6
	v_cmp_ne_u32_e64 s7, 0, v2
	s_add_i32 s5, s5, s6
	v_dual_mov_b32 v2, s90 :: v_dual_mov_b32 v3, s91
	s_delay_alu instid0(VALU_DEP_2) | instskip(NEXT) | instid1(SALU_CYCLE_1)
	s_bcnt1_i32_b32 s7, s7
	s_add_i32 s5, s5, s7
	s_delay_alu instid0(SALU_CYCLE_1)
	s_add_u32 s84, s84, s5
	s_addc_u32 s85, s85, 0
	v_mov_b32_e32 v4, s88
	v_dual_mov_b32 v8, s84 :: v_dual_mov_b32 v9, s85
	v_mov_b32_e32 v5, s89
	s_or_b32 s83, s8, s83
	s_delay_alu instid0(SALU_CYCLE_1)
	s_and_not1_b32 exec_lo, exec_lo, s83
	s_cbranch_execnz .LBB22_73
; %bb.74:                               ;   in Loop: Header=BB22_33 Depth=1
	s_or_b32 exec_lo, exec_lo, s83
.LBB22_75:                              ;   in Loop: Header=BB22_33 Depth=1
	s_delay_alu instid0(SALU_CYCLE_1) | instskip(SKIP_3) | instid1(VALU_DEP_2)
	s_or_b32 exec_lo, exec_lo, s61
	v_add_co_u32 v30, vcc_lo, v30, v0
	v_add_co_ci_u32_e32 v31, vcc_lo, 0, v31, vcc_lo
	v_mov_b32_e32 v33, 0
	v_cmp_gt_i64_e32 vcc_lo, s[36:37], v[30:31]
	s_and_saveexec_b32 s6, vcc_lo
	s_cbranch_execz .LBB22_77
; %bb.76:                               ;   in Loop: Header=BB22_33 Depth=1
	v_mul_lo_u32 v26, v31, s42
	v_mul_lo_u32 v34, v30, s43
	v_mad_u64_u32 v[32:33], null, v30, s42, 0
	s_delay_alu instid0(VALU_DEP_1) | instskip(NEXT) | instid1(VALU_DEP_1)
	v_add3_u32 v33, v33, v34, v26
	v_lshlrev_b64 v[32:33], 2, v[32:33]
	s_delay_alu instid0(VALU_DEP_1) | instskip(NEXT) | instid1(VALU_DEP_1)
	v_add_co_u32 v32, s5, s72, v32
	v_add_co_ci_u32_e64 v33, s5, s73, v33, s5
	global_load_b32 v33, v[32:33], off
.LBB22_77:                              ;   in Loop: Header=BB22_33 Depth=1
	s_or_b32 exec_lo, exec_lo, s6
	s_and_saveexec_b32 s8, vcc_lo
	s_cbranch_execz .LBB22_84
; %bb.78:                               ;   in Loop: Header=BB22_33 Depth=1
	v_add_co_u32 v26, vcc_lo, v42, v12
	v_add_co_ci_u32_e32 v32, vcc_lo, 0, v43, vcc_lo
	v_mul_lo_u32 v35, s79, v12
	s_delay_alu instid0(VALU_DEP_3) | instskip(NEXT) | instid1(VALU_DEP_3)
	v_sub_co_u32 v26, vcc_lo, v26, v28
	v_sub_co_ci_u32_e32 v28, vcc_lo, v32, v29, vcc_lo
	v_mul_hi_u32 v46, s78, v12
	s_delay_alu instid0(VALU_DEP_3) | instskip(SKIP_1) | instid1(VALU_DEP_3)
	v_mul_lo_u32 v34, s79, v26
	s_and_b32 s10, vcc_hi, 0xfe
	v_mul_lo_u32 v32, s78, v28
	v_mad_u64_u32 v[28:29], null, s78, v26, s[76:77]
	v_mul_lo_u32 v26, s78, v12
	s_mov_b32 s9, 0
	s_delay_alu instid0(VALU_DEP_2)
	v_add3_u32 v29, v34, v29, v32
	v_add_nc_u32_e32 v32, v46, v35
	s_branch .LBB22_80
.LBB22_79:                              ;   in Loop: Header=BB22_80 Depth=2
	s_or_b32 exec_lo, exec_lo, s6
	s_waitcnt vmcnt(0)
	v_xor_b32_e32 v33, 0x80000000, v33
	s_and_b32 s7, exec_lo, vcc_lo
	s_delay_alu instid0(SALU_CYCLE_1) | instskip(NEXT) | instid1(VALU_DEP_1)
	s_or_b32 s9, s7, s9
	v_and_b32_e32 v35, s59, v33
	v_bfe_u32 v33, v33, s10, 2
	s_delay_alu instid0(VALU_DEP_2) | instskip(NEXT) | instid1(VALU_DEP_2)
	v_cmp_eq_u32_e64 s5, s60, v35
	v_cmp_eq_u32_e64 s6, 0, v33
	v_cmp_eq_u32_e32 vcc_lo, 1, v33
	v_cmp_eq_u32_e64 s7, 2, v33
	s_delay_alu instid0(VALU_DEP_3) | instskip(NEXT) | instid1(SALU_CYCLE_1)
	s_and_b32 s6, s5, s6
	v_cndmask_b32_e64 v35, 0, 1, s6
	s_and_b32 s6, s5, vcc_lo
	v_cmp_eq_u32_e32 vcc_lo, 3, v33
	v_cndmask_b32_e64 v46, 0, 1, s6
	s_and_b32 s6, s5, s7
	s_delay_alu instid0(SALU_CYCLE_1) | instskip(SKIP_1) | instid1(VALU_DEP_3)
	v_cndmask_b32_e64 v33, 0, 1, s6
	v_cmp_ne_u32_e64 s6, 0, v35
	v_cmp_ne_u32_e64 s7, 0, v46
	s_and_b32 s5, s5, vcc_lo
	s_delay_alu instid0(SALU_CYCLE_1) | instskip(NEXT) | instid1(VALU_DEP_3)
	v_cndmask_b32_e64 v35, 0, 1, s5
	s_bcnt1_i32_b32 s5, s6
	v_cmp_ne_u32_e32 vcc_lo, 0, v33
	v_add_co_u32 v2, s5, v2, s5
	s_bcnt1_i32_b32 s6, s7
	v_add_co_ci_u32_e64 v3, s5, 0, v3, s5
	v_add_co_u32 v4, s5, v4, s6
	s_delay_alu instid0(VALU_DEP_1) | instskip(SKIP_3) | instid1(VALU_DEP_1)
	v_add_co_ci_u32_e64 v5, s5, 0, v5, s5
	s_bcnt1_i32_b32 s5, vcc_lo
	v_cmp_ne_u32_e32 vcc_lo, 0, v35
	v_add_co_u32 v6, s5, v6, s5
	v_add_co_ci_u32_e64 v7, s5, 0, v7, s5
	s_bcnt1_i32_b32 s5, vcc_lo
	v_mov_b32_e32 v33, v34
	v_add_co_u32 v8, vcc_lo, v8, s5
	v_add_co_ci_u32_e32 v9, vcc_lo, 0, v9, vcc_lo
	v_add_co_u32 v28, vcc_lo, v28, v26
	v_add_co_ci_u32_e32 v29, vcc_lo, v29, v32, vcc_lo
	s_and_not1_b32 exec_lo, exec_lo, s9
	s_cbranch_execz .LBB22_83
.LBB22_80:                              ;   Parent Loop BB22_33 Depth=1
                                        ; =>  This Inner Loop Header: Depth=2
	v_add_co_u32 v30, vcc_lo, v30, v12
	v_add_co_ci_u32_e32 v31, vcc_lo, 0, v31, vcc_lo
	v_mov_b32_e32 v34, 0
	s_mov_b32 s6, exec_lo
	s_delay_alu instid0(VALU_DEP_2)
	v_cmp_le_i64_e32 vcc_lo, s[36:37], v[30:31]
	v_cmpx_gt_i64_e64 s[36:37], v[30:31]
	s_cbranch_execz .LBB22_79
; %bb.81:                               ;   in Loop: Header=BB22_80 Depth=2
	global_load_b32 v34, v[28:29], off
	s_branch .LBB22_79
.LBB22_82:                              ;   in Loop: Header=BB22_33 Depth=1
                                        ; implicit-def: $vgpr8_vgpr9
                                        ; implicit-def: $vgpr4_vgpr5
	s_cbranch_execnz .LBB22_85
	s_branch .LBB22_94
.LBB22_83:                              ;   in Loop: Header=BB22_33 Depth=1
	s_or_b32 exec_lo, exec_lo, s9
.LBB22_84:                              ;   in Loop: Header=BB22_33 Depth=1
	s_delay_alu instid0(SALU_CYCLE_1)
	s_or_b32 exec_lo, exec_lo, s8
	s_branch .LBB22_94
.LBB22_85:                              ;   in Loop: Header=BB22_33 Depth=1
	global_load_u16 v8, v13, s[74:75]
	s_mov_b64 s[84:85], 0
	s_mov_b32 s83, exec_lo
	s_waitcnt vmcnt(0)
	v_readfirstlane_b32 s5, v8
	v_and_b32_e32 v26, 0xffff, v8
	s_delay_alu instid0(VALU_DEP_2) | instskip(NEXT) | instid1(SALU_CYCLE_1)
	s_and_b32 s5, 0xffff, s5
	s_lshl_b32 s61, s5, 2
	s_delay_alu instid0(SALU_CYCLE_1) | instskip(SKIP_1) | instid1(VALU_DEP_1)
	v_cvt_f32_u32_e32 v2, s61
	s_sub_i32 s6, 0, s61
	v_rcp_iflag_f32_e32 v2, v2
	s_waitcnt_depctr 0xfff
	v_mul_f32_e32 v2, 0x4f7ffffe, v2
	s_delay_alu instid0(VALU_DEP_1) | instskip(NEXT) | instid1(VALU_DEP_1)
	v_cvt_u32_f32_e32 v2, v2
	v_readfirstlane_b32 s5, v2
	v_mov_b32_e32 v2, 0
	v_mov_b32_e32 v3, 0
	s_delay_alu instid0(VALU_DEP_3) | instskip(NEXT) | instid1(VALU_DEP_1)
	s_mul_i32 s6, s6, s5
	v_dual_mov_b32 v5, v3 :: v_dual_mov_b32 v4, v2
	s_mul_hi_u32 s6, s5, s6
	v_dual_mov_b32 v7, v3 :: v_dual_mov_b32 v6, v2
	s_add_i32 s5, s5, s6
	v_dual_mov_b32 v9, v3 :: v_dual_mov_b32 v8, v2
	s_mul_hi_u32 s5, s82, s5
	s_delay_alu instid0(SALU_CYCLE_1) | instskip(NEXT) | instid1(SALU_CYCLE_1)
	s_mul_i32 s5, s5, s61
	s_sub_i32 s5, s82, s5
	s_delay_alu instid0(SALU_CYCLE_1) | instskip(SKIP_2) | instid1(SALU_CYCLE_1)
	s_sub_i32 s6, s5, s61
	s_cmp_ge_u32 s5, s61
	s_cselect_b32 s5, s6, s5
	s_sub_i32 s6, s5, s61
	s_cmp_ge_u32 s5, s61
	s_cselect_b32 s5, s6, s5
	s_delay_alu instid0(SALU_CYCLE_1) | instskip(NEXT) | instid1(SALU_CYCLE_1)
	s_sub_i32 s68, s82, s5
	v_cmpx_gt_u32_e64 s68, v14
	s_cbranch_execz .LBB22_89
; %bb.86:                               ;   in Loop: Header=BB22_33 Depth=1
	v_dual_mov_b32 v29, v15 :: v_dual_lshlrev_b32 v12, 4, v26
	v_mov_b32_e32 v30, v39
	v_mov_b32_e32 v28, v14
	s_and_b32 s48, vcc_hi, 0xfe
	s_mov_b32 s49, 0
	s_mov_b64 s[86:87], 0
	s_mov_b64 s[88:89], 0
	;; [unrolled: 1-line block ×3, first 2 shown]
.LBB22_87:                              ;   Parent Loop BB22_33 Depth=1
                                        ; =>  This Inner Loop Header: Depth=2
	ds_load_b128 v[2:5], v30
	v_add_co_u32 v28, vcc_lo, v28, s61
	v_add_co_ci_u32_e32 v29, vcc_lo, 0, v29, vcc_lo
	s_delay_alu instid0(VALU_DEP_1)
	v_cmp_le_u64_e32 vcc_lo, s[68:69], v[28:29]
	s_waitcnt lgkmcnt(0)
	v_xor_b32_e32 v2, 0x80000000, v2
	v_xor_b32_e32 v3, 0x80000000, v3
	;; [unrolled: 1-line block ×4, first 2 shown]
	s_delay_alu instid0(VALU_DEP_4) | instskip(NEXT) | instid1(VALU_DEP_4)
	v_and_b32_e32 v6, s59, v2
	v_and_b32_e32 v7, s59, v3
	v_bfe_u32 v2, v2, s48, 2
	v_bfe_u32 v3, v3, s48, 2
	v_and_b32_e32 v8, s59, v4
	v_bfe_u32 v4, v4, s48, 2
	v_and_b32_e32 v9, s59, v5
	v_bfe_u32 v5, v5, s48, 2
	v_cmp_eq_u32_e64 s5, s60, v6
	v_cmp_eq_u32_e64 s6, s60, v7
	;; [unrolled: 1-line block ×8, first 2 shown]
	s_and_b32 s9, s5, s9
	s_and_b32 s10, s6, s10
	v_cmp_eq_u32_e64 s13, 1, v2
	v_cmp_eq_u32_e64 s14, 1, v3
	;; [unrolled: 1-line block ×6, first 2 shown]
	s_and_b32 s11, s7, s11
	v_cndmask_b32_e64 v2, 0, 1, s9
	v_cndmask_b32_e64 v3, 0, 1, s10
	v_cmp_eq_u32_e64 s15, 1, v4
	v_cmp_eq_u32_e64 s19, 2, v4
	;; [unrolled: 1-line block ×3, first 2 shown]
	s_and_b32 s12, s8, s12
	v_cndmask_b32_e64 v4, 0, 1, s11
	v_cmp_eq_u32_e64 s16, 1, v5
	v_cmp_eq_u32_e64 s20, 2, v5
	;; [unrolled: 1-line block ×3, first 2 shown]
	v_cndmask_b32_e64 v5, 0, 1, s12
	v_cmp_ne_u32_e64 s9, 0, v2
	v_cmp_ne_u32_e64 s10, 0, v3
	;; [unrolled: 1-line block ×3, first 2 shown]
	s_delay_alu instid0(VALU_DEP_4) | instskip(NEXT) | instid1(VALU_DEP_4)
	v_cmp_ne_u32_e64 s12, 0, v5
	s_bcnt1_i32_b32 s9, s9
	s_delay_alu instid0(VALU_DEP_3) | instskip(NEXT) | instid1(VALU_DEP_2)
	s_bcnt1_i32_b32 s10, s10
	s_bcnt1_i32_b32 s11, s11
	s_add_i32 s9, s10, s9
	s_bcnt1_i32_b32 s12, s12
	s_add_i32 s9, s9, s11
	s_delay_alu instid0(SALU_CYCLE_1) | instskip(NEXT) | instid1(SALU_CYCLE_1)
	s_add_i32 s9, s9, s12
	s_add_u32 s90, s90, s9
	s_addc_u32 s91, s91, 0
	s_and_b32 s9, s5, s13
	s_and_b32 s10, s6, s14
	;; [unrolled: 1-line block ×3, first 2 shown]
	v_cndmask_b32_e64 v2, 0, 1, s9
	v_cndmask_b32_e64 v3, 0, 1, s10
	s_and_b32 s12, s8, s16
	v_cndmask_b32_e64 v4, 0, 1, s11
	v_cndmask_b32_e64 v5, 0, 1, s12
	v_cmp_ne_u32_e64 s9, 0, v2
	v_cmp_ne_u32_e64 s10, 0, v3
	v_add_nc_u32_e32 v30, v30, v12
	v_cmp_ne_u32_e64 s11, 0, v4
	v_cmp_ne_u32_e64 s12, 0, v5
	s_bcnt1_i32_b32 s9, s9
	s_bcnt1_i32_b32 s10, s10
	s_delay_alu instid0(VALU_DEP_2) | instskip(SKIP_3) | instid1(SALU_CYCLE_1)
	s_bcnt1_i32_b32 s11, s11
	s_add_i32 s9, s10, s9
	s_bcnt1_i32_b32 s12, s12
	s_add_i32 s9, s9, s11
	s_add_i32 s9, s9, s12
	s_delay_alu instid0(SALU_CYCLE_1)
	s_add_u32 s88, s88, s9
	s_addc_u32 s89, s89, 0
	s_and_b32 s9, s5, s17
	s_and_b32 s10, s6, s18
	;; [unrolled: 1-line block ×3, first 2 shown]
	v_cndmask_b32_e64 v2, 0, 1, s9
	v_cndmask_b32_e64 v3, 0, 1, s10
	s_and_b32 s12, s8, s20
	v_cndmask_b32_e64 v4, 0, 1, s11
	v_cndmask_b32_e64 v5, 0, 1, s12
	v_cmp_ne_u32_e64 s9, 0, v2
	v_cmp_ne_u32_e64 s10, 0, v3
	s_delay_alu instid0(VALU_DEP_4) | instskip(NEXT) | instid1(VALU_DEP_4)
	v_cmp_ne_u32_e64 s11, 0, v4
	v_cmp_ne_u32_e64 s12, 0, v5
	s_delay_alu instid0(VALU_DEP_4) | instskip(NEXT) | instid1(VALU_DEP_3)
	s_bcnt1_i32_b32 s9, s9
	s_bcnt1_i32_b32 s10, s10
	s_delay_alu instid0(VALU_DEP_2) | instskip(SKIP_3) | instid1(SALU_CYCLE_1)
	s_bcnt1_i32_b32 s11, s11
	s_add_i32 s9, s10, s9
	s_bcnt1_i32_b32 s12, s12
	s_add_i32 s9, s9, s11
	s_add_i32 s9, s9, s12
	s_delay_alu instid0(SALU_CYCLE_1)
	s_add_u32 s86, s86, s9
	s_addc_u32 s87, s87, 0
	s_and_b32 s5, s5, s21
	s_and_b32 s6, s6, s22
	;; [unrolled: 1-line block ×3, first 2 shown]
	v_cndmask_b32_e64 v2, 0, 1, s5
	v_cndmask_b32_e64 v3, 0, 1, s6
	s_and_b32 s8, s8, s24
	v_cndmask_b32_e64 v4, 0, 1, s7
	v_cndmask_b32_e64 v5, 0, 1, s8
	v_cmp_ne_u32_e64 s5, 0, v2
	v_cmp_ne_u32_e64 s6, 0, v3
	v_dual_mov_b32 v2, s90 :: v_dual_mov_b32 v3, s91
	v_cmp_ne_u32_e64 s7, 0, v4
	v_cmp_ne_u32_e64 s8, 0, v5
	s_bcnt1_i32_b32 s5, s5
	s_bcnt1_i32_b32 s6, s6
	v_mov_b32_e32 v4, s88
	s_bcnt1_i32_b32 s7, s7
	s_add_i32 s5, s6, s5
	s_bcnt1_i32_b32 s6, s8
	s_add_i32 s5, s5, s7
	v_mov_b32_e32 v5, s89
	s_add_i32 s5, s5, s6
	s_delay_alu instid0(SALU_CYCLE_1)
	s_add_u32 s84, s84, s5
	s_addc_u32 s85, s85, 0
	v_mov_b32_e32 v6, s86
	v_dual_mov_b32 v8, s84 :: v_dual_mov_b32 v9, s85
	v_mov_b32_e32 v7, s87
	s_or_b32 s49, vcc_lo, s49
	s_delay_alu instid0(SALU_CYCLE_1)
	s_and_not1_b32 exec_lo, exec_lo, s49
	s_cbranch_execnz .LBB22_87
; %bb.88:                               ;   in Loop: Header=BB22_33 Depth=1
	s_or_b32 exec_lo, exec_lo, s49
.LBB22_89:                              ;   in Loop: Header=BB22_33 Depth=1
	s_delay_alu instid0(SALU_CYCLE_1) | instskip(SKIP_2) | instid1(VALU_DEP_1)
	s_or_b32 exec_lo, exec_lo, s83
	v_add_nc_u32_e32 v12, s68, v0
	s_mov_b32 s12, exec_lo
	v_cmpx_gt_u32_e64 s82, v12
	s_cbranch_execz .LBB22_93
; %bb.90:                               ;   in Loop: Header=BB22_33 Depth=1
	v_dual_mov_b32 v29, v13 :: v_dual_lshlrev_b32 v30, 2, v12
	v_mov_b32_e32 v28, v12
	s_mov_b32 s11, 0
	s_and_b32 s10, s82, 0x7fffffff
	s_and_b32 s14, vcc_hi, 0xfe
	s_mov_b32 s13, s11
.LBB22_91:                              ;   Parent Loop BB22_33 Depth=1
                                        ; =>  This Inner Loop Header: Depth=2
	ds_load_b32 v12, v30
	v_add_co_u32 v28, vcc_lo, v28, v26
	v_add_co_ci_u32_e32 v29, vcc_lo, 0, v29, vcc_lo
	v_add_nc_u32_e32 v30, s61, v30
	s_delay_alu instid0(VALU_DEP_2) | instskip(SKIP_2) | instid1(VALU_DEP_1)
	v_cmp_le_u64_e32 vcc_lo, s[10:11], v[28:29]
	s_waitcnt lgkmcnt(0)
	v_xor_b32_e32 v12, 0x80000000, v12
	v_and_b32_e32 v31, s59, v12
	v_bfe_u32 v12, v12, s14, 2
	s_delay_alu instid0(VALU_DEP_2) | instskip(NEXT) | instid1(VALU_DEP_2)
	v_cmp_eq_u32_e64 s5, s60, v31
	v_cmp_eq_u32_e64 s6, 0, v12
	;; [unrolled: 1-line block ×5, first 2 shown]
	s_delay_alu instid0(VALU_DEP_4) | instskip(NEXT) | instid1(SALU_CYCLE_1)
	s_and_b32 s6, s5, s6
	v_cndmask_b32_e64 v12, 0, 1, s6
	s_and_b32 s6, s5, s7
	s_delay_alu instid0(SALU_CYCLE_1)
	v_cndmask_b32_e64 v31, 0, 1, s6
	s_and_b32 s6, s5, s8
	s_and_b32 s5, s5, s9
	v_cndmask_b32_e64 v32, 0, 1, s6
	v_cndmask_b32_e64 v33, 0, 1, s5
	v_cmp_ne_u32_e64 s5, 0, v12
	v_cmp_ne_u32_e64 s6, 0, v31
	s_delay_alu instid0(VALU_DEP_4) | instskip(NEXT) | instid1(VALU_DEP_4)
	v_cmp_ne_u32_e64 s7, 0, v32
	v_cmp_ne_u32_e64 s8, 0, v33
	s_delay_alu instid0(VALU_DEP_4) | instskip(NEXT) | instid1(VALU_DEP_3)
	s_bcnt1_i32_b32 s5, s5
	s_bcnt1_i32_b32 s6, s6
	v_add_co_u32 v2, s5, v2, s5
	s_delay_alu instid0(VALU_DEP_1)
	v_add_co_ci_u32_e64 v3, s5, 0, v3, s5
	v_add_co_u32 v4, s5, v4, s6
	s_bcnt1_i32_b32 s7, s7
	v_add_co_ci_u32_e64 v5, s5, 0, v5, s5
	v_add_co_u32 v6, s5, v6, s7
	s_bcnt1_i32_b32 s8, s8
	v_add_co_ci_u32_e64 v7, s5, 0, v7, s5
	v_add_co_u32 v8, s5, v8, s8
	s_delay_alu instid0(VALU_DEP_1) | instskip(SKIP_1) | instid1(SALU_CYCLE_1)
	v_add_co_ci_u32_e64 v9, s5, 0, v9, s5
	s_or_b32 s13, vcc_lo, s13
	s_and_not1_b32 exec_lo, exec_lo, s13
	s_cbranch_execnz .LBB22_91
; %bb.92:                               ;   in Loop: Header=BB22_33 Depth=1
	s_or_b32 exec_lo, exec_lo, s13
.LBB22_93:                              ;   in Loop: Header=BB22_33 Depth=1
	s_delay_alu instid0(SALU_CYCLE_1)
	s_or_b32 exec_lo, exec_lo, s12
.LBB22_94:                              ;   in Loop: Header=BB22_33 Depth=1
	s_lshl_b32 s5, s65, 7
	s_and_saveexec_b32 s6, s2
	s_cbranch_execz .LBB22_96
; %bb.95:                               ;   in Loop: Header=BB22_33 Depth=1
	v_or_b32_e32 v12, s5, v38
	s_delay_alu instid0(VALU_DEP_1)
	v_lshlrev_b32_e32 v12, 3, v12
	ds_store_b128 v12, v[2:5] offset:3072
	ds_store_b128 v12, v[6:9] offset:3088
.LBB22_96:                              ;   in Loop: Header=BB22_33 Depth=1
	s_or_b32 exec_lo, exec_lo, s6
	s_waitcnt vmcnt(0) lgkmcnt(0)
	s_barrier
	buffer_gl0_inv
	s_and_saveexec_b32 s6, s33
	s_cbranch_execz .LBB22_107
; %bb.97:                               ;   in Loop: Header=BB22_33 Depth=1
	v_mov_b32_e32 v2, 0
	v_mov_b32_e32 v3, 0
	s_and_not1_b32 vcc_lo, exec_lo, s99
	s_cbranch_vccnz .LBB22_106
; %bb.98:                               ;   in Loop: Header=BB22_33 Depth=1
	v_mov_b32_e32 v2, 0
	v_mov_b32_e32 v3, 0
	s_and_not1_b32 vcc_lo, exec_lo, s97
	s_cbranch_vccnz .LBB22_103
; %bb.99:                               ;   in Loop: Header=BB22_33 Depth=1
	v_lshl_add_u32 v4, s65, 10, v44
	s_mov_b32 s7, 0
	s_set_inst_prefetch_distance 0x1
	.p2align	6
.LBB22_100:                             ;   Parent Loop BB22_33 Depth=1
                                        ; =>  This Inner Loop Header: Depth=2
	ds_load_2addr_b64 v[5:8], v4 offset1:4
	ds_load_2addr_b64 v[28:31], v4 offset0:8 offset1:12
	ds_load_2addr_b64 v[32:35], v4 offset0:16 offset1:20
	s_add_i32 s7, s7, 8
	s_delay_alu instid0(SALU_CYCLE_1) | instskip(SKIP_3) | instid1(VALU_DEP_2)
	s_cmp_eq_u32 s98, s7
	s_waitcnt lgkmcnt(2)
	v_add_co_u32 v2, vcc_lo, v5, v2
	v_add_co_ci_u32_e32 v3, vcc_lo, v6, v3, vcc_lo
	v_add_co_u32 v2, vcc_lo, v7, v2
	s_delay_alu instid0(VALU_DEP_2)
	v_add_co_ci_u32_e32 v3, vcc_lo, v8, v3, vcc_lo
	ds_load_2addr_b64 v[5:8], v4 offset0:24 offset1:28
	s_waitcnt lgkmcnt(2)
	v_add_co_u32 v2, vcc_lo, v28, v2
	v_add_co_ci_u32_e32 v3, vcc_lo, v29, v3, vcc_lo
	v_add_nc_u32_e32 v4, 0x100, v4
	s_delay_alu instid0(VALU_DEP_3) | instskip(NEXT) | instid1(VALU_DEP_3)
	v_add_co_u32 v2, vcc_lo, v30, v2
	v_add_co_ci_u32_e32 v3, vcc_lo, v31, v3, vcc_lo
	s_waitcnt lgkmcnt(1)
	s_delay_alu instid0(VALU_DEP_2) | instskip(NEXT) | instid1(VALU_DEP_2)
	v_add_co_u32 v2, vcc_lo, v32, v2
	v_add_co_ci_u32_e32 v3, vcc_lo, v33, v3, vcc_lo
	s_delay_alu instid0(VALU_DEP_2) | instskip(NEXT) | instid1(VALU_DEP_2)
	v_add_co_u32 v2, vcc_lo, v34, v2
	v_add_co_ci_u32_e32 v3, vcc_lo, v35, v3, vcc_lo
	s_waitcnt lgkmcnt(0)
	s_delay_alu instid0(VALU_DEP_2) | instskip(NEXT) | instid1(VALU_DEP_2)
	v_add_co_u32 v2, vcc_lo, v5, v2
	v_add_co_ci_u32_e32 v3, vcc_lo, v6, v3, vcc_lo
	s_delay_alu instid0(VALU_DEP_2) | instskip(NEXT) | instid1(VALU_DEP_2)
	v_add_co_u32 v2, vcc_lo, v7, v2
	v_add_co_ci_u32_e32 v3, vcc_lo, v8, v3, vcc_lo
	s_cbranch_scc0 .LBB22_100
; %bb.101:                              ;   in Loop: Header=BB22_33 Depth=1
	s_set_inst_prefetch_distance 0x2
	s_mov_b32 s7, s98
	s_and_not1_b32 vcc_lo, exec_lo, s100
	s_cbranch_vccz .LBB22_104
	s_branch .LBB22_106
.LBB22_102:                             ;   in Loop: Header=BB22_33 Depth=1
                                        ; implicit-def: $vgpr28_vgpr29
	s_branch .LBB22_70
.LBB22_103:                             ;   in Loop: Header=BB22_33 Depth=1
	s_mov_b32 s7, 0
	s_and_not1_b32 vcc_lo, exec_lo, s100
	s_cbranch_vccnz .LBB22_106
.LBB22_104:                             ;   in Loop: Header=BB22_33 Depth=1
	s_lshl_b32 s8, s65, 10
	s_lshl_b32 s7, s7, 5
	s_delay_alu instid0(SALU_CYCLE_1)
	v_add3_u32 v4, s8, s7, v44
	s_mov_b32 s7, s96
.LBB22_105:                             ;   Parent Loop BB22_33 Depth=1
                                        ; =>  This Inner Loop Header: Depth=2
	ds_load_b64 v[5:6], v4
	v_add_nc_u32_e32 v4, 32, v4
	s_add_i32 s7, s7, -1
	s_delay_alu instid0(SALU_CYCLE_1)
	s_cmp_lg_u32 s7, 0
	s_waitcnt lgkmcnt(0)
	v_add_co_u32 v2, vcc_lo, v5, v2
	v_add_co_ci_u32_e32 v3, vcc_lo, v6, v3, vcc_lo
	s_cbranch_scc1 .LBB22_105
.LBB22_106:                             ;   in Loop: Header=BB22_33 Depth=1
	v_add_lshl_u32 v4, s5, v36, 3
	ds_store_b64 v4, v[2:3] offset:3072
.LBB22_107:                             ;   in Loop: Header=BB22_33 Depth=1
	s_or_b32 exec_lo, exec_lo, s6
	s_lshl_b32 s5, s5, 3
	s_waitcnt lgkmcnt(0)
	v_mov_b32_e32 v6, s5
	s_barrier
	buffer_gl0_inv
	s_and_b32 s19, vcc_hi, 0xfe
	s_mov_b32 s21, -1
	ds_load_b128 v[2:5], v6 offset:3072
	ds_load_b128 v[6:9], v6 offset:3088
	s_lshl_b32 s18, 3, s19
	s_delay_alu instid0(SALU_CYCLE_1)
	s_not_b32 s20, s18
	s_waitcnt lgkmcnt(1)
	v_readfirstlane_b32 s13, v3
	v_readfirstlane_b32 s12, v2
	;; [unrolled: 1-line block ×4, first 2 shown]
	s_waitcnt lgkmcnt(0)
	v_readfirstlane_b32 s8, v6
	v_readfirstlane_b32 s9, v7
	s_cmp_eq_u64 s[12:13], 1
	v_readfirstlane_b32 s6, v8
	s_cselect_b32 s5, -1, 0
	s_cmp_eq_u64 s[38:39], 1
	s_cselect_b32 s7, -1, 0
	s_delay_alu instid0(SALU_CYCLE_1)
	s_and_b32 s22, s5, s7
	v_readfirstlane_b32 s7, v9
	s_and_b32 vcc_lo, exec_lo, s22
	s_cbranch_vccz .LBB22_122
; %bb.108:                              ;   in Loop: Header=BB22_33 Depth=1
	ds_load_b64 v[2:3], v13 offset:5120
	s_waitcnt lgkmcnt(0)
	s_barrier
	buffer_gl0_inv
	v_readfirstlane_b32 s14, v2
	v_readfirstlane_b32 s15, v3
	s_and_saveexec_b32 s5, s3
	s_cbranch_execz .LBB22_110
; %bb.109:                              ;   in Loop: Header=BB22_33 Depth=1
	ds_store_b32 v37, v13
.LBB22_110:                             ;   in Loop: Header=BB22_33 Depth=1
	s_or_b32 exec_lo, exec_lo, s5
	s_delay_alu instid0(VALU_DEP_1)
	v_cmp_lt_i64_e64 s5, s[14:15], 1
	s_and_b32 s60, s60, s20
	s_or_b32 s59, s59, s18
	s_waitcnt lgkmcnt(0)
	s_barrier
	buffer_gl0_inv
	s_and_b32 vcc_lo, exec_lo, s5
	s_cbranch_vccz .LBB22_123
; %bb.111:                              ;   in Loop: Header=BB22_33 Depth=1
	s_mov_b32 s24, s69
	s_delay_alu instid0(SALU_CYCLE_1)
	s_cmp_lg_u64 s[24:25], 0
	s_cbranch_scc0 .LBB22_168
; %bb.112:                              ;   in Loop: Header=BB22_33 Depth=1
	v_cvt_f32_u32_e32 v2, s27
	s_sub_u32 s17, 0, s27
	s_subb_u32 s23, 0, 0
	s_delay_alu instid0(VALU_DEP_1) | instskip(NEXT) | instid1(VALU_DEP_1)
	v_fmac_f32_e32 v2, 0x4f800000, v45
	v_rcp_f32_e32 v2, v2
	s_waitcnt_depctr 0xfff
	v_mul_f32_e32 v2, 0x5f7ffffc, v2
	s_delay_alu instid0(VALU_DEP_1) | instskip(NEXT) | instid1(VALU_DEP_1)
	v_mul_f32_e32 v3, 0x2f800000, v2
	v_trunc_f32_e32 v3, v3
	s_delay_alu instid0(VALU_DEP_1) | instskip(SKIP_1) | instid1(VALU_DEP_2)
	v_fmac_f32_e32 v2, 0xcf800000, v3
	v_cvt_u32_f32_e32 v3, v3
	v_cvt_u32_f32_e32 v2, v2
	s_delay_alu instid0(VALU_DEP_2) | instskip(NEXT) | instid1(VALU_DEP_2)
	v_readfirstlane_b32 s5, v3
	v_readfirstlane_b32 s16, v2
	s_delay_alu instid0(VALU_DEP_2) | instskip(NEXT) | instid1(VALU_DEP_1)
	s_mul_i32 s24, s17, s5
	s_mul_hi_u32 s49, s17, s16
	s_mul_i32 s48, s23, s16
	s_add_i32 s24, s49, s24
	s_mul_i32 s50, s17, s16
	s_add_i32 s24, s24, s48
	s_mul_hi_u32 s49, s16, s50
	s_mul_hi_u32 s51, s5, s50
	s_mul_i32 s48, s5, s50
	s_mul_hi_u32 s50, s16, s24
	s_mul_i32 s16, s16, s24
	s_mul_hi_u32 s61, s5, s24
	s_add_u32 s16, s49, s16
	s_addc_u32 s49, 0, s50
	s_add_u32 s16, s16, s48
	s_mul_i32 s24, s5, s24
	s_addc_u32 s16, s49, s51
	s_addc_u32 s48, s61, 0
	s_add_u32 s16, s16, s24
	s_addc_u32 s24, 0, s48
	v_add_co_u32 v2, s16, v2, s16
	s_delay_alu instid0(VALU_DEP_1) | instskip(SKIP_1) | instid1(VALU_DEP_1)
	s_cmp_lg_u32 s16, 0
	s_addc_u32 s5, s5, s24
	v_readfirstlane_b32 s16, v2
	s_mul_i32 s24, s17, s5
	s_delay_alu instid0(VALU_DEP_1)
	s_mul_hi_u32 s48, s17, s16
	s_mul_i32 s23, s23, s16
	s_add_i32 s24, s48, s24
	s_mul_i32 s17, s17, s16
	s_add_i32 s24, s24, s23
	s_mul_hi_u32 s48, s5, s17
	s_mul_i32 s49, s5, s17
	s_mul_hi_u32 s17, s16, s17
	s_mul_hi_u32 s50, s16, s24
	s_mul_i32 s16, s16, s24
	s_mul_hi_u32 s23, s5, s24
	s_add_u32 s16, s17, s16
	s_addc_u32 s17, 0, s50
	s_add_u32 s16, s16, s49
	s_mul_i32 s24, s5, s24
	s_addc_u32 s16, s17, s48
	s_addc_u32 s17, s23, 0
	s_add_u32 s16, s16, s24
	s_addc_u32 s17, 0, s17
	v_add_co_u32 v2, s16, v2, s16
	s_delay_alu instid0(VALU_DEP_1) | instskip(SKIP_2) | instid1(VALU_DEP_1)
	s_cmp_lg_u32 s16, 0
	s_addc_u32 s5, s5, s17
	s_ashr_i32 s16, s25, 31
	v_readfirstlane_b32 s23, v2
	s_add_u32 s48, s95, s16
	s_mov_b32 s17, s16
	s_addc_u32 s49, s25, s16
	s_delay_alu instid0(SALU_CYCLE_1) | instskip(NEXT) | instid1(SALU_CYCLE_1)
	s_xor_b64 s[48:49], s[48:49], s[16:17]
	s_mul_i32 s24, s48, s5
	s_mul_hi_u32 s50, s48, s23
	s_mul_hi_u32 s17, s48, s5
	;; [unrolled: 1-line block ×3, first 2 shown]
	s_mul_i32 s23, s49, s23
	s_add_u32 s24, s50, s24
	s_addc_u32 s17, 0, s17
	s_mul_hi_u32 s51, s49, s5
	s_add_u32 s23, s24, s23
	s_mul_i32 s5, s49, s5
	s_addc_u32 s17, s17, s61
	s_addc_u32 s23, s51, 0
	s_add_u32 s5, s17, s5
	s_addc_u32 s17, 0, s23
	s_mul_hi_u32 s23, s27, s5
	s_mul_i32 s5, s27, s5
	s_mul_i32 s17, s27, s17
	v_sub_co_u32 v2, s5, s48, s5
	s_add_i32 s23, s23, s17
	s_cmp_lg_u32 s5, 0
	s_delay_alu instid0(VALU_DEP_1) | instskip(SKIP_2) | instid1(VALU_DEP_1)
	v_sub_co_u32 v3, s5, v2, s27
	s_subb_u32 s17, s49, s23
	s_cmp_lg_u32 s5, 0
	v_cmp_le_u32_e32 vcc_lo, s27, v3
	v_sub_co_u32 v4, s5, v3, s27
	s_subb_u32 s23, s17, 0
	s_cmp_lg_u32 s5, 0
	v_cmp_le_u32_e64 s5, s27, v2
	s_subb_u32 s24, s23, 0
	v_cndmask_b32_e64 v5, 0, -1, vcc_lo
	s_cmp_eq_u32 s23, 0
	s_cselect_b32 vcc_lo, -1, 0
	v_cndmask_b32_e64 v6, 0, -1, s5
	s_delay_alu instid0(VALU_DEP_2) | instskip(SKIP_2) | instid1(VALU_DEP_1)
	v_cndmask_b32_e32 v5, -1, v5, vcc_lo
	s_cmp_eq_u32 s17, 0
	s_cselect_b32 vcc_lo, -1, 0
	v_cmp_ne_u32_e64 s5, 0, v5
	v_dual_cndmask_b32 v5, -1, v6 :: v_dual_mov_b32 v6, s24
	s_delay_alu instid0(VALU_DEP_2) | instskip(NEXT) | instid1(VALU_DEP_2)
	v_cndmask_b32_e64 v3, v3, v4, s5
	v_cmp_ne_u32_e32 vcc_lo, 0, v5
	s_delay_alu instid0(VALU_DEP_3) | instskip(NEXT) | instid1(VALU_DEP_3)
	v_cndmask_b32_e64 v4, s23, v6, s5
	v_cndmask_b32_e32 v2, v2, v3, vcc_lo
	s_delay_alu instid0(VALU_DEP_2) | instskip(NEXT) | instid1(VALU_DEP_2)
	v_cndmask_b32_e32 v3, s17, v4, vcc_lo
	v_xor_b32_e32 v2, s16, v2
	s_delay_alu instid0(VALU_DEP_2) | instskip(NEXT) | instid1(VALU_DEP_2)
	v_xor_b32_e32 v3, s16, v3
	v_sub_co_u32 v2, vcc_lo, v2, s16
	s_delay_alu instid0(VALU_DEP_2)
	v_subrev_co_ci_u32_e32 v3, vcc_lo, s16, v3, vcc_lo
	s_cbranch_execnz .LBB22_114
.LBB22_113:                             ;   in Loop: Header=BB22_33 Depth=1
	v_cvt_f32_u32_e32 v2, s27
	s_sub_i32 s5, 0, s27
	s_delay_alu instid0(VALU_DEP_1) | instskip(SKIP_2) | instid1(VALU_DEP_1)
	v_rcp_iflag_f32_e32 v2, v2
	s_waitcnt_depctr 0xfff
	v_mul_f32_e32 v2, 0x4f7ffffe, v2
	v_cvt_u32_f32_e32 v2, v2
	s_delay_alu instid0(VALU_DEP_1) | instskip(NEXT) | instid1(VALU_DEP_1)
	v_mul_lo_u32 v3, s5, v2
	v_mul_hi_u32 v3, v2, v3
	s_delay_alu instid0(VALU_DEP_1) | instskip(NEXT) | instid1(VALU_DEP_1)
	v_add_nc_u32_e32 v2, v2, v3
	v_mul_hi_u32 v2, s95, v2
	s_delay_alu instid0(VALU_DEP_1) | instskip(NEXT) | instid1(VALU_DEP_1)
	v_mul_lo_u32 v2, v2, s27
	v_sub_nc_u32_e32 v2, s95, v2
	s_delay_alu instid0(VALU_DEP_1) | instskip(SKIP_1) | instid1(VALU_DEP_2)
	v_subrev_nc_u32_e32 v3, s27, v2
	v_cmp_le_u32_e32 vcc_lo, s27, v2
	v_cndmask_b32_e32 v2, v2, v3, vcc_lo
	s_delay_alu instid0(VALU_DEP_1) | instskip(SKIP_1) | instid1(VALU_DEP_2)
	v_subrev_nc_u32_e32 v3, s27, v2
	v_cmp_le_u32_e32 vcc_lo, s27, v2
	v_cndmask_b32_e32 v12, v2, v3, vcc_lo
	s_delay_alu instid0(VALU_DEP_1)
	v_dual_mov_b32 v2, v12 :: v_dual_mov_b32 v3, v13
.LBB22_114:                             ;   in Loop: Header=BB22_33 Depth=1
	s_delay_alu instid0(VALU_DEP_1) | instskip(NEXT) | instid1(VALU_DEP_2)
	v_sub_co_u32 v2, vcc_lo, s95, v2
	v_sub_co_ci_u32_e32 v3, vcc_lo, s25, v3, vcc_lo
	s_mov_b32 s5, 0
	s_mov_b32 s16, exec_lo
                                        ; implicit-def: $vgpr27
	s_delay_alu instid0(VALU_DEP_1)
	v_cmpx_gt_i64_e64 v[2:3], v[0:1]
	s_cbranch_execz .LBB22_125
; %bb.115:                              ;   in Loop: Header=BB22_33 Depth=1
	v_dual_mov_b32 v4, v10 :: v_dual_mov_b32 v5, v11
	v_dual_mov_b32 v7, v1 :: v_dual_mov_b32 v6, v0
                                        ; implicit-def: $sgpr17
	s_set_inst_prefetch_distance 0x1
	s_branch .LBB22_117
	.p2align	6
.LBB22_116:                             ;   in Loop: Header=BB22_117 Depth=2
	s_or_b32 exec_lo, exec_lo, s23
	s_waitcnt vmcnt(0) lgkmcnt(0)
	s_barrier
	buffer_gl0_inv
	ds_load_b64 v[26:27], v13 offset:3072
	v_add_co_u32 v6, vcc_lo, v6, s27
	v_add_co_ci_u32_e32 v7, vcc_lo, 0, v7, vcc_lo
	s_waitcnt lgkmcnt(0)
	s_barrier
	buffer_gl0_inv
	v_cmp_ge_i64_e32 vcc_lo, v[6:7], v[2:3]
	v_readfirstlane_b32 s23, v26
	s_delay_alu instid0(VALU_DEP_1) | instskip(SKIP_1) | instid1(SALU_CYCLE_1)
	s_cmp_lg_u32 s23, 0
	s_cselect_b32 s23, -1, 0
	s_or_b32 s24, s23, vcc_lo
	v_add_co_u32 v4, vcc_lo, v4, s70
	s_and_b32 s24, exec_lo, s24
	v_add_co_ci_u32_e32 v5, vcc_lo, s71, v5, vcc_lo
	s_or_b32 s5, s24, s5
	s_and_not1_b32 s17, s17, exec_lo
	s_and_b32 s23, s23, exec_lo
	s_delay_alu instid0(SALU_CYCLE_1)
	s_or_b32 s17, s17, s23
	s_and_not1_b32 exec_lo, exec_lo, s5
	s_cbranch_execz .LBB22_124
.LBB22_117:                             ;   Parent Loop BB22_33 Depth=1
                                        ; =>  This Inner Loop Header: Depth=2
	s_delay_alu instid0(VALU_DEP_1)
	v_cmp_gt_i64_e32 vcc_lo, s[36:37], v[6:7]
	v_mov_b32_e32 v26, 0
	s_and_saveexec_b32 s23, vcc_lo
	s_cbranch_execz .LBB22_119
; %bb.118:                              ;   in Loop: Header=BB22_117 Depth=2
	global_load_b32 v26, v[4:5], off
.LBB22_119:                             ;   in Loop: Header=BB22_117 Depth=2
	s_or_b32 exec_lo, exec_lo, s23
	s_and_saveexec_b32 s23, vcc_lo
	s_cbranch_execz .LBB22_116
; %bb.120:                              ;   in Loop: Header=BB22_117 Depth=2
	s_waitcnt vmcnt(0)
	v_xor_b32_e32 v8, 0x80000000, v26
	s_delay_alu instid0(VALU_DEP_1) | instskip(NEXT) | instid1(VALU_DEP_1)
	v_and_b32_e32 v8, s59, v8
	v_cmp_eq_u32_e32 vcc_lo, s60, v8
	s_and_b32 exec_lo, exec_lo, vcc_lo
	s_cbranch_execz .LBB22_116
; %bb.121:                              ;   in Loop: Header=BB22_117 Depth=2
	ds_store_b64 v13, v[25:26] offset:3072
	s_branch .LBB22_116
.LBB22_122:                             ;   in Loop: Header=BB22_33 Depth=1
	s_mov_b32 s5, -1
                                        ; implicit-def: $sgpr16
                                        ; implicit-def: $sgpr23
                                        ; implicit-def: $sgpr17
	s_branch .LBB22_139
.LBB22_123:                             ;   in Loop: Header=BB22_33 Depth=1
	s_mov_b32 s16, -1
	s_mov_b32 s5, 0
                                        ; implicit-def: $sgpr17
                                        ; implicit-def: $vgpr27
	s_mov_b32 s23, s16
	s_cbranch_execnz .LBB22_126
	s_branch .LBB22_139
.LBB22_124:                             ;   in Loop: Header=BB22_33 Depth=1
	s_set_inst_prefetch_distance 0x2
	s_or_b32 exec_lo, exec_lo, s5
	s_delay_alu instid0(SALU_CYCLE_1)
	s_and_b32 s5, s17, exec_lo
.LBB22_125:                             ;   in Loop: Header=BB22_33 Depth=1
	s_or_b32 exec_lo, exec_lo, s16
	s_mov_b32 s17, -1
	s_mov_b32 s16, 0
	s_delay_alu instid0(SALU_CYCLE_1)
	s_mov_b32 s23, s16
	s_branch .LBB22_139
.LBB22_126:                             ;   in Loop: Header=BB22_33 Depth=1
	s_add_u32 s23, s93, s14
	s_addc_u32 s17, s94, s15
	s_mov_b32 s16, s69
	s_delay_alu instid0(SALU_CYCLE_1)
	s_cmp_lg_u64 s[16:17], 0
	s_cbranch_scc0 .LBB22_169
; %bb.127:                              ;   in Loop: Header=BB22_33 Depth=1
	v_cvt_f32_u32_e32 v2, s27
	s_sub_u32 s24, 0, s27
	s_subb_u32 s48, 0, 0
	s_delay_alu instid0(VALU_DEP_1) | instskip(NEXT) | instid1(VALU_DEP_1)
	v_fmac_f32_e32 v2, 0x4f800000, v45
	v_rcp_f32_e32 v2, v2
	s_waitcnt_depctr 0xfff
	v_mul_f32_e32 v2, 0x5f7ffffc, v2
	s_delay_alu instid0(VALU_DEP_1) | instskip(NEXT) | instid1(VALU_DEP_1)
	v_mul_f32_e32 v3, 0x2f800000, v2
	v_trunc_f32_e32 v3, v3
	s_delay_alu instid0(VALU_DEP_1) | instskip(SKIP_1) | instid1(VALU_DEP_2)
	v_fmac_f32_e32 v2, 0xcf800000, v3
	v_cvt_u32_f32_e32 v3, v3
	v_cvt_u32_f32_e32 v2, v2
	s_delay_alu instid0(VALU_DEP_2) | instskip(NEXT) | instid1(VALU_DEP_2)
	v_readfirstlane_b32 s5, v3
	v_readfirstlane_b32 s16, v2
	s_delay_alu instid0(VALU_DEP_2) | instskip(NEXT) | instid1(VALU_DEP_1)
	s_mul_i32 s49, s24, s5
	s_mul_hi_u32 s51, s24, s16
	s_mul_i32 s50, s48, s16
	s_add_i32 s49, s51, s49
	s_mul_i32 s61, s24, s16
	s_add_i32 s49, s49, s50
	s_mul_hi_u32 s51, s16, s61
	s_mul_hi_u32 s68, s5, s61
	s_mul_i32 s50, s5, s61
	s_mul_hi_u32 s61, s16, s49
	s_mul_i32 s16, s16, s49
	s_mul_hi_u32 s82, s5, s49
	s_add_u32 s16, s51, s16
	s_addc_u32 s51, 0, s61
	s_add_u32 s16, s16, s50
	s_mul_i32 s49, s5, s49
	s_addc_u32 s16, s51, s68
	s_addc_u32 s50, s82, 0
	s_add_u32 s16, s16, s49
	s_addc_u32 s49, 0, s50
	v_add_co_u32 v2, s16, v2, s16
	s_delay_alu instid0(VALU_DEP_1) | instskip(SKIP_1) | instid1(VALU_DEP_1)
	s_cmp_lg_u32 s16, 0
	s_addc_u32 s5, s5, s49
	v_readfirstlane_b32 s16, v2
	s_mul_i32 s49, s24, s5
	s_delay_alu instid0(VALU_DEP_1)
	s_mul_hi_u32 s50, s24, s16
	s_mul_i32 s48, s48, s16
	s_add_i32 s49, s50, s49
	s_mul_i32 s24, s24, s16
	s_add_i32 s49, s49, s48
	s_mul_hi_u32 s50, s5, s24
	s_mul_i32 s51, s5, s24
	s_mul_hi_u32 s24, s16, s24
	s_mul_hi_u32 s61, s16, s49
	s_mul_i32 s16, s16, s49
	s_mul_hi_u32 s48, s5, s49
	s_add_u32 s16, s24, s16
	s_addc_u32 s24, 0, s61
	s_add_u32 s16, s16, s51
	s_mul_i32 s49, s5, s49
	s_addc_u32 s16, s24, s50
	s_addc_u32 s24, s48, 0
	s_add_u32 s16, s16, s49
	s_addc_u32 s24, 0, s24
	v_add_co_u32 v2, s16, v2, s16
	s_delay_alu instid0(VALU_DEP_1) | instskip(SKIP_2) | instid1(VALU_DEP_1)
	s_cmp_lg_u32 s16, 0
	s_addc_u32 s5, s5, s24
	s_ashr_i32 s48, s17, 31
	v_readfirstlane_b32 s16, v2
	s_add_u32 s50, s23, s48
	s_mov_b32 s49, s48
	s_addc_u32 s51, s17, s48
	s_delay_alu instid0(SALU_CYCLE_1) | instskip(NEXT) | instid1(SALU_CYCLE_1)
	s_xor_b64 s[50:51], s[50:51], s[48:49]
	s_mul_i32 s49, s50, s5
	s_mul_hi_u32 s61, s50, s16
	s_mul_hi_u32 s24, s50, s5
	;; [unrolled: 1-line block ×3, first 2 shown]
	s_mul_i32 s16, s51, s16
	s_add_u32 s49, s61, s49
	s_addc_u32 s24, 0, s24
	s_mul_hi_u32 s68, s51, s5
	s_add_u32 s16, s49, s16
	s_mul_i32 s5, s51, s5
	s_addc_u32 s16, s24, s82
	s_addc_u32 s24, s68, 0
	s_add_u32 s5, s16, s5
	s_addc_u32 s16, 0, s24
	s_mul_hi_u32 s24, s27, s5
	s_mul_i32 s5, s27, s5
	s_mul_i32 s16, s27, s16
	v_sub_co_u32 v2, s5, s50, s5
	s_add_i32 s24, s24, s16
	s_cmp_lg_u32 s5, 0
	s_delay_alu instid0(VALU_DEP_1) | instskip(SKIP_2) | instid1(VALU_DEP_1)
	v_sub_co_u32 v3, s5, v2, s27
	s_subb_u32 s16, s51, s24
	s_cmp_lg_u32 s5, 0
	v_cmp_le_u32_e32 vcc_lo, s27, v3
	v_sub_co_u32 v4, s5, v3, s27
	s_subb_u32 s24, s16, 0
	s_cmp_lg_u32 s5, 0
	v_cmp_le_u32_e64 s5, s27, v2
	s_subb_u32 s49, s24, 0
	v_cndmask_b32_e64 v5, 0, -1, vcc_lo
	s_cmp_eq_u32 s24, 0
	s_cselect_b32 vcc_lo, -1, 0
	v_cndmask_b32_e64 v6, 0, -1, s5
	s_delay_alu instid0(VALU_DEP_2) | instskip(SKIP_2) | instid1(VALU_DEP_1)
	v_cndmask_b32_e32 v5, -1, v5, vcc_lo
	s_cmp_eq_u32 s16, 0
	s_cselect_b32 vcc_lo, -1, 0
	v_cmp_ne_u32_e64 s5, 0, v5
	v_dual_cndmask_b32 v5, -1, v6 :: v_dual_mov_b32 v6, s49
	s_delay_alu instid0(VALU_DEP_2) | instskip(NEXT) | instid1(VALU_DEP_2)
	v_cndmask_b32_e64 v3, v3, v4, s5
	v_cmp_ne_u32_e32 vcc_lo, 0, v5
	s_delay_alu instid0(VALU_DEP_3) | instskip(NEXT) | instid1(VALU_DEP_3)
	v_cndmask_b32_e64 v4, s24, v6, s5
	v_cndmask_b32_e32 v2, v2, v3, vcc_lo
	s_delay_alu instid0(VALU_DEP_2) | instskip(NEXT) | instid1(VALU_DEP_2)
	v_cndmask_b32_e32 v3, s16, v4, vcc_lo
	v_xor_b32_e32 v2, s48, v2
	s_delay_alu instid0(VALU_DEP_2) | instskip(NEXT) | instid1(VALU_DEP_2)
	v_xor_b32_e32 v3, s48, v3
	v_sub_co_u32 v2, vcc_lo, v2, s48
	s_delay_alu instid0(VALU_DEP_2)
	v_subrev_co_ci_u32_e32 v3, vcc_lo, s48, v3, vcc_lo
	s_cbranch_execnz .LBB22_129
.LBB22_128:                             ;   in Loop: Header=BB22_33 Depth=1
	v_cvt_f32_u32_e32 v2, s27
	s_sub_i32 s5, 0, s27
	s_delay_alu instid0(VALU_DEP_1) | instskip(SKIP_2) | instid1(VALU_DEP_1)
	v_rcp_iflag_f32_e32 v2, v2
	s_waitcnt_depctr 0xfff
	v_mul_f32_e32 v2, 0x4f7ffffe, v2
	v_cvt_u32_f32_e32 v2, v2
	s_delay_alu instid0(VALU_DEP_1) | instskip(NEXT) | instid1(VALU_DEP_1)
	v_mul_lo_u32 v3, s5, v2
	v_mul_hi_u32 v3, v2, v3
	s_delay_alu instid0(VALU_DEP_1) | instskip(NEXT) | instid1(VALU_DEP_1)
	v_add_nc_u32_e32 v2, v2, v3
	v_mul_hi_u32 v2, s23, v2
	s_delay_alu instid0(VALU_DEP_1) | instskip(NEXT) | instid1(VALU_DEP_1)
	v_mul_lo_u32 v2, v2, s27
	v_sub_nc_u32_e32 v2, s23, v2
	s_delay_alu instid0(VALU_DEP_1) | instskip(SKIP_1) | instid1(VALU_DEP_2)
	v_subrev_nc_u32_e32 v3, s27, v2
	v_cmp_le_u32_e32 vcc_lo, s27, v2
	v_cndmask_b32_e32 v2, v2, v3, vcc_lo
	s_delay_alu instid0(VALU_DEP_1) | instskip(SKIP_1) | instid1(VALU_DEP_2)
	v_subrev_nc_u32_e32 v3, s27, v2
	v_cmp_le_u32_e32 vcc_lo, s27, v2
	v_cndmask_b32_e32 v12, v2, v3, vcc_lo
	s_delay_alu instid0(VALU_DEP_1)
	v_dual_mov_b32 v2, v12 :: v_dual_mov_b32 v3, v13
.LBB22_129:                             ;   in Loop: Header=BB22_33 Depth=1
	s_delay_alu instid0(VALU_DEP_1) | instskip(NEXT) | instid1(VALU_DEP_2)
	v_sub_co_u32 v2, vcc_lo, s23, v2
	v_sub_co_ci_u32_e32 v3, vcc_lo, s17, v3, vcc_lo
	s_mov_b32 s5, 0
	s_mov_b32 s16, exec_lo
                                        ; implicit-def: $vgpr27
	s_delay_alu instid0(VALU_DEP_1)
	v_cmpx_gt_i64_e64 v[2:3], v[0:1]
	s_cbranch_execz .LBB22_138
; %bb.130:                              ;   in Loop: Header=BB22_33 Depth=1
	v_dual_mov_b32 v6, v14 :: v_dual_mov_b32 v5, v1
	v_mov_b32_e32 v4, v0
                                        ; implicit-def: $sgpr17
	s_set_inst_prefetch_distance 0x1
	s_branch .LBB22_132
	.p2align	6
.LBB22_131:                             ;   in Loop: Header=BB22_132 Depth=2
	s_or_b32 exec_lo, exec_lo, s23
	s_waitcnt lgkmcnt(0)
	s_barrier
	buffer_gl0_inv
	ds_load_b64 v[26:27], v13 offset:3072
	v_add_co_u32 v4, vcc_lo, v4, s27
	v_add_co_ci_u32_e32 v5, vcc_lo, 0, v5, vcc_lo
	v_add_nc_u32_e32 v6, s101, v6
	s_waitcnt lgkmcnt(0)
	s_barrier
	s_delay_alu instid0(VALU_DEP_2) | instskip(SKIP_2) | instid1(VALU_DEP_1)
	v_cmp_ge_i64_e32 vcc_lo, v[4:5], v[2:3]
	buffer_gl0_inv
	v_readfirstlane_b32 s23, v26
	s_cmp_lg_u32 s23, 0
	s_cselect_b32 s23, -1, 0
	s_delay_alu instid0(SALU_CYCLE_1) | instskip(NEXT) | instid1(SALU_CYCLE_1)
	s_or_b32 s24, s23, vcc_lo
	s_and_b32 s24, exec_lo, s24
	s_delay_alu instid0(SALU_CYCLE_1) | instskip(SKIP_2) | instid1(SALU_CYCLE_1)
	s_or_b32 s5, s24, s5
	s_and_not1_b32 s17, s17, exec_lo
	s_and_b32 s23, s23, exec_lo
	s_or_b32 s17, s17, s23
	s_and_not1_b32 exec_lo, exec_lo, s5
	s_cbranch_execz .LBB22_137
.LBB22_132:                             ;   Parent Loop BB22_33 Depth=1
                                        ; =>  This Inner Loop Header: Depth=2
	s_delay_alu instid0(VALU_DEP_1)
	v_cmp_gt_i64_e32 vcc_lo, s[14:15], v[4:5]
	v_mov_b32_e32 v26, 0
	s_and_saveexec_b32 s23, vcc_lo
	s_cbranch_execz .LBB22_134
; %bb.133:                              ;   in Loop: Header=BB22_132 Depth=2
	ds_load_b32 v26, v6
.LBB22_134:                             ;   in Loop: Header=BB22_132 Depth=2
	s_or_b32 exec_lo, exec_lo, s23
	s_and_saveexec_b32 s23, vcc_lo
	s_cbranch_execz .LBB22_131
; %bb.135:                              ;   in Loop: Header=BB22_132 Depth=2
	s_waitcnt lgkmcnt(0)
	v_xor_b32_e32 v7, 0x80000000, v26
	s_delay_alu instid0(VALU_DEP_1) | instskip(NEXT) | instid1(VALU_DEP_1)
	v_and_b32_e32 v7, s59, v7
	v_cmp_eq_u32_e32 vcc_lo, s60, v7
	s_and_b32 exec_lo, exec_lo, vcc_lo
	s_cbranch_execz .LBB22_131
; %bb.136:                              ;   in Loop: Header=BB22_132 Depth=2
	ds_store_b64 v13, v[25:26] offset:3072
	s_branch .LBB22_131
.LBB22_137:                             ;   in Loop: Header=BB22_33 Depth=1
	s_set_inst_prefetch_distance 0x2
	s_or_b32 exec_lo, exec_lo, s5
	s_delay_alu instid0(SALU_CYCLE_1)
	s_and_b32 s5, s17, exec_lo
.LBB22_138:                             ;   in Loop: Header=BB22_33 Depth=1
	s_or_b32 exec_lo, exec_lo, s16
	s_mov_b32 s23, -1
	s_mov_b32 s16, 0
	s_mov_b32 s17, 0
.LBB22_139:                             ;   in Loop: Header=BB22_33 Depth=1
	s_and_not1_b32 s14, s66, exec_lo
	s_and_b32 s15, s16, exec_lo
	s_and_not1_b32 s16, s67, exec_lo
	s_or_b32 s66, s14, s15
	s_and_not1_b32 s14, s58, exec_lo
	s_and_b32 s15, s23, exec_lo
	s_and_b32 s17, s17, exec_lo
	s_or_b32 s58, s14, s15
	s_or_b32 s67, s16, s17
	s_and_saveexec_b32 s16, s5
	s_cbranch_execz .LBB22_32
; %bb.140:                              ;   in Loop: Header=BB22_33 Depth=1
	s_xor_b32 s5, s22, -1
	s_delay_alu instid0(SALU_CYCLE_1)
	s_and_not1_b32 vcc_lo, exec_lo, s5
	s_mov_b32 s5, 1
	s_cbranch_vccnz .LBB22_151
; %bb.141:                              ;   in Loop: Header=BB22_33 Depth=1
	v_cmp_gt_i64_e64 s5, s[38:39], s[12:13]
	s_mov_b32 s14, -1
                                        ; implicit-def: $sgpr15
                                        ; implicit-def: $sgpr17
	s_delay_alu instid0(VALU_DEP_1)
	s_and_b32 vcc_lo, exec_lo, s5
                                        ; implicit-def: $sgpr5
	s_cbranch_vccnz .LBB22_147
; %bb.142:                              ;   in Loop: Header=BB22_33 Depth=1
	ds_load_b64 v[2:3], v13 offset:5120
	s_waitcnt lgkmcnt(0)
	v_cmp_ne_u64_e32 vcc_lo, 0, v[2:3]
	s_cbranch_vccnz .LBB22_146
; %bb.143:                              ;   in Loop: Header=BB22_33 Depth=1
	s_and_saveexec_b32 s5, s0
	s_cbranch_execz .LBB22_145
; %bb.144:                              ;   in Loop: Header=BB22_33 Depth=1
	v_dual_mov_b32 v2, s12 :: v_dual_mov_b32 v3, s13
	ds_store_b64 v13, v[2:3] offset:5128
.LBB22_145:                             ;   in Loop: Header=BB22_33 Depth=1
	s_or_b32 exec_lo, exec_lo, s5
	s_waitcnt lgkmcnt(0)
	s_barrier
	buffer_gl0_inv
.LBB22_146:                             ;   in Loop: Header=BB22_33 Depth=1
	s_and_b32 s15, s60, s20
	s_or_b32 s17, s59, s18
	s_mov_b32 s14, 0
	s_mov_b32 s5, 8
.LBB22_147:                             ;   in Loop: Header=BB22_33 Depth=1
	s_and_not1_b32 vcc_lo, exec_lo, s14
	s_cbranch_vccnz .LBB22_149
; %bb.148:                              ;   in Loop: Header=BB22_33 Depth=1
	s_sub_u32 s38, s38, s12
	s_subb_u32 s39, s39, s13
	s_mov_b32 s14, -1
	s_mov_b32 s5, 0
	s_mov_b32 s15, s60
	;; [unrolled: 1-line block ×3, first 2 shown]
.LBB22_149:                             ;   in Loop: Header=BB22_33 Depth=1
	s_delay_alu instid0(SALU_CYCLE_1)
	s_mov_b32 s59, s17
	s_mov_b32 s60, s15
	s_and_b32 vcc_lo, exec_lo, s14
	s_mov_b32 s17, -1
	s_cbranch_vccnz .LBB22_152
.LBB22_150:                             ;   in Loop: Header=BB22_33 Depth=1
	s_mov_b32 s12, -1
                                        ; implicit-def: $sgpr14
                                        ; implicit-def: $sgpr21
                                        ; implicit-def: $sgpr15
	s_delay_alu instid0(SALU_CYCLE_1) | instskip(NEXT) | instid1(SALU_CYCLE_1)
	s_and_saveexec_b32 s6, s12
	s_xor_b32 s6, exec_lo, s6
	s_cbranch_execz .LBB22_31
	s_branch .LBB22_298
.LBB22_151:                             ;   in Loop: Header=BB22_33 Depth=1
	s_mov_b64 s[38:39], 1
	s_mov_b32 s17, -1
	s_branch .LBB22_150
.LBB22_152:                             ;   in Loop: Header=BB22_33 Depth=1
	s_cmp_eq_u64 s[10:11], 1
	s_mov_b32 s24, -1
	s_cselect_b32 s5, -1, 0
	s_cmp_eq_u64 s[38:39], 1
	s_cselect_b32 s12, -1, 0
	s_delay_alu instid0(SALU_CYCLE_1) | instskip(NEXT) | instid1(SALU_CYCLE_1)
	s_and_b32 s23, s5, s12
	s_and_b32 vcc_lo, exec_lo, s23
	s_cbranch_vccz .LBB22_167
; %bb.153:                              ;   in Loop: Header=BB22_33 Depth=1
	ds_load_b64 v[2:3], v13 offset:5120
	s_waitcnt lgkmcnt(0)
	s_barrier
	buffer_gl0_inv
	v_readfirstlane_b32 s12, v2
	v_readfirstlane_b32 s13, v3
	s_and_saveexec_b32 s5, s3
	s_cbranch_execz .LBB22_155
; %bb.154:                              ;   in Loop: Header=BB22_33 Depth=1
	ds_store_b32 v37, v13
.LBB22_155:                             ;   in Loop: Header=BB22_33 Depth=1
	s_or_b32 exec_lo, exec_lo, s5
	s_delay_alu instid0(VALU_DEP_1)
	v_cmp_gt_i64_e64 s15, s[12:13], 0
	s_lshl_b32 s5, 1, s19
	s_and_b32 s14, s60, s20
	s_or_b32 s59, s59, s18
	s_or_b32 s60, s14, s5
	s_waitcnt lgkmcnt(0)
	s_and_b32 vcc_lo, exec_lo, s15
	s_barrier
	buffer_gl0_inv
	s_cbranch_vccnz .LBB22_170
; %bb.156:                              ;   in Loop: Header=BB22_33 Depth=1
	s_mov_b32 s24, s69
	s_delay_alu instid0(SALU_CYCLE_1)
	s_cmp_lg_u64 s[24:25], 0
	s_cbranch_scc0 .LBB22_215
; %bb.157:                              ;   in Loop: Header=BB22_33 Depth=1
	v_cvt_f32_u32_e32 v2, s27
	s_sub_u32 s15, 0, s27
	s_subb_u32 s21, 0, 0
	s_delay_alu instid0(VALU_DEP_1) | instskip(NEXT) | instid1(VALU_DEP_1)
	v_fmac_f32_e32 v2, 0x4f800000, v45
	v_rcp_f32_e32 v2, v2
	s_waitcnt_depctr 0xfff
	v_mul_f32_e32 v2, 0x5f7ffffc, v2
	s_delay_alu instid0(VALU_DEP_1) | instskip(NEXT) | instid1(VALU_DEP_1)
	v_mul_f32_e32 v3, 0x2f800000, v2
	v_trunc_f32_e32 v3, v3
	s_delay_alu instid0(VALU_DEP_1) | instskip(SKIP_1) | instid1(VALU_DEP_2)
	v_fmac_f32_e32 v2, 0xcf800000, v3
	v_cvt_u32_f32_e32 v3, v3
	v_cvt_u32_f32_e32 v2, v2
	s_delay_alu instid0(VALU_DEP_2) | instskip(NEXT) | instid1(VALU_DEP_2)
	v_readfirstlane_b32 s5, v3
	v_readfirstlane_b32 s14, v2
	s_delay_alu instid0(VALU_DEP_2) | instskip(NEXT) | instid1(VALU_DEP_1)
	s_mul_i32 s22, s15, s5
	s_mul_hi_u32 s48, s15, s14
	s_mul_i32 s24, s21, s14
	s_add_i32 s22, s48, s22
	s_mul_i32 s49, s15, s14
	s_add_i32 s22, s22, s24
	s_mul_hi_u32 s48, s14, s49
	s_mul_hi_u32 s50, s5, s49
	s_mul_i32 s24, s5, s49
	s_mul_hi_u32 s49, s14, s22
	s_mul_i32 s14, s14, s22
	s_mul_hi_u32 s51, s5, s22
	s_add_u32 s14, s48, s14
	s_addc_u32 s48, 0, s49
	s_add_u32 s14, s14, s24
	s_mul_i32 s22, s5, s22
	s_addc_u32 s14, s48, s50
	s_addc_u32 s24, s51, 0
	s_add_u32 s14, s14, s22
	s_addc_u32 s22, 0, s24
	v_add_co_u32 v2, s14, v2, s14
	s_delay_alu instid0(VALU_DEP_1) | instskip(SKIP_1) | instid1(VALU_DEP_1)
	s_cmp_lg_u32 s14, 0
	s_addc_u32 s5, s5, s22
	v_readfirstlane_b32 s14, v2
	s_mul_i32 s22, s15, s5
	s_delay_alu instid0(VALU_DEP_1)
	s_mul_hi_u32 s24, s15, s14
	s_mul_i32 s21, s21, s14
	s_add_i32 s22, s24, s22
	s_mul_i32 s15, s15, s14
	s_add_i32 s22, s22, s21
	s_mul_hi_u32 s24, s5, s15
	s_mul_i32 s48, s5, s15
	s_mul_hi_u32 s15, s14, s15
	s_mul_hi_u32 s49, s14, s22
	s_mul_i32 s14, s14, s22
	s_mul_hi_u32 s21, s5, s22
	s_add_u32 s14, s15, s14
	s_addc_u32 s15, 0, s49
	s_add_u32 s14, s14, s48
	s_mul_i32 s22, s5, s22
	s_addc_u32 s14, s15, s24
	s_addc_u32 s15, s21, 0
	s_add_u32 s14, s14, s22
	s_addc_u32 s15, 0, s15
	v_add_co_u32 v2, s14, v2, s14
	s_delay_alu instid0(VALU_DEP_1) | instskip(SKIP_2) | instid1(VALU_DEP_1)
	s_cmp_lg_u32 s14, 0
	s_addc_u32 s5, s5, s15
	s_ashr_i32 s14, s25, 31
	v_readfirstlane_b32 s21, v2
	s_add_u32 s48, s95, s14
	s_mov_b32 s15, s14
	s_addc_u32 s49, s25, s14
	s_delay_alu instid0(SALU_CYCLE_1) | instskip(NEXT) | instid1(SALU_CYCLE_1)
	s_xor_b64 s[48:49], s[48:49], s[14:15]
	s_mul_i32 s22, s48, s5
	s_mul_hi_u32 s24, s48, s21
	s_mul_hi_u32 s15, s48, s5
	;; [unrolled: 1-line block ×3, first 2 shown]
	s_mul_i32 s21, s49, s21
	s_add_u32 s22, s24, s22
	s_addc_u32 s15, 0, s15
	s_mul_hi_u32 s50, s49, s5
	s_add_u32 s21, s22, s21
	s_mul_i32 s5, s49, s5
	s_addc_u32 s15, s15, s51
	s_addc_u32 s21, s50, 0
	s_add_u32 s5, s15, s5
	s_addc_u32 s15, 0, s21
	s_mul_hi_u32 s21, s27, s5
	s_mul_i32 s5, s27, s5
	s_mul_i32 s15, s27, s15
	v_sub_co_u32 v2, s5, s48, s5
	s_add_i32 s21, s21, s15
	s_cmp_lg_u32 s5, 0
	s_delay_alu instid0(VALU_DEP_1) | instskip(SKIP_2) | instid1(VALU_DEP_1)
	v_sub_co_u32 v3, s5, v2, s27
	s_subb_u32 s15, s49, s21
	s_cmp_lg_u32 s5, 0
	v_cmp_le_u32_e32 vcc_lo, s27, v3
	v_sub_co_u32 v4, s5, v3, s27
	s_subb_u32 s21, s15, 0
	s_cmp_lg_u32 s5, 0
	v_cndmask_b32_e64 v5, 0, -1, vcc_lo
	s_subb_u32 s5, s21, 0
	s_cmp_eq_u32 s21, 0
	v_mov_b32_e32 v7, s5
	s_cselect_b32 vcc_lo, -1, 0
	s_cmp_eq_u32 s15, 0
	v_cndmask_b32_e32 v5, -1, v5, vcc_lo
	v_cmp_le_u32_e32 vcc_lo, s27, v2
	s_cselect_b32 s5, -1, 0
	v_cndmask_b32_e64 v6, 0, -1, vcc_lo
	s_delay_alu instid0(VALU_DEP_3) | instskip(NEXT) | instid1(VALU_DEP_2)
	v_cmp_ne_u32_e32 vcc_lo, 0, v5
	v_cndmask_b32_e64 v5, -1, v6, s5
	v_cndmask_b32_e32 v3, v3, v4, vcc_lo
	v_cndmask_b32_e32 v6, s21, v7, vcc_lo
	s_delay_alu instid0(VALU_DEP_3) | instskip(NEXT) | instid1(VALU_DEP_3)
	v_cmp_ne_u32_e32 vcc_lo, 0, v5
	v_cndmask_b32_e32 v2, v2, v3, vcc_lo
	s_delay_alu instid0(VALU_DEP_3) | instskip(NEXT) | instid1(VALU_DEP_2)
	v_cndmask_b32_e32 v4, s15, v6, vcc_lo
	v_xor_b32_e32 v2, s14, v2
	s_delay_alu instid0(VALU_DEP_2) | instskip(NEXT) | instid1(VALU_DEP_2)
	v_xor_b32_e32 v3, s14, v4
	v_sub_co_u32 v2, vcc_lo, v2, s14
	s_delay_alu instid0(VALU_DEP_2)
	v_subrev_co_ci_u32_e32 v3, vcc_lo, s14, v3, vcc_lo
	s_cbranch_execnz .LBB22_159
.LBB22_158:                             ;   in Loop: Header=BB22_33 Depth=1
	v_cvt_f32_u32_e32 v2, s27
	s_sub_i32 s5, 0, s27
	s_delay_alu instid0(VALU_DEP_1) | instskip(SKIP_2) | instid1(VALU_DEP_1)
	v_rcp_iflag_f32_e32 v2, v2
	s_waitcnt_depctr 0xfff
	v_mul_f32_e32 v2, 0x4f7ffffe, v2
	v_cvt_u32_f32_e32 v2, v2
	s_delay_alu instid0(VALU_DEP_1) | instskip(NEXT) | instid1(VALU_DEP_1)
	v_mul_lo_u32 v3, s5, v2
	v_mul_hi_u32 v3, v2, v3
	s_delay_alu instid0(VALU_DEP_1) | instskip(NEXT) | instid1(VALU_DEP_1)
	v_add_nc_u32_e32 v2, v2, v3
	v_mul_hi_u32 v2, s95, v2
	s_delay_alu instid0(VALU_DEP_1) | instskip(NEXT) | instid1(VALU_DEP_1)
	v_mul_lo_u32 v2, v2, s27
	v_sub_nc_u32_e32 v2, s95, v2
	s_delay_alu instid0(VALU_DEP_1) | instskip(SKIP_1) | instid1(VALU_DEP_2)
	v_subrev_nc_u32_e32 v3, s27, v2
	v_cmp_le_u32_e32 vcc_lo, s27, v2
	v_cndmask_b32_e32 v2, v2, v3, vcc_lo
	s_delay_alu instid0(VALU_DEP_1) | instskip(SKIP_1) | instid1(VALU_DEP_2)
	v_subrev_nc_u32_e32 v3, s27, v2
	v_cmp_le_u32_e32 vcc_lo, s27, v2
	v_cndmask_b32_e32 v12, v2, v3, vcc_lo
	s_delay_alu instid0(VALU_DEP_1)
	v_dual_mov_b32 v2, v12 :: v_dual_mov_b32 v3, v13
.LBB22_159:                             ;   in Loop: Header=BB22_33 Depth=1
	s_delay_alu instid0(VALU_DEP_1) | instskip(NEXT) | instid1(VALU_DEP_2)
	v_sub_co_u32 v2, vcc_lo, s95, v2
	v_sub_co_ci_u32_e32 v3, vcc_lo, s25, v3, vcc_lo
	s_mov_b32 s24, 0
	s_mov_b32 s5, exec_lo
                                        ; implicit-def: $vgpr27
	s_delay_alu instid0(VALU_DEP_1)
	v_cmpx_gt_i64_e64 v[2:3], v[0:1]
	s_cbranch_execz .LBB22_172
; %bb.160:                              ;   in Loop: Header=BB22_33 Depth=1
	v_dual_mov_b32 v4, v10 :: v_dual_mov_b32 v5, v11
	v_dual_mov_b32 v7, v1 :: v_dual_mov_b32 v6, v0
	s_mov_b32 s14, 0
                                        ; implicit-def: $sgpr15
	s_set_inst_prefetch_distance 0x1
	s_branch .LBB22_162
	.p2align	6
.LBB22_161:                             ;   in Loop: Header=BB22_162 Depth=2
	s_or_b32 exec_lo, exec_lo, s21
	s_waitcnt vmcnt(0) lgkmcnt(0)
	s_barrier
	buffer_gl0_inv
	ds_load_b64 v[26:27], v13 offset:3072
	v_add_co_u32 v6, vcc_lo, v6, s27
	v_add_co_ci_u32_e32 v7, vcc_lo, 0, v7, vcc_lo
	s_waitcnt lgkmcnt(0)
	s_barrier
	buffer_gl0_inv
	v_cmp_ge_i64_e32 vcc_lo, v[6:7], v[2:3]
	v_readfirstlane_b32 s21, v26
	s_delay_alu instid0(VALU_DEP_1) | instskip(SKIP_1) | instid1(SALU_CYCLE_1)
	s_cmp_lg_u32 s21, 0
	s_cselect_b32 s21, -1, 0
	s_or_b32 s22, s21, vcc_lo
	v_add_co_u32 v4, vcc_lo, v4, s70
	s_and_b32 s22, exec_lo, s22
	v_add_co_ci_u32_e32 v5, vcc_lo, s71, v5, vcc_lo
	s_or_b32 s14, s22, s14
	s_and_not1_b32 s15, s15, exec_lo
	s_and_b32 s21, s21, exec_lo
	s_delay_alu instid0(SALU_CYCLE_1)
	s_or_b32 s15, s15, s21
	s_and_not1_b32 exec_lo, exec_lo, s14
	s_cbranch_execz .LBB22_171
.LBB22_162:                             ;   Parent Loop BB22_33 Depth=1
                                        ; =>  This Inner Loop Header: Depth=2
	s_delay_alu instid0(VALU_DEP_1)
	v_cmp_gt_i64_e32 vcc_lo, s[36:37], v[6:7]
	v_mov_b32_e32 v26, 0
	s_and_saveexec_b32 s21, vcc_lo
	s_cbranch_execz .LBB22_164
; %bb.163:                              ;   in Loop: Header=BB22_162 Depth=2
	global_load_b32 v26, v[4:5], off
.LBB22_164:                             ;   in Loop: Header=BB22_162 Depth=2
	s_or_b32 exec_lo, exec_lo, s21
	s_and_saveexec_b32 s21, vcc_lo
	s_cbranch_execz .LBB22_161
; %bb.165:                              ;   in Loop: Header=BB22_162 Depth=2
	s_waitcnt vmcnt(0)
	v_xor_b32_e32 v8, 0x80000000, v26
	s_delay_alu instid0(VALU_DEP_1) | instskip(NEXT) | instid1(VALU_DEP_1)
	v_and_b32_e32 v8, s59, v8
	v_cmp_eq_u32_e32 vcc_lo, s60, v8
	s_and_b32 exec_lo, exec_lo, vcc_lo
	s_cbranch_execz .LBB22_161
; %bb.166:                              ;   in Loop: Header=BB22_162 Depth=2
	ds_store_b64 v13, v[25:26] offset:3072
	s_branch .LBB22_161
.LBB22_167:                             ;   in Loop: Header=BB22_33 Depth=1
                                        ; implicit-def: $sgpr15
                                        ; implicit-def: $sgpr21
                                        ; implicit-def: $sgpr14
	s_branch .LBB22_186
.LBB22_168:                             ;   in Loop: Header=BB22_33 Depth=1
                                        ; implicit-def: $vgpr2_vgpr3
	s_branch .LBB22_113
.LBB22_169:                             ;   in Loop: Header=BB22_33 Depth=1
                                        ; implicit-def: $vgpr2_vgpr3
	s_branch .LBB22_128
.LBB22_170:                             ;   in Loop: Header=BB22_33 Depth=1
	s_mov_b32 s15, -1
	s_mov_b32 s24, 0
                                        ; implicit-def: $sgpr14
                                        ; implicit-def: $vgpr27
	s_mov_b32 s21, s15
	s_cbranch_execnz .LBB22_173
	s_branch .LBB22_186
.LBB22_171:                             ;   in Loop: Header=BB22_33 Depth=1
	s_set_inst_prefetch_distance 0x2
	s_or_b32 exec_lo, exec_lo, s14
	s_delay_alu instid0(SALU_CYCLE_1)
	s_and_b32 s24, s15, exec_lo
.LBB22_172:                             ;   in Loop: Header=BB22_33 Depth=1
	s_or_b32 exec_lo, exec_lo, s5
	s_mov_b32 s14, -1
	s_mov_b32 s15, 0
	s_delay_alu instid0(SALU_CYCLE_1)
	s_mov_b32 s21, s15
	s_branch .LBB22_186
.LBB22_173:                             ;   in Loop: Header=BB22_33 Depth=1
	s_add_u32 s21, s93, s12
	s_addc_u32 s15, s94, s13
	s_mov_b32 s14, s69
	s_delay_alu instid0(SALU_CYCLE_1)
	s_cmp_lg_u64 s[14:15], 0
	s_cbranch_scc0 .LBB22_216
; %bb.174:                              ;   in Loop: Header=BB22_33 Depth=1
	v_cvt_f32_u32_e32 v2, s27
	s_sub_u32 s22, 0, s27
	s_subb_u32 s24, 0, 0
	s_delay_alu instid0(VALU_DEP_1) | instskip(NEXT) | instid1(VALU_DEP_1)
	v_fmac_f32_e32 v2, 0x4f800000, v45
	v_rcp_f32_e32 v2, v2
	s_waitcnt_depctr 0xfff
	v_mul_f32_e32 v2, 0x5f7ffffc, v2
	s_delay_alu instid0(VALU_DEP_1) | instskip(NEXT) | instid1(VALU_DEP_1)
	v_mul_f32_e32 v3, 0x2f800000, v2
	v_trunc_f32_e32 v3, v3
	s_delay_alu instid0(VALU_DEP_1) | instskip(SKIP_1) | instid1(VALU_DEP_2)
	v_fmac_f32_e32 v2, 0xcf800000, v3
	v_cvt_u32_f32_e32 v3, v3
	v_cvt_u32_f32_e32 v2, v2
	s_delay_alu instid0(VALU_DEP_2) | instskip(NEXT) | instid1(VALU_DEP_2)
	v_readfirstlane_b32 s5, v3
	v_readfirstlane_b32 s14, v2
	s_delay_alu instid0(VALU_DEP_2) | instskip(NEXT) | instid1(VALU_DEP_1)
	s_mul_i32 s48, s22, s5
	s_mul_hi_u32 s50, s22, s14
	s_mul_i32 s49, s24, s14
	s_add_i32 s48, s50, s48
	s_mul_i32 s51, s22, s14
	s_add_i32 s48, s48, s49
	s_mul_hi_u32 s50, s14, s51
	s_mul_hi_u32 s61, s5, s51
	s_mul_i32 s49, s5, s51
	s_mul_hi_u32 s51, s14, s48
	s_mul_i32 s14, s14, s48
	s_mul_hi_u32 s68, s5, s48
	s_add_u32 s14, s50, s14
	s_addc_u32 s50, 0, s51
	s_add_u32 s14, s14, s49
	s_mul_i32 s48, s5, s48
	s_addc_u32 s14, s50, s61
	s_addc_u32 s49, s68, 0
	s_add_u32 s14, s14, s48
	s_addc_u32 s48, 0, s49
	v_add_co_u32 v2, s14, v2, s14
	s_delay_alu instid0(VALU_DEP_1) | instskip(SKIP_1) | instid1(VALU_DEP_1)
	s_cmp_lg_u32 s14, 0
	s_addc_u32 s5, s5, s48
	v_readfirstlane_b32 s14, v2
	s_mul_i32 s48, s22, s5
	s_delay_alu instid0(VALU_DEP_1)
	s_mul_hi_u32 s49, s22, s14
	s_mul_i32 s24, s24, s14
	s_add_i32 s48, s49, s48
	s_mul_i32 s22, s22, s14
	s_add_i32 s48, s48, s24
	s_mul_hi_u32 s49, s5, s22
	s_mul_i32 s50, s5, s22
	s_mul_hi_u32 s22, s14, s22
	s_mul_hi_u32 s51, s14, s48
	s_mul_i32 s14, s14, s48
	s_mul_hi_u32 s24, s5, s48
	s_add_u32 s14, s22, s14
	s_addc_u32 s22, 0, s51
	s_add_u32 s14, s14, s50
	s_mul_i32 s48, s5, s48
	s_addc_u32 s14, s22, s49
	s_addc_u32 s22, s24, 0
	s_add_u32 s14, s14, s48
	s_addc_u32 s22, 0, s22
	v_add_co_u32 v2, s14, v2, s14
	s_delay_alu instid0(VALU_DEP_1) | instskip(SKIP_2) | instid1(VALU_DEP_1)
	s_cmp_lg_u32 s14, 0
	s_addc_u32 s5, s5, s22
	s_ashr_i32 s48, s15, 31
	v_readfirstlane_b32 s14, v2
	s_add_u32 s50, s21, s48
	s_mov_b32 s49, s48
	s_addc_u32 s51, s15, s48
	s_delay_alu instid0(SALU_CYCLE_1) | instskip(NEXT) | instid1(SALU_CYCLE_1)
	s_xor_b64 s[50:51], s[50:51], s[48:49]
	s_mul_i32 s24, s50, s5
	s_mul_hi_u32 s49, s50, s14
	s_mul_hi_u32 s22, s50, s5
	;; [unrolled: 1-line block ×3, first 2 shown]
	s_mul_i32 s14, s51, s14
	s_add_u32 s24, s49, s24
	s_addc_u32 s22, 0, s22
	s_mul_hi_u32 s61, s51, s5
	s_add_u32 s14, s24, s14
	s_mul_i32 s5, s51, s5
	s_addc_u32 s14, s22, s68
	s_addc_u32 s22, s61, 0
	s_add_u32 s5, s14, s5
	s_addc_u32 s14, 0, s22
	s_mul_hi_u32 s22, s27, s5
	s_mul_i32 s5, s27, s5
	s_mul_i32 s14, s27, s14
	v_sub_co_u32 v2, s5, s50, s5
	s_add_i32 s22, s22, s14
	s_cmp_lg_u32 s5, 0
	s_delay_alu instid0(VALU_DEP_1) | instskip(SKIP_2) | instid1(VALU_DEP_1)
	v_sub_co_u32 v3, s5, v2, s27
	s_subb_u32 s14, s51, s22
	s_cmp_lg_u32 s5, 0
	v_cmp_le_u32_e32 vcc_lo, s27, v3
	v_sub_co_u32 v4, s5, v3, s27
	s_subb_u32 s22, s14, 0
	s_cmp_lg_u32 s5, 0
	v_cmp_le_u32_e64 s5, s27, v2
	s_subb_u32 s24, s22, 0
	v_cndmask_b32_e64 v5, 0, -1, vcc_lo
	s_cmp_eq_u32 s22, 0
	s_cselect_b32 vcc_lo, -1, 0
	v_cndmask_b32_e64 v6, 0, -1, s5
	s_delay_alu instid0(VALU_DEP_2) | instskip(SKIP_2) | instid1(VALU_DEP_1)
	v_cndmask_b32_e32 v5, -1, v5, vcc_lo
	s_cmp_eq_u32 s14, 0
	s_cselect_b32 vcc_lo, -1, 0
	v_cmp_ne_u32_e64 s5, 0, v5
	v_dual_cndmask_b32 v5, -1, v6 :: v_dual_mov_b32 v6, s24
	s_delay_alu instid0(VALU_DEP_2) | instskip(NEXT) | instid1(VALU_DEP_2)
	v_cndmask_b32_e64 v3, v3, v4, s5
	v_cmp_ne_u32_e32 vcc_lo, 0, v5
	s_delay_alu instid0(VALU_DEP_3) | instskip(NEXT) | instid1(VALU_DEP_3)
	v_cndmask_b32_e64 v4, s22, v6, s5
	v_cndmask_b32_e32 v2, v2, v3, vcc_lo
	s_delay_alu instid0(VALU_DEP_2) | instskip(NEXT) | instid1(VALU_DEP_2)
	v_cndmask_b32_e32 v3, s14, v4, vcc_lo
	v_xor_b32_e32 v2, s48, v2
	s_delay_alu instid0(VALU_DEP_2) | instskip(NEXT) | instid1(VALU_DEP_2)
	v_xor_b32_e32 v3, s48, v3
	v_sub_co_u32 v2, vcc_lo, v2, s48
	s_delay_alu instid0(VALU_DEP_2)
	v_subrev_co_ci_u32_e32 v3, vcc_lo, s48, v3, vcc_lo
	s_cbranch_execnz .LBB22_176
.LBB22_175:                             ;   in Loop: Header=BB22_33 Depth=1
	v_cvt_f32_u32_e32 v2, s27
	s_sub_i32 s5, 0, s27
	s_delay_alu instid0(VALU_DEP_1) | instskip(SKIP_2) | instid1(VALU_DEP_1)
	v_rcp_iflag_f32_e32 v2, v2
	s_waitcnt_depctr 0xfff
	v_mul_f32_e32 v2, 0x4f7ffffe, v2
	v_cvt_u32_f32_e32 v2, v2
	s_delay_alu instid0(VALU_DEP_1) | instskip(NEXT) | instid1(VALU_DEP_1)
	v_mul_lo_u32 v3, s5, v2
	v_mul_hi_u32 v3, v2, v3
	s_delay_alu instid0(VALU_DEP_1) | instskip(NEXT) | instid1(VALU_DEP_1)
	v_add_nc_u32_e32 v2, v2, v3
	v_mul_hi_u32 v2, s21, v2
	s_delay_alu instid0(VALU_DEP_1) | instskip(NEXT) | instid1(VALU_DEP_1)
	v_mul_lo_u32 v2, v2, s27
	v_sub_nc_u32_e32 v2, s21, v2
	s_delay_alu instid0(VALU_DEP_1) | instskip(SKIP_1) | instid1(VALU_DEP_2)
	v_subrev_nc_u32_e32 v3, s27, v2
	v_cmp_le_u32_e32 vcc_lo, s27, v2
	v_cndmask_b32_e32 v2, v2, v3, vcc_lo
	s_delay_alu instid0(VALU_DEP_1) | instskip(SKIP_1) | instid1(VALU_DEP_2)
	v_subrev_nc_u32_e32 v3, s27, v2
	v_cmp_le_u32_e32 vcc_lo, s27, v2
	v_cndmask_b32_e32 v12, v2, v3, vcc_lo
	s_delay_alu instid0(VALU_DEP_1)
	v_dual_mov_b32 v2, v12 :: v_dual_mov_b32 v3, v13
.LBB22_176:                             ;   in Loop: Header=BB22_33 Depth=1
	s_delay_alu instid0(VALU_DEP_1) | instskip(NEXT) | instid1(VALU_DEP_2)
	v_sub_co_u32 v2, vcc_lo, s21, v2
	v_sub_co_ci_u32_e32 v3, vcc_lo, s15, v3, vcc_lo
	s_mov_b32 s24, 0
	s_mov_b32 s5, exec_lo
                                        ; implicit-def: $vgpr27
	s_delay_alu instid0(VALU_DEP_1)
	v_cmpx_gt_i64_e64 v[2:3], v[0:1]
	s_cbranch_execz .LBB22_185
; %bb.177:                              ;   in Loop: Header=BB22_33 Depth=1
	v_dual_mov_b32 v6, v14 :: v_dual_mov_b32 v5, v1
	v_mov_b32_e32 v4, v0
	s_mov_b32 s14, 0
                                        ; implicit-def: $sgpr15
	s_set_inst_prefetch_distance 0x1
	s_branch .LBB22_179
	.p2align	6
.LBB22_178:                             ;   in Loop: Header=BB22_179 Depth=2
	s_or_b32 exec_lo, exec_lo, s21
	s_waitcnt lgkmcnt(0)
	s_barrier
	buffer_gl0_inv
	ds_load_b64 v[26:27], v13 offset:3072
	v_add_co_u32 v4, vcc_lo, v4, s27
	v_add_co_ci_u32_e32 v5, vcc_lo, 0, v5, vcc_lo
	v_add_nc_u32_e32 v6, s101, v6
	s_waitcnt lgkmcnt(0)
	s_barrier
	s_delay_alu instid0(VALU_DEP_2) | instskip(SKIP_2) | instid1(VALU_DEP_1)
	v_cmp_ge_i64_e32 vcc_lo, v[4:5], v[2:3]
	buffer_gl0_inv
	v_readfirstlane_b32 s21, v26
	s_cmp_lg_u32 s21, 0
	s_cselect_b32 s21, -1, 0
	s_delay_alu instid0(SALU_CYCLE_1) | instskip(NEXT) | instid1(SALU_CYCLE_1)
	s_or_b32 s22, s21, vcc_lo
	s_and_b32 s22, exec_lo, s22
	s_delay_alu instid0(SALU_CYCLE_1) | instskip(SKIP_2) | instid1(SALU_CYCLE_1)
	s_or_b32 s14, s22, s14
	s_and_not1_b32 s15, s15, exec_lo
	s_and_b32 s21, s21, exec_lo
	s_or_b32 s15, s15, s21
	s_and_not1_b32 exec_lo, exec_lo, s14
	s_cbranch_execz .LBB22_184
.LBB22_179:                             ;   Parent Loop BB22_33 Depth=1
                                        ; =>  This Inner Loop Header: Depth=2
	s_delay_alu instid0(VALU_DEP_1)
	v_cmp_gt_i64_e32 vcc_lo, s[12:13], v[4:5]
	v_mov_b32_e32 v26, 0
	s_and_saveexec_b32 s21, vcc_lo
	s_cbranch_execz .LBB22_181
; %bb.180:                              ;   in Loop: Header=BB22_179 Depth=2
	ds_load_b32 v26, v6
.LBB22_181:                             ;   in Loop: Header=BB22_179 Depth=2
	s_or_b32 exec_lo, exec_lo, s21
	s_and_saveexec_b32 s21, vcc_lo
	s_cbranch_execz .LBB22_178
; %bb.182:                              ;   in Loop: Header=BB22_179 Depth=2
	s_waitcnt lgkmcnt(0)
	v_xor_b32_e32 v7, 0x80000000, v26
	s_delay_alu instid0(VALU_DEP_1) | instskip(NEXT) | instid1(VALU_DEP_1)
	v_and_b32_e32 v7, s59, v7
	v_cmp_eq_u32_e32 vcc_lo, s60, v7
	s_and_b32 exec_lo, exec_lo, vcc_lo
	s_cbranch_execz .LBB22_178
; %bb.183:                              ;   in Loop: Header=BB22_179 Depth=2
	ds_store_b64 v13, v[25:26] offset:3072
	s_branch .LBB22_178
.LBB22_184:                             ;   in Loop: Header=BB22_33 Depth=1
	s_set_inst_prefetch_distance 0x2
	s_or_b32 exec_lo, exec_lo, s14
	s_delay_alu instid0(SALU_CYCLE_1)
	s_and_b32 s24, s15, exec_lo
.LBB22_185:                             ;   in Loop: Header=BB22_33 Depth=1
	s_or_b32 exec_lo, exec_lo, s5
	s_mov_b32 s21, -1
	s_mov_b32 s15, 0
	s_mov_b32 s14, 0
.LBB22_186:                             ;   in Loop: Header=BB22_33 Depth=1
	s_mov_b32 s12, 0
                                        ; implicit-def: $sgpr5
	s_and_saveexec_b32 s22, s24
	s_cbranch_execz .LBB22_297
; %bb.187:                              ;   in Loop: Header=BB22_33 Depth=1
	s_xor_b32 s5, s23, -1
	s_delay_alu instid0(SALU_CYCLE_1)
	s_and_not1_b32 vcc_lo, exec_lo, s5
	s_mov_b32 s5, 1
	s_cbranch_vccnz .LBB22_198
; %bb.188:                              ;   in Loop: Header=BB22_33 Depth=1
	v_cmp_gt_i64_e64 s5, s[38:39], s[10:11]
	s_mov_b32 s12, -1
                                        ; implicit-def: $sgpr13
                                        ; implicit-def: $sgpr23
	s_delay_alu instid0(VALU_DEP_1)
	s_and_b32 vcc_lo, exec_lo, s5
                                        ; implicit-def: $sgpr5
	s_cbranch_vccnz .LBB22_194
; %bb.189:                              ;   in Loop: Header=BB22_33 Depth=1
	ds_load_b64 v[2:3], v13 offset:5120
	s_waitcnt lgkmcnt(0)
	v_cmp_ne_u64_e32 vcc_lo, 0, v[2:3]
	s_cbranch_vccnz .LBB22_193
; %bb.190:                              ;   in Loop: Header=BB22_33 Depth=1
	s_and_saveexec_b32 s5, s0
	s_cbranch_execz .LBB22_192
; %bb.191:                              ;   in Loop: Header=BB22_33 Depth=1
	v_dual_mov_b32 v2, s10 :: v_dual_mov_b32 v3, s11
	ds_store_b64 v13, v[2:3] offset:5128
.LBB22_192:                             ;   in Loop: Header=BB22_33 Depth=1
	s_or_b32 exec_lo, exec_lo, s5
	s_waitcnt lgkmcnt(0)
	s_barrier
	buffer_gl0_inv
.LBB22_193:                             ;   in Loop: Header=BB22_33 Depth=1
	s_lshl_b32 s5, 1, s19
	s_and_b32 s12, s60, s20
	s_or_b32 s23, s59, s18
	s_or_b32 s13, s12, s5
	s_mov_b32 s12, 0
	s_mov_b32 s5, 8
.LBB22_194:                             ;   in Loop: Header=BB22_33 Depth=1
	s_and_not1_b32 vcc_lo, exec_lo, s12
	s_cbranch_vccnz .LBB22_196
; %bb.195:                              ;   in Loop: Header=BB22_33 Depth=1
	s_sub_u32 s38, s38, s10
	s_subb_u32 s39, s39, s11
	s_mov_b32 s12, -1
	s_mov_b32 s5, 0
	s_mov_b32 s13, s60
	;; [unrolled: 1-line block ×3, first 2 shown]
.LBB22_196:                             ;   in Loop: Header=BB22_33 Depth=1
	s_delay_alu instid0(SALU_CYCLE_1)
	s_mov_b32 s59, s23
	s_mov_b32 s60, s13
	s_and_not1_b32 vcc_lo, exec_lo, s12
	s_mov_b32 s10, -1
	s_cbranch_vccz .LBB22_199
.LBB22_197:                             ;   in Loop: Header=BB22_33 Depth=1
                                        ; implicit-def: $sgpr13
                                        ; implicit-def: $sgpr23
                                        ; implicit-def: $sgpr12
	s_branch .LBB22_296
.LBB22_198:                             ;   in Loop: Header=BB22_33 Depth=1
	s_mov_b64 s[38:39], 1
	s_and_not1_b32 vcc_lo, exec_lo, s12
	s_mov_b32 s10, -1
	s_cbranch_vccnz .LBB22_197
.LBB22_199:                             ;   in Loop: Header=BB22_33 Depth=1
	s_cmp_eq_u64 s[8:9], 1
	s_mov_b32 s24, -1
	s_cselect_b32 s5, -1, 0
	s_cmp_eq_u64 s[38:39], 1
	s_cselect_b32 s10, -1, 0
	s_delay_alu instid0(SALU_CYCLE_1) | instskip(NEXT) | instid1(SALU_CYCLE_1)
	s_and_b32 s68, s5, s10
	s_and_b32 vcc_lo, exec_lo, s68
	s_cbranch_vccz .LBB22_214
; %bb.200:                              ;   in Loop: Header=BB22_33 Depth=1
	ds_load_b64 v[2:3], v13 offset:5120
	s_waitcnt lgkmcnt(0)
	s_barrier
	buffer_gl0_inv
	v_readfirstlane_b32 s10, v2
	v_readfirstlane_b32 s11, v3
	s_and_saveexec_b32 s5, s3
	s_cbranch_execz .LBB22_202
; %bb.201:                              ;   in Loop: Header=BB22_33 Depth=1
	ds_store_b32 v37, v13
.LBB22_202:                             ;   in Loop: Header=BB22_33 Depth=1
	s_or_b32 exec_lo, exec_lo, s5
	s_delay_alu instid0(VALU_DEP_1)
	v_cmp_gt_i64_e64 s13, s[10:11], 0
	s_lshl_b32 s5, 2, s19
	s_and_b32 s12, s60, s20
	s_or_b32 s59, s59, s18
	s_or_b32 s60, s12, s5
	s_waitcnt lgkmcnt(0)
	s_and_b32 vcc_lo, exec_lo, s13
	s_barrier
	buffer_gl0_inv
	s_cbranch_vccnz .LBB22_217
; %bb.203:                              ;   in Loop: Header=BB22_33 Depth=1
	s_mov_b32 s24, s69
	s_delay_alu instid0(SALU_CYCLE_1)
	s_cmp_lg_u64 s[24:25], 0
	s_cbranch_scc0 .LBB22_262
; %bb.204:                              ;   in Loop: Header=BB22_33 Depth=1
	v_cvt_f32_u32_e32 v2, s27
	s_sub_u32 s13, 0, s27
	s_subb_u32 s23, 0, 0
	s_delay_alu instid0(VALU_DEP_1) | instskip(NEXT) | instid1(VALU_DEP_1)
	v_fmac_f32_e32 v2, 0x4f800000, v45
	v_rcp_f32_e32 v2, v2
	s_waitcnt_depctr 0xfff
	v_mul_f32_e32 v2, 0x5f7ffffc, v2
	s_delay_alu instid0(VALU_DEP_1) | instskip(NEXT) | instid1(VALU_DEP_1)
	v_mul_f32_e32 v3, 0x2f800000, v2
	v_trunc_f32_e32 v3, v3
	s_delay_alu instid0(VALU_DEP_1) | instskip(SKIP_1) | instid1(VALU_DEP_2)
	v_fmac_f32_e32 v2, 0xcf800000, v3
	v_cvt_u32_f32_e32 v3, v3
	v_cvt_u32_f32_e32 v2, v2
	s_delay_alu instid0(VALU_DEP_2) | instskip(NEXT) | instid1(VALU_DEP_2)
	v_readfirstlane_b32 s5, v3
	v_readfirstlane_b32 s12, v2
	s_delay_alu instid0(VALU_DEP_2) | instskip(NEXT) | instid1(VALU_DEP_1)
	s_mul_i32 s24, s13, s5
	s_mul_hi_u32 s49, s13, s12
	s_mul_i32 s48, s23, s12
	s_add_i32 s24, s49, s24
	s_mul_i32 s50, s13, s12
	s_add_i32 s24, s24, s48
	s_mul_hi_u32 s49, s12, s50
	s_mul_hi_u32 s51, s5, s50
	s_mul_i32 s48, s5, s50
	s_mul_hi_u32 s50, s12, s24
	s_mul_i32 s12, s12, s24
	s_mul_hi_u32 s61, s5, s24
	s_add_u32 s12, s49, s12
	s_addc_u32 s49, 0, s50
	s_add_u32 s12, s12, s48
	s_mul_i32 s24, s5, s24
	s_addc_u32 s12, s49, s51
	s_addc_u32 s48, s61, 0
	s_add_u32 s12, s12, s24
	s_addc_u32 s24, 0, s48
	v_add_co_u32 v2, s12, v2, s12
	s_delay_alu instid0(VALU_DEP_1) | instskip(SKIP_1) | instid1(VALU_DEP_1)
	s_cmp_lg_u32 s12, 0
	s_addc_u32 s5, s5, s24
	v_readfirstlane_b32 s12, v2
	s_mul_i32 s24, s13, s5
	s_delay_alu instid0(VALU_DEP_1)
	s_mul_hi_u32 s48, s13, s12
	s_mul_i32 s23, s23, s12
	s_add_i32 s24, s48, s24
	s_mul_i32 s13, s13, s12
	s_add_i32 s24, s24, s23
	s_mul_hi_u32 s48, s5, s13
	s_mul_i32 s49, s5, s13
	s_mul_hi_u32 s13, s12, s13
	s_mul_hi_u32 s50, s12, s24
	s_mul_i32 s12, s12, s24
	s_mul_hi_u32 s23, s5, s24
	s_add_u32 s12, s13, s12
	s_addc_u32 s13, 0, s50
	s_add_u32 s12, s12, s49
	s_mul_i32 s24, s5, s24
	s_addc_u32 s12, s13, s48
	s_addc_u32 s13, s23, 0
	s_add_u32 s12, s12, s24
	s_addc_u32 s13, 0, s13
	v_add_co_u32 v2, s12, v2, s12
	s_delay_alu instid0(VALU_DEP_1) | instskip(SKIP_2) | instid1(VALU_DEP_1)
	s_cmp_lg_u32 s12, 0
	s_addc_u32 s5, s5, s13
	s_ashr_i32 s12, s25, 31
	v_readfirstlane_b32 s23, v2
	s_add_u32 s48, s95, s12
	s_mov_b32 s13, s12
	s_addc_u32 s49, s25, s12
	s_delay_alu instid0(SALU_CYCLE_1) | instskip(NEXT) | instid1(SALU_CYCLE_1)
	s_xor_b64 s[48:49], s[48:49], s[12:13]
	s_mul_i32 s24, s48, s5
	s_mul_hi_u32 s50, s48, s23
	s_mul_hi_u32 s13, s48, s5
	;; [unrolled: 1-line block ×3, first 2 shown]
	s_mul_i32 s23, s49, s23
	s_add_u32 s24, s50, s24
	s_addc_u32 s13, 0, s13
	s_mul_hi_u32 s51, s49, s5
	s_add_u32 s23, s24, s23
	s_mul_i32 s5, s49, s5
	s_addc_u32 s13, s13, s61
	s_addc_u32 s23, s51, 0
	s_add_u32 s5, s13, s5
	s_addc_u32 s13, 0, s23
	s_mul_hi_u32 s23, s27, s5
	s_mul_i32 s5, s27, s5
	s_mul_i32 s13, s27, s13
	v_sub_co_u32 v2, s5, s48, s5
	s_add_i32 s23, s23, s13
	s_cmp_lg_u32 s5, 0
	s_delay_alu instid0(VALU_DEP_1) | instskip(SKIP_2) | instid1(VALU_DEP_1)
	v_sub_co_u32 v3, s5, v2, s27
	s_subb_u32 s13, s49, s23
	s_cmp_lg_u32 s5, 0
	v_cmp_le_u32_e32 vcc_lo, s27, v3
	v_sub_co_u32 v4, s5, v3, s27
	s_subb_u32 s23, s13, 0
	s_cmp_lg_u32 s5, 0
	v_cmp_le_u32_e64 s5, s27, v2
	s_subb_u32 s24, s23, 0
	v_cndmask_b32_e64 v5, 0, -1, vcc_lo
	s_cmp_eq_u32 s23, 0
	s_cselect_b32 vcc_lo, -1, 0
	v_cndmask_b32_e64 v6, 0, -1, s5
	s_delay_alu instid0(VALU_DEP_2) | instskip(SKIP_2) | instid1(VALU_DEP_1)
	v_cndmask_b32_e32 v5, -1, v5, vcc_lo
	s_cmp_eq_u32 s13, 0
	s_cselect_b32 vcc_lo, -1, 0
	v_cmp_ne_u32_e64 s5, 0, v5
	v_dual_cndmask_b32 v5, -1, v6 :: v_dual_mov_b32 v6, s24
	s_delay_alu instid0(VALU_DEP_2) | instskip(NEXT) | instid1(VALU_DEP_2)
	v_cndmask_b32_e64 v3, v3, v4, s5
	v_cmp_ne_u32_e32 vcc_lo, 0, v5
	s_delay_alu instid0(VALU_DEP_3) | instskip(NEXT) | instid1(VALU_DEP_3)
	v_cndmask_b32_e64 v4, s23, v6, s5
	v_cndmask_b32_e32 v2, v2, v3, vcc_lo
	s_delay_alu instid0(VALU_DEP_2) | instskip(NEXT) | instid1(VALU_DEP_2)
	v_cndmask_b32_e32 v3, s13, v4, vcc_lo
	v_xor_b32_e32 v2, s12, v2
	s_delay_alu instid0(VALU_DEP_2) | instskip(NEXT) | instid1(VALU_DEP_2)
	v_xor_b32_e32 v3, s12, v3
	v_sub_co_u32 v2, vcc_lo, v2, s12
	s_delay_alu instid0(VALU_DEP_2)
	v_subrev_co_ci_u32_e32 v3, vcc_lo, s12, v3, vcc_lo
	s_cbranch_execnz .LBB22_206
.LBB22_205:                             ;   in Loop: Header=BB22_33 Depth=1
	v_cvt_f32_u32_e32 v2, s27
	s_sub_i32 s5, 0, s27
	s_delay_alu instid0(VALU_DEP_1) | instskip(SKIP_2) | instid1(VALU_DEP_1)
	v_rcp_iflag_f32_e32 v2, v2
	s_waitcnt_depctr 0xfff
	v_mul_f32_e32 v2, 0x4f7ffffe, v2
	v_cvt_u32_f32_e32 v2, v2
	s_delay_alu instid0(VALU_DEP_1) | instskip(NEXT) | instid1(VALU_DEP_1)
	v_mul_lo_u32 v3, s5, v2
	v_mul_hi_u32 v3, v2, v3
	s_delay_alu instid0(VALU_DEP_1) | instskip(NEXT) | instid1(VALU_DEP_1)
	v_add_nc_u32_e32 v2, v2, v3
	v_mul_hi_u32 v2, s95, v2
	s_delay_alu instid0(VALU_DEP_1) | instskip(NEXT) | instid1(VALU_DEP_1)
	v_mul_lo_u32 v2, v2, s27
	v_sub_nc_u32_e32 v2, s95, v2
	s_delay_alu instid0(VALU_DEP_1) | instskip(SKIP_1) | instid1(VALU_DEP_2)
	v_subrev_nc_u32_e32 v3, s27, v2
	v_cmp_le_u32_e32 vcc_lo, s27, v2
	v_cndmask_b32_e32 v2, v2, v3, vcc_lo
	s_delay_alu instid0(VALU_DEP_1) | instskip(SKIP_1) | instid1(VALU_DEP_2)
	v_subrev_nc_u32_e32 v3, s27, v2
	v_cmp_le_u32_e32 vcc_lo, s27, v2
	v_cndmask_b32_e32 v12, v2, v3, vcc_lo
	s_delay_alu instid0(VALU_DEP_1)
	v_dual_mov_b32 v2, v12 :: v_dual_mov_b32 v3, v13
.LBB22_206:                             ;   in Loop: Header=BB22_33 Depth=1
	s_delay_alu instid0(VALU_DEP_1) | instskip(NEXT) | instid1(VALU_DEP_2)
	v_sub_co_u32 v2, vcc_lo, s95, v2
	v_sub_co_ci_u32_e32 v3, vcc_lo, s25, v3, vcc_lo
	s_mov_b32 s24, 0
	s_mov_b32 s5, exec_lo
                                        ; implicit-def: $vgpr27
	s_delay_alu instid0(VALU_DEP_1)
	v_cmpx_gt_i64_e64 v[2:3], v[0:1]
	s_cbranch_execz .LBB22_219
; %bb.207:                              ;   in Loop: Header=BB22_33 Depth=1
	v_dual_mov_b32 v4, v10 :: v_dual_mov_b32 v5, v11
	v_dual_mov_b32 v7, v1 :: v_dual_mov_b32 v6, v0
	s_mov_b32 s12, 0
                                        ; implicit-def: $sgpr13
	s_set_inst_prefetch_distance 0x1
	s_branch .LBB22_209
	.p2align	6
.LBB22_208:                             ;   in Loop: Header=BB22_209 Depth=2
	s_or_b32 exec_lo, exec_lo, s23
	s_waitcnt vmcnt(0) lgkmcnt(0)
	s_barrier
	buffer_gl0_inv
	ds_load_b64 v[26:27], v13 offset:3072
	v_add_co_u32 v6, vcc_lo, v6, s27
	v_add_co_ci_u32_e32 v7, vcc_lo, 0, v7, vcc_lo
	s_waitcnt lgkmcnt(0)
	s_barrier
	buffer_gl0_inv
	v_cmp_ge_i64_e32 vcc_lo, v[6:7], v[2:3]
	v_readfirstlane_b32 s23, v26
	s_delay_alu instid0(VALU_DEP_1) | instskip(SKIP_1) | instid1(SALU_CYCLE_1)
	s_cmp_lg_u32 s23, 0
	s_cselect_b32 s23, -1, 0
	s_or_b32 s24, s23, vcc_lo
	v_add_co_u32 v4, vcc_lo, v4, s70
	s_and_b32 s24, exec_lo, s24
	v_add_co_ci_u32_e32 v5, vcc_lo, s71, v5, vcc_lo
	s_or_b32 s12, s24, s12
	s_and_not1_b32 s13, s13, exec_lo
	s_and_b32 s23, s23, exec_lo
	s_delay_alu instid0(SALU_CYCLE_1)
	s_or_b32 s13, s13, s23
	s_and_not1_b32 exec_lo, exec_lo, s12
	s_cbranch_execz .LBB22_218
.LBB22_209:                             ;   Parent Loop BB22_33 Depth=1
                                        ; =>  This Inner Loop Header: Depth=2
	s_delay_alu instid0(VALU_DEP_1)
	v_cmp_gt_i64_e32 vcc_lo, s[36:37], v[6:7]
	v_mov_b32_e32 v26, 0
	s_and_saveexec_b32 s23, vcc_lo
	s_cbranch_execz .LBB22_211
; %bb.210:                              ;   in Loop: Header=BB22_209 Depth=2
	global_load_b32 v26, v[4:5], off
.LBB22_211:                             ;   in Loop: Header=BB22_209 Depth=2
	s_or_b32 exec_lo, exec_lo, s23
	s_and_saveexec_b32 s23, vcc_lo
	s_cbranch_execz .LBB22_208
; %bb.212:                              ;   in Loop: Header=BB22_209 Depth=2
	s_waitcnt vmcnt(0)
	v_xor_b32_e32 v8, 0x80000000, v26
	s_delay_alu instid0(VALU_DEP_1) | instskip(NEXT) | instid1(VALU_DEP_1)
	v_and_b32_e32 v8, s59, v8
	v_cmp_eq_u32_e32 vcc_lo, s60, v8
	s_and_b32 exec_lo, exec_lo, vcc_lo
	s_cbranch_execz .LBB22_208
; %bb.213:                              ;   in Loop: Header=BB22_209 Depth=2
	ds_store_b64 v13, v[25:26] offset:3072
	s_branch .LBB22_208
.LBB22_214:                             ;   in Loop: Header=BB22_33 Depth=1
                                        ; implicit-def: $sgpr12
                                        ; implicit-def: $sgpr23
                                        ; implicit-def: $sgpr13
	s_branch .LBB22_233
.LBB22_215:                             ;   in Loop: Header=BB22_33 Depth=1
                                        ; implicit-def: $vgpr2_vgpr3
	s_branch .LBB22_158
.LBB22_216:                             ;   in Loop: Header=BB22_33 Depth=1
                                        ; implicit-def: $vgpr2_vgpr3
	s_branch .LBB22_175
.LBB22_217:                             ;   in Loop: Header=BB22_33 Depth=1
	s_mov_b32 s12, -1
	s_mov_b32 s24, 0
                                        ; implicit-def: $sgpr13
                                        ; implicit-def: $vgpr27
	s_mov_b32 s23, s12
	s_cbranch_execnz .LBB22_220
	s_branch .LBB22_233
.LBB22_218:                             ;   in Loop: Header=BB22_33 Depth=1
	s_set_inst_prefetch_distance 0x2
	s_or_b32 exec_lo, exec_lo, s12
	s_delay_alu instid0(SALU_CYCLE_1)
	s_and_b32 s24, s13, exec_lo
.LBB22_219:                             ;   in Loop: Header=BB22_33 Depth=1
	s_or_b32 exec_lo, exec_lo, s5
	s_mov_b32 s13, -1
	s_mov_b32 s12, 0
	s_delay_alu instid0(SALU_CYCLE_1)
	s_mov_b32 s23, s12
	s_branch .LBB22_233
.LBB22_220:                             ;   in Loop: Header=BB22_33 Depth=1
	s_add_u32 s23, s93, s10
	s_addc_u32 s13, s94, s11
	s_mov_b32 s12, s69
	s_delay_alu instid0(SALU_CYCLE_1)
	s_cmp_lg_u64 s[12:13], 0
	s_cbranch_scc0 .LBB22_263
; %bb.221:                              ;   in Loop: Header=BB22_33 Depth=1
	v_cvt_f32_u32_e32 v2, s27
	s_sub_u32 s24, 0, s27
	s_subb_u32 s48, 0, 0
	s_delay_alu instid0(VALU_DEP_1) | instskip(NEXT) | instid1(VALU_DEP_1)
	v_fmac_f32_e32 v2, 0x4f800000, v45
	v_rcp_f32_e32 v2, v2
	s_waitcnt_depctr 0xfff
	v_mul_f32_e32 v2, 0x5f7ffffc, v2
	s_delay_alu instid0(VALU_DEP_1) | instskip(NEXT) | instid1(VALU_DEP_1)
	v_mul_f32_e32 v3, 0x2f800000, v2
	v_trunc_f32_e32 v3, v3
	s_delay_alu instid0(VALU_DEP_1) | instskip(SKIP_1) | instid1(VALU_DEP_2)
	v_fmac_f32_e32 v2, 0xcf800000, v3
	v_cvt_u32_f32_e32 v3, v3
	v_cvt_u32_f32_e32 v2, v2
	s_delay_alu instid0(VALU_DEP_2) | instskip(NEXT) | instid1(VALU_DEP_2)
	v_readfirstlane_b32 s5, v3
	v_readfirstlane_b32 s12, v2
	s_delay_alu instid0(VALU_DEP_2) | instskip(NEXT) | instid1(VALU_DEP_1)
	s_mul_i32 s49, s24, s5
	s_mul_hi_u32 s51, s24, s12
	s_mul_i32 s50, s48, s12
	s_add_i32 s49, s51, s49
	s_mul_i32 s61, s24, s12
	s_add_i32 s49, s49, s50
	s_mul_hi_u32 s51, s12, s61
	s_mul_hi_u32 s82, s5, s61
	s_mul_i32 s50, s5, s61
	s_mul_hi_u32 s61, s12, s49
	s_mul_i32 s12, s12, s49
	s_mul_hi_u32 s83, s5, s49
	s_add_u32 s12, s51, s12
	s_addc_u32 s51, 0, s61
	s_add_u32 s12, s12, s50
	s_mul_i32 s49, s5, s49
	s_addc_u32 s12, s51, s82
	s_addc_u32 s50, s83, 0
	s_add_u32 s12, s12, s49
	s_addc_u32 s49, 0, s50
	v_add_co_u32 v2, s12, v2, s12
	s_delay_alu instid0(VALU_DEP_1) | instskip(SKIP_1) | instid1(VALU_DEP_1)
	s_cmp_lg_u32 s12, 0
	s_addc_u32 s5, s5, s49
	v_readfirstlane_b32 s12, v2
	s_mul_i32 s49, s24, s5
	s_delay_alu instid0(VALU_DEP_1)
	s_mul_hi_u32 s50, s24, s12
	s_mul_i32 s48, s48, s12
	s_add_i32 s49, s50, s49
	s_mul_i32 s24, s24, s12
	s_add_i32 s49, s49, s48
	s_mul_hi_u32 s50, s5, s24
	s_mul_i32 s51, s5, s24
	s_mul_hi_u32 s24, s12, s24
	s_mul_hi_u32 s61, s12, s49
	s_mul_i32 s12, s12, s49
	s_mul_hi_u32 s48, s5, s49
	s_add_u32 s12, s24, s12
	s_addc_u32 s24, 0, s61
	s_add_u32 s12, s12, s51
	s_mul_i32 s49, s5, s49
	s_addc_u32 s12, s24, s50
	s_addc_u32 s24, s48, 0
	s_add_u32 s12, s12, s49
	s_addc_u32 s24, 0, s24
	v_add_co_u32 v2, s12, v2, s12
	s_delay_alu instid0(VALU_DEP_1) | instskip(SKIP_2) | instid1(VALU_DEP_1)
	s_cmp_lg_u32 s12, 0
	s_addc_u32 s5, s5, s24
	s_ashr_i32 s48, s13, 31
	v_readfirstlane_b32 s12, v2
	s_add_u32 s50, s23, s48
	s_mov_b32 s49, s48
	s_addc_u32 s51, s13, s48
	s_delay_alu instid0(SALU_CYCLE_1) | instskip(NEXT) | instid1(SALU_CYCLE_1)
	s_xor_b64 s[50:51], s[50:51], s[48:49]
	s_mul_i32 s49, s50, s5
	s_mul_hi_u32 s61, s50, s12
	s_mul_hi_u32 s24, s50, s5
	;; [unrolled: 1-line block ×3, first 2 shown]
	s_mul_i32 s12, s51, s12
	s_add_u32 s49, s61, s49
	s_addc_u32 s24, 0, s24
	s_mul_hi_u32 s82, s51, s5
	s_add_u32 s12, s49, s12
	s_mul_i32 s5, s51, s5
	s_addc_u32 s12, s24, s83
	s_addc_u32 s24, s82, 0
	s_add_u32 s5, s12, s5
	s_addc_u32 s12, 0, s24
	s_mul_hi_u32 s24, s27, s5
	s_mul_i32 s5, s27, s5
	s_mul_i32 s12, s27, s12
	v_sub_co_u32 v2, s5, s50, s5
	s_add_i32 s24, s24, s12
	s_cmp_lg_u32 s5, 0
	s_delay_alu instid0(VALU_DEP_1) | instskip(SKIP_2) | instid1(VALU_DEP_1)
	v_sub_co_u32 v3, s5, v2, s27
	s_subb_u32 s12, s51, s24
	s_cmp_lg_u32 s5, 0
	v_cmp_le_u32_e32 vcc_lo, s27, v3
	v_sub_co_u32 v4, s5, v3, s27
	s_subb_u32 s24, s12, 0
	s_cmp_lg_u32 s5, 0
	v_cmp_le_u32_e64 s5, s27, v2
	s_subb_u32 s49, s24, 0
	v_cndmask_b32_e64 v5, 0, -1, vcc_lo
	s_cmp_eq_u32 s24, 0
	s_cselect_b32 vcc_lo, -1, 0
	v_cndmask_b32_e64 v6, 0, -1, s5
	s_delay_alu instid0(VALU_DEP_2) | instskip(SKIP_2) | instid1(VALU_DEP_1)
	v_cndmask_b32_e32 v5, -1, v5, vcc_lo
	s_cmp_eq_u32 s12, 0
	s_cselect_b32 vcc_lo, -1, 0
	v_cmp_ne_u32_e64 s5, 0, v5
	v_dual_cndmask_b32 v5, -1, v6 :: v_dual_mov_b32 v6, s49
	s_delay_alu instid0(VALU_DEP_2) | instskip(NEXT) | instid1(VALU_DEP_2)
	v_cndmask_b32_e64 v3, v3, v4, s5
	v_cmp_ne_u32_e32 vcc_lo, 0, v5
	s_delay_alu instid0(VALU_DEP_3) | instskip(NEXT) | instid1(VALU_DEP_3)
	v_cndmask_b32_e64 v4, s24, v6, s5
	v_cndmask_b32_e32 v2, v2, v3, vcc_lo
	s_delay_alu instid0(VALU_DEP_2) | instskip(NEXT) | instid1(VALU_DEP_2)
	v_cndmask_b32_e32 v3, s12, v4, vcc_lo
	v_xor_b32_e32 v2, s48, v2
	s_delay_alu instid0(VALU_DEP_2) | instskip(NEXT) | instid1(VALU_DEP_2)
	v_xor_b32_e32 v3, s48, v3
	v_sub_co_u32 v2, vcc_lo, v2, s48
	s_delay_alu instid0(VALU_DEP_2)
	v_subrev_co_ci_u32_e32 v3, vcc_lo, s48, v3, vcc_lo
	s_cbranch_execnz .LBB22_223
.LBB22_222:                             ;   in Loop: Header=BB22_33 Depth=1
	v_cvt_f32_u32_e32 v2, s27
	s_sub_i32 s5, 0, s27
	s_delay_alu instid0(VALU_DEP_1) | instskip(SKIP_2) | instid1(VALU_DEP_1)
	v_rcp_iflag_f32_e32 v2, v2
	s_waitcnt_depctr 0xfff
	v_mul_f32_e32 v2, 0x4f7ffffe, v2
	v_cvt_u32_f32_e32 v2, v2
	s_delay_alu instid0(VALU_DEP_1) | instskip(NEXT) | instid1(VALU_DEP_1)
	v_mul_lo_u32 v3, s5, v2
	v_mul_hi_u32 v3, v2, v3
	s_delay_alu instid0(VALU_DEP_1) | instskip(NEXT) | instid1(VALU_DEP_1)
	v_add_nc_u32_e32 v2, v2, v3
	v_mul_hi_u32 v2, s23, v2
	s_delay_alu instid0(VALU_DEP_1) | instskip(NEXT) | instid1(VALU_DEP_1)
	v_mul_lo_u32 v2, v2, s27
	v_sub_nc_u32_e32 v2, s23, v2
	s_delay_alu instid0(VALU_DEP_1) | instskip(SKIP_1) | instid1(VALU_DEP_2)
	v_subrev_nc_u32_e32 v3, s27, v2
	v_cmp_le_u32_e32 vcc_lo, s27, v2
	v_cndmask_b32_e32 v2, v2, v3, vcc_lo
	s_delay_alu instid0(VALU_DEP_1) | instskip(SKIP_1) | instid1(VALU_DEP_2)
	v_subrev_nc_u32_e32 v3, s27, v2
	v_cmp_le_u32_e32 vcc_lo, s27, v2
	v_cndmask_b32_e32 v12, v2, v3, vcc_lo
	s_delay_alu instid0(VALU_DEP_1)
	v_dual_mov_b32 v2, v12 :: v_dual_mov_b32 v3, v13
.LBB22_223:                             ;   in Loop: Header=BB22_33 Depth=1
	s_delay_alu instid0(VALU_DEP_1) | instskip(NEXT) | instid1(VALU_DEP_2)
	v_sub_co_u32 v2, vcc_lo, s23, v2
	v_sub_co_ci_u32_e32 v3, vcc_lo, s13, v3, vcc_lo
	s_mov_b32 s24, 0
	s_mov_b32 s5, exec_lo
                                        ; implicit-def: $vgpr27
	s_delay_alu instid0(VALU_DEP_1)
	v_cmpx_gt_i64_e64 v[2:3], v[0:1]
	s_cbranch_execz .LBB22_232
; %bb.224:                              ;   in Loop: Header=BB22_33 Depth=1
	v_dual_mov_b32 v6, v14 :: v_dual_mov_b32 v5, v1
	v_mov_b32_e32 v4, v0
	s_mov_b32 s12, 0
                                        ; implicit-def: $sgpr13
	s_set_inst_prefetch_distance 0x1
	s_branch .LBB22_226
	.p2align	6
.LBB22_225:                             ;   in Loop: Header=BB22_226 Depth=2
	s_or_b32 exec_lo, exec_lo, s23
	s_waitcnt lgkmcnt(0)
	s_barrier
	buffer_gl0_inv
	ds_load_b64 v[26:27], v13 offset:3072
	v_add_co_u32 v4, vcc_lo, v4, s27
	v_add_co_ci_u32_e32 v5, vcc_lo, 0, v5, vcc_lo
	v_add_nc_u32_e32 v6, s101, v6
	s_waitcnt lgkmcnt(0)
	s_barrier
	s_delay_alu instid0(VALU_DEP_2) | instskip(SKIP_2) | instid1(VALU_DEP_1)
	v_cmp_ge_i64_e32 vcc_lo, v[4:5], v[2:3]
	buffer_gl0_inv
	v_readfirstlane_b32 s23, v26
	s_cmp_lg_u32 s23, 0
	s_cselect_b32 s23, -1, 0
	s_delay_alu instid0(SALU_CYCLE_1) | instskip(NEXT) | instid1(SALU_CYCLE_1)
	s_or_b32 s24, s23, vcc_lo
	s_and_b32 s24, exec_lo, s24
	s_delay_alu instid0(SALU_CYCLE_1) | instskip(SKIP_2) | instid1(SALU_CYCLE_1)
	s_or_b32 s12, s24, s12
	s_and_not1_b32 s13, s13, exec_lo
	s_and_b32 s23, s23, exec_lo
	s_or_b32 s13, s13, s23
	s_and_not1_b32 exec_lo, exec_lo, s12
	s_cbranch_execz .LBB22_231
.LBB22_226:                             ;   Parent Loop BB22_33 Depth=1
                                        ; =>  This Inner Loop Header: Depth=2
	s_delay_alu instid0(VALU_DEP_1)
	v_cmp_gt_i64_e32 vcc_lo, s[10:11], v[4:5]
	v_mov_b32_e32 v26, 0
	s_and_saveexec_b32 s23, vcc_lo
	s_cbranch_execz .LBB22_228
; %bb.227:                              ;   in Loop: Header=BB22_226 Depth=2
	ds_load_b32 v26, v6
.LBB22_228:                             ;   in Loop: Header=BB22_226 Depth=2
	s_or_b32 exec_lo, exec_lo, s23
	s_and_saveexec_b32 s23, vcc_lo
	s_cbranch_execz .LBB22_225
; %bb.229:                              ;   in Loop: Header=BB22_226 Depth=2
	s_waitcnt lgkmcnt(0)
	v_xor_b32_e32 v7, 0x80000000, v26
	s_delay_alu instid0(VALU_DEP_1) | instskip(NEXT) | instid1(VALU_DEP_1)
	v_and_b32_e32 v7, s59, v7
	v_cmp_eq_u32_e32 vcc_lo, s60, v7
	s_and_b32 exec_lo, exec_lo, vcc_lo
	s_cbranch_execz .LBB22_225
; %bb.230:                              ;   in Loop: Header=BB22_226 Depth=2
	ds_store_b64 v13, v[25:26] offset:3072
	s_branch .LBB22_225
.LBB22_231:                             ;   in Loop: Header=BB22_33 Depth=1
	s_set_inst_prefetch_distance 0x2
	s_or_b32 exec_lo, exec_lo, s12
	s_delay_alu instid0(SALU_CYCLE_1)
	s_and_b32 s24, s13, exec_lo
.LBB22_232:                             ;   in Loop: Header=BB22_33 Depth=1
	s_or_b32 exec_lo, exec_lo, s5
	s_mov_b32 s23, -1
	s_mov_b32 s12, 0
	s_mov_b32 s13, 0
.LBB22_233:                             ;   in Loop: Header=BB22_33 Depth=1
	s_mov_b32 s10, 0
                                        ; implicit-def: $sgpr5
	s_and_saveexec_b32 s61, s24
	s_cbranch_execz .LBB22_295
; %bb.234:                              ;   in Loop: Header=BB22_33 Depth=1
	s_xor_b32 s5, s68, -1
	s_delay_alu instid0(SALU_CYCLE_1)
	s_and_not1_b32 vcc_lo, exec_lo, s5
	s_mov_b32 s5, 1
	s_cbranch_vccnz .LBB22_245
; %bb.235:                              ;   in Loop: Header=BB22_33 Depth=1
	v_cmp_gt_i64_e64 s5, s[38:39], s[8:9]
	s_mov_b32 s10, -1
                                        ; implicit-def: $sgpr11
                                        ; implicit-def: $sgpr24
	s_delay_alu instid0(VALU_DEP_1)
	s_and_b32 vcc_lo, exec_lo, s5
                                        ; implicit-def: $sgpr5
	s_cbranch_vccnz .LBB22_241
; %bb.236:                              ;   in Loop: Header=BB22_33 Depth=1
	ds_load_b64 v[2:3], v13 offset:5120
	s_waitcnt lgkmcnt(0)
	v_cmp_ne_u64_e32 vcc_lo, 0, v[2:3]
	s_cbranch_vccnz .LBB22_240
; %bb.237:                              ;   in Loop: Header=BB22_33 Depth=1
	s_and_saveexec_b32 s5, s0
	s_cbranch_execz .LBB22_239
; %bb.238:                              ;   in Loop: Header=BB22_33 Depth=1
	v_dual_mov_b32 v2, s8 :: v_dual_mov_b32 v3, s9
	ds_store_b64 v13, v[2:3] offset:5128
.LBB22_239:                             ;   in Loop: Header=BB22_33 Depth=1
	s_or_b32 exec_lo, exec_lo, s5
	s_waitcnt lgkmcnt(0)
	s_barrier
	buffer_gl0_inv
.LBB22_240:                             ;   in Loop: Header=BB22_33 Depth=1
	s_lshl_b32 s5, 2, s19
	s_and_b32 s10, s60, s20
	s_or_b32 s24, s59, s18
	s_or_b32 s11, s10, s5
	s_mov_b32 s10, 0
	s_mov_b32 s5, 8
.LBB22_241:                             ;   in Loop: Header=BB22_33 Depth=1
	s_and_not1_b32 vcc_lo, exec_lo, s10
	s_cbranch_vccnz .LBB22_243
; %bb.242:                              ;   in Loop: Header=BB22_33 Depth=1
	s_sub_u32 s38, s38, s8
	s_subb_u32 s39, s39, s9
	s_mov_b32 s10, -1
	s_mov_b32 s5, 0
	s_mov_b32 s11, s60
	;; [unrolled: 1-line block ×3, first 2 shown]
.LBB22_243:                             ;   in Loop: Header=BB22_33 Depth=1
	s_delay_alu instid0(SALU_CYCLE_1)
	s_mov_b32 s59, s24
	s_mov_b32 s60, s11
	s_and_not1_b32 vcc_lo, exec_lo, s10
	s_mov_b32 s49, -1
	s_cbranch_vccz .LBB22_246
.LBB22_244:                             ;   in Loop: Header=BB22_33 Depth=1
                                        ; implicit-def: $sgpr10
                                        ; implicit-def: $sgpr20
                                        ; implicit-def: $sgpr11
	s_branch .LBB22_294
.LBB22_245:                             ;   in Loop: Header=BB22_33 Depth=1
	s_mov_b64 s[38:39], 1
	s_and_not1_b32 vcc_lo, exec_lo, s10
	s_mov_b32 s49, -1
	s_cbranch_vccnz .LBB22_244
.LBB22_246:                             ;   in Loop: Header=BB22_33 Depth=1
	s_cmp_eq_u64 s[6:7], 1
	s_mov_b32 s24, -1
	s_cselect_b32 s5, -1, 0
	s_cmp_eq_u64 s[38:39], 1
	s_cselect_b32 s8, -1, 0
	s_delay_alu instid0(SALU_CYCLE_1) | instskip(NEXT) | instid1(SALU_CYCLE_1)
	s_and_b32 s19, s5, s8
	s_and_b32 vcc_lo, exec_lo, s19
	s_cbranch_vccz .LBB22_261
; %bb.247:                              ;   in Loop: Header=BB22_33 Depth=1
	ds_load_b64 v[2:3], v13 offset:5120
	s_waitcnt lgkmcnt(0)
	s_barrier
	buffer_gl0_inv
	v_readfirstlane_b32 s8, v2
	v_readfirstlane_b32 s9, v3
	s_and_saveexec_b32 s5, s3
	s_cbranch_execz .LBB22_249
; %bb.248:                              ;   in Loop: Header=BB22_33 Depth=1
	ds_store_b32 v37, v13
.LBB22_249:                             ;   in Loop: Header=BB22_33 Depth=1
	s_or_b32 exec_lo, exec_lo, s5
	s_delay_alu instid0(VALU_DEP_1)
	v_cmp_gt_i64_e64 s5, s[8:9], 0
	s_or_b32 s60, s60, s18
	s_or_b32 s59, s59, s18
	s_waitcnt lgkmcnt(0)
	s_barrier
	buffer_gl0_inv
	s_and_b32 vcc_lo, exec_lo, s5
	s_cbranch_vccnz .LBB22_264
; %bb.250:                              ;   in Loop: Header=BB22_33 Depth=1
	s_mov_b32 s24, s69
	s_delay_alu instid0(SALU_CYCLE_1)
	s_cmp_lg_u64 s[24:25], 0
	s_cbranch_scc0 .LBB22_300
; %bb.251:                              ;   in Loop: Header=BB22_33 Depth=1
	v_cvt_f32_u32_e32 v2, s27
	s_sub_u32 s11, 0, s27
	s_subb_u32 s20, 0, 0
	s_delay_alu instid0(VALU_DEP_1) | instskip(NEXT) | instid1(VALU_DEP_1)
	v_fmac_f32_e32 v2, 0x4f800000, v45
	v_rcp_f32_e32 v2, v2
	s_waitcnt_depctr 0xfff
	v_mul_f32_e32 v2, 0x5f7ffffc, v2
	s_delay_alu instid0(VALU_DEP_1) | instskip(NEXT) | instid1(VALU_DEP_1)
	v_mul_f32_e32 v3, 0x2f800000, v2
	v_trunc_f32_e32 v3, v3
	s_delay_alu instid0(VALU_DEP_1) | instskip(SKIP_1) | instid1(VALU_DEP_2)
	v_fmac_f32_e32 v2, 0xcf800000, v3
	v_cvt_u32_f32_e32 v3, v3
	v_cvt_u32_f32_e32 v2, v2
	s_delay_alu instid0(VALU_DEP_2) | instskip(NEXT) | instid1(VALU_DEP_2)
	v_readfirstlane_b32 s5, v3
	v_readfirstlane_b32 s10, v2
	s_delay_alu instid0(VALU_DEP_2) | instskip(NEXT) | instid1(VALU_DEP_1)
	s_mul_i32 s24, s11, s5
	s_mul_hi_u32 s49, s11, s10
	s_mul_i32 s48, s20, s10
	s_add_i32 s24, s49, s24
	s_mul_i32 s50, s11, s10
	s_add_i32 s24, s24, s48
	s_mul_hi_u32 s49, s10, s50
	s_mul_hi_u32 s51, s5, s50
	s_mul_i32 s48, s5, s50
	s_mul_hi_u32 s50, s10, s24
	s_mul_i32 s10, s10, s24
	s_mul_hi_u32 s68, s5, s24
	s_add_u32 s10, s49, s10
	s_addc_u32 s49, 0, s50
	s_add_u32 s10, s10, s48
	s_mul_i32 s24, s5, s24
	s_addc_u32 s10, s49, s51
	s_addc_u32 s48, s68, 0
	s_add_u32 s10, s10, s24
	s_addc_u32 s24, 0, s48
	v_add_co_u32 v2, s10, v2, s10
	s_delay_alu instid0(VALU_DEP_1) | instskip(SKIP_1) | instid1(VALU_DEP_1)
	s_cmp_lg_u32 s10, 0
	s_addc_u32 s5, s5, s24
	v_readfirstlane_b32 s10, v2
	s_mul_i32 s24, s11, s5
	s_delay_alu instid0(VALU_DEP_1)
	s_mul_hi_u32 s48, s11, s10
	s_mul_i32 s20, s20, s10
	s_add_i32 s24, s48, s24
	s_mul_i32 s11, s11, s10
	s_add_i32 s24, s24, s20
	s_mul_hi_u32 s48, s5, s11
	s_mul_i32 s49, s5, s11
	s_mul_hi_u32 s11, s10, s11
	s_mul_hi_u32 s50, s10, s24
	s_mul_i32 s10, s10, s24
	s_mul_hi_u32 s20, s5, s24
	s_add_u32 s10, s11, s10
	s_addc_u32 s11, 0, s50
	s_add_u32 s10, s10, s49
	s_mul_i32 s24, s5, s24
	s_addc_u32 s10, s11, s48
	s_addc_u32 s11, s20, 0
	s_add_u32 s10, s10, s24
	s_addc_u32 s11, 0, s11
	v_add_co_u32 v2, s10, v2, s10
	s_delay_alu instid0(VALU_DEP_1) | instskip(SKIP_2) | instid1(VALU_DEP_1)
	s_cmp_lg_u32 s10, 0
	s_addc_u32 s5, s5, s11
	s_ashr_i32 s10, s25, 31
	v_readfirstlane_b32 s20, v2
	s_add_u32 s48, s95, s10
	s_mov_b32 s11, s10
	s_addc_u32 s49, s25, s10
	s_delay_alu instid0(SALU_CYCLE_1) | instskip(NEXT) | instid1(SALU_CYCLE_1)
	s_xor_b64 s[48:49], s[48:49], s[10:11]
	s_mul_i32 s24, s48, s5
	s_mul_hi_u32 s50, s48, s20
	s_mul_hi_u32 s11, s48, s5
	;; [unrolled: 1-line block ×3, first 2 shown]
	s_mul_i32 s20, s49, s20
	s_add_u32 s24, s50, s24
	s_addc_u32 s11, 0, s11
	s_mul_hi_u32 s51, s49, s5
	s_add_u32 s20, s24, s20
	s_mul_i32 s5, s49, s5
	s_addc_u32 s11, s11, s68
	s_addc_u32 s20, s51, 0
	s_add_u32 s5, s11, s5
	s_addc_u32 s11, 0, s20
	s_mul_hi_u32 s20, s27, s5
	s_mul_i32 s5, s27, s5
	s_mul_i32 s11, s27, s11
	v_sub_co_u32 v2, s5, s48, s5
	s_add_i32 s20, s20, s11
	s_cmp_lg_u32 s5, 0
	s_delay_alu instid0(VALU_DEP_1) | instskip(SKIP_2) | instid1(VALU_DEP_1)
	v_sub_co_u32 v3, s5, v2, s27
	s_subb_u32 s11, s49, s20
	s_cmp_lg_u32 s5, 0
	v_cmp_le_u32_e32 vcc_lo, s27, v3
	v_sub_co_u32 v4, s5, v3, s27
	s_subb_u32 s20, s11, 0
	s_cmp_lg_u32 s5, 0
	v_cmp_le_u32_e64 s5, s27, v2
	s_subb_u32 s24, s20, 0
	v_cndmask_b32_e64 v5, 0, -1, vcc_lo
	s_cmp_eq_u32 s20, 0
	s_cselect_b32 vcc_lo, -1, 0
	v_cndmask_b32_e64 v6, 0, -1, s5
	s_delay_alu instid0(VALU_DEP_2) | instskip(SKIP_2) | instid1(VALU_DEP_1)
	v_cndmask_b32_e32 v5, -1, v5, vcc_lo
	s_cmp_eq_u32 s11, 0
	s_cselect_b32 vcc_lo, -1, 0
	v_cmp_ne_u32_e64 s5, 0, v5
	v_dual_cndmask_b32 v5, -1, v6 :: v_dual_mov_b32 v6, s24
	s_delay_alu instid0(VALU_DEP_2) | instskip(NEXT) | instid1(VALU_DEP_2)
	v_cndmask_b32_e64 v3, v3, v4, s5
	v_cmp_ne_u32_e32 vcc_lo, 0, v5
	s_delay_alu instid0(VALU_DEP_3) | instskip(NEXT) | instid1(VALU_DEP_3)
	v_cndmask_b32_e64 v4, s20, v6, s5
	v_cndmask_b32_e32 v2, v2, v3, vcc_lo
	s_delay_alu instid0(VALU_DEP_2) | instskip(NEXT) | instid1(VALU_DEP_2)
	v_cndmask_b32_e32 v3, s11, v4, vcc_lo
	v_xor_b32_e32 v2, s10, v2
	s_delay_alu instid0(VALU_DEP_2) | instskip(NEXT) | instid1(VALU_DEP_2)
	v_xor_b32_e32 v3, s10, v3
	v_sub_co_u32 v2, vcc_lo, v2, s10
	s_delay_alu instid0(VALU_DEP_2)
	v_subrev_co_ci_u32_e32 v3, vcc_lo, s10, v3, vcc_lo
	s_cbranch_execnz .LBB22_253
.LBB22_252:                             ;   in Loop: Header=BB22_33 Depth=1
	v_cvt_f32_u32_e32 v2, s27
	s_sub_i32 s5, 0, s27
	s_delay_alu instid0(VALU_DEP_1) | instskip(SKIP_2) | instid1(VALU_DEP_1)
	v_rcp_iflag_f32_e32 v2, v2
	s_waitcnt_depctr 0xfff
	v_mul_f32_e32 v2, 0x4f7ffffe, v2
	v_cvt_u32_f32_e32 v2, v2
	s_delay_alu instid0(VALU_DEP_1) | instskip(NEXT) | instid1(VALU_DEP_1)
	v_mul_lo_u32 v3, s5, v2
	v_mul_hi_u32 v3, v2, v3
	s_delay_alu instid0(VALU_DEP_1) | instskip(NEXT) | instid1(VALU_DEP_1)
	v_add_nc_u32_e32 v2, v2, v3
	v_mul_hi_u32 v2, s95, v2
	s_delay_alu instid0(VALU_DEP_1) | instskip(NEXT) | instid1(VALU_DEP_1)
	v_mul_lo_u32 v2, v2, s27
	v_sub_nc_u32_e32 v2, s95, v2
	s_delay_alu instid0(VALU_DEP_1) | instskip(SKIP_1) | instid1(VALU_DEP_2)
	v_subrev_nc_u32_e32 v3, s27, v2
	v_cmp_le_u32_e32 vcc_lo, s27, v2
	v_cndmask_b32_e32 v2, v2, v3, vcc_lo
	s_delay_alu instid0(VALU_DEP_1) | instskip(SKIP_1) | instid1(VALU_DEP_2)
	v_subrev_nc_u32_e32 v3, s27, v2
	v_cmp_le_u32_e32 vcc_lo, s27, v2
	v_cndmask_b32_e32 v12, v2, v3, vcc_lo
	s_delay_alu instid0(VALU_DEP_1)
	v_dual_mov_b32 v2, v12 :: v_dual_mov_b32 v3, v13
.LBB22_253:                             ;   in Loop: Header=BB22_33 Depth=1
	s_delay_alu instid0(VALU_DEP_1) | instskip(NEXT) | instid1(VALU_DEP_2)
	v_sub_co_u32 v2, vcc_lo, s95, v2
	v_sub_co_ci_u32_e32 v3, vcc_lo, s25, v3, vcc_lo
	s_mov_b32 s24, 0
	s_mov_b32 s5, exec_lo
                                        ; implicit-def: $vgpr27
	s_delay_alu instid0(VALU_DEP_1)
	v_cmpx_gt_i64_e64 v[2:3], v[0:1]
	s_cbranch_execz .LBB22_266
; %bb.254:                              ;   in Loop: Header=BB22_33 Depth=1
	v_dual_mov_b32 v4, v10 :: v_dual_mov_b32 v5, v11
	v_dual_mov_b32 v7, v1 :: v_dual_mov_b32 v6, v0
	s_mov_b32 s10, 0
                                        ; implicit-def: $sgpr11
	s_set_inst_prefetch_distance 0x1
	s_branch .LBB22_256
	.p2align	6
.LBB22_255:                             ;   in Loop: Header=BB22_256 Depth=2
	s_or_b32 exec_lo, exec_lo, s20
	s_waitcnt vmcnt(0) lgkmcnt(0)
	s_barrier
	buffer_gl0_inv
	ds_load_b64 v[26:27], v13 offset:3072
	v_add_co_u32 v6, vcc_lo, v6, s27
	v_add_co_ci_u32_e32 v7, vcc_lo, 0, v7, vcc_lo
	s_waitcnt lgkmcnt(0)
	s_barrier
	buffer_gl0_inv
	v_cmp_ge_i64_e32 vcc_lo, v[6:7], v[2:3]
	v_readfirstlane_b32 s20, v26
	s_delay_alu instid0(VALU_DEP_1) | instskip(SKIP_1) | instid1(SALU_CYCLE_1)
	s_cmp_lg_u32 s20, 0
	s_cselect_b32 s20, -1, 0
	s_or_b32 s24, s20, vcc_lo
	v_add_co_u32 v4, vcc_lo, v4, s70
	s_and_b32 s24, exec_lo, s24
	v_add_co_ci_u32_e32 v5, vcc_lo, s71, v5, vcc_lo
	s_or_b32 s10, s24, s10
	s_and_not1_b32 s11, s11, exec_lo
	s_and_b32 s20, s20, exec_lo
	s_delay_alu instid0(SALU_CYCLE_1)
	s_or_b32 s11, s11, s20
	s_and_not1_b32 exec_lo, exec_lo, s10
	s_cbranch_execz .LBB22_265
.LBB22_256:                             ;   Parent Loop BB22_33 Depth=1
                                        ; =>  This Inner Loop Header: Depth=2
	s_delay_alu instid0(VALU_DEP_1)
	v_cmp_gt_i64_e32 vcc_lo, s[36:37], v[6:7]
	v_mov_b32_e32 v26, 0
	s_and_saveexec_b32 s20, vcc_lo
	s_cbranch_execz .LBB22_258
; %bb.257:                              ;   in Loop: Header=BB22_256 Depth=2
	global_load_b32 v26, v[4:5], off
.LBB22_258:                             ;   in Loop: Header=BB22_256 Depth=2
	s_or_b32 exec_lo, exec_lo, s20
	s_and_saveexec_b32 s20, vcc_lo
	s_cbranch_execz .LBB22_255
; %bb.259:                              ;   in Loop: Header=BB22_256 Depth=2
	s_waitcnt vmcnt(0)
	v_xor_b32_e32 v8, 0x80000000, v26
	s_delay_alu instid0(VALU_DEP_1) | instskip(NEXT) | instid1(VALU_DEP_1)
	v_and_b32_e32 v8, s59, v8
	v_cmp_eq_u32_e32 vcc_lo, s60, v8
	s_and_b32 exec_lo, exec_lo, vcc_lo
	s_cbranch_execz .LBB22_255
; %bb.260:                              ;   in Loop: Header=BB22_256 Depth=2
	ds_store_b64 v13, v[25:26] offset:3072
	s_branch .LBB22_255
.LBB22_261:                             ;   in Loop: Header=BB22_33 Depth=1
                                        ; implicit-def: $sgpr10
                                        ; implicit-def: $sgpr20
                                        ; implicit-def: $sgpr11
	s_branch .LBB22_280
.LBB22_262:                             ;   in Loop: Header=BB22_33 Depth=1
                                        ; implicit-def: $vgpr2_vgpr3
	s_branch .LBB22_205
.LBB22_263:                             ;   in Loop: Header=BB22_33 Depth=1
                                        ; implicit-def: $vgpr2_vgpr3
	s_branch .LBB22_222
.LBB22_264:                             ;   in Loop: Header=BB22_33 Depth=1
	s_mov_b32 s10, -1
	s_mov_b32 s24, 0
                                        ; implicit-def: $sgpr11
                                        ; implicit-def: $vgpr27
	s_mov_b32 s20, s10
	s_cbranch_execnz .LBB22_267
	s_branch .LBB22_280
.LBB22_265:                             ;   in Loop: Header=BB22_33 Depth=1
	s_set_inst_prefetch_distance 0x2
	s_or_b32 exec_lo, exec_lo, s10
	s_delay_alu instid0(SALU_CYCLE_1)
	s_and_b32 s24, s11, exec_lo
.LBB22_266:                             ;   in Loop: Header=BB22_33 Depth=1
	s_or_b32 exec_lo, exec_lo, s5
	s_mov_b32 s11, -1
	s_mov_b32 s10, 0
	s_delay_alu instid0(SALU_CYCLE_1)
	s_mov_b32 s20, s10
	s_branch .LBB22_280
.LBB22_267:                             ;   in Loop: Header=BB22_33 Depth=1
	s_add_u32 s20, s93, s8
	s_addc_u32 s11, s94, s9
	s_mov_b32 s10, s69
	s_delay_alu instid0(SALU_CYCLE_1)
	s_cmp_lg_u64 s[10:11], 0
	s_cbranch_scc0 .LBB22_301
; %bb.268:                              ;   in Loop: Header=BB22_33 Depth=1
	v_cvt_f32_u32_e32 v2, s27
	s_sub_u32 s24, 0, s27
	s_subb_u32 s48, 0, 0
	s_delay_alu instid0(VALU_DEP_1) | instskip(NEXT) | instid1(VALU_DEP_1)
	v_fmac_f32_e32 v2, 0x4f800000, v45
	v_rcp_f32_e32 v2, v2
	s_waitcnt_depctr 0xfff
	v_mul_f32_e32 v2, 0x5f7ffffc, v2
	s_delay_alu instid0(VALU_DEP_1) | instskip(NEXT) | instid1(VALU_DEP_1)
	v_mul_f32_e32 v3, 0x2f800000, v2
	v_trunc_f32_e32 v3, v3
	s_delay_alu instid0(VALU_DEP_1) | instskip(SKIP_1) | instid1(VALU_DEP_2)
	v_fmac_f32_e32 v2, 0xcf800000, v3
	v_cvt_u32_f32_e32 v3, v3
	v_cvt_u32_f32_e32 v2, v2
	s_delay_alu instid0(VALU_DEP_2) | instskip(NEXT) | instid1(VALU_DEP_2)
	v_readfirstlane_b32 s5, v3
	v_readfirstlane_b32 s10, v2
	s_delay_alu instid0(VALU_DEP_2) | instskip(NEXT) | instid1(VALU_DEP_1)
	s_mul_i32 s49, s24, s5
	s_mul_hi_u32 s51, s24, s10
	s_mul_i32 s50, s48, s10
	s_add_i32 s49, s51, s49
	s_mul_i32 s68, s24, s10
	s_add_i32 s49, s49, s50
	s_mul_hi_u32 s51, s10, s68
	s_mul_hi_u32 s82, s5, s68
	s_mul_i32 s50, s5, s68
	s_mul_hi_u32 s68, s10, s49
	s_mul_i32 s10, s10, s49
	s_mul_hi_u32 s83, s5, s49
	s_add_u32 s10, s51, s10
	s_addc_u32 s51, 0, s68
	s_add_u32 s10, s10, s50
	s_mul_i32 s49, s5, s49
	s_addc_u32 s10, s51, s82
	s_addc_u32 s50, s83, 0
	s_add_u32 s10, s10, s49
	s_addc_u32 s49, 0, s50
	v_add_co_u32 v2, s10, v2, s10
	s_delay_alu instid0(VALU_DEP_1) | instskip(SKIP_1) | instid1(VALU_DEP_1)
	s_cmp_lg_u32 s10, 0
	s_addc_u32 s5, s5, s49
	v_readfirstlane_b32 s10, v2
	s_mul_i32 s49, s24, s5
	s_delay_alu instid0(VALU_DEP_1)
	s_mul_hi_u32 s50, s24, s10
	s_mul_i32 s48, s48, s10
	s_add_i32 s49, s50, s49
	s_mul_i32 s24, s24, s10
	s_add_i32 s49, s49, s48
	s_mul_hi_u32 s50, s5, s24
	s_mul_i32 s51, s5, s24
	s_mul_hi_u32 s24, s10, s24
	s_mul_hi_u32 s68, s10, s49
	s_mul_i32 s10, s10, s49
	s_mul_hi_u32 s48, s5, s49
	s_add_u32 s10, s24, s10
	s_addc_u32 s24, 0, s68
	s_add_u32 s10, s10, s51
	s_mul_i32 s49, s5, s49
	s_addc_u32 s10, s24, s50
	s_addc_u32 s24, s48, 0
	s_add_u32 s10, s10, s49
	s_addc_u32 s24, 0, s24
	v_add_co_u32 v2, s10, v2, s10
	s_delay_alu instid0(VALU_DEP_1) | instskip(SKIP_2) | instid1(VALU_DEP_1)
	s_cmp_lg_u32 s10, 0
	s_addc_u32 s5, s5, s24
	s_ashr_i32 s48, s11, 31
	v_readfirstlane_b32 s10, v2
	s_add_u32 s50, s20, s48
	s_mov_b32 s49, s48
	s_addc_u32 s51, s11, s48
	s_delay_alu instid0(SALU_CYCLE_1) | instskip(NEXT) | instid1(SALU_CYCLE_1)
	s_xor_b64 s[50:51], s[50:51], s[48:49]
	s_mul_i32 s49, s50, s5
	s_mul_hi_u32 s68, s50, s10
	s_mul_hi_u32 s24, s50, s5
	;; [unrolled: 1-line block ×3, first 2 shown]
	s_mul_i32 s10, s51, s10
	s_add_u32 s49, s68, s49
	s_addc_u32 s24, 0, s24
	s_mul_hi_u32 s82, s51, s5
	s_add_u32 s10, s49, s10
	s_mul_i32 s5, s51, s5
	s_addc_u32 s10, s24, s83
	s_addc_u32 s24, s82, 0
	s_add_u32 s5, s10, s5
	s_addc_u32 s10, 0, s24
	s_mul_hi_u32 s24, s27, s5
	s_mul_i32 s5, s27, s5
	s_mul_i32 s10, s27, s10
	v_sub_co_u32 v2, s5, s50, s5
	s_add_i32 s24, s24, s10
	s_cmp_lg_u32 s5, 0
	s_delay_alu instid0(VALU_DEP_1) | instskip(SKIP_2) | instid1(VALU_DEP_1)
	v_sub_co_u32 v3, s5, v2, s27
	s_subb_u32 s10, s51, s24
	s_cmp_lg_u32 s5, 0
	v_cmp_le_u32_e32 vcc_lo, s27, v3
	v_sub_co_u32 v4, s5, v3, s27
	s_subb_u32 s24, s10, 0
	s_cmp_lg_u32 s5, 0
	v_cmp_le_u32_e64 s5, s27, v2
	s_subb_u32 s49, s24, 0
	v_cndmask_b32_e64 v5, 0, -1, vcc_lo
	s_cmp_eq_u32 s24, 0
	s_cselect_b32 vcc_lo, -1, 0
	v_cndmask_b32_e64 v6, 0, -1, s5
	s_delay_alu instid0(VALU_DEP_2) | instskip(SKIP_2) | instid1(VALU_DEP_1)
	v_cndmask_b32_e32 v5, -1, v5, vcc_lo
	s_cmp_eq_u32 s10, 0
	s_cselect_b32 vcc_lo, -1, 0
	v_cmp_ne_u32_e64 s5, 0, v5
	v_dual_cndmask_b32 v5, -1, v6 :: v_dual_mov_b32 v6, s49
	s_delay_alu instid0(VALU_DEP_2) | instskip(NEXT) | instid1(VALU_DEP_2)
	v_cndmask_b32_e64 v3, v3, v4, s5
	v_cmp_ne_u32_e32 vcc_lo, 0, v5
	s_delay_alu instid0(VALU_DEP_3) | instskip(NEXT) | instid1(VALU_DEP_3)
	v_cndmask_b32_e64 v4, s24, v6, s5
	v_cndmask_b32_e32 v2, v2, v3, vcc_lo
	s_delay_alu instid0(VALU_DEP_2) | instskip(NEXT) | instid1(VALU_DEP_2)
	v_cndmask_b32_e32 v3, s10, v4, vcc_lo
	v_xor_b32_e32 v2, s48, v2
	s_delay_alu instid0(VALU_DEP_2) | instskip(NEXT) | instid1(VALU_DEP_2)
	v_xor_b32_e32 v3, s48, v3
	v_sub_co_u32 v2, vcc_lo, v2, s48
	s_delay_alu instid0(VALU_DEP_2)
	v_subrev_co_ci_u32_e32 v3, vcc_lo, s48, v3, vcc_lo
	s_cbranch_execnz .LBB22_270
.LBB22_269:                             ;   in Loop: Header=BB22_33 Depth=1
	v_cvt_f32_u32_e32 v2, s27
	s_sub_i32 s5, 0, s27
	s_delay_alu instid0(VALU_DEP_1) | instskip(SKIP_2) | instid1(VALU_DEP_1)
	v_rcp_iflag_f32_e32 v2, v2
	s_waitcnt_depctr 0xfff
	v_mul_f32_e32 v2, 0x4f7ffffe, v2
	v_cvt_u32_f32_e32 v2, v2
	s_delay_alu instid0(VALU_DEP_1) | instskip(NEXT) | instid1(VALU_DEP_1)
	v_mul_lo_u32 v3, s5, v2
	v_mul_hi_u32 v3, v2, v3
	s_delay_alu instid0(VALU_DEP_1) | instskip(NEXT) | instid1(VALU_DEP_1)
	v_add_nc_u32_e32 v2, v2, v3
	v_mul_hi_u32 v2, s20, v2
	s_delay_alu instid0(VALU_DEP_1) | instskip(NEXT) | instid1(VALU_DEP_1)
	v_mul_lo_u32 v2, v2, s27
	v_sub_nc_u32_e32 v2, s20, v2
	s_delay_alu instid0(VALU_DEP_1) | instskip(SKIP_1) | instid1(VALU_DEP_2)
	v_subrev_nc_u32_e32 v3, s27, v2
	v_cmp_le_u32_e32 vcc_lo, s27, v2
	v_cndmask_b32_e32 v2, v2, v3, vcc_lo
	s_delay_alu instid0(VALU_DEP_1) | instskip(SKIP_1) | instid1(VALU_DEP_2)
	v_subrev_nc_u32_e32 v3, s27, v2
	v_cmp_le_u32_e32 vcc_lo, s27, v2
	v_cndmask_b32_e32 v12, v2, v3, vcc_lo
	s_delay_alu instid0(VALU_DEP_1)
	v_dual_mov_b32 v2, v12 :: v_dual_mov_b32 v3, v13
.LBB22_270:                             ;   in Loop: Header=BB22_33 Depth=1
	s_delay_alu instid0(VALU_DEP_1) | instskip(NEXT) | instid1(VALU_DEP_2)
	v_sub_co_u32 v2, vcc_lo, s20, v2
	v_sub_co_ci_u32_e32 v3, vcc_lo, s11, v3, vcc_lo
	s_mov_b32 s24, 0
	s_mov_b32 s5, exec_lo
                                        ; implicit-def: $vgpr27
	s_delay_alu instid0(VALU_DEP_1)
	v_cmpx_gt_i64_e64 v[2:3], v[0:1]
	s_cbranch_execz .LBB22_279
; %bb.271:                              ;   in Loop: Header=BB22_33 Depth=1
	v_dual_mov_b32 v6, v14 :: v_dual_mov_b32 v5, v1
	v_mov_b32_e32 v4, v0
	s_mov_b32 s10, 0
                                        ; implicit-def: $sgpr11
	s_set_inst_prefetch_distance 0x1
	s_branch .LBB22_273
	.p2align	6
.LBB22_272:                             ;   in Loop: Header=BB22_273 Depth=2
	s_or_b32 exec_lo, exec_lo, s20
	s_waitcnt lgkmcnt(0)
	s_barrier
	buffer_gl0_inv
	ds_load_b64 v[26:27], v13 offset:3072
	v_add_co_u32 v4, vcc_lo, v4, s27
	v_add_co_ci_u32_e32 v5, vcc_lo, 0, v5, vcc_lo
	v_add_nc_u32_e32 v6, s101, v6
	s_waitcnt lgkmcnt(0)
	s_barrier
	s_delay_alu instid0(VALU_DEP_2) | instskip(SKIP_2) | instid1(VALU_DEP_1)
	v_cmp_ge_i64_e32 vcc_lo, v[4:5], v[2:3]
	buffer_gl0_inv
	v_readfirstlane_b32 s20, v26
	s_cmp_lg_u32 s20, 0
	s_cselect_b32 s20, -1, 0
	s_delay_alu instid0(SALU_CYCLE_1) | instskip(NEXT) | instid1(SALU_CYCLE_1)
	s_or_b32 s24, s20, vcc_lo
	s_and_b32 s24, exec_lo, s24
	s_delay_alu instid0(SALU_CYCLE_1) | instskip(SKIP_2) | instid1(SALU_CYCLE_1)
	s_or_b32 s10, s24, s10
	s_and_not1_b32 s11, s11, exec_lo
	s_and_b32 s20, s20, exec_lo
	s_or_b32 s11, s11, s20
	s_and_not1_b32 exec_lo, exec_lo, s10
	s_cbranch_execz .LBB22_278
.LBB22_273:                             ;   Parent Loop BB22_33 Depth=1
                                        ; =>  This Inner Loop Header: Depth=2
	s_delay_alu instid0(VALU_DEP_1)
	v_cmp_gt_i64_e32 vcc_lo, s[8:9], v[4:5]
	v_mov_b32_e32 v26, 0
	s_and_saveexec_b32 s20, vcc_lo
	s_cbranch_execz .LBB22_275
; %bb.274:                              ;   in Loop: Header=BB22_273 Depth=2
	ds_load_b32 v26, v6
.LBB22_275:                             ;   in Loop: Header=BB22_273 Depth=2
	s_or_b32 exec_lo, exec_lo, s20
	s_and_saveexec_b32 s20, vcc_lo
	s_cbranch_execz .LBB22_272
; %bb.276:                              ;   in Loop: Header=BB22_273 Depth=2
	s_waitcnt lgkmcnt(0)
	v_xor_b32_e32 v7, 0x80000000, v26
	s_delay_alu instid0(VALU_DEP_1) | instskip(NEXT) | instid1(VALU_DEP_1)
	v_and_b32_e32 v7, s59, v7
	v_cmp_eq_u32_e32 vcc_lo, s60, v7
	s_and_b32 exec_lo, exec_lo, vcc_lo
	s_cbranch_execz .LBB22_272
; %bb.277:                              ;   in Loop: Header=BB22_273 Depth=2
	ds_store_b64 v13, v[25:26] offset:3072
	s_branch .LBB22_272
.LBB22_278:                             ;   in Loop: Header=BB22_33 Depth=1
	s_set_inst_prefetch_distance 0x2
	s_or_b32 exec_lo, exec_lo, s10
	s_delay_alu instid0(SALU_CYCLE_1)
	s_and_b32 s24, s11, exec_lo
.LBB22_279:                             ;   in Loop: Header=BB22_33 Depth=1
	s_or_b32 exec_lo, exec_lo, s5
	s_mov_b32 s20, -1
	s_mov_b32 s10, 0
	s_mov_b32 s11, 0
.LBB22_280:                             ;   in Loop: Header=BB22_33 Depth=1
	s_mov_b32 s49, 0
                                        ; implicit-def: $sgpr5
                                        ; implicit-def: $sgpr8_sgpr9
	s_and_saveexec_b32 s48, s24
	s_cbranch_execz .LBB22_293
; %bb.281:                              ;   in Loop: Header=BB22_33 Depth=1
	s_xor_b32 s5, s19, -1
	s_mov_b64 s[8:9], 1
	s_and_not1_b32 vcc_lo, exec_lo, s5
	s_mov_b32 s5, 1
	s_cbranch_vccnz .LBB22_292
; %bb.282:                              ;   in Loop: Header=BB22_33 Depth=1
	v_cmp_gt_i64_e64 s5, s[38:39], s[6:7]
	s_delay_alu instid0(VALU_DEP_1)
	s_and_b32 vcc_lo, exec_lo, s5
	s_cbranch_vccnz .LBB22_288
; %bb.283:                              ;   in Loop: Header=BB22_33 Depth=1
	ds_load_b64 v[2:3], v13 offset:5120
	s_waitcnt lgkmcnt(0)
	v_cmp_ne_u64_e32 vcc_lo, 0, v[2:3]
	s_cbranch_vccnz .LBB22_287
; %bb.284:                              ;   in Loop: Header=BB22_33 Depth=1
	s_and_saveexec_b32 s5, s0
	s_cbranch_execz .LBB22_286
; %bb.285:                              ;   in Loop: Header=BB22_33 Depth=1
	v_dual_mov_b32 v2, s6 :: v_dual_mov_b32 v3, s7
	ds_store_b64 v13, v[2:3] offset:5128
.LBB22_286:                             ;   in Loop: Header=BB22_33 Depth=1
	s_or_b32 exec_lo, exec_lo, s5
	s_waitcnt lgkmcnt(0)
	s_barrier
	buffer_gl0_inv
.LBB22_287:                             ;   in Loop: Header=BB22_33 Depth=1
	s_or_b32 s19, s60, s18
	s_or_b32 s18, s59, s18
	s_mov_b32 s8, 0
	s_mov_b32 s5, 8
	s_branch .LBB22_289
.LBB22_288:                             ;   in Loop: Header=BB22_33 Depth=1
	s_mov_b32 s8, -1
                                        ; implicit-def: $sgpr5
                                        ; implicit-def: $sgpr19
                                        ; implicit-def: $sgpr18
.LBB22_289:                             ;   in Loop: Header=BB22_33 Depth=1
	s_delay_alu instid0(SALU_CYCLE_1)
	s_and_not1_b32 vcc_lo, exec_lo, s8
	s_cbranch_vccnz .LBB22_291
; %bb.290:                              ;   in Loop: Header=BB22_33 Depth=1
	s_sub_u32 s38, s38, s6
	s_subb_u32 s39, s39, s7
	s_mov_b32 s5, 8
	s_mov_b32 s19, s60
	;; [unrolled: 1-line block ×3, first 2 shown]
.LBB22_291:                             ;   in Loop: Header=BB22_33 Depth=1
	s_mov_b64 s[8:9], s[38:39]
	s_mov_b32 s60, s19
	s_mov_b32 s59, s18
.LBB22_292:                             ;   in Loop: Header=BB22_33 Depth=1
	s_mov_b32 s49, exec_lo
.LBB22_293:                             ;   in Loop: Header=BB22_33 Depth=1
	s_or_b32 exec_lo, exec_lo, s48
	s_mov_b64 s[38:39], s[8:9]
.LBB22_294:                             ;   in Loop: Header=BB22_33 Depth=1
	s_and_not1_b32 s6, s12, exec_lo
	s_and_b32 s7, s10, exec_lo
	s_and_not1_b32 s8, s13, exec_lo
	s_or_b32 s12, s6, s7
	s_and_not1_b32 s6, s23, exec_lo
	s_and_b32 s7, s20, exec_lo
	s_and_b32 s9, s11, exec_lo
	s_or_b32 s23, s6, s7
	s_or_b32 s13, s8, s9
	s_and_b32 s10, s49, exec_lo
.LBB22_295:                             ;   in Loop: Header=BB22_33 Depth=1
	s_or_b32 exec_lo, exec_lo, s61
.LBB22_296:                             ;   in Loop: Header=BB22_33 Depth=1
	s_delay_alu instid0(SALU_CYCLE_1)
	s_and_not1_b32 s6, s15, exec_lo
	s_and_b32 s7, s12, exec_lo
	s_and_not1_b32 s8, s14, exec_lo
	s_or_b32 s15, s6, s7
	s_and_not1_b32 s6, s21, exec_lo
	s_and_b32 s7, s23, exec_lo
	s_and_b32 s9, s13, exec_lo
	s_or_b32 s21, s6, s7
	s_or_b32 s14, s8, s9
	s_and_b32 s12, s10, exec_lo
.LBB22_297:                             ;   in Loop: Header=BB22_33 Depth=1
	s_or_b32 exec_lo, exec_lo, s22
	s_and_saveexec_b32 s6, s12
	s_delay_alu instid0(SALU_CYCLE_1)
	s_xor_b32 s6, exec_lo, s6
	s_cbranch_execz .LBB22_31
.LBB22_298:                             ;   in Loop: Header=BB22_33 Depth=1
	s_and_b32 s5, s5, -9
	s_delay_alu instid0(SALU_CYCLE_1)
	s_cmp_eq_u32 s5, 0
	s_cbranch_scc1 .LBB22_29
; %bb.299:                              ;   in Loop: Header=BB22_33 Depth=1
	s_mov_b32 s5, -1
	s_mov_b32 s7, -1
                                        ; implicit-def: $sgpr59
                                        ; implicit-def: $vcc_hi
                                        ; implicit-def: $sgpr65
	s_branch .LBB22_30
.LBB22_300:                             ;   in Loop: Header=BB22_33 Depth=1
                                        ; implicit-def: $vgpr2_vgpr3
	s_branch .LBB22_252
.LBB22_301:                             ;   in Loop: Header=BB22_33 Depth=1
                                        ; implicit-def: $vgpr2_vgpr3
	s_branch .LBB22_269
.LBB22_302:
	s_or_b32 exec_lo, exec_lo, s102
	s_xor_b32 s5, s64, -1
	s_xor_b32 s2, s103, -1
	;; [unrolled: 1-line block ×3, first 2 shown]
	s_mov_b32 s3, 0
	s_and_saveexec_b32 s6, s2
	s_delay_alu instid0(SALU_CYCLE_1)
	s_xor_b32 s2, exec_lo, s6
	s_cbranch_execz .LBB22_325
; %bb.303:
	s_and_saveexec_b32 s3, s5
	s_delay_alu instid0(SALU_CYCLE_1)
	s_xor_b32 s3, exec_lo, s3
	s_cbranch_execz .LBB22_323
; %bb.304:
	s_and_saveexec_b32 s5, s4
	s_delay_alu instid0(SALU_CYCLE_1)
	s_xor_b32 s4, exec_lo, s5
; %bb.305:
	v_xor_b32_e32 v27, 0x80000000, v2
; %bb.306:
	s_or_b32 exec_lo, exec_lo, s4
	s_and_saveexec_b32 s4, s0
	s_cbranch_execz .LBB22_308
; %bb.307:
	v_dual_mov_b32 v2, 0 :: v_dual_mov_b32 v3, s36
	ds_store_b32 v2, v3 offset:5140
.LBB22_308:
	s_or_b32 exec_lo, exec_lo, s4
	s_waitcnt lgkmcnt(0)
	s_barrier
	buffer_gl0_inv
	s_and_saveexec_b32 s4, s1
	s_cbranch_execz .LBB22_320
; %bb.309:
	v_mov_b32_e32 v2, 0
	s_mov_b32 s5, 0
                                        ; implicit-def: $sgpr6
                                        ; implicit-def: $sgpr7
                                        ; implicit-def: $sgpr8
	ds_load_b32 v4, v2 offset:5140
	s_waitcnt lgkmcnt(0)
	v_ashrrev_i32_e32 v5, 31, v4
	s_set_inst_prefetch_distance 0x1
	s_branch .LBB22_312
	.p2align	6
.LBB22_310:                             ;   in Loop: Header=BB22_312 Depth=1
	s_or_b32 exec_lo, exec_lo, s11
	s_delay_alu instid0(SALU_CYCLE_1)
	s_and_not1_b32 s8, s8, exec_lo
	s_and_b32 s10, s10, exec_lo
	s_and_not1_b32 s7, s7, exec_lo
	s_and_b32 s1, s1, exec_lo
	s_or_b32 s8, s8, s10
	s_or_b32 s7, s7, s1
.LBB22_311:                             ;   in Loop: Header=BB22_312 Depth=1
	s_or_b32 exec_lo, exec_lo, s9
	s_delay_alu instid0(SALU_CYCLE_1) | instskip(NEXT) | instid1(SALU_CYCLE_1)
	s_and_b32 s1, exec_lo, s7
	s_or_b32 s5, s1, s5
	s_and_not1_b32 s1, s6, exec_lo
	s_and_b32 s6, s8, exec_lo
	s_delay_alu instid0(SALU_CYCLE_1)
	s_or_b32 s6, s1, s6
	s_and_not1_b32 exec_lo, exec_lo, s5
	s_cbranch_execz .LBB22_315
.LBB22_312:                             ; =>This Inner Loop Header: Depth=1
	v_dual_mov_b32 v3, v1 :: v_dual_mov_b32 v2, v0
	s_or_b32 s8, s8, exec_lo
	s_or_b32 s7, s7, exec_lo
	s_mov_b32 s9, exec_lo
                                        ; implicit-def: $vgpr0_vgpr1
	s_delay_alu instid0(VALU_DEP_1)
	v_cmpx_lt_i64_e64 v[2:3], v[4:5]
	s_cbranch_execz .LBB22_311
; %bb.313:                              ;   in Loop: Header=BB22_312 Depth=1
	global_load_b32 v0, v[10:11], off
	s_mov_b32 s1, -1
	s_mov_b32 s10, 0
	s_waitcnt vmcnt(0)
	v_cmp_ne_u32_e32 vcc_lo, v0, v27
                                        ; implicit-def: $vgpr0_vgpr1
	s_and_saveexec_b32 s11, vcc_lo
	s_cbranch_execz .LBB22_310
; %bb.314:                              ;   in Loop: Header=BB22_312 Depth=1
	v_add_co_u32 v0, vcc_lo, v2, s27
	v_add_co_ci_u32_e32 v1, vcc_lo, 0, v3, vcc_lo
	v_add_co_u32 v10, s1, v10, s70
	s_delay_alu instid0(VALU_DEP_1) | instskip(NEXT) | instid1(VALU_DEP_3)
	v_add_co_ci_u32_e64 v11, s1, s71, v11, s1
	v_cmp_le_i64_e32 vcc_lo, s[36:37], v[0:1]
	s_mov_b32 s10, exec_lo
	s_or_not1_b32 s1, vcc_lo, exec_lo
	s_branch .LBB22_310
.LBB22_315:
	s_set_inst_prefetch_distance 0x2
	s_or_b32 exec_lo, exec_lo, s5
	s_xor_b32 s1, s6, -1
	s_delay_alu instid0(SALU_CYCLE_1) | instskip(NEXT) | instid1(SALU_CYCLE_1)
	s_and_saveexec_b32 s5, s1
	s_xor_b32 s5, exec_lo, s5
	s_cbranch_execz .LBB22_320
; %bb.316:
	s_mov_b32 s5, exec_lo
	s_brev_b32 s1, -2
.LBB22_317:                             ; =>This Inner Loop Header: Depth=1
	s_ctz_i32_b32 s6, s5
	s_delay_alu instid0(SALU_CYCLE_1) | instskip(SKIP_1) | instid1(SALU_CYCLE_1)
	v_readlane_b32 s7, v2, s6
	s_lshl_b32 s6, 1, s6
	s_and_not1_b32 s5, s5, s6
	s_delay_alu instid0(VALU_DEP_1)
	s_min_i32 s1, s1, s7
	s_cmp_lg_u32 s5, 0
	s_cbranch_scc1 .LBB22_317
; %bb.318:
	v_mbcnt_lo_u32_b32 v0, exec_lo, 0
	s_mov_b32 s5, exec_lo
	s_delay_alu instid0(VALU_DEP_1)
	v_cmpx_eq_u32_e32 0, v0
	s_xor_b32 s5, exec_lo, s5
	s_cbranch_execz .LBB22_320
; %bb.319:
	v_dual_mov_b32 v0, 0 :: v_dual_mov_b32 v1, s1
	ds_min_i32 v0, v1 offset:5140
.LBB22_320:
	s_or_b32 exec_lo, exec_lo, s4
	s_waitcnt lgkmcnt(0)
	s_barrier
	buffer_gl0_inv
	s_and_saveexec_b32 s4, s0
	s_cbranch_execz .LBB22_322
; %bb.321:
	s_mul_i32 s0, s56, s47
	s_mul_hi_u32 s1, s56, s46
	v_readlane_b32 s16, v47, 0
	s_add_i32 s0, s1, s0
	s_mul_i32 s1, s57, s46
	v_readlane_b32 s17, v47, 1
	s_mul_i32 s5, s56, s46
	s_add_i32 s0, s0, s1
	s_sub_u32 s5, s26, s5
	s_subb_u32 s0, 0, s0
	s_mul_i32 s1, s5, s17
	s_mul_hi_u32 s6, s5, s16
	s_mul_i32 s0, s0, s16
	s_add_i32 s1, s6, s1
	s_mul_i32 s6, s40, s29
	s_mul_hi_u32 s7, s40, s28
	s_add_i32 s1, s1, s0
	s_add_i32 s0, s7, s6
	s_mul_i32 s6, s41, s28
	s_mul_i32 s7, s40, s28
	s_add_i32 s0, s0, s6
	s_sub_u32 s6, s34, s7
	s_subb_u32 s0, s35, s0
	s_mul_i32 s7, s6, s55
	s_mul_hi_u32 s8, s6, s54
	s_mul_i32 s0, s0, s54
	s_add_i32 s7, s8, s7
	s_mul_i32 s8, s40, s53
	s_mul_hi_u32 s9, s40, s52
	s_add_i32 s7, s7, s0
	s_add_i32 s0, s9, s8
	s_mul_i32 s8, s41, s52
	s_mul_i32 s10, s34, s31
	s_mul_hi_u32 s11, s34, s30
	v_readlane_b32 s18, v47, 6
	s_add_i32 s9, s0, s8
	s_add_i32 s0, s11, s10
	s_mul_i32 s8, s35, s30
	v_readlane_b32 s19, v47, 7
	s_mul_i32 s10, s34, s30
	s_add_i32 s0, s0, s8
	s_sub_u32 s10, s26, s10
	s_subb_u32 s0, 0, s0
	s_mul_i32 s8, s10, s19
	s_mul_hi_u32 s11, s10, s18
	s_mul_i32 s0, s0, s18
	s_add_i32 s8, s11, s8
	s_mul_i32 s12, s62, s45
	s_mul_hi_u32 s13, s62, s44
	v_readlane_b32 s20, v47, 2
	s_add_i32 s11, s8, s0
	s_add_i32 s0, s13, s12
	s_mul_i32 s8, s63, s44
	v_readlane_b32 s22, v47, 4
	v_readlane_b32 s23, v47, 5
	v_mov_b32_e32 v2, 0
	s_mul_i32 s12, s62, s44
	s_add_i32 s0, s0, s8
	v_readlane_b32 s21, v47, 3
	s_sub_u32 s12, s56, s12
	ds_load_b32 v0, v2 offset:5140
	s_mul_i32 s13, s12, s23
	s_mul_hi_u32 s14, s12, s22
	s_subb_u32 s0, s57, s0
	s_add_i32 s13, s14, s13
	s_mul_i32 s14, s62, s21
	s_mul_hi_u32 s15, s62, s20
	v_readlane_b32 s24, v47, 10
	s_mul_i32 s8, s40, s52
	v_readlane_b32 s25, v47, 11
	s_mul_i32 s0, s0, s22
	s_add_i32 s14, s15, s14
	s_mul_i32 s15, s63, s20
	s_lshl_b64 s[8:9], s[8:9], 2
	s_mul_i32 s6, s6, s54
	s_add_i32 s13, s13, s0
	s_add_i32 s15, s14, s15
	s_add_u32 s0, s24, s8
	s_addc_u32 s8, s25, s9
	s_lshl_b64 s[6:7], s[6:7], 2
	s_mul_i32 s10, s10, s18
	s_add_u32 s0, s0, s6
	s_addc_u32 s8, s8, s7
	s_lshl_b64 s[6:7], s[10:11], 2
	v_readlane_b32 s10, v47, 8
	s_mul_i32 s14, s62, s20
	v_readlane_b32 s11, v47, 9
	s_add_u32 s6, s0, s6
	s_addc_u32 s7, s8, s7
	s_lshl_b64 s[8:9], s[14:15], 3
	s_mul_i32 s12, s12, s22
	s_add_u32 s10, s10, s8
	s_addc_u32 s11, s11, s9
	s_lshl_b64 s[8:9], s[12:13], 3
	s_mul_i32 s0, s5, s16
	s_add_u32 s5, s10, s8
	s_addc_u32 s8, s11, s9
	s_lshl_b64 s[0:1], s[0:1], 3
	s_waitcnt lgkmcnt(0)
	v_ashrrev_i32_e32 v1, 31, v0
	s_add_u32 s0, s5, s0
	s_addc_u32 s1, s8, s1
	s_clause 0x1
	global_store_b64 v2, v[0:1], s[0:1]
	global_store_b32 v2, v27, s[6:7]
.LBB22_322:
	s_or_b32 exec_lo, exec_lo, s4
.LBB22_323:
	s_or_saveexec_b32 s0, s3
	s_mov_b32 s1, 0
	s_xor_b32 exec_lo, exec_lo, s0
	s_cbranch_execnz .LBB22_331
.LBB22_324:
	s_or_b32 exec_lo, exec_lo, s0
	s_delay_alu instid0(SALU_CYCLE_1)
	s_and_b32 s3, s1, exec_lo
.LBB22_325:
	s_and_not1_saveexec_b32 s0, s2
	s_cbranch_execnz .LBB22_329
; %bb.326:
	s_or_b32 exec_lo, exec_lo, s0
	s_and_saveexec_b32 s0, s3
.LBB22_327:
	; divergent unreachable
.LBB22_328:
	s_nop 0
	s_sendmsg sendmsg(MSG_DEALLOC_VGPRS)
	s_endpgm
.LBB22_329:
	s_cbranch_execnz .LBB22_333
; %bb.330:
	s_or_b32 s3, s3, exec_lo
	s_or_b32 exec_lo, exec_lo, s0
	s_and_saveexec_b32 s0, s3
	s_cbranch_execnz .LBB22_327
	s_branch .LBB22_328
.LBB22_331:
	s_cbranch_execnz .LBB22_335
; %bb.332:
	s_mov_b32 s1, exec_lo
	s_branch .LBB22_324
.LBB22_333:
	s_trap 2
	s_sendmsg_rtn_b32 s0, sendmsg(MSG_RTN_GET_DOORBELL)
	s_mov_b32 ttmp2, m0
	s_waitcnt lgkmcnt(0)
	s_and_b32 s0, s0, 0x3ff
	s_delay_alu instid0(SALU_CYCLE_1) | instskip(NEXT) | instid1(SALU_CYCLE_1)
	s_bitset1_b32 s0, 10
	s_mov_b32 m0, s0
	s_sendmsg sendmsg(MSG_INTERRUPT)
	s_mov_b32 m0, ttmp2
.LBB22_334:                             ; =>This Inner Loop Header: Depth=1
	s_sethalt 5
	s_branch .LBB22_334
.LBB22_335:
	s_trap 2
	s_sendmsg_rtn_b32 s0, sendmsg(MSG_RTN_GET_DOORBELL)
	s_mov_b32 ttmp2, m0
	s_waitcnt lgkmcnt(0)
	s_and_b32 s0, s0, 0x3ff
	s_delay_alu instid0(SALU_CYCLE_1) | instskip(NEXT) | instid1(SALU_CYCLE_1)
	s_bitset1_b32 s0, 10
	s_mov_b32 m0, s0
	s_sendmsg sendmsg(MSG_INTERRUPT)
	s_mov_b32 m0, ttmp2
.LBB22_336:                             ; =>This Inner Loop Header: Depth=1
	s_sethalt 5
	s_branch .LBB22_336
	.section	.rodata,"a",@progbits
	.p2align	6, 0x0
	.amdhsa_kernel _ZN2at6native12_GLOBAL__N_114gatherKthValueIilLi3EEEvNS_4cuda6detail10TensorInfoIKT_T0_EES8_S8_S8_S8_NS5_IS6_S8_EENS5_IlS8_EE
		.amdhsa_group_segment_fixed_size 5144
		.amdhsa_private_segment_fixed_size 0
		.amdhsa_kernarg_size 1536
		.amdhsa_user_sgpr_count 13
		.amdhsa_user_sgpr_dispatch_ptr 0
		.amdhsa_user_sgpr_queue_ptr 0
		.amdhsa_user_sgpr_kernarg_segment_ptr 1
		.amdhsa_user_sgpr_dispatch_id 0
		.amdhsa_user_sgpr_private_segment_size 0
		.amdhsa_wavefront_size32 1
		.amdhsa_uses_dynamic_stack 0
		.amdhsa_enable_private_segment 0
		.amdhsa_system_sgpr_workgroup_id_x 1
		.amdhsa_system_sgpr_workgroup_id_y 1
		.amdhsa_system_sgpr_workgroup_id_z 1
		.amdhsa_system_sgpr_workgroup_info 0
		.amdhsa_system_vgpr_workitem_id 0
		.amdhsa_next_free_vgpr 48
		.amdhsa_next_free_sgpr 105
		.amdhsa_reserve_vcc 1
		.amdhsa_float_round_mode_32 0
		.amdhsa_float_round_mode_16_64 0
		.amdhsa_float_denorm_mode_32 3
		.amdhsa_float_denorm_mode_16_64 3
		.amdhsa_dx10_clamp 1
		.amdhsa_ieee_mode 1
		.amdhsa_fp16_overflow 0
		.amdhsa_workgroup_processor_mode 1
		.amdhsa_memory_ordered 1
		.amdhsa_forward_progress 0
		.amdhsa_shared_vgpr_count 0
		.amdhsa_exception_fp_ieee_invalid_op 0
		.amdhsa_exception_fp_denorm_src 0
		.amdhsa_exception_fp_ieee_div_zero 0
		.amdhsa_exception_fp_ieee_overflow 0
		.amdhsa_exception_fp_ieee_underflow 0
		.amdhsa_exception_fp_ieee_inexact 0
		.amdhsa_exception_int_div_zero 0
	.end_amdhsa_kernel
	.section	.text._ZN2at6native12_GLOBAL__N_114gatherKthValueIilLi3EEEvNS_4cuda6detail10TensorInfoIKT_T0_EES8_S8_S8_S8_NS5_IS6_S8_EENS5_IlS8_EE,"axG",@progbits,_ZN2at6native12_GLOBAL__N_114gatherKthValueIilLi3EEEvNS_4cuda6detail10TensorInfoIKT_T0_EES8_S8_S8_S8_NS5_IS6_S8_EENS5_IlS8_EE,comdat
.Lfunc_end22:
	.size	_ZN2at6native12_GLOBAL__N_114gatherKthValueIilLi3EEEvNS_4cuda6detail10TensorInfoIKT_T0_EES8_S8_S8_S8_NS5_IS6_S8_EENS5_IlS8_EE, .Lfunc_end22-_ZN2at6native12_GLOBAL__N_114gatherKthValueIilLi3EEEvNS_4cuda6detail10TensorInfoIKT_T0_EES8_S8_S8_S8_NS5_IS6_S8_EENS5_IlS8_EE
                                        ; -- End function
	.section	.AMDGPU.csdata,"",@progbits
; Kernel info:
; codeLenInByte = 22428
; NumSgprs: 107
; NumVgprs: 48
; ScratchSize: 0
; MemoryBound: 0
; FloatMode: 240
; IeeeMode: 1
; LDSByteSize: 5144 bytes/workgroup (compile time only)
; SGPRBlocks: 13
; VGPRBlocks: 5
; NumSGPRsForWavesPerEU: 107
; NumVGPRsForWavesPerEU: 48
; Occupancy: 16
; WaveLimiterHint : 1
; COMPUTE_PGM_RSRC2:SCRATCH_EN: 0
; COMPUTE_PGM_RSRC2:USER_SGPR: 13
; COMPUTE_PGM_RSRC2:TRAP_HANDLER: 0
; COMPUTE_PGM_RSRC2:TGID_X_EN: 1
; COMPUTE_PGM_RSRC2:TGID_Y_EN: 1
; COMPUTE_PGM_RSRC2:TGID_Z_EN: 1
; COMPUTE_PGM_RSRC2:TIDIG_COMP_CNT: 0
	.section	.text._ZN2at6native12_GLOBAL__N_114gatherKthValueIilLin1EEEvNS_4cuda6detail10TensorInfoIKT_T0_EES8_S8_S8_S8_NS5_IS6_S8_EENS5_IlS8_EE,"axG",@progbits,_ZN2at6native12_GLOBAL__N_114gatherKthValueIilLin1EEEvNS_4cuda6detail10TensorInfoIKT_T0_EES8_S8_S8_S8_NS5_IS6_S8_EENS5_IlS8_EE,comdat
	.globl	_ZN2at6native12_GLOBAL__N_114gatherKthValueIilLin1EEEvNS_4cuda6detail10TensorInfoIKT_T0_EES8_S8_S8_S8_NS5_IS6_S8_EENS5_IlS8_EE ; -- Begin function _ZN2at6native12_GLOBAL__N_114gatherKthValueIilLin1EEEvNS_4cuda6detail10TensorInfoIKT_T0_EES8_S8_S8_S8_NS5_IS6_S8_EENS5_IlS8_EE
	.p2align	8
	.type	_ZN2at6native12_GLOBAL__N_114gatherKthValueIilLin1EEEvNS_4cuda6detail10TensorInfoIKT_T0_EES8_S8_S8_S8_NS5_IS6_S8_EENS5_IlS8_EE,@function
_ZN2at6native12_GLOBAL__N_114gatherKthValueIilLin1EEEvNS_4cuda6detail10TensorInfoIKT_T0_EES8_S8_S8_S8_NS5_IS6_S8_EENS5_IlS8_EE: ; @_ZN2at6native12_GLOBAL__N_114gatherKthValueIilLin1EEEvNS_4cuda6detail10TensorInfoIKT_T0_EES8_S8_S8_S8_NS5_IS6_S8_EENS5_IlS8_EE
; %bb.0:
	s_clause 0x1
	s_load_b64 s[8:9], s[0:1], 0x500
	s_load_b256 s[36:43], s[0:1], 0x1a0
	s_add_u32 s6, s0, 0x500
	s_addc_u32 s7, s1, 0
	s_mov_b32 s5, 0
	s_waitcnt lgkmcnt(0)
	s_mul_i32 s2, s9, s15
	s_delay_alu instid0(SALU_CYCLE_1) | instskip(NEXT) | instid1(SALU_CYCLE_1)
	s_add_i32 s2, s2, s14
	s_mul_i32 s2, s2, s8
	s_delay_alu instid0(SALU_CYCLE_1) | instskip(NEXT) | instid1(SALU_CYCLE_1)
	s_add_i32 s4, s2, s13
	v_cmp_ge_i64_e64 s2, s[4:5], s[40:41]
	s_delay_alu instid0(VALU_DEP_1)
	s_and_b32 vcc_lo, exec_lo, s2
	s_cbranch_vccnz .LBB23_328
; %bb.1:
	s_load_b32 s9, s[0:1], 0x198
	s_mov_b64 s[2:3], 0
	s_mov_b64 s[10:11], s[4:5]
	s_waitcnt lgkmcnt(0)
	s_cmp_lt_i32 s9, 2
	s_cbranch_scc1 .LBB23_9
; %bb.2:
	s_mov_b32 s14, 0
	s_add_i32 s2, s9, -1
	s_mov_b32 s3, s14
	s_add_i32 s9, s9, 1
	s_lshl_b64 s[10:11], s[2:3], 3
	s_mov_b64 s[2:3], 0
	s_add_u32 s10, s10, s0
	s_addc_u32 s11, s11, s1
	s_add_u32 s16, s10, 8
	s_addc_u32 s17, s11, 0
	s_mov_b64 s[18:19], s[4:5]
.LBB23_3:                               ; =>This Inner Loop Header: Depth=1
	s_load_b64 s[20:21], s[16:17], 0x0
	s_mov_b32 s12, -1
	s_waitcnt lgkmcnt(0)
	s_or_b64 s[10:11], s[18:19], s[20:21]
	s_delay_alu instid0(SALU_CYCLE_1) | instskip(NEXT) | instid1(SALU_CYCLE_1)
	s_mov_b32 s15, s11
                                        ; implicit-def: $sgpr10_sgpr11
	s_cmp_lg_u64 s[14:15], 0
	s_cbranch_scc0 .LBB23_5
; %bb.4:                                ;   in Loop: Header=BB23_3 Depth=1
	s_ashr_i32 s10, s21, 31
	s_delay_alu instid0(SALU_CYCLE_1) | instskip(SKIP_2) | instid1(SALU_CYCLE_1)
	s_add_u32 s22, s20, s10
	s_mov_b32 s11, s10
	s_addc_u32 s23, s21, s10
	s_xor_b64 s[22:23], s[22:23], s[10:11]
	s_delay_alu instid0(SALU_CYCLE_1)
	v_cvt_f32_u32_e32 v1, s22
	v_cvt_f32_u32_e32 v2, s23
	s_sub_u32 s24, 0, s22
	s_subb_u32 s25, 0, s23
	s_waitcnt_depctr 0xfff
	v_fmac_f32_e32 v1, 0x4f800000, v2
	s_delay_alu instid0(VALU_DEP_1) | instskip(SKIP_2) | instid1(VALU_DEP_1)
	v_rcp_f32_e32 v1, v1
	s_waitcnt_depctr 0xfff
	v_mul_f32_e32 v1, 0x5f7ffffc, v1
	v_mul_f32_e32 v2, 0x2f800000, v1
	s_delay_alu instid0(VALU_DEP_1) | instskip(NEXT) | instid1(VALU_DEP_1)
	v_trunc_f32_e32 v2, v2
	v_fmac_f32_e32 v1, 0xcf800000, v2
	v_cvt_u32_f32_e32 v2, v2
	s_delay_alu instid0(VALU_DEP_2) | instskip(NEXT) | instid1(VALU_DEP_2)
	v_cvt_u32_f32_e32 v1, v1
	v_readfirstlane_b32 s12, v2
	s_delay_alu instid0(VALU_DEP_2) | instskip(NEXT) | instid1(VALU_DEP_2)
	v_readfirstlane_b32 s15, v1
	s_mul_i32 s26, s24, s12
	s_delay_alu instid0(VALU_DEP_1)
	s_mul_hi_u32 s28, s24, s15
	s_mul_i32 s27, s25, s15
	s_add_i32 s26, s28, s26
	s_mul_i32 s29, s24, s15
	s_add_i32 s26, s26, s27
	s_mul_hi_u32 s28, s15, s29
	s_mul_hi_u32 s30, s12, s29
	s_mul_i32 s27, s12, s29
	s_mul_hi_u32 s29, s15, s26
	s_mul_i32 s15, s15, s26
	s_mul_hi_u32 s31, s12, s26
	s_add_u32 s15, s28, s15
	s_addc_u32 s28, 0, s29
	s_add_u32 s15, s15, s27
	s_mul_i32 s26, s12, s26
	s_addc_u32 s15, s28, s30
	s_addc_u32 s27, s31, 0
	s_add_u32 s15, s15, s26
	s_addc_u32 s26, 0, s27
	v_add_co_u32 v1, s15, v1, s15
	s_delay_alu instid0(VALU_DEP_1) | instskip(SKIP_1) | instid1(VALU_DEP_1)
	s_cmp_lg_u32 s15, 0
	s_addc_u32 s12, s12, s26
	v_readfirstlane_b32 s15, v1
	s_mul_i32 s26, s24, s12
	s_delay_alu instid0(VALU_DEP_1)
	s_mul_hi_u32 s27, s24, s15
	s_mul_i32 s25, s25, s15
	s_add_i32 s26, s27, s26
	s_mul_i32 s24, s24, s15
	s_add_i32 s26, s26, s25
	s_mul_hi_u32 s27, s12, s24
	s_mul_i32 s28, s12, s24
	s_mul_hi_u32 s24, s15, s24
	s_mul_hi_u32 s29, s15, s26
	s_mul_i32 s15, s15, s26
	s_mul_hi_u32 s25, s12, s26
	s_add_u32 s15, s24, s15
	s_addc_u32 s24, 0, s29
	s_add_u32 s15, s15, s28
	s_mul_i32 s26, s12, s26
	s_addc_u32 s15, s24, s27
	s_addc_u32 s24, s25, 0
	s_add_u32 s15, s15, s26
	s_addc_u32 s24, 0, s24
	v_add_co_u32 v1, s15, v1, s15
	s_delay_alu instid0(VALU_DEP_1) | instskip(SKIP_2) | instid1(VALU_DEP_1)
	s_cmp_lg_u32 s15, 0
	s_addc_u32 s12, s12, s24
	s_ashr_i32 s24, s19, 31
	v_readfirstlane_b32 s15, v1
	s_add_u32 s26, s18, s24
	s_mov_b32 s25, s24
	s_addc_u32 s27, s19, s24
	s_delay_alu instid0(SALU_CYCLE_1) | instskip(NEXT) | instid1(SALU_CYCLE_1)
	s_xor_b64 s[26:27], s[26:27], s[24:25]
	s_mul_i32 s29, s26, s12
	s_mul_hi_u32 s30, s26, s15
	s_mul_hi_u32 s28, s26, s12
	;; [unrolled: 1-line block ×3, first 2 shown]
	s_mul_i32 s15, s27, s15
	s_add_u32 s29, s30, s29
	s_addc_u32 s28, 0, s28
	s_mul_hi_u32 s31, s27, s12
	s_add_u32 s15, s29, s15
	s_mul_i32 s12, s27, s12
	s_addc_u32 s15, s28, s33
	s_addc_u32 s28, s31, 0
	s_add_u32 s12, s15, s12
	s_addc_u32 s15, 0, s28
	s_mul_i32 s31, s22, s12
	s_mul_hi_u32 s28, s22, s12
	s_mul_i32 s30, s22, s15
	v_sub_co_u32 v1, s26, s26, s31
	s_mul_i32 s29, s23, s12
	s_add_i32 s28, s28, s30
	s_delay_alu instid0(SALU_CYCLE_1) | instskip(NEXT) | instid1(VALU_DEP_1)
	s_add_i32 s28, s28, s29
	v_sub_co_u32 v2, s30, v1, s22
	s_sub_i32 s29, s27, s28
	s_cmp_lg_u32 s26, 0
	s_subb_u32 s29, s29, s23
	s_cmp_lg_u32 s30, 0
	v_readfirstlane_b32 s30, v2
	s_subb_u32 s29, s29, 0
	s_delay_alu instid0(SALU_CYCLE_1) | instskip(SKIP_1) | instid1(VALU_DEP_1)
	s_cmp_ge_u32 s29, s23
	s_cselect_b32 s31, -1, 0
	s_cmp_ge_u32 s30, s22
	s_cselect_b32 s30, -1, 0
	s_cmp_eq_u32 s29, s23
	s_cselect_b32 s29, s30, s31
	s_add_u32 s30, s12, 1
	s_addc_u32 s31, s15, 0
	s_add_u32 s33, s12, 2
	s_addc_u32 s34, s15, 0
	s_cmp_lg_u32 s29, 0
	s_cselect_b32 s29, s33, s30
	s_cselect_b32 s30, s34, s31
	s_cmp_lg_u32 s26, 0
	v_readfirstlane_b32 s26, v1
	s_subb_u32 s27, s27, s28
	s_delay_alu instid0(SALU_CYCLE_1) | instskip(SKIP_1) | instid1(VALU_DEP_1)
	s_cmp_ge_u32 s27, s23
	s_cselect_b32 s28, -1, 0
	s_cmp_ge_u32 s26, s22
	s_cselect_b32 s22, -1, 0
	s_cmp_eq_u32 s27, s23
	s_cselect_b32 s22, s22, s28
	s_delay_alu instid0(SALU_CYCLE_1)
	s_cmp_lg_u32 s22, 0
	s_cselect_b32 s23, s30, s15
	s_cselect_b32 s22, s29, s12
	s_xor_b64 s[10:11], s[24:25], s[10:11]
	s_mov_b32 s12, 0
	s_xor_b64 s[22:23], s[22:23], s[10:11]
	s_delay_alu instid0(SALU_CYCLE_1)
	s_sub_u32 s10, s22, s10
	s_subb_u32 s11, s23, s11
.LBB23_5:                               ;   in Loop: Header=BB23_3 Depth=1
	s_and_not1_b32 vcc_lo, exec_lo, s12
	s_cbranch_vccnz .LBB23_7
; %bb.6:                                ;   in Loop: Header=BB23_3 Depth=1
	v_cvt_f32_u32_e32 v1, s20
	s_sub_i32 s11, 0, s20
	s_waitcnt_depctr 0xfff
	v_rcp_iflag_f32_e32 v1, v1
	s_waitcnt_depctr 0xfff
	v_mul_f32_e32 v1, 0x4f7ffffe, v1
	s_delay_alu instid0(VALU_DEP_1) | instskip(NEXT) | instid1(VALU_DEP_1)
	v_cvt_u32_f32_e32 v1, v1
	v_readfirstlane_b32 s10, v1
	s_delay_alu instid0(VALU_DEP_1) | instskip(NEXT) | instid1(SALU_CYCLE_1)
	s_mul_i32 s11, s11, s10
	s_mul_hi_u32 s11, s10, s11
	s_delay_alu instid0(SALU_CYCLE_1) | instskip(NEXT) | instid1(SALU_CYCLE_1)
	s_add_i32 s10, s10, s11
	s_mul_hi_u32 s10, s18, s10
	s_delay_alu instid0(SALU_CYCLE_1) | instskip(SKIP_2) | instid1(SALU_CYCLE_1)
	s_mul_i32 s11, s10, s20
	s_add_i32 s12, s10, 1
	s_sub_i32 s11, s18, s11
	s_sub_i32 s15, s11, s20
	s_cmp_ge_u32 s11, s20
	s_cselect_b32 s10, s12, s10
	s_cselect_b32 s11, s15, s11
	s_add_i32 s12, s10, 1
	s_cmp_ge_u32 s11, s20
	s_mov_b32 s11, s14
	s_cselect_b32 s10, s12, s10
.LBB23_7:                               ;   in Loop: Header=BB23_3 Depth=1
	s_load_b64 s[22:23], s[16:17], 0xc8
	s_mul_i32 s12, s10, s21
	s_mul_hi_u32 s15, s10, s20
	s_mul_i32 s21, s11, s20
	s_add_i32 s12, s15, s12
	s_mul_i32 s15, s10, s20
	s_add_i32 s12, s12, s21
	s_sub_u32 s15, s18, s15
	s_subb_u32 s12, s19, s12
	s_waitcnt lgkmcnt(0)
	s_mul_i32 s12, s22, s12
	s_mul_hi_u32 s18, s22, s15
	s_mul_i32 s19, s23, s15
	s_add_i32 s12, s18, s12
	s_mul_i32 s15, s22, s15
	s_add_i32 s12, s12, s19
	s_add_u32 s2, s15, s2
	s_addc_u32 s3, s12, s3
	s_add_i32 s9, s9, -1
	s_add_u32 s16, s16, -8
	s_addc_u32 s17, s17, -1
	s_cmp_gt_u32 s9, 2
	s_cbranch_scc0 .LBB23_9
; %bb.8:                                ;   in Loop: Header=BB23_3 Depth=1
	s_mov_b64 s[18:19], s[10:11]
	s_branch .LBB23_3
.LBB23_9:
	s_clause 0x1
	s_load_b32 s9, s[0:1], 0x358
	s_load_b64 s[14:15], s[0:1], 0xd0
	s_add_u32 s16, s0, 0x1c0
	s_addc_u32 s17, s1, 0
	s_mov_b64 s[26:27], 0
	s_mov_b64 s[28:29], s[4:5]
	s_waitcnt lgkmcnt(0)
	s_cmp_lt_i32 s9, 2
	s_cbranch_scc1 .LBB23_17
; %bb.10:
	s_mov_b32 s18, 0
	s_add_i32 s20, s9, -1
	s_mov_b32 s21, s18
	s_add_i32 s9, s9, 1
	s_lshl_b64 s[20:21], s[20:21], 3
	s_mov_b64 s[22:23], s[4:5]
	s_add_u32 s12, s20, s16
	s_addc_u32 s19, s21, s17
	s_add_u32 s20, s12, 8
	s_addc_u32 s21, s19, 0
.LBB23_11:                              ; =>This Inner Loop Header: Depth=1
	s_load_b64 s[24:25], s[20:21], 0x0
	s_mov_b32 s12, -1
	s_waitcnt lgkmcnt(0)
	s_or_b64 s[28:29], s[22:23], s[24:25]
	s_delay_alu instid0(SALU_CYCLE_1) | instskip(NEXT) | instid1(SALU_CYCLE_1)
	s_mov_b32 s19, s29
                                        ; implicit-def: $sgpr28_sgpr29
	s_cmp_lg_u64 s[18:19], 0
	s_cbranch_scc0 .LBB23_13
; %bb.12:                               ;   in Loop: Header=BB23_11 Depth=1
	s_ashr_i32 s28, s25, 31
	s_delay_alu instid0(SALU_CYCLE_1) | instskip(SKIP_2) | instid1(SALU_CYCLE_1)
	s_add_u32 s30, s24, s28
	s_mov_b32 s29, s28
	s_addc_u32 s31, s25, s28
	s_xor_b64 s[30:31], s[30:31], s[28:29]
	s_delay_alu instid0(SALU_CYCLE_1)
	v_cvt_f32_u32_e32 v1, s30
	v_cvt_f32_u32_e32 v2, s31
	s_sub_u32 s33, 0, s30
	s_subb_u32 s34, 0, s31
	s_waitcnt_depctr 0xfff
	v_fmac_f32_e32 v1, 0x4f800000, v2
	s_delay_alu instid0(VALU_DEP_1) | instskip(SKIP_2) | instid1(VALU_DEP_1)
	v_rcp_f32_e32 v1, v1
	s_waitcnt_depctr 0xfff
	v_mul_f32_e32 v1, 0x5f7ffffc, v1
	v_mul_f32_e32 v2, 0x2f800000, v1
	s_delay_alu instid0(VALU_DEP_1) | instskip(NEXT) | instid1(VALU_DEP_1)
	v_trunc_f32_e32 v2, v2
	v_fmac_f32_e32 v1, 0xcf800000, v2
	v_cvt_u32_f32_e32 v2, v2
	s_delay_alu instid0(VALU_DEP_2) | instskip(NEXT) | instid1(VALU_DEP_2)
	v_cvt_u32_f32_e32 v1, v1
	v_readfirstlane_b32 s12, v2
	s_delay_alu instid0(VALU_DEP_2) | instskip(NEXT) | instid1(VALU_DEP_2)
	v_readfirstlane_b32 s19, v1
	s_mul_i32 s35, s33, s12
	s_delay_alu instid0(VALU_DEP_1)
	s_mul_hi_u32 s41, s33, s19
	s_mul_i32 s40, s34, s19
	s_add_i32 s35, s41, s35
	s_mul_i32 s44, s33, s19
	s_add_i32 s35, s35, s40
	s_mul_hi_u32 s41, s19, s44
	s_mul_hi_u32 s45, s12, s44
	s_mul_i32 s40, s12, s44
	s_mul_hi_u32 s44, s19, s35
	s_mul_i32 s19, s19, s35
	s_mul_hi_u32 s46, s12, s35
	s_add_u32 s19, s41, s19
	s_addc_u32 s41, 0, s44
	s_add_u32 s19, s19, s40
	s_mul_i32 s35, s12, s35
	s_addc_u32 s19, s41, s45
	s_addc_u32 s40, s46, 0
	s_add_u32 s19, s19, s35
	s_addc_u32 s35, 0, s40
	v_add_co_u32 v1, s19, v1, s19
	s_delay_alu instid0(VALU_DEP_1) | instskip(SKIP_1) | instid1(VALU_DEP_1)
	s_cmp_lg_u32 s19, 0
	s_addc_u32 s12, s12, s35
	v_readfirstlane_b32 s19, v1
	s_mul_i32 s35, s33, s12
	s_delay_alu instid0(VALU_DEP_1)
	s_mul_hi_u32 s40, s33, s19
	s_mul_i32 s34, s34, s19
	s_add_i32 s35, s40, s35
	s_mul_i32 s33, s33, s19
	s_add_i32 s35, s35, s34
	s_mul_hi_u32 s40, s12, s33
	s_mul_i32 s41, s12, s33
	s_mul_hi_u32 s33, s19, s33
	s_mul_hi_u32 s44, s19, s35
	s_mul_i32 s19, s19, s35
	s_mul_hi_u32 s34, s12, s35
	s_add_u32 s19, s33, s19
	s_addc_u32 s33, 0, s44
	s_add_u32 s19, s19, s41
	s_mul_i32 s35, s12, s35
	s_addc_u32 s19, s33, s40
	s_addc_u32 s33, s34, 0
	s_add_u32 s19, s19, s35
	s_addc_u32 s33, 0, s33
	v_add_co_u32 v1, s19, v1, s19
	s_delay_alu instid0(VALU_DEP_1) | instskip(SKIP_2) | instid1(VALU_DEP_1)
	s_cmp_lg_u32 s19, 0
	s_addc_u32 s12, s12, s33
	s_ashr_i32 s34, s23, 31
	v_readfirstlane_b32 s19, v1
	s_add_u32 s40, s22, s34
	s_mov_b32 s35, s34
	s_addc_u32 s41, s23, s34
	s_delay_alu instid0(SALU_CYCLE_1) | instskip(NEXT) | instid1(SALU_CYCLE_1)
	s_xor_b64 s[40:41], s[40:41], s[34:35]
	s_mul_i32 s44, s40, s12
	s_mul_hi_u32 s45, s40, s19
	s_mul_hi_u32 s33, s40, s12
	;; [unrolled: 1-line block ×3, first 2 shown]
	s_mul_i32 s19, s41, s19
	s_add_u32 s44, s45, s44
	s_addc_u32 s33, 0, s33
	s_mul_hi_u32 s46, s41, s12
	s_add_u32 s19, s44, s19
	s_mul_i32 s12, s41, s12
	s_addc_u32 s19, s33, s47
	s_addc_u32 s33, s46, 0
	s_add_u32 s12, s19, s12
	s_addc_u32 s19, 0, s33
	s_mul_i32 s46, s30, s12
	s_mul_hi_u32 s33, s30, s12
	s_mul_i32 s45, s30, s19
	v_sub_co_u32 v1, s40, s40, s46
	s_mul_i32 s44, s31, s12
	s_add_i32 s33, s33, s45
	s_delay_alu instid0(SALU_CYCLE_1) | instskip(NEXT) | instid1(VALU_DEP_1)
	s_add_i32 s33, s33, s44
	v_sub_co_u32 v2, s45, v1, s30
	s_sub_i32 s44, s41, s33
	s_cmp_lg_u32 s40, 0
	s_subb_u32 s44, s44, s31
	s_cmp_lg_u32 s45, 0
	v_readfirstlane_b32 s45, v2
	s_subb_u32 s44, s44, 0
	s_delay_alu instid0(SALU_CYCLE_1) | instskip(SKIP_1) | instid1(VALU_DEP_1)
	s_cmp_ge_u32 s44, s31
	s_cselect_b32 s46, -1, 0
	s_cmp_ge_u32 s45, s30
	s_cselect_b32 s45, -1, 0
	s_cmp_eq_u32 s44, s31
	s_cselect_b32 s44, s45, s46
	s_add_u32 s45, s12, 1
	s_addc_u32 s46, s19, 0
	s_add_u32 s47, s12, 2
	s_addc_u32 s48, s19, 0
	s_cmp_lg_u32 s44, 0
	s_cselect_b32 s44, s47, s45
	s_cselect_b32 s45, s48, s46
	s_cmp_lg_u32 s40, 0
	v_readfirstlane_b32 s40, v1
	s_subb_u32 s33, s41, s33
	s_delay_alu instid0(SALU_CYCLE_1) | instskip(SKIP_1) | instid1(VALU_DEP_1)
	s_cmp_ge_u32 s33, s31
	s_cselect_b32 s41, -1, 0
	s_cmp_ge_u32 s40, s30
	s_cselect_b32 s30, -1, 0
	s_cmp_eq_u32 s33, s31
	s_cselect_b32 s30, s30, s41
	s_delay_alu instid0(SALU_CYCLE_1)
	s_cmp_lg_u32 s30, 0
	s_cselect_b32 s31, s45, s19
	s_cselect_b32 s30, s44, s12
	s_xor_b64 s[28:29], s[34:35], s[28:29]
	s_mov_b32 s12, 0
	s_xor_b64 s[30:31], s[30:31], s[28:29]
	s_delay_alu instid0(SALU_CYCLE_1)
	s_sub_u32 s28, s30, s28
	s_subb_u32 s29, s31, s29
.LBB23_13:                              ;   in Loop: Header=BB23_11 Depth=1
	s_and_not1_b32 vcc_lo, exec_lo, s12
	s_cbranch_vccnz .LBB23_15
; %bb.14:                               ;   in Loop: Header=BB23_11 Depth=1
	v_cvt_f32_u32_e32 v1, s24
	s_sub_i32 s19, 0, s24
	s_waitcnt_depctr 0xfff
	v_rcp_iflag_f32_e32 v1, v1
	s_waitcnt_depctr 0xfff
	v_mul_f32_e32 v1, 0x4f7ffffe, v1
	s_delay_alu instid0(VALU_DEP_1) | instskip(NEXT) | instid1(VALU_DEP_1)
	v_cvt_u32_f32_e32 v1, v1
	v_readfirstlane_b32 s12, v1
	s_delay_alu instid0(VALU_DEP_1) | instskip(NEXT) | instid1(SALU_CYCLE_1)
	s_mul_i32 s19, s19, s12
	s_mul_hi_u32 s19, s12, s19
	s_delay_alu instid0(SALU_CYCLE_1) | instskip(NEXT) | instid1(SALU_CYCLE_1)
	s_add_i32 s12, s12, s19
	s_mul_hi_u32 s12, s22, s12
	s_delay_alu instid0(SALU_CYCLE_1) | instskip(SKIP_2) | instid1(SALU_CYCLE_1)
	s_mul_i32 s19, s12, s24
	s_add_i32 s28, s12, 1
	s_sub_i32 s19, s22, s19
	s_sub_i32 s29, s19, s24
	s_cmp_ge_u32 s19, s24
	s_cselect_b32 s12, s28, s12
	s_cselect_b32 s19, s29, s19
	s_add_i32 s28, s12, 1
	s_cmp_ge_u32 s19, s24
	s_mov_b32 s29, s18
	s_cselect_b32 s28, s28, s12
.LBB23_15:                              ;   in Loop: Header=BB23_11 Depth=1
	s_load_b64 s[30:31], s[20:21], 0xc8
	s_mul_i32 s12, s28, s25
	s_mul_hi_u32 s19, s28, s24
	s_mul_i32 s25, s29, s24
	s_add_i32 s12, s19, s12
	s_mul_i32 s19, s28, s24
	s_add_i32 s12, s12, s25
	s_sub_u32 s19, s22, s19
	s_subb_u32 s12, s23, s12
	s_waitcnt lgkmcnt(0)
	s_mul_i32 s12, s30, s12
	s_mul_hi_u32 s22, s30, s19
	s_mul_i32 s23, s31, s19
	s_add_i32 s12, s22, s12
	s_mul_i32 s19, s30, s19
	s_add_i32 s12, s12, s23
	s_add_u32 s26, s19, s26
	s_addc_u32 s27, s12, s27
	s_add_i32 s9, s9, -1
	s_add_u32 s20, s20, -8
	s_addc_u32 s21, s21, -1
	s_cmp_gt_u32 s9, 2
	s_cbranch_scc0 .LBB23_17
; %bb.16:                               ;   in Loop: Header=BB23_11 Depth=1
	s_mov_b64 s[22:23], s[28:29]
	s_branch .LBB23_11
.LBB23_17:
	s_clause 0x1
	s_load_b32 s9, s[0:1], 0x4f8
	s_load_b64 s[30:31], s[16:17], 0xd0
	s_add_u32 s12, s0, 0x360
	s_addc_u32 s17, s1, 0
	s_mov_b64 s[34:35], 0
	s_waitcnt lgkmcnt(0)
	s_cmp_lt_i32 s9, 2
	s_cbranch_scc1 .LBB23_25
; %bb.18:
	s_mov_b32 s16, 0
	s_add_i32 s18, s9, -1
	s_mov_b32 s19, s16
	s_add_i32 s9, s9, 1
	s_lshl_b64 s[18:19], s[18:19], 3
	s_delay_alu instid0(SALU_CYCLE_1)
	s_add_u32 s12, s18, s12
	s_addc_u32 s17, s19, s17
	s_add_u32 s18, s12, 8
	s_addc_u32 s19, s17, 0
.LBB23_19:                              ; =>This Inner Loop Header: Depth=1
	s_load_b64 s[20:21], s[18:19], 0x0
	s_mov_b32 s12, -1
                                        ; implicit-def: $sgpr40_sgpr41
	s_waitcnt lgkmcnt(0)
	s_or_b64 s[22:23], s[4:5], s[20:21]
	s_delay_alu instid0(SALU_CYCLE_1) | instskip(NEXT) | instid1(SALU_CYCLE_1)
	s_mov_b32 s17, s23
	s_cmp_lg_u64 s[16:17], 0
	s_cbranch_scc0 .LBB23_21
; %bb.20:                               ;   in Loop: Header=BB23_19 Depth=1
	s_ashr_i32 s22, s21, 31
	s_delay_alu instid0(SALU_CYCLE_1) | instskip(SKIP_2) | instid1(SALU_CYCLE_1)
	s_add_u32 s24, s20, s22
	s_mov_b32 s23, s22
	s_addc_u32 s25, s21, s22
	s_xor_b64 s[24:25], s[24:25], s[22:23]
	s_delay_alu instid0(SALU_CYCLE_1)
	v_cvt_f32_u32_e32 v1, s24
	v_cvt_f32_u32_e32 v2, s25
	s_sub_u32 s33, 0, s24
	s_subb_u32 s40, 0, s25
	s_waitcnt_depctr 0xfff
	v_fmac_f32_e32 v1, 0x4f800000, v2
	s_delay_alu instid0(VALU_DEP_1) | instskip(SKIP_2) | instid1(VALU_DEP_1)
	v_rcp_f32_e32 v1, v1
	s_waitcnt_depctr 0xfff
	v_mul_f32_e32 v1, 0x5f7ffffc, v1
	v_mul_f32_e32 v2, 0x2f800000, v1
	s_delay_alu instid0(VALU_DEP_1) | instskip(NEXT) | instid1(VALU_DEP_1)
	v_trunc_f32_e32 v2, v2
	v_fmac_f32_e32 v1, 0xcf800000, v2
	v_cvt_u32_f32_e32 v2, v2
	s_delay_alu instid0(VALU_DEP_2) | instskip(NEXT) | instid1(VALU_DEP_2)
	v_cvt_u32_f32_e32 v1, v1
	v_readfirstlane_b32 s12, v2
	s_delay_alu instid0(VALU_DEP_2) | instskip(NEXT) | instid1(VALU_DEP_2)
	v_readfirstlane_b32 s17, v1
	s_mul_i32 s41, s33, s12
	s_delay_alu instid0(VALU_DEP_1)
	s_mul_hi_u32 s45, s33, s17
	s_mul_i32 s44, s40, s17
	s_add_i32 s41, s45, s41
	s_mul_i32 s46, s33, s17
	s_add_i32 s41, s41, s44
	s_mul_hi_u32 s45, s17, s46
	s_mul_hi_u32 s47, s12, s46
	s_mul_i32 s44, s12, s46
	s_mul_hi_u32 s46, s17, s41
	s_mul_i32 s17, s17, s41
	s_mul_hi_u32 s48, s12, s41
	s_add_u32 s17, s45, s17
	s_addc_u32 s45, 0, s46
	s_add_u32 s17, s17, s44
	s_mul_i32 s41, s12, s41
	s_addc_u32 s17, s45, s47
	s_addc_u32 s44, s48, 0
	s_add_u32 s17, s17, s41
	s_addc_u32 s41, 0, s44
	v_add_co_u32 v1, s17, v1, s17
	s_delay_alu instid0(VALU_DEP_1) | instskip(SKIP_1) | instid1(VALU_DEP_1)
	s_cmp_lg_u32 s17, 0
	s_addc_u32 s12, s12, s41
	v_readfirstlane_b32 s17, v1
	s_mul_i32 s41, s33, s12
	s_delay_alu instid0(VALU_DEP_1)
	s_mul_hi_u32 s44, s33, s17
	s_mul_i32 s40, s40, s17
	s_add_i32 s41, s44, s41
	s_mul_i32 s33, s33, s17
	s_add_i32 s41, s41, s40
	s_mul_hi_u32 s44, s12, s33
	s_mul_i32 s45, s12, s33
	s_mul_hi_u32 s33, s17, s33
	s_mul_hi_u32 s46, s17, s41
	s_mul_i32 s17, s17, s41
	s_mul_hi_u32 s40, s12, s41
	s_add_u32 s17, s33, s17
	s_addc_u32 s33, 0, s46
	s_add_u32 s17, s17, s45
	s_mul_i32 s41, s12, s41
	s_addc_u32 s17, s33, s44
	s_addc_u32 s33, s40, 0
	s_add_u32 s17, s17, s41
	s_addc_u32 s33, 0, s33
	v_add_co_u32 v1, s17, v1, s17
	s_delay_alu instid0(VALU_DEP_1) | instskip(SKIP_2) | instid1(VALU_DEP_1)
	s_cmp_lg_u32 s17, 0
	s_addc_u32 s12, s12, s33
	s_ashr_i32 s40, s5, 31
	v_readfirstlane_b32 s17, v1
	s_add_u32 s44, s4, s40
	s_mov_b32 s41, s40
	s_addc_u32 s45, s5, s40
	s_delay_alu instid0(SALU_CYCLE_1) | instskip(NEXT) | instid1(SALU_CYCLE_1)
	s_xor_b64 s[44:45], s[44:45], s[40:41]
	s_mul_i32 s46, s44, s12
	s_mul_hi_u32 s47, s44, s17
	s_mul_hi_u32 s33, s44, s12
	;; [unrolled: 1-line block ×3, first 2 shown]
	s_mul_i32 s17, s45, s17
	s_add_u32 s46, s47, s46
	s_addc_u32 s33, 0, s33
	s_mul_hi_u32 s48, s45, s12
	s_add_u32 s17, s46, s17
	s_mul_i32 s12, s45, s12
	s_addc_u32 s17, s33, s49
	s_addc_u32 s33, s48, 0
	s_add_u32 s12, s17, s12
	s_addc_u32 s17, 0, s33
	s_mul_i32 s48, s24, s12
	s_mul_hi_u32 s33, s24, s12
	s_mul_i32 s47, s24, s17
	v_sub_co_u32 v1, s44, s44, s48
	s_mul_i32 s46, s25, s12
	s_add_i32 s33, s33, s47
	s_delay_alu instid0(SALU_CYCLE_1) | instskip(NEXT) | instid1(VALU_DEP_1)
	s_add_i32 s33, s33, s46
	v_sub_co_u32 v2, s47, v1, s24
	s_sub_i32 s46, s45, s33
	s_cmp_lg_u32 s44, 0
	s_subb_u32 s46, s46, s25
	s_cmp_lg_u32 s47, 0
	v_readfirstlane_b32 s47, v2
	s_subb_u32 s46, s46, 0
	s_delay_alu instid0(SALU_CYCLE_1) | instskip(SKIP_1) | instid1(VALU_DEP_1)
	s_cmp_ge_u32 s46, s25
	s_cselect_b32 s48, -1, 0
	s_cmp_ge_u32 s47, s24
	s_cselect_b32 s47, -1, 0
	s_cmp_eq_u32 s46, s25
	s_cselect_b32 s46, s47, s48
	s_add_u32 s47, s12, 1
	s_addc_u32 s48, s17, 0
	s_add_u32 s49, s12, 2
	s_addc_u32 s50, s17, 0
	s_cmp_lg_u32 s46, 0
	s_cselect_b32 s46, s49, s47
	s_cselect_b32 s47, s50, s48
	s_cmp_lg_u32 s44, 0
	v_readfirstlane_b32 s44, v1
	s_subb_u32 s33, s45, s33
	s_delay_alu instid0(SALU_CYCLE_1) | instskip(SKIP_1) | instid1(VALU_DEP_1)
	s_cmp_ge_u32 s33, s25
	s_cselect_b32 s45, -1, 0
	s_cmp_ge_u32 s44, s24
	s_cselect_b32 s24, -1, 0
	s_cmp_eq_u32 s33, s25
	s_cselect_b32 s24, s24, s45
	s_delay_alu instid0(SALU_CYCLE_1)
	s_cmp_lg_u32 s24, 0
	s_cselect_b32 s25, s47, s17
	s_cselect_b32 s24, s46, s12
	s_xor_b64 s[22:23], s[40:41], s[22:23]
	s_mov_b32 s12, 0
	s_xor_b64 s[24:25], s[24:25], s[22:23]
	s_delay_alu instid0(SALU_CYCLE_1)
	s_sub_u32 s40, s24, s22
	s_subb_u32 s41, s25, s23
.LBB23_21:                              ;   in Loop: Header=BB23_19 Depth=1
	s_and_not1_b32 vcc_lo, exec_lo, s12
	s_cbranch_vccnz .LBB23_23
; %bb.22:                               ;   in Loop: Header=BB23_19 Depth=1
	v_cvt_f32_u32_e32 v1, s20
	s_sub_i32 s17, 0, s20
	s_mov_b32 s41, s16
	s_waitcnt_depctr 0xfff
	v_rcp_iflag_f32_e32 v1, v1
	s_waitcnt_depctr 0xfff
	v_mul_f32_e32 v1, 0x4f7ffffe, v1
	s_delay_alu instid0(VALU_DEP_1) | instskip(NEXT) | instid1(VALU_DEP_1)
	v_cvt_u32_f32_e32 v1, v1
	v_readfirstlane_b32 s12, v1
	s_delay_alu instid0(VALU_DEP_1) | instskip(NEXT) | instid1(SALU_CYCLE_1)
	s_mul_i32 s17, s17, s12
	s_mul_hi_u32 s17, s12, s17
	s_delay_alu instid0(SALU_CYCLE_1) | instskip(NEXT) | instid1(SALU_CYCLE_1)
	s_add_i32 s12, s12, s17
	s_mul_hi_u32 s12, s4, s12
	s_delay_alu instid0(SALU_CYCLE_1) | instskip(SKIP_2) | instid1(SALU_CYCLE_1)
	s_mul_i32 s17, s12, s20
	s_add_i32 s22, s12, 1
	s_sub_i32 s17, s4, s17
	s_sub_i32 s23, s17, s20
	s_cmp_ge_u32 s17, s20
	s_cselect_b32 s12, s22, s12
	s_cselect_b32 s17, s23, s17
	s_add_i32 s22, s12, 1
	s_cmp_ge_u32 s17, s20
	s_cselect_b32 s40, s22, s12
.LBB23_23:                              ;   in Loop: Header=BB23_19 Depth=1
	s_load_b64 s[22:23], s[18:19], 0xc8
	s_mul_i32 s12, s40, s21
	s_mul_hi_u32 s17, s40, s20
	s_mul_i32 s21, s41, s20
	s_add_i32 s12, s17, s12
	s_mul_i32 s17, s40, s20
	s_add_i32 s12, s12, s21
	s_sub_u32 s4, s4, s17
	s_subb_u32 s5, s5, s12
	s_waitcnt lgkmcnt(0)
	s_mul_i32 s5, s22, s5
	s_mul_hi_u32 s12, s22, s4
	s_mul_i32 s17, s23, s4
	s_add_i32 s5, s12, s5
	s_mul_i32 s4, s22, s4
	s_add_i32 s5, s5, s17
	s_add_u32 s34, s4, s34
	s_addc_u32 s35, s5, s35
	s_add_i32 s9, s9, -1
	s_add_u32 s18, s18, -8
	s_addc_u32 s19, s19, -1
	s_cmp_gt_u32 s9, 2
	s_cbranch_scc0 .LBB23_26
; %bb.24:                               ;   in Loop: Header=BB23_19 Depth=1
	s_mov_b64 s[4:5], s[40:41]
	s_branch .LBB23_19
.LBB23_25:
	s_mov_b64 s[40:41], s[4:5]
.LBB23_26:
	s_clause 0x3
	s_load_b64 s[16:17], s[0:1], 0x0
	s_load_b64 s[48:49], s[0:1], 0x1c0
	;; [unrolled: 1-line block ×4, first 2 shown]
	v_cmp_eq_u32_e64 s0, 0, v0
	s_mov_b32 s51, 0
	s_delay_alu instid0(VALU_DEP_1)
	s_and_saveexec_b32 s1, s0
	s_cbranch_execz .LBB23_28
; %bb.27:
	v_dual_mov_b32 v1, 0 :: v_dual_mov_b32 v4, s37
	s_delay_alu instid0(VALU_DEP_1)
	v_dual_mov_b32 v3, s36 :: v_dual_mov_b32 v2, v1
	ds_store_b32 v1, v1 offset:5136
	ds_store_b128 v1, v[1:4] offset:5120
.LBB23_28:
	s_or_b32 exec_lo, exec_lo, s1
	s_mul_i32 s1, s14, s11
	s_mul_hi_u32 s4, s14, s10
	v_mad_u64_u32 v[2:3], null, v0, s42, 0
	s_add_i32 s1, s4, s1
	s_mul_i32 s4, s15, s10
	s_waitcnt lgkmcnt(0)
	s_add_i32 s5, s1, s4
	s_mul_i32 s4, s14, s10
	s_barrier
	s_lshl_b64 s[10:11], s[4:5], 2
	buffer_gl0_inv
	s_load_b32 s5, s[6:7], 0xc
	v_dual_mov_b32 v1, v3 :: v_dual_lshlrev_b32 v14, 2, v0
	v_dual_mov_b32 v13, 0 :: v_dual_lshlrev_b32 v46, 4, v0
	v_mbcnt_lo_u32_b32 v43, -1, 0
	s_delay_alu instid0(VALU_DEP_3) | instskip(NEXT) | instid1(VALU_DEP_3)
	v_mad_u64_u32 v[3:4], null, v0, s43, v[1:2]
	v_dual_mov_b32 v1, v13 :: v_dual_add_nc_u32 v44, 0xc00, v14
	s_delay_alu instid0(VALU_DEP_4)
	v_or_b32_e32 v11, 12, v46
	v_or_b32_e32 v12, 8, v46
	s_lshl_b64 s[54:55], s[2:3], 2
	s_add_u32 s14, s16, s10
	v_cmp_gt_u32_e32 vcc_lo, 32, v0
	v_cmp_gt_i32_e64 s1, 4, v43
	v_lshrrev_b32_e32 v6, 3, v0
	v_or_b32_e32 v24, 4, v46
	s_addc_u32 s15, s17, s11
	s_add_u32 s74, s14, s54
	v_mad_u64_u32 v[18:19], null, s42, v11, s[14:15]
	v_mad_u64_u32 v[20:21], null, s42, v12, s[14:15]
	s_addc_u32 s75, s15, s55
	s_waitcnt lgkmcnt(0)
	s_and_b32 s33, s5, 0xffff
	s_and_b32 s76, vcc_lo, s1
	s_bfe_u32 s9, s5, 0xb0005
	v_mad_u64_u32 v[22:23], null, s42, v24, s[14:15]
	v_and_b32_e32 v45, 0x7c, v6
	v_lshlrev_b64 v[6:7], v43, -1
	s_add_u32 s78, s33, -1
	s_addc_u32 s79, 0, -1
	s_add_u32 s80, s78, s36
	s_addc_u32 s25, s79, s37
	s_delay_alu instid0(VALU_DEP_3)
	v_mov_b32_e32 v8, v23
	s_cmp_lt_u32 s13, s8
	v_mov_b32_e32 v15, v13
	v_not_b32_e32 v47, v6
	v_dual_mov_b32 v6, v19 :: v_dual_mov_b32 v7, v21
	v_mov_b32_e32 v26, 1
	s_cselect_b32 s8, 12, 18
	v_lshlrev_b64 v[4:5], 2, v[2:3]
	s_add_u32 s56, s6, s8
	s_addc_u32 s57, s7, 0
	s_add_i32 s6, s9, -1
	s_bfe_u32 s81, s33, 0x30005
	v_mad_u64_u32 v[9:10], null, s43, v11, v[6:7]
	s_cmp_gt_u32 s6, 6
	v_lshlrev_b64 v[2:3], 4, v[2:3]
	s_cselect_b32 s82, -1, 0
	s_and_b32 s83, s9, 0x7f8
	s_cmp_lg_u32 s81, 0
	v_cmp_gt_u16_e64 s84, s5, 31
	s_cselect_b32 s85, -1, 0
	s_add_u32 s5, s10, s54
	v_mad_u64_u32 v[10:11], null, s43, v12, v[7:8]
	s_addc_u32 s6, s11, s55
	v_add_co_u32 v16, vcc_lo, s74, v4
	v_mad_u64_u32 v[6:7], null, s43, v24, v[8:9]
	s_add_u32 s58, s16, s5
	v_add_co_u32 v48, s5, s36, v0
	s_addc_u32 s59, s17, s6
	s_lshl_b64 s[60:61], s[42:43], 2
	s_lshl_b64 s[62:63], s[42:43], 4
	v_add_co_ci_u32_e32 v17, vcc_lo, s75, v5, vcc_lo
	v_add_co_ci_u32_e64 v49, null, s37, 0, s5
	s_add_u32 s5, s16, s54
	v_add_co_u32 v24, vcc_lo, s14, v2
	s_addc_u32 s6, s17, s55
	s_add_u32 s5, s5, s10
	v_add_co_ci_u32_e32 v25, vcc_lo, s15, v3, vcc_lo
	v_mov_b32_e32 v21, v10
	s_addc_u32 s9, s6, s11
	v_add_co_u32 v10, vcc_lo, s5, v4
	v_cmp_lt_i64_e64 s77, 0x300, s[36:37]
	v_cmp_gt_u64_e64 s4, s[36:37], v[0:1]
	v_cmp_gt_i64_e64 s1, s[36:37], v[0:1]
	s_mul_i32 s7, s43, s33
	s_mul_hi_u32 s8, s42, s33
	v_cmp_eq_u32_e64 s2, 0, v43
	v_cmp_gt_u32_e64 s3, 2, v0
	v_dual_mov_b32 v19, v9 :: v_dual_mov_b32 v28, 0
	v_mov_b32_e32 v23, v6
	v_lshl_or_b32 v50, v43, 3, 0xc00
	v_add_co_ci_u32_e32 v11, vcc_lo, s9, v5, vcc_lo
	v_cvt_f32_ubyte0_e32 v51, 0
	s_add_i32 s7, s8, s7
	s_mul_i32 s6, s42, s33
	s_lshl_b32 s86, s33, 2
	s_lshl_b64 s[52:53], s[6:7], 2
	s_mov_b32 s90, 30
	s_mov_b32 s87, 0
	;; [unrolled: 1-line block ×5, first 2 shown]
                                        ; implicit-def: $sgpr88
                                        ; implicit-def: $sgpr91
                                        ; implicit-def: $sgpr89
                                        ; implicit-def: $sgpr94
                                        ; implicit-def: $sgpr95
                                        ; implicit-def: $sgpr93
	s_branch .LBB23_33
.LBB23_29:                              ;   in Loop: Header=BB23_33 Depth=1
	s_xor_b32 s92, s92, 1
	s_add_i32 s8, s90, -2
	s_cmp_eq_u32 s90, 0
	s_mov_b32 s5, 0
	s_cselect_b32 s7, -1, 0
	s_mov_b32 s90, s8
.LBB23_30:                              ;   in Loop: Header=BB23_33 Depth=1
	s_and_not1_b32 s8, s15, exec_lo
	s_and_b32 s5, s5, exec_lo
	s_and_not1_b32 s21, s21, exec_lo
	s_or_b32 s15, s8, s5
	s_and_not1_b32 s14, s14, exec_lo
	s_or_not1_b32 s17, s7, exec_lo
.LBB23_31:                              ;   in Loop: Header=BB23_33 Depth=1
	s_or_b32 exec_lo, exec_lo, s6
	s_delay_alu instid0(SALU_CYCLE_1)
	s_and_not1_b32 s5, s93, exec_lo
	s_and_b32 s6, s15, exec_lo
	s_and_not1_b32 s7, s94, exec_lo
	s_or_b32 s93, s5, s6
	s_and_not1_b32 s5, s95, exec_lo
	s_and_b32 s6, s21, exec_lo
	s_and_b32 s8, s14, exec_lo
	s_or_b32 s95, s5, s6
	s_or_b32 s94, s7, s8
	s_or_not1_b32 s21, s17, exec_lo
.LBB23_32:                              ;   in Loop: Header=BB23_33 Depth=1
	s_or_b32 exec_lo, exec_lo, s16
	s_delay_alu instid0(SALU_CYCLE_1)
	s_and_b32 s5, exec_lo, s21
	v_mov_b32_e32 v2, s97
	s_or_b32 s87, s5, s87
	s_and_not1_b32 s5, s89, exec_lo
	s_and_b32 s6, s93, exec_lo
	s_and_not1_b32 s7, s88, exec_lo
	s_or_b32 s89, s5, s6
	s_and_not1_b32 s5, s91, exec_lo
	s_and_b32 s6, s95, exec_lo
	s_and_b32 s8, s94, exec_lo
	s_or_b32 s91, s5, s6
	s_or_b32 s88, s7, s8
	s_and_not1_b32 exec_lo, exec_lo, s87
	s_cbranch_execz .LBB23_302
.LBB23_33:                              ; =>This Loop Header: Depth=1
                                        ;     Child Loop BB23_41 Depth 2
                                        ;     Child Loop BB23_60 Depth 2
	;; [unrolled: 1-line block ×16, first 2 shown]
	ds_load_b128 v[2:5], v13 offset:5120
	s_waitcnt lgkmcnt(0)
	v_readfirstlane_b32 s65, v3
	v_readfirstlane_b32 s64, v2
	s_delay_alu instid0(VALU_DEP_1) | instskip(NEXT) | instid1(VALU_DEP_1)
	v_cmp_gt_i64_e64 s5, s[64:65], 0
	s_and_b32 vcc_lo, exec_lo, s5
	s_cbranch_vccnz .LBB23_67
; %bb.34:                               ;   in Loop: Header=BB23_33 Depth=1
	s_and_b32 vcc_lo, exec_lo, s77
	s_cbranch_vccz .LBB23_49
; %bb.35:                               ;   in Loop: Header=BB23_33 Depth=1
	v_cmp_gt_i64_e32 vcc_lo, 0x301, v[4:5]
	s_mov_b32 s7, 0
	s_mov_b32 s5, 0
	s_cbranch_vccz .LBB23_54
; %bb.36:                               ;   in Loop: Header=BB23_33 Depth=1
	v_mov_b32_e32 v6, 0
	s_and_saveexec_b32 s5, s4
	s_cbranch_execz .LBB23_38
; %bb.37:                               ;   in Loop: Header=BB23_33 Depth=1
	global_load_b32 v6, v[16:17], off
.LBB23_38:                              ;   in Loop: Header=BB23_33 Depth=1
	s_or_b32 exec_lo, exec_lo, s5
	s_and_saveexec_b32 s8, s4
	s_cbranch_execz .LBB23_50
; %bb.39:                               ;   in Loop: Header=BB23_33 Depth=1
	global_load_u16 v7, v13, s[56:57]
	s_mov_b32 s11, 0
	s_waitcnt vmcnt(0)
	v_readfirstlane_b32 s5, v7
	v_and_b32_e32 v7, 0xffff, v7
	s_delay_alu instid0(VALU_DEP_2) | instskip(NEXT) | instid1(SALU_CYCLE_1)
	s_and_b32 s5, 0xffff, s5
	v_add_nc_u32_e32 v8, s5, v0
	s_mul_i32 s6, s61, s5
	s_mul_hi_u32 s9, s60, s5
	s_mul_i32 s10, s60, s5
	s_add_i32 s9, s9, s6
	v_mad_u64_u32 v[2:3], null, s60, v8, s[58:59]
	s_delay_alu instid0(VALU_DEP_1) | instskip(NEXT) | instid1(VALU_DEP_1)
	v_mad_u64_u32 v[4:5], null, s61, v8, v[3:4]
	v_mov_b32_e32 v3, v4
	v_dual_mov_b32 v5, v1 :: v_dual_mov_b32 v4, v0
	s_branch .LBB23_41
.LBB23_40:                              ;   in Loop: Header=BB23_41 Depth=2
	s_or_b32 exec_lo, exec_lo, s6
	v_add_co_u32 v2, vcc_lo, v2, s10
	v_add_co_ci_u32_e32 v3, vcc_lo, s9, v3, vcc_lo
	s_waitcnt vmcnt(0)
	v_mov_b32_e32 v6, v8
	s_and_not1_b32 exec_lo, exec_lo, s11
	s_cbranch_execz .LBB23_50
.LBB23_41:                              ;   Parent Loop BB23_33 Depth=1
                                        ; =>  This Inner Loop Header: Depth=2
	s_delay_alu instid0(VALU_DEP_1) | instskip(NEXT) | instid1(VALU_DEP_2)
	v_add_co_u32 v4, vcc_lo, v4, v7
	v_add_co_ci_u32_e32 v5, vcc_lo, 0, v5, vcc_lo
	s_waitcnt lgkmcnt(0)
	v_dual_mov_b32 v9, 0 :: v_dual_mov_b32 v8, 0
	s_mov_b32 s6, exec_lo
	s_delay_alu instid0(VALU_DEP_2)
	v_cmp_le_i64_e32 vcc_lo, s[36:37], v[4:5]
	v_cmpx_gt_i64_e64 s[36:37], v[4:5]
	s_cbranch_execz .LBB23_43
; %bb.42:                               ;   in Loop: Header=BB23_41 Depth=2
	global_load_b32 v8, v[2:3], off
.LBB23_43:                              ;   in Loop: Header=BB23_41 Depth=2
	s_or_b32 exec_lo, exec_lo, s6
	v_xor_b32_e32 v12, 0x80000000, v6
	s_delay_alu instid0(VALU_DEP_1) | instskip(NEXT) | instid1(VALU_DEP_1)
	v_and_b32_e32 v12, s96, v12
	v_cmp_eq_u32_e64 s5, s97, v12
	s_delay_alu instid0(VALU_DEP_1) | instskip(SKIP_1) | instid1(SALU_CYCLE_1)
	s_cmp_lg_u32 s5, 0
	s_cselect_b32 s6, -1, 0
	s_and_b32 s6, s2, s6
	s_delay_alu instid0(SALU_CYCLE_1)
	s_and_saveexec_b32 s12, s6
	s_cbranch_execz .LBB23_47
; %bb.44:                               ;   in Loop: Header=BB23_41 Depth=2
	s_mov_b32 s15, exec_lo
	s_bcnt1_i32_b32 s13, s5
	v_mbcnt_lo_u32_b32 v9, s15, 0
	s_mov_b32 s14, exec_lo
                                        ; implicit-def: $vgpr12
	s_delay_alu instid0(VALU_DEP_1)
	v_cmpx_eq_u32_e32 0, v9
	s_cbranch_execz .LBB23_46
; %bb.45:                               ;   in Loop: Header=BB23_41 Depth=2
	s_bcnt1_i32_b32 s6, s15
	s_delay_alu instid0(SALU_CYCLE_1) | instskip(NEXT) | instid1(SALU_CYCLE_1)
	s_mul_i32 s6, s13, s6
	v_mov_b32_e32 v12, s6
	ds_add_rtn_u32 v12, v13, v12 offset:5136
.LBB23_46:                              ;   in Loop: Header=BB23_41 Depth=2
	s_or_b32 exec_lo, exec_lo, s14
	s_waitcnt lgkmcnt(0)
	v_readfirstlane_b32 s6, v12
	s_delay_alu instid0(VALU_DEP_1)
	v_mad_u32_u24 v9, s13, v9, s6
.LBB23_47:                              ;   in Loop: Header=BB23_41 Depth=2
	s_or_b32 exec_lo, exec_lo, s12
	ds_bpermute_b32 v9, v13, v9
	s_and_b32 s6, exec_lo, vcc_lo
	s_delay_alu instid0(SALU_CYCLE_1)
	s_or_b32 s11, s6, s11
	s_and_saveexec_b32 s6, s5
	s_cbranch_execz .LBB23_40
; %bb.48:                               ;   in Loop: Header=BB23_41 Depth=2
	v_and_b32_e32 v12, s5, v47
	s_delay_alu instid0(VALU_DEP_1) | instskip(NEXT) | instid1(VALU_DEP_1)
	v_bcnt_u32_b32 v12, v12, 0
	v_lshlrev_b32_e32 v12, 2, v12
	s_waitcnt lgkmcnt(0)
	s_delay_alu instid0(VALU_DEP_1)
	v_lshl_add_u32 v9, v9, 2, v12
	ds_store_b32 v9, v6
	s_branch .LBB23_40
.LBB23_49:                              ;   in Loop: Header=BB23_33 Depth=1
	s_mov_b32 s7, -1
	s_mov_b32 s5, 0
	s_branch .LBB23_53
.LBB23_50:                              ;   in Loop: Header=BB23_33 Depth=1
	s_or_b32 exec_lo, exec_lo, s8
	s_waitcnt vmcnt(0) lgkmcnt(0)
	s_barrier
	buffer_gl0_inv
	s_and_saveexec_b32 s5, s0
	s_cbranch_execz .LBB23_52
; %bb.51:                               ;   in Loop: Header=BB23_33 Depth=1
	ds_load_b32 v2, v13 offset:5136
	s_waitcnt lgkmcnt(0)
	v_ashrrev_i32_e32 v3, 31, v2
	ds_store_b64 v13, v[2:3] offset:5120
.LBB23_52:                              ;   in Loop: Header=BB23_33 Depth=1
	s_or_b32 exec_lo, exec_lo, s5
	s_waitcnt lgkmcnt(0)
	s_mov_b32 s5, -1
	s_barrier
.LBB23_53:                              ;   in Loop: Header=BB23_33 Depth=1
                                        ; implicit-def: $sgpr64_sgpr65
.LBB23_54:                              ;   in Loop: Header=BB23_33 Depth=1
	s_and_b32 vcc_lo, exec_lo, s7
	s_cbranch_vccz .LBB23_65
; %bb.55:                               ;   in Loop: Header=BB23_33 Depth=1
	v_mov_b32_e32 v6, 0
	s_and_saveexec_b32 s5, s1
	s_cbranch_execz .LBB23_57
; %bb.56:                               ;   in Loop: Header=BB23_33 Depth=1
	global_load_b32 v6, v[16:17], off
.LBB23_57:                              ;   in Loop: Header=BB23_33 Depth=1
	s_or_b32 exec_lo, exec_lo, s5
	s_and_saveexec_b32 s6, s1
	s_cbranch_execz .LBB23_62
; %bb.58:                               ;   in Loop: Header=BB23_33 Depth=1
	global_load_u16 v8, v13, s[56:57]
	s_mov_b32 s10, 0
	s_waitcnt vmcnt(0)
	v_readfirstlane_b32 s5, v8
	v_and_b32_e32 v8, 0xffff, v8
	s_delay_alu instid0(VALU_DEP_2) | instskip(NEXT) | instid1(SALU_CYCLE_1)
	s_and_b32 s5, 0xffff, s5
	v_add_nc_u32_e32 v7, s5, v0
	s_mul_i32 s8, s61, s5
	s_mul_hi_u32 s9, s60, s5
	s_lshl_b32 s7, s5, 2
	s_add_i32 s8, s9, s8
	v_mad_u64_u32 v[2:3], null, s60, v7, s[58:59]
	s_mul_i32 s9, s60, s5
	s_delay_alu instid0(VALU_DEP_1) | instskip(SKIP_1) | instid1(VALU_DEP_2)
	v_mad_u64_u32 v[4:5], null, s61, v7, v[3:4]
	v_mov_b32_e32 v7, v14
	v_mov_b32_e32 v3, v4
	v_dual_mov_b32 v5, v1 :: v_dual_mov_b32 v4, v0
	s_branch .LBB23_60
	.p2align	6
.LBB23_59:                              ;   in Loop: Header=BB23_60 Depth=2
	s_or_b32 exec_lo, exec_lo, s11
	s_delay_alu instid0(SALU_CYCLE_1)
	s_and_b32 s5, exec_lo, vcc_lo
	v_add_co_u32 v2, vcc_lo, v2, s9
	ds_store_b32 v7, v6
	s_waitcnt vmcnt(0)
	v_dual_mov_b32 v6, v9 :: v_dual_add_nc_u32 v7, s7, v7
	v_add_co_ci_u32_e32 v3, vcc_lo, s8, v3, vcc_lo
	s_or_b32 s10, s5, s10
	s_delay_alu instid0(SALU_CYCLE_1)
	s_and_not1_b32 exec_lo, exec_lo, s10
	s_cbranch_execz .LBB23_62
.LBB23_60:                              ;   Parent Loop BB23_33 Depth=1
                                        ; =>  This Inner Loop Header: Depth=2
	s_delay_alu instid0(VALU_DEP_1) | instskip(NEXT) | instid1(VALU_DEP_2)
	v_add_co_u32 v4, vcc_lo, v4, v8
	v_add_co_ci_u32_e32 v5, vcc_lo, 0, v5, vcc_lo
	v_mov_b32_e32 v9, 0
	s_mov_b32 s11, exec_lo
	s_delay_alu instid0(VALU_DEP_2)
	v_cmp_le_i64_e32 vcc_lo, s[36:37], v[4:5]
	v_cmpx_gt_i64_e64 s[36:37], v[4:5]
	s_cbranch_execz .LBB23_59
; %bb.61:                               ;   in Loop: Header=BB23_60 Depth=2
	global_load_b32 v9, v[2:3], off
	s_branch .LBB23_59
.LBB23_62:                              ;   in Loop: Header=BB23_33 Depth=1
	s_or_b32 exec_lo, exec_lo, s6
	s_waitcnt vmcnt(0) lgkmcnt(0)
	s_barrier
	buffer_gl0_inv
	s_and_saveexec_b32 s5, s0
	s_cbranch_execz .LBB23_64
; %bb.63:                               ;   in Loop: Header=BB23_33 Depth=1
	v_dual_mov_b32 v2, s36 :: v_dual_mov_b32 v3, s37
	ds_store_b64 v13, v[2:3] offset:5120
.LBB23_64:                              ;   in Loop: Header=BB23_33 Depth=1
	s_or_b32 exec_lo, exec_lo, s5
	s_mov_b32 s5, -1
	s_waitcnt lgkmcnt(0)
	s_barrier
                                        ; implicit-def: $sgpr64_sgpr65
.LBB23_65:                              ;   in Loop: Header=BB23_33 Depth=1
	s_and_b32 vcc_lo, exec_lo, s5
	s_cbranch_vccz .LBB23_67
; %bb.66:                               ;   in Loop: Header=BB23_33 Depth=1
	buffer_gl0_inv
	ds_load_b64 v[2:3], v13 offset:5120
	s_waitcnt lgkmcnt(0)
	v_readfirstlane_b32 s64, v2
.LBB23_67:                              ;   in Loop: Header=BB23_33 Depth=1
	s_delay_alu instid0(VALU_DEP_1)
	s_cmp_lt_i32 s64, 1
	s_cbranch_scc0 .LBB23_82
; %bb.68:                               ;   in Loop: Header=BB23_33 Depth=1
	global_load_u16 v2, v13, s[56:57]
	s_mov_b32 s6, s51
	s_mov_b32 s7, s37
	s_waitcnt vmcnt(0)
	v_readfirstlane_b32 s5, v2
	s_delay_alu instid0(VALU_DEP_1) | instskip(NEXT) | instid1(SALU_CYCLE_1)
	s_and_b32 s50, s5, 0xffff
	s_lshl_b32 s65, s50, 2
	s_cmp_lg_u64 s[6:7], 0
	s_cbranch_scc0 .LBB23_102
; %bb.69:                               ;   in Loop: Header=BB23_33 Depth=1
	v_cvt_f32_u32_e32 v2, s65
	s_sub_u32 s7, 0, s65
	s_subb_u32 s8, 0, 0
	s_delay_alu instid0(VALU_DEP_1) | instskip(NEXT) | instid1(VALU_DEP_1)
	v_fmac_f32_e32 v2, 0x4f800000, v51
	v_rcp_f32_e32 v2, v2
	s_waitcnt_depctr 0xfff
	v_mul_f32_e32 v2, 0x5f7ffffc, v2
	s_delay_alu instid0(VALU_DEP_1) | instskip(NEXT) | instid1(VALU_DEP_1)
	v_mul_f32_e32 v3, 0x2f800000, v2
	v_trunc_f32_e32 v3, v3
	s_delay_alu instid0(VALU_DEP_1) | instskip(SKIP_1) | instid1(VALU_DEP_2)
	v_fmac_f32_e32 v2, 0xcf800000, v3
	v_cvt_u32_f32_e32 v3, v3
	v_cvt_u32_f32_e32 v2, v2
	s_delay_alu instid0(VALU_DEP_2) | instskip(NEXT) | instid1(VALU_DEP_2)
	v_readfirstlane_b32 s5, v3
	v_readfirstlane_b32 s6, v2
	s_delay_alu instid0(VALU_DEP_2) | instskip(NEXT) | instid1(VALU_DEP_1)
	s_mul_i32 s9, s7, s5
	s_mul_hi_u32 s11, s7, s6
	s_mul_i32 s10, s8, s6
	s_add_i32 s9, s11, s9
	s_mul_i32 s12, s7, s6
	s_add_i32 s9, s9, s10
	s_mul_hi_u32 s11, s6, s12
	s_mul_hi_u32 s13, s5, s12
	s_mul_i32 s10, s5, s12
	s_mul_hi_u32 s12, s6, s9
	s_mul_i32 s6, s6, s9
	s_mul_hi_u32 s14, s5, s9
	s_add_u32 s6, s11, s6
	s_addc_u32 s11, 0, s12
	s_add_u32 s6, s6, s10
	s_mul_i32 s9, s5, s9
	s_addc_u32 s6, s11, s13
	s_addc_u32 s10, s14, 0
	s_add_u32 s6, s6, s9
	s_addc_u32 s9, 0, s10
	v_add_co_u32 v2, s6, v2, s6
	s_delay_alu instid0(VALU_DEP_1) | instskip(SKIP_1) | instid1(VALU_DEP_1)
	s_cmp_lg_u32 s6, 0
	s_addc_u32 s5, s5, s9
	v_readfirstlane_b32 s6, v2
	s_mul_i32 s9, s7, s5
	s_delay_alu instid0(VALU_DEP_1)
	s_mul_hi_u32 s10, s7, s6
	s_mul_i32 s8, s8, s6
	s_add_i32 s9, s10, s9
	s_mul_i32 s7, s7, s6
	s_add_i32 s9, s9, s8
	s_mul_hi_u32 s10, s5, s7
	s_mul_i32 s11, s5, s7
	s_mul_hi_u32 s7, s6, s7
	s_mul_hi_u32 s12, s6, s9
	s_mul_i32 s6, s6, s9
	s_mul_hi_u32 s8, s5, s9
	s_add_u32 s6, s7, s6
	s_addc_u32 s7, 0, s12
	s_add_u32 s6, s6, s11
	s_mul_i32 s9, s5, s9
	s_addc_u32 s6, s7, s10
	s_addc_u32 s7, s8, 0
	s_add_u32 s6, s6, s9
	s_addc_u32 s7, 0, s7
	v_add_co_u32 v2, s6, v2, s6
	s_delay_alu instid0(VALU_DEP_1) | instskip(SKIP_2) | instid1(VALU_DEP_1)
	s_cmp_lg_u32 s6, 0
	s_addc_u32 s5, s5, s7
	s_ashr_i32 s6, s37, 31
	v_readfirstlane_b32 s10, v2
	s_add_u32 s8, s36, s6
	s_mov_b32 s7, s6
	s_addc_u32 s9, s37, s6
	s_delay_alu instid0(SALU_CYCLE_1) | instskip(NEXT) | instid1(SALU_CYCLE_1)
	s_xor_b64 s[8:9], s[8:9], s[6:7]
	s_mul_i32 s11, s8, s5
	s_mul_hi_u32 s12, s8, s10
	s_mul_hi_u32 s7, s8, s5
	;; [unrolled: 1-line block ×3, first 2 shown]
	s_mul_i32 s10, s9, s10
	s_add_u32 s11, s12, s11
	s_addc_u32 s7, 0, s7
	s_mul_hi_u32 s13, s9, s5
	s_add_u32 s10, s11, s10
	s_mul_i32 s5, s9, s5
	s_addc_u32 s7, s7, s14
	s_addc_u32 s10, s13, 0
	s_add_u32 s5, s7, s5
	s_addc_u32 s7, 0, s10
	s_mul_hi_u32 s10, s65, s5
	s_mul_i32 s5, s65, s5
	s_mul_i32 s7, s65, s7
	v_sub_co_u32 v2, s5, s8, s5
	s_add_i32 s10, s10, s7
	s_cmp_lg_u32 s5, 0
	s_delay_alu instid0(VALU_DEP_1) | instskip(SKIP_2) | instid1(VALU_DEP_1)
	v_sub_co_u32 v3, s5, v2, s65
	s_subb_u32 s7, s9, s10
	s_cmp_lg_u32 s5, 0
	v_cmp_le_u32_e32 vcc_lo, s65, v3
	v_sub_co_u32 v4, s5, v3, s65
	s_subb_u32 s8, s7, 0
	s_cmp_lg_u32 s5, 0
	v_cndmask_b32_e64 v5, 0, -1, vcc_lo
	s_subb_u32 s5, s8, 0
	s_cmp_eq_u32 s8, 0
	v_mov_b32_e32 v7, s5
	s_cselect_b32 vcc_lo, -1, 0
	s_cmp_eq_u32 s7, 0
	v_cndmask_b32_e32 v5, -1, v5, vcc_lo
	v_cmp_le_u32_e32 vcc_lo, s65, v2
	s_cselect_b32 s5, -1, 0
	v_cndmask_b32_e64 v6, 0, -1, vcc_lo
	s_delay_alu instid0(VALU_DEP_3) | instskip(NEXT) | instid1(VALU_DEP_2)
	v_cmp_ne_u32_e32 vcc_lo, 0, v5
	v_cndmask_b32_e64 v5, -1, v6, s5
	v_cndmask_b32_e32 v3, v3, v4, vcc_lo
	v_cndmask_b32_e32 v6, s8, v7, vcc_lo
	s_delay_alu instid0(VALU_DEP_3) | instskip(NEXT) | instid1(VALU_DEP_3)
	v_cmp_ne_u32_e32 vcc_lo, 0, v5
	v_cndmask_b32_e32 v2, v2, v3, vcc_lo
	s_delay_alu instid0(VALU_DEP_3) | instskip(NEXT) | instid1(VALU_DEP_2)
	v_cndmask_b32_e32 v4, s7, v6, vcc_lo
	v_xor_b32_e32 v2, s6, v2
	s_delay_alu instid0(VALU_DEP_2) | instskip(NEXT) | instid1(VALU_DEP_2)
	v_xor_b32_e32 v3, s6, v4
	v_sub_co_u32 v29, vcc_lo, v2, s6
	s_delay_alu instid0(VALU_DEP_2)
	v_subrev_co_ci_u32_e32 v30, vcc_lo, s6, v3, vcc_lo
	s_cbranch_execnz .LBB23_71
.LBB23_70:                              ;   in Loop: Header=BB23_33 Depth=1
	v_cvt_f32_u32_e32 v2, s65
	s_sub_i32 s5, 0, s65
	s_delay_alu instid0(VALU_DEP_1) | instskip(SKIP_2) | instid1(VALU_DEP_1)
	v_rcp_iflag_f32_e32 v2, v2
	s_waitcnt_depctr 0xfff
	v_mul_f32_e32 v2, 0x4f7ffffe, v2
	v_cvt_u32_f32_e32 v2, v2
	s_delay_alu instid0(VALU_DEP_1) | instskip(NEXT) | instid1(VALU_DEP_1)
	v_mul_lo_u32 v3, s5, v2
	v_mul_hi_u32 v3, v2, v3
	s_delay_alu instid0(VALU_DEP_1) | instskip(NEXT) | instid1(VALU_DEP_1)
	v_add_nc_u32_e32 v2, v2, v3
	v_mul_hi_u32 v2, s36, v2
	s_delay_alu instid0(VALU_DEP_1) | instskip(NEXT) | instid1(VALU_DEP_1)
	v_mul_lo_u32 v2, v2, s65
	v_sub_nc_u32_e32 v2, s36, v2
	s_delay_alu instid0(VALU_DEP_1) | instskip(SKIP_1) | instid1(VALU_DEP_2)
	v_subrev_nc_u32_e32 v3, s65, v2
	v_cmp_le_u32_e32 vcc_lo, s65, v2
	v_cndmask_b32_e32 v2, v2, v3, vcc_lo
	s_delay_alu instid0(VALU_DEP_1) | instskip(SKIP_1) | instid1(VALU_DEP_2)
	v_subrev_nc_u32_e32 v3, s65, v2
	v_cmp_le_u32_e32 vcc_lo, s65, v2
	v_cndmask_b32_e32 v12, v2, v3, vcc_lo
	s_delay_alu instid0(VALU_DEP_1)
	v_dual_mov_b32 v30, v13 :: v_dual_mov_b32 v29, v12
.LBB23_71:                              ;   in Loop: Header=BB23_33 Depth=1
	v_mov_b32_e32 v2, 0
	v_mov_b32_e32 v3, 0
	s_delay_alu instid0(VALU_DEP_3) | instskip(NEXT) | instid1(VALU_DEP_4)
	v_sub_co_u32 v31, vcc_lo, s36, v29
	v_sub_co_ci_u32_e32 v32, vcc_lo, s37, v30, vcc_lo
	s_delay_alu instid0(VALU_DEP_3)
	v_dual_mov_b32 v5, v3 :: v_dual_mov_b32 v4, v2
	v_dual_mov_b32 v7, v3 :: v_dual_mov_b32 v6, v2
	;; [unrolled: 1-line block ×3, first 2 shown]
	s_mov_b64 s[66:67], 0
	s_mov_b32 s98, exec_lo
	v_cmpx_gt_i64_e64 v[31:32], v[14:15]
	s_cbranch_execz .LBB23_75
; %bb.72:                               ;   in Loop: Header=BB23_33 Depth=1
	v_dual_mov_b32 v34, v25 :: v_dual_mov_b32 v33, v24
	v_dual_mov_b32 v36, v23 :: v_dual_mov_b32 v35, v22
	;; [unrolled: 1-line block ×5, first 2 shown]
	s_mul_i32 s5, s63, s50
	s_mul_hi_u32 s6, s62, s50
	s_and_b32 s99, s90, 0xfe
	s_add_i32 s100, s6, s5
	s_mul_i32 s101, s62, s50
	s_mov_b32 s102, 0
	s_mov_b64 s[68:69], 0
	s_mov_b64 s[70:71], 0
	;; [unrolled: 1-line block ×3, first 2 shown]
.LBB23_73:                              ;   Parent Loop BB23_33 Depth=1
                                        ; =>  This Inner Loop Header: Depth=2
	v_add_co_u32 v2, vcc_lo, v33, s54
	v_add_co_ci_u32_e32 v3, vcc_lo, s55, v34, vcc_lo
	v_add_co_u32 v4, vcc_lo, v35, s54
	v_add_co_ci_u32_e32 v5, vcc_lo, s55, v36, vcc_lo
	;; [unrolled: 2-line block ×4, first 2 shown]
	global_load_b32 v2, v[2:3], off
	global_load_b32 v3, v[4:5], off
	;; [unrolled: 1-line block ×4, first 2 shown]
	v_add_co_u32 v41, vcc_lo, v41, s65
	v_add_co_ci_u32_e32 v42, vcc_lo, 0, v42, vcc_lo
	v_add_co_u32 v39, vcc_lo, v39, s101
	v_add_co_ci_u32_e32 v40, vcc_lo, s100, v40, vcc_lo
	;; [unrolled: 2-line block ×5, first 2 shown]
	v_cmp_ge_i64_e32 vcc_lo, v[41:42], v[31:32]
	s_waitcnt vmcnt(3)
	v_xor_b32_e32 v2, 0x80000000, v2
	s_waitcnt vmcnt(2)
	v_xor_b32_e32 v3, 0x80000000, v3
	;; [unrolled: 2-line block ×4, first 2 shown]
	v_and_b32_e32 v6, s96, v2
	v_bfe_u32 v2, v2, s99, 2
	v_and_b32_e32 v7, s96, v3
	v_bfe_u32 v3, v3, s99, 2
	;; [unrolled: 2-line block ×3, first 2 shown]
	v_cmp_eq_u32_e64 s5, s97, v6
	v_cmp_eq_u32_e64 s9, 0, v2
	v_and_b32_e32 v9, s96, v5
	v_bfe_u32 v5, v5, s99, 2
	v_cmp_eq_u32_e64 s6, s97, v7
	v_cmp_eq_u32_e64 s10, 0, v3
	;; [unrolled: 1-line block ×4, first 2 shown]
	s_and_b32 s9, s5, s9
	v_cmp_eq_u32_e64 s8, s97, v9
	v_cmp_eq_u32_e64 s12, 0, v5
	;; [unrolled: 1-line block ×5, first 2 shown]
	v_cndmask_b32_e64 v2, 0, 1, s9
	s_and_b32 s9, s6, s10
	v_cmp_eq_u32_e64 s14, 1, v3
	v_cmp_eq_u32_e64 s18, 2, v3
	v_cmp_eq_u32_e64 s22, 3, v3
	v_cndmask_b32_e64 v3, 0, 1, s9
	s_and_b32 s9, s7, s11
	v_cmp_eq_u32_e64 s15, 1, v4
	v_cmp_eq_u32_e64 s19, 2, v4
	v_cmp_eq_u32_e64 s23, 3, v4
	;; [unrolled: 5-line block ×3, first 2 shown]
	v_cndmask_b32_e64 v5, 0, 1, s9
	v_cmp_ne_u32_e64 s9, 0, v2
	v_cmp_ne_u32_e64 s10, 0, v3
	;; [unrolled: 1-line block ×3, first 2 shown]
	s_delay_alu instid0(VALU_DEP_4) | instskip(NEXT) | instid1(VALU_DEP_4)
	v_cmp_ne_u32_e64 s12, 0, v5
	s_bcnt1_i32_b32 s9, s9
	s_delay_alu instid0(VALU_DEP_3) | instskip(NEXT) | instid1(VALU_DEP_2)
	s_bcnt1_i32_b32 s10, s10
	s_bcnt1_i32_b32 s11, s11
	s_add_i32 s9, s10, s9
	s_bcnt1_i32_b32 s12, s12
	s_add_i32 s9, s9, s11
	s_delay_alu instid0(SALU_CYCLE_1) | instskip(NEXT) | instid1(SALU_CYCLE_1)
	s_add_i32 s9, s9, s12
	s_add_u32 s72, s72, s9
	s_addc_u32 s73, s73, 0
	s_and_b32 s9, s5, s13
	s_delay_alu instid0(SALU_CYCLE_1) | instskip(SKIP_1) | instid1(SALU_CYCLE_1)
	v_cndmask_b32_e64 v2, 0, 1, s9
	s_and_b32 s9, s6, s14
	v_cndmask_b32_e64 v3, 0, 1, s9
	s_and_b32 s9, s7, s15
	s_delay_alu instid0(SALU_CYCLE_1) | instskip(SKIP_1) | instid1(VALU_DEP_2)
	v_cndmask_b32_e64 v4, 0, 1, s9
	s_and_b32 s9, s8, s16
	v_cmp_ne_u32_e64 s10, 0, v3
	v_cndmask_b32_e64 v5, 0, 1, s9
	v_cmp_ne_u32_e64 s9, 0, v2
	v_cmp_ne_u32_e64 s11, 0, v4
	s_delay_alu instid0(VALU_DEP_4) | instskip(NEXT) | instid1(VALU_DEP_3)
	s_bcnt1_i32_b32 s10, s10
	v_cmp_ne_u32_e64 s12, 0, v5
	s_delay_alu instid0(VALU_DEP_3) | instskip(NEXT) | instid1(VALU_DEP_2)
	s_bcnt1_i32_b32 s9, s9
	s_bcnt1_i32_b32 s11, s11
	s_add_i32 s9, s10, s9
	s_delay_alu instid0(VALU_DEP_1) | instskip(SKIP_1) | instid1(SALU_CYCLE_1)
	s_bcnt1_i32_b32 s12, s12
	s_add_i32 s9, s9, s11
	s_add_i32 s9, s9, s12
	s_delay_alu instid0(SALU_CYCLE_1) | instskip(SKIP_2) | instid1(SALU_CYCLE_1)
	s_add_u32 s70, s70, s9
	s_addc_u32 s71, s71, 0
	s_and_b32 s9, s5, s17
	v_cndmask_b32_e64 v2, 0, 1, s9
	s_and_b32 s9, s6, s18
	s_delay_alu instid0(SALU_CYCLE_1) | instskip(SKIP_1) | instid1(SALU_CYCLE_1)
	v_cndmask_b32_e64 v3, 0, 1, s9
	s_and_b32 s9, s7, s19
	v_cndmask_b32_e64 v4, 0, 1, s9
	s_and_b32 s9, s8, s20
	s_delay_alu instid0(VALU_DEP_2) | instskip(SKIP_3) | instid1(VALU_DEP_4)
	v_cmp_ne_u32_e64 s10, 0, v3
	v_cndmask_b32_e64 v5, 0, 1, s9
	v_cmp_ne_u32_e64 s9, 0, v2
	v_cmp_ne_u32_e64 s11, 0, v4
	s_bcnt1_i32_b32 s10, s10
	s_delay_alu instid0(VALU_DEP_3) | instskip(NEXT) | instid1(VALU_DEP_3)
	v_cmp_ne_u32_e64 s12, 0, v5
	s_bcnt1_i32_b32 s9, s9
	s_delay_alu instid0(VALU_DEP_2) | instskip(SKIP_1) | instid1(VALU_DEP_1)
	s_bcnt1_i32_b32 s11, s11
	s_add_i32 s9, s10, s9
	s_bcnt1_i32_b32 s12, s12
	s_add_i32 s9, s9, s11
	s_delay_alu instid0(SALU_CYCLE_1) | instskip(NEXT) | instid1(SALU_CYCLE_1)
	s_add_i32 s9, s9, s12
	s_add_u32 s68, s68, s9
	s_addc_u32 s69, s69, 0
	s_and_b32 s5, s5, s21
	v_dual_mov_b32 v6, s68 :: v_dual_mov_b32 v7, s69
	v_cndmask_b32_e64 v2, 0, 1, s5
	s_and_b32 s5, s6, s22
	s_delay_alu instid0(SALU_CYCLE_1) | instskip(SKIP_1) | instid1(SALU_CYCLE_1)
	v_cndmask_b32_e64 v3, 0, 1, s5
	s_and_b32 s5, s7, s23
	v_cndmask_b32_e64 v4, 0, 1, s5
	s_and_b32 s5, s8, s24
	s_delay_alu instid0(VALU_DEP_2)
	v_cmp_ne_u32_e64 s6, 0, v3
	v_cndmask_b32_e64 v5, 0, 1, s5
	v_cmp_ne_u32_e64 s5, 0, v2
	v_cmp_ne_u32_e64 s7, 0, v4
	v_mov_b32_e32 v2, s72
	s_bcnt1_i32_b32 s6, s6
	v_cmp_ne_u32_e64 s8, 0, v5
	s_bcnt1_i32_b32 s5, s5
	s_bcnt1_i32_b32 s7, s7
	s_add_i32 s5, s6, s5
	v_mov_b32_e32 v4, s70
	s_bcnt1_i32_b32 s6, s8
	s_add_i32 s5, s5, s7
	v_mov_b32_e32 v3, s73
	s_add_i32 s5, s5, s6
	v_mov_b32_e32 v5, s71
	s_add_u32 s66, s66, s5
	s_addc_u32 s67, s67, 0
	s_delay_alu instid0(SALU_CYCLE_1) | instskip(SKIP_1) | instid1(SALU_CYCLE_1)
	v_dual_mov_b32 v8, s66 :: v_dual_mov_b32 v9, s67
	s_or_b32 s102, vcc_lo, s102
	s_and_not1_b32 exec_lo, exec_lo, s102
	s_cbranch_execnz .LBB23_73
; %bb.74:                               ;   in Loop: Header=BB23_33 Depth=1
	s_or_b32 exec_lo, exec_lo, s102
.LBB23_75:                              ;   in Loop: Header=BB23_33 Depth=1
	s_delay_alu instid0(SALU_CYCLE_1) | instskip(SKIP_3) | instid1(VALU_DEP_2)
	s_or_b32 exec_lo, exec_lo, s98
	v_add_co_u32 v31, vcc_lo, v31, v0
	v_add_co_ci_u32_e32 v32, vcc_lo, 0, v32, vcc_lo
	v_mov_b32_e32 v12, 0
	v_cmp_gt_i64_e32 vcc_lo, s[36:37], v[31:32]
	s_and_saveexec_b32 s6, vcc_lo
	s_cbranch_execz .LBB23_77
; %bb.76:                               ;   in Loop: Header=BB23_33 Depth=1
	v_mul_lo_u32 v12, v32, s42
	v_mul_lo_u32 v27, v31, s43
	v_mad_u64_u32 v[33:34], null, v31, s42, 0
	s_delay_alu instid0(VALU_DEP_1) | instskip(NEXT) | instid1(VALU_DEP_1)
	v_add3_u32 v34, v34, v27, v12
	v_lshlrev_b64 v[33:34], 2, v[33:34]
	s_delay_alu instid0(VALU_DEP_1) | instskip(NEXT) | instid1(VALU_DEP_1)
	v_add_co_u32 v33, s5, s74, v33
	v_add_co_ci_u32_e64 v34, s5, s75, v34, s5
	global_load_b32 v12, v[33:34], off
.LBB23_77:                              ;   in Loop: Header=BB23_33 Depth=1
	s_or_b32 exec_lo, exec_lo, s6
	s_and_saveexec_b32 s8, vcc_lo
	s_cbranch_execz .LBB23_84
; %bb.78:                               ;   in Loop: Header=BB23_33 Depth=1
	v_add_co_u32 v27, vcc_lo, v48, s50
	v_add_co_ci_u32_e32 v33, vcc_lo, 0, v49, vcc_lo
	s_mul_i32 s5, s61, s50
	s_delay_alu instid0(VALU_DEP_2) | instskip(NEXT) | instid1(VALU_DEP_2)
	v_sub_co_u32 v27, vcc_lo, v27, v29
	v_sub_co_ci_u32_e32 v29, vcc_lo, v33, v30, vcc_lo
	s_mul_hi_u32 s6, s60, s50
	s_delay_alu instid0(VALU_DEP_2) | instskip(SKIP_1) | instid1(VALU_DEP_2)
	v_mul_lo_u32 v34, s61, v27
	s_and_b32 s9, s90, 0xfe
	v_mul_lo_u32 v33, s60, v29
	v_mad_u64_u32 v[29:30], null, s60, v27, s[58:59]
	s_add_i32 s10, s6, s5
	s_mul_i32 s11, s60, s50
	s_mov_b32 s12, 0
	s_delay_alu instid0(VALU_DEP_1)
	v_add3_u32 v30, v34, v30, v33
	s_branch .LBB23_80
.LBB23_79:                              ;   in Loop: Header=BB23_80 Depth=2
	s_or_b32 exec_lo, exec_lo, s6
	s_waitcnt vmcnt(0)
	v_xor_b32_e32 v12, 0x80000000, v12
	s_and_b32 s7, exec_lo, vcc_lo
	s_delay_alu instid0(SALU_CYCLE_1) | instskip(NEXT) | instid1(VALU_DEP_1)
	s_or_b32 s12, s7, s12
	v_and_b32_e32 v33, s96, v12
	v_bfe_u32 v12, v12, s9, 2
	s_delay_alu instid0(VALU_DEP_2) | instskip(NEXT) | instid1(VALU_DEP_2)
	v_cmp_eq_u32_e64 s5, s97, v33
	v_cmp_eq_u32_e64 s6, 0, v12
	v_cmp_eq_u32_e32 vcc_lo, 1, v12
	v_cmp_eq_u32_e64 s7, 2, v12
	s_delay_alu instid0(VALU_DEP_3) | instskip(NEXT) | instid1(SALU_CYCLE_1)
	s_and_b32 s6, s5, s6
	v_cndmask_b32_e64 v33, 0, 1, s6
	s_and_b32 s6, s5, vcc_lo
	v_cmp_eq_u32_e32 vcc_lo, 3, v12
	v_cndmask_b32_e64 v34, 0, 1, s6
	s_and_b32 s6, s5, s7
	s_delay_alu instid0(SALU_CYCLE_1) | instskip(SKIP_1) | instid1(VALU_DEP_3)
	v_cndmask_b32_e64 v12, 0, 1, s6
	v_cmp_ne_u32_e64 s6, 0, v33
	v_cmp_ne_u32_e64 s7, 0, v34
	s_and_b32 s5, s5, vcc_lo
	s_delay_alu instid0(SALU_CYCLE_1) | instskip(NEXT) | instid1(VALU_DEP_3)
	v_cndmask_b32_e64 v33, 0, 1, s5
	s_bcnt1_i32_b32 s5, s6
	v_cmp_ne_u32_e32 vcc_lo, 0, v12
	v_mov_b32_e32 v12, v27
	v_add_co_u32 v2, s5, v2, s5
	s_bcnt1_i32_b32 s6, s7
	v_add_co_ci_u32_e64 v3, s5, 0, v3, s5
	v_add_co_u32 v4, s5, v4, s6
	s_delay_alu instid0(VALU_DEP_1) | instskip(SKIP_3) | instid1(VALU_DEP_1)
	v_add_co_ci_u32_e64 v5, s5, 0, v5, s5
	s_bcnt1_i32_b32 s5, vcc_lo
	v_cmp_ne_u32_e32 vcc_lo, 0, v33
	v_add_co_u32 v6, s5, v6, s5
	v_add_co_ci_u32_e64 v7, s5, 0, v7, s5
	s_bcnt1_i32_b32 s5, vcc_lo
	s_delay_alu instid0(SALU_CYCLE_1)
	v_add_co_u32 v8, vcc_lo, v8, s5
	v_add_co_ci_u32_e32 v9, vcc_lo, 0, v9, vcc_lo
	v_add_co_u32 v29, vcc_lo, v29, s11
	v_add_co_ci_u32_e32 v30, vcc_lo, s10, v30, vcc_lo
	s_and_not1_b32 exec_lo, exec_lo, s12
	s_cbranch_execz .LBB23_83
.LBB23_80:                              ;   Parent Loop BB23_33 Depth=1
                                        ; =>  This Inner Loop Header: Depth=2
	v_add_co_u32 v31, vcc_lo, v31, s50
	v_add_co_ci_u32_e32 v32, vcc_lo, 0, v32, vcc_lo
	v_mov_b32_e32 v27, 0
	s_mov_b32 s6, exec_lo
	s_delay_alu instid0(VALU_DEP_2)
	v_cmp_le_i64_e32 vcc_lo, s[36:37], v[31:32]
	v_cmpx_gt_i64_e64 s[36:37], v[31:32]
	s_cbranch_execz .LBB23_79
; %bb.81:                               ;   in Loop: Header=BB23_80 Depth=2
	global_load_b32 v27, v[29:30], off
	s_branch .LBB23_79
.LBB23_82:                              ;   in Loop: Header=BB23_33 Depth=1
                                        ; implicit-def: $vgpr8_vgpr9
                                        ; implicit-def: $vgpr4_vgpr5
	s_cbranch_execnz .LBB23_85
	s_branch .LBB23_94
.LBB23_83:                              ;   in Loop: Header=BB23_33 Depth=1
	s_or_b32 exec_lo, exec_lo, s12
.LBB23_84:                              ;   in Loop: Header=BB23_33 Depth=1
	s_delay_alu instid0(SALU_CYCLE_1)
	s_or_b32 exec_lo, exec_lo, s8
	s_branch .LBB23_94
.LBB23_85:                              ;   in Loop: Header=BB23_33 Depth=1
	global_load_u16 v8, v13, s[56:57]
	s_mov_b64 s[66:67], 0
	s_mov_b32 s98, exec_lo
	s_waitcnt vmcnt(0)
	v_readfirstlane_b32 s5, v8
	v_and_b32_e32 v27, 0xffff, v8
	s_delay_alu instid0(VALU_DEP_2) | instskip(NEXT) | instid1(SALU_CYCLE_1)
	s_and_b32 s5, 0xffff, s5
	s_lshl_b32 s65, s5, 2
	s_delay_alu instid0(SALU_CYCLE_1) | instskip(SKIP_1) | instid1(VALU_DEP_1)
	v_cvt_f32_u32_e32 v2, s65
	s_sub_i32 s6, 0, s65
	v_rcp_iflag_f32_e32 v2, v2
	s_waitcnt_depctr 0xfff
	v_mul_f32_e32 v2, 0x4f7ffffe, v2
	s_delay_alu instid0(VALU_DEP_1) | instskip(NEXT) | instid1(VALU_DEP_1)
	v_cvt_u32_f32_e32 v2, v2
	v_readfirstlane_b32 s5, v2
	v_mov_b32_e32 v2, 0
	v_mov_b32_e32 v3, 0
	s_delay_alu instid0(VALU_DEP_3) | instskip(NEXT) | instid1(VALU_DEP_1)
	s_mul_i32 s6, s6, s5
	v_dual_mov_b32 v5, v3 :: v_dual_mov_b32 v4, v2
	s_mul_hi_u32 s6, s5, s6
	v_dual_mov_b32 v7, v3 :: v_dual_mov_b32 v6, v2
	s_add_i32 s5, s5, s6
	v_dual_mov_b32 v9, v3 :: v_dual_mov_b32 v8, v2
	s_mul_hi_u32 s5, s64, s5
	s_delay_alu instid0(SALU_CYCLE_1) | instskip(NEXT) | instid1(SALU_CYCLE_1)
	s_mul_i32 s5, s5, s65
	s_sub_i32 s5, s64, s5
	s_delay_alu instid0(SALU_CYCLE_1) | instskip(SKIP_2) | instid1(SALU_CYCLE_1)
	s_sub_i32 s6, s5, s65
	s_cmp_ge_u32 s5, s65
	s_cselect_b32 s5, s6, s5
	s_sub_i32 s6, s5, s65
	s_cmp_ge_u32 s5, s65
	s_cselect_b32 s5, s6, s5
	s_delay_alu instid0(SALU_CYCLE_1) | instskip(NEXT) | instid1(SALU_CYCLE_1)
	s_sub_i32 s50, s64, s5
	v_cmpx_gt_u32_e64 s50, v14
	s_cbranch_execz .LBB23_89
; %bb.86:                               ;   in Loop: Header=BB23_33 Depth=1
	v_dual_mov_b32 v31, v46 :: v_dual_lshlrev_b32 v12, 4, v27
	v_dual_mov_b32 v30, v15 :: v_dual_mov_b32 v29, v14
	s_and_b32 s99, s90, 0xfe
	s_mov_b32 s100, 0
	s_mov_b64 s[68:69], 0
	s_mov_b64 s[70:71], 0
	;; [unrolled: 1-line block ×3, first 2 shown]
.LBB23_87:                              ;   Parent Loop BB23_33 Depth=1
                                        ; =>  This Inner Loop Header: Depth=2
	ds_load_b128 v[2:5], v31
	v_add_co_u32 v29, vcc_lo, v29, s65
	v_add_co_ci_u32_e32 v30, vcc_lo, 0, v30, vcc_lo
	s_delay_alu instid0(VALU_DEP_1)
	v_cmp_le_u64_e32 vcc_lo, s[50:51], v[29:30]
	s_waitcnt lgkmcnt(0)
	v_xor_b32_e32 v2, 0x80000000, v2
	v_xor_b32_e32 v3, 0x80000000, v3
	v_xor_b32_e32 v4, 0x80000000, v4
	v_xor_b32_e32 v5, 0x80000000, v5
	s_delay_alu instid0(VALU_DEP_4)
	v_and_b32_e32 v6, s96, v2
	v_bfe_u32 v2, v2, s99, 2
	v_and_b32_e32 v7, s96, v3
	v_bfe_u32 v3, v3, s99, 2
	;; [unrolled: 2-line block ×3, first 2 shown]
	v_cmp_eq_u32_e64 s5, s97, v6
	v_cmp_eq_u32_e64 s9, 0, v2
	v_and_b32_e32 v9, s96, v5
	v_bfe_u32 v5, v5, s99, 2
	v_cmp_eq_u32_e64 s6, s97, v7
	v_cmp_eq_u32_e64 s10, 0, v3
	;; [unrolled: 1-line block ×4, first 2 shown]
	s_and_b32 s9, s5, s9
	v_cmp_eq_u32_e64 s8, s97, v9
	v_cmp_eq_u32_e64 s12, 0, v5
	;; [unrolled: 1-line block ×5, first 2 shown]
	v_cndmask_b32_e64 v2, 0, 1, s9
	s_and_b32 s9, s6, s10
	v_cmp_eq_u32_e64 s14, 1, v3
	v_cmp_eq_u32_e64 s18, 2, v3
	v_cmp_eq_u32_e64 s22, 3, v3
	v_cndmask_b32_e64 v3, 0, 1, s9
	s_and_b32 s9, s7, s11
	v_cmp_eq_u32_e64 s15, 1, v4
	v_cmp_eq_u32_e64 s19, 2, v4
	v_cmp_eq_u32_e64 s23, 3, v4
	;; [unrolled: 5-line block ×3, first 2 shown]
	v_cndmask_b32_e64 v5, 0, 1, s9
	v_cmp_ne_u32_e64 s9, 0, v2
	v_cmp_ne_u32_e64 s10, 0, v3
	;; [unrolled: 1-line block ×3, first 2 shown]
	s_delay_alu instid0(VALU_DEP_4) | instskip(NEXT) | instid1(VALU_DEP_4)
	v_cmp_ne_u32_e64 s12, 0, v5
	s_bcnt1_i32_b32 s9, s9
	s_delay_alu instid0(VALU_DEP_3) | instskip(NEXT) | instid1(VALU_DEP_2)
	s_bcnt1_i32_b32 s10, s10
	s_bcnt1_i32_b32 s11, s11
	s_add_i32 s9, s10, s9
	s_bcnt1_i32_b32 s12, s12
	s_add_i32 s9, s9, s11
	s_delay_alu instid0(SALU_CYCLE_1) | instskip(NEXT) | instid1(SALU_CYCLE_1)
	s_add_i32 s9, s9, s12
	s_add_u32 s72, s72, s9
	s_addc_u32 s73, s73, 0
	s_and_b32 s9, s5, s13
	v_add_nc_u32_e32 v31, v31, v12
	v_cndmask_b32_e64 v2, 0, 1, s9
	s_and_b32 s9, s6, s14
	s_delay_alu instid0(SALU_CYCLE_1) | instskip(SKIP_1) | instid1(SALU_CYCLE_1)
	v_cndmask_b32_e64 v3, 0, 1, s9
	s_and_b32 s9, s7, s15
	v_cndmask_b32_e64 v4, 0, 1, s9
	s_and_b32 s9, s8, s16
	s_delay_alu instid0(VALU_DEP_2) | instskip(SKIP_3) | instid1(VALU_DEP_4)
	v_cmp_ne_u32_e64 s10, 0, v3
	v_cndmask_b32_e64 v5, 0, 1, s9
	v_cmp_ne_u32_e64 s9, 0, v2
	v_cmp_ne_u32_e64 s11, 0, v4
	s_bcnt1_i32_b32 s10, s10
	s_delay_alu instid0(VALU_DEP_3) | instskip(NEXT) | instid1(VALU_DEP_3)
	v_cmp_ne_u32_e64 s12, 0, v5
	s_bcnt1_i32_b32 s9, s9
	s_delay_alu instid0(VALU_DEP_2) | instskip(SKIP_1) | instid1(VALU_DEP_1)
	s_bcnt1_i32_b32 s11, s11
	s_add_i32 s9, s10, s9
	s_bcnt1_i32_b32 s12, s12
	s_add_i32 s9, s9, s11
	s_delay_alu instid0(SALU_CYCLE_1) | instskip(NEXT) | instid1(SALU_CYCLE_1)
	s_add_i32 s9, s9, s12
	s_add_u32 s70, s70, s9
	s_addc_u32 s71, s71, 0
	s_and_b32 s9, s5, s17
	s_delay_alu instid0(SALU_CYCLE_1) | instskip(SKIP_1) | instid1(SALU_CYCLE_1)
	v_cndmask_b32_e64 v2, 0, 1, s9
	s_and_b32 s9, s6, s18
	v_cndmask_b32_e64 v3, 0, 1, s9
	s_and_b32 s9, s7, s19
	s_delay_alu instid0(SALU_CYCLE_1) | instskip(SKIP_1) | instid1(VALU_DEP_2)
	v_cndmask_b32_e64 v4, 0, 1, s9
	s_and_b32 s9, s8, s20
	v_cmp_ne_u32_e64 s10, 0, v3
	v_cndmask_b32_e64 v5, 0, 1, s9
	v_cmp_ne_u32_e64 s9, 0, v2
	v_cmp_ne_u32_e64 s11, 0, v4
	s_delay_alu instid0(VALU_DEP_4) | instskip(NEXT) | instid1(VALU_DEP_3)
	s_bcnt1_i32_b32 s10, s10
	v_cmp_ne_u32_e64 s12, 0, v5
	s_delay_alu instid0(VALU_DEP_3) | instskip(NEXT) | instid1(VALU_DEP_2)
	s_bcnt1_i32_b32 s9, s9
	s_bcnt1_i32_b32 s11, s11
	s_add_i32 s9, s10, s9
	s_delay_alu instid0(VALU_DEP_1) | instskip(SKIP_1) | instid1(SALU_CYCLE_1)
	s_bcnt1_i32_b32 s12, s12
	s_add_i32 s9, s9, s11
	s_add_i32 s9, s9, s12
	s_delay_alu instid0(SALU_CYCLE_1)
	s_add_u32 s68, s68, s9
	s_addc_u32 s69, s69, 0
	s_and_b32 s5, s5, s21
	v_mov_b32_e32 v6, s68
	v_cndmask_b32_e64 v2, 0, 1, s5
	s_and_b32 s5, s6, s22
	s_delay_alu instid0(SALU_CYCLE_1) | instskip(SKIP_1) | instid1(SALU_CYCLE_1)
	v_cndmask_b32_e64 v3, 0, 1, s5
	s_and_b32 s5, s7, s23
	v_cndmask_b32_e64 v4, 0, 1, s5
	s_and_b32 s5, s8, s24
	s_delay_alu instid0(VALU_DEP_2)
	v_cmp_ne_u32_e64 s6, 0, v3
	v_cndmask_b32_e64 v5, 0, 1, s5
	v_cmp_ne_u32_e64 s5, 0, v2
	v_mov_b32_e32 v2, s72
	v_cmp_ne_u32_e64 s7, 0, v4
	s_bcnt1_i32_b32 s6, s6
	v_cmp_ne_u32_e64 s8, 0, v5
	s_bcnt1_i32_b32 s5, s5
	v_mov_b32_e32 v4, s70
	s_bcnt1_i32_b32 s7, s7
	s_add_i32 s5, s6, s5
	s_bcnt1_i32_b32 s6, s8
	s_add_i32 s5, s5, s7
	v_mov_b32_e32 v3, s73
	s_add_i32 s5, s5, s6
	v_mov_b32_e32 v5, s71
	s_add_u32 s66, s66, s5
	s_addc_u32 s67, s67, 0
	v_dual_mov_b32 v7, s69 :: v_dual_mov_b32 v8, s66
	v_mov_b32_e32 v9, s67
	s_or_b32 s100, vcc_lo, s100
	s_delay_alu instid0(SALU_CYCLE_1)
	s_and_not1_b32 exec_lo, exec_lo, s100
	s_cbranch_execnz .LBB23_87
; %bb.88:                               ;   in Loop: Header=BB23_33 Depth=1
	s_or_b32 exec_lo, exec_lo, s100
.LBB23_89:                              ;   in Loop: Header=BB23_33 Depth=1
	s_delay_alu instid0(SALU_CYCLE_1) | instskip(SKIP_2) | instid1(VALU_DEP_1)
	s_or_b32 exec_lo, exec_lo, s98
	v_add_nc_u32_e32 v12, s50, v0
	s_mov_b32 s12, exec_lo
	v_cmpx_gt_u32_e64 s64, v12
	s_cbranch_execz .LBB23_93
; %bb.90:                               ;   in Loop: Header=BB23_33 Depth=1
	v_dual_mov_b32 v30, v13 :: v_dual_lshlrev_b32 v31, 2, v12
	v_mov_b32_e32 v29, v12
	s_mov_b32 s11, 0
	s_and_b32 s10, s64, 0x7fffffff
	s_and_b32 s14, s90, 0xfe
	s_mov_b32 s13, s11
.LBB23_91:                              ;   Parent Loop BB23_33 Depth=1
                                        ; =>  This Inner Loop Header: Depth=2
	ds_load_b32 v12, v31
	v_add_co_u32 v29, vcc_lo, v29, v27
	v_add_co_ci_u32_e32 v30, vcc_lo, 0, v30, vcc_lo
	v_add_nc_u32_e32 v31, s65, v31
	s_delay_alu instid0(VALU_DEP_2) | instskip(SKIP_2) | instid1(VALU_DEP_1)
	v_cmp_le_u64_e32 vcc_lo, s[10:11], v[29:30]
	s_waitcnt lgkmcnt(0)
	v_xor_b32_e32 v12, 0x80000000, v12
	v_and_b32_e32 v32, s96, v12
	v_bfe_u32 v12, v12, s14, 2
	s_delay_alu instid0(VALU_DEP_2) | instskip(NEXT) | instid1(VALU_DEP_2)
	v_cmp_eq_u32_e64 s5, s97, v32
	v_cmp_eq_u32_e64 s6, 0, v12
	;; [unrolled: 1-line block ×5, first 2 shown]
	s_delay_alu instid0(VALU_DEP_4) | instskip(NEXT) | instid1(SALU_CYCLE_1)
	s_and_b32 s6, s5, s6
	v_cndmask_b32_e64 v12, 0, 1, s6
	s_and_b32 s6, s5, s7
	s_delay_alu instid0(SALU_CYCLE_1)
	v_cndmask_b32_e64 v32, 0, 1, s6
	s_and_b32 s6, s5, s8
	s_and_b32 s5, s5, s9
	v_cndmask_b32_e64 v33, 0, 1, s6
	v_cndmask_b32_e64 v34, 0, 1, s5
	v_cmp_ne_u32_e64 s5, 0, v12
	v_cmp_ne_u32_e64 s6, 0, v32
	s_delay_alu instid0(VALU_DEP_4) | instskip(NEXT) | instid1(VALU_DEP_4)
	v_cmp_ne_u32_e64 s7, 0, v33
	v_cmp_ne_u32_e64 s8, 0, v34
	s_delay_alu instid0(VALU_DEP_4) | instskip(NEXT) | instid1(VALU_DEP_3)
	s_bcnt1_i32_b32 s5, s5
	s_bcnt1_i32_b32 s6, s6
	v_add_co_u32 v2, s5, v2, s5
	s_delay_alu instid0(VALU_DEP_1)
	v_add_co_ci_u32_e64 v3, s5, 0, v3, s5
	v_add_co_u32 v4, s5, v4, s6
	s_bcnt1_i32_b32 s7, s7
	v_add_co_ci_u32_e64 v5, s5, 0, v5, s5
	v_add_co_u32 v6, s5, v6, s7
	s_bcnt1_i32_b32 s8, s8
	v_add_co_ci_u32_e64 v7, s5, 0, v7, s5
	v_add_co_u32 v8, s5, v8, s8
	s_delay_alu instid0(VALU_DEP_1) | instskip(SKIP_1) | instid1(SALU_CYCLE_1)
	v_add_co_ci_u32_e64 v9, s5, 0, v9, s5
	s_or_b32 s13, vcc_lo, s13
	s_and_not1_b32 exec_lo, exec_lo, s13
	s_cbranch_execnz .LBB23_91
; %bb.92:                               ;   in Loop: Header=BB23_33 Depth=1
	s_or_b32 exec_lo, exec_lo, s13
.LBB23_93:                              ;   in Loop: Header=BB23_33 Depth=1
	s_delay_alu instid0(SALU_CYCLE_1)
	s_or_b32 exec_lo, exec_lo, s12
.LBB23_94:                              ;   in Loop: Header=BB23_33 Depth=1
	s_lshl_b32 s5, s92, 7
	s_and_saveexec_b32 s6, s2
	s_cbranch_execz .LBB23_96
; %bb.95:                               ;   in Loop: Header=BB23_33 Depth=1
	s_waitcnt vmcnt(0)
	v_or_b32_e32 v12, s5, v45
	s_delay_alu instid0(VALU_DEP_1)
	v_lshlrev_b32_e32 v12, 3, v12
	ds_store_b128 v12, v[2:5] offset:3072
	ds_store_b128 v12, v[6:9] offset:3088
.LBB23_96:                              ;   in Loop: Header=BB23_33 Depth=1
	s_or_b32 exec_lo, exec_lo, s6
	s_waitcnt vmcnt(0) lgkmcnt(0)
	s_barrier
	buffer_gl0_inv
	s_and_saveexec_b32 s6, s76
	s_cbranch_execz .LBB23_107
; %bb.97:                               ;   in Loop: Header=BB23_33 Depth=1
	v_mov_b32_e32 v2, 0
	v_mov_b32_e32 v3, 0
	s_and_not1_b32 vcc_lo, exec_lo, s84
	s_cbranch_vccnz .LBB23_106
; %bb.98:                               ;   in Loop: Header=BB23_33 Depth=1
	v_mov_b32_e32 v2, 0
	v_mov_b32_e32 v3, 0
	s_and_not1_b32 vcc_lo, exec_lo, s82
	s_cbranch_vccnz .LBB23_103
; %bb.99:                               ;   in Loop: Header=BB23_33 Depth=1
	v_lshl_add_u32 v4, s92, 10, v50
	s_mov_b32 s7, 0
	s_set_inst_prefetch_distance 0x1
	.p2align	6
.LBB23_100:                             ;   Parent Loop BB23_33 Depth=1
                                        ; =>  This Inner Loop Header: Depth=2
	ds_load_2addr_b64 v[5:8], v4 offset1:4
	ds_load_2addr_b64 v[29:32], v4 offset0:8 offset1:12
	ds_load_2addr_b64 v[33:36], v4 offset0:16 offset1:20
	s_add_i32 s7, s7, 8
	s_delay_alu instid0(SALU_CYCLE_1) | instskip(SKIP_3) | instid1(VALU_DEP_2)
	s_cmp_eq_u32 s83, s7
	s_waitcnt lgkmcnt(2)
	v_add_co_u32 v2, vcc_lo, v5, v2
	v_add_co_ci_u32_e32 v3, vcc_lo, v6, v3, vcc_lo
	v_add_co_u32 v2, vcc_lo, v7, v2
	s_delay_alu instid0(VALU_DEP_2)
	v_add_co_ci_u32_e32 v3, vcc_lo, v8, v3, vcc_lo
	ds_load_2addr_b64 v[5:8], v4 offset0:24 offset1:28
	s_waitcnt lgkmcnt(2)
	v_add_co_u32 v2, vcc_lo, v29, v2
	v_add_co_ci_u32_e32 v3, vcc_lo, v30, v3, vcc_lo
	v_add_nc_u32_e32 v4, 0x100, v4
	s_delay_alu instid0(VALU_DEP_3) | instskip(NEXT) | instid1(VALU_DEP_3)
	v_add_co_u32 v2, vcc_lo, v31, v2
	v_add_co_ci_u32_e32 v3, vcc_lo, v32, v3, vcc_lo
	s_waitcnt lgkmcnt(1)
	s_delay_alu instid0(VALU_DEP_2) | instskip(NEXT) | instid1(VALU_DEP_2)
	v_add_co_u32 v2, vcc_lo, v33, v2
	v_add_co_ci_u32_e32 v3, vcc_lo, v34, v3, vcc_lo
	s_delay_alu instid0(VALU_DEP_2) | instskip(NEXT) | instid1(VALU_DEP_2)
	v_add_co_u32 v2, vcc_lo, v35, v2
	v_add_co_ci_u32_e32 v3, vcc_lo, v36, v3, vcc_lo
	s_waitcnt lgkmcnt(0)
	s_delay_alu instid0(VALU_DEP_2) | instskip(NEXT) | instid1(VALU_DEP_2)
	v_add_co_u32 v2, vcc_lo, v5, v2
	v_add_co_ci_u32_e32 v3, vcc_lo, v6, v3, vcc_lo
	s_delay_alu instid0(VALU_DEP_2) | instskip(NEXT) | instid1(VALU_DEP_2)
	v_add_co_u32 v2, vcc_lo, v7, v2
	v_add_co_ci_u32_e32 v3, vcc_lo, v8, v3, vcc_lo
	s_cbranch_scc0 .LBB23_100
; %bb.101:                              ;   in Loop: Header=BB23_33 Depth=1
	s_set_inst_prefetch_distance 0x2
	s_mov_b32 s7, s83
	s_and_not1_b32 vcc_lo, exec_lo, s85
	s_cbranch_vccz .LBB23_104
	s_branch .LBB23_106
.LBB23_102:                             ;   in Loop: Header=BB23_33 Depth=1
                                        ; implicit-def: $vgpr29_vgpr30
	s_branch .LBB23_70
.LBB23_103:                             ;   in Loop: Header=BB23_33 Depth=1
	s_mov_b32 s7, 0
	s_and_not1_b32 vcc_lo, exec_lo, s85
	s_cbranch_vccnz .LBB23_106
.LBB23_104:                             ;   in Loop: Header=BB23_33 Depth=1
	s_lshl_b32 s8, s92, 10
	s_lshl_b32 s7, s7, 5
	s_delay_alu instid0(SALU_CYCLE_1)
	v_add3_u32 v4, s8, s7, v50
	s_mov_b32 s7, s81
.LBB23_105:                             ;   Parent Loop BB23_33 Depth=1
                                        ; =>  This Inner Loop Header: Depth=2
	ds_load_b64 v[5:6], v4
	v_add_nc_u32_e32 v4, 32, v4
	s_add_i32 s7, s7, -1
	s_delay_alu instid0(SALU_CYCLE_1)
	s_cmp_lg_u32 s7, 0
	s_waitcnt lgkmcnt(0)
	v_add_co_u32 v2, vcc_lo, v5, v2
	v_add_co_ci_u32_e32 v3, vcc_lo, v6, v3, vcc_lo
	s_cbranch_scc1 .LBB23_105
.LBB23_106:                             ;   in Loop: Header=BB23_33 Depth=1
	v_add_lshl_u32 v4, s5, v43, 3
	ds_store_b64 v4, v[2:3] offset:3072
.LBB23_107:                             ;   in Loop: Header=BB23_33 Depth=1
	s_or_b32 exec_lo, exec_lo, s6
	s_lshl_b32 s5, s5, 3
	s_waitcnt lgkmcnt(0)
	v_mov_b32_e32 v6, s5
	s_barrier
	buffer_gl0_inv
	s_and_b32 s19, s90, 0xfe
	s_mov_b32 s21, -1
	ds_load_b128 v[2:5], v6 offset:3072
	ds_load_b128 v[6:9], v6 offset:3088
	s_lshl_b32 s18, 3, s19
	s_delay_alu instid0(SALU_CYCLE_1)
	s_not_b32 s20, s18
	s_waitcnt lgkmcnt(1)
	v_readfirstlane_b32 s13, v3
	v_readfirstlane_b32 s12, v2
	;; [unrolled: 1-line block ×4, first 2 shown]
	s_waitcnt lgkmcnt(0)
	v_readfirstlane_b32 s8, v6
	v_readfirstlane_b32 s9, v7
	s_cmp_eq_u64 s[12:13], 1
	v_readfirstlane_b32 s6, v8
	s_cselect_b32 s5, -1, 0
	s_cmp_eq_u64 s[38:39], 1
	s_cselect_b32 s7, -1, 0
	s_delay_alu instid0(SALU_CYCLE_1)
	s_and_b32 s22, s5, s7
	v_readfirstlane_b32 s7, v9
	s_and_b32 vcc_lo, exec_lo, s22
	s_cbranch_vccz .LBB23_122
; %bb.108:                              ;   in Loop: Header=BB23_33 Depth=1
	ds_load_b64 v[2:3], v13 offset:5120
	s_waitcnt lgkmcnt(0)
	s_barrier
	buffer_gl0_inv
	v_readfirstlane_b32 s14, v2
	v_readfirstlane_b32 s15, v3
	s_and_saveexec_b32 s5, s3
	s_cbranch_execz .LBB23_110
; %bb.109:                              ;   in Loop: Header=BB23_33 Depth=1
	ds_store_b32 v44, v13
.LBB23_110:                             ;   in Loop: Header=BB23_33 Depth=1
	s_or_b32 exec_lo, exec_lo, s5
	s_delay_alu instid0(VALU_DEP_1)
	v_cmp_lt_i64_e64 s5, s[14:15], 1
	s_and_b32 s97, s97, s20
	s_or_b32 s96, s96, s18
	s_waitcnt lgkmcnt(0)
	s_barrier
	buffer_gl0_inv
	s_and_b32 vcc_lo, exec_lo, s5
	s_cbranch_vccz .LBB23_123
; %bb.111:                              ;   in Loop: Header=BB23_33 Depth=1
	s_mov_b32 s24, s51
	s_delay_alu instid0(SALU_CYCLE_1)
	s_cmp_lg_u64 s[24:25], 0
	s_cbranch_scc0 .LBB23_168
; %bb.112:                              ;   in Loop: Header=BB23_33 Depth=1
	v_cvt_f32_u32_e32 v2, s33
	s_sub_u32 s17, 0, s33
	s_subb_u32 s23, 0, 0
	s_delay_alu instid0(VALU_DEP_1) | instskip(NEXT) | instid1(VALU_DEP_1)
	v_fmac_f32_e32 v2, 0x4f800000, v51
	v_rcp_f32_e32 v2, v2
	s_waitcnt_depctr 0xfff
	v_mul_f32_e32 v2, 0x5f7ffffc, v2
	s_delay_alu instid0(VALU_DEP_1) | instskip(NEXT) | instid1(VALU_DEP_1)
	v_mul_f32_e32 v3, 0x2f800000, v2
	v_trunc_f32_e32 v3, v3
	s_delay_alu instid0(VALU_DEP_1) | instskip(SKIP_1) | instid1(VALU_DEP_2)
	v_fmac_f32_e32 v2, 0xcf800000, v3
	v_cvt_u32_f32_e32 v3, v3
	v_cvt_u32_f32_e32 v2, v2
	s_delay_alu instid0(VALU_DEP_2) | instskip(NEXT) | instid1(VALU_DEP_2)
	v_readfirstlane_b32 s5, v3
	v_readfirstlane_b32 s16, v2
	s_delay_alu instid0(VALU_DEP_2) | instskip(NEXT) | instid1(VALU_DEP_1)
	s_mul_i32 s24, s17, s5
	s_mul_hi_u32 s64, s17, s16
	s_mul_i32 s50, s23, s16
	s_add_i32 s24, s64, s24
	s_mul_i32 s65, s17, s16
	s_add_i32 s24, s24, s50
	s_mul_hi_u32 s64, s16, s65
	s_mul_hi_u32 s66, s5, s65
	s_mul_i32 s50, s5, s65
	s_mul_hi_u32 s65, s16, s24
	s_mul_i32 s16, s16, s24
	s_mul_hi_u32 s67, s5, s24
	s_add_u32 s16, s64, s16
	s_addc_u32 s64, 0, s65
	s_add_u32 s16, s16, s50
	s_mul_i32 s24, s5, s24
	s_addc_u32 s16, s64, s66
	s_addc_u32 s50, s67, 0
	s_add_u32 s16, s16, s24
	s_addc_u32 s24, 0, s50
	v_add_co_u32 v2, s16, v2, s16
	s_delay_alu instid0(VALU_DEP_1) | instskip(SKIP_1) | instid1(VALU_DEP_1)
	s_cmp_lg_u32 s16, 0
	s_addc_u32 s5, s5, s24
	v_readfirstlane_b32 s16, v2
	s_mul_i32 s24, s17, s5
	s_delay_alu instid0(VALU_DEP_1)
	s_mul_hi_u32 s50, s17, s16
	s_mul_i32 s23, s23, s16
	s_add_i32 s24, s50, s24
	s_mul_i32 s17, s17, s16
	s_add_i32 s24, s24, s23
	s_mul_hi_u32 s50, s5, s17
	s_mul_i32 s64, s5, s17
	s_mul_hi_u32 s17, s16, s17
	s_mul_hi_u32 s65, s16, s24
	s_mul_i32 s16, s16, s24
	s_mul_hi_u32 s23, s5, s24
	s_add_u32 s16, s17, s16
	s_addc_u32 s17, 0, s65
	s_add_u32 s16, s16, s64
	s_mul_i32 s24, s5, s24
	s_addc_u32 s16, s17, s50
	s_addc_u32 s17, s23, 0
	s_add_u32 s16, s16, s24
	s_addc_u32 s17, 0, s17
	v_add_co_u32 v2, s16, v2, s16
	s_delay_alu instid0(VALU_DEP_1) | instskip(SKIP_2) | instid1(VALU_DEP_1)
	s_cmp_lg_u32 s16, 0
	s_addc_u32 s5, s5, s17
	s_ashr_i32 s16, s25, 31
	v_readfirstlane_b32 s23, v2
	s_add_u32 s64, s80, s16
	s_mov_b32 s17, s16
	s_addc_u32 s65, s25, s16
	s_delay_alu instid0(SALU_CYCLE_1) | instskip(NEXT) | instid1(SALU_CYCLE_1)
	s_xor_b64 s[64:65], s[64:65], s[16:17]
	s_mul_i32 s24, s64, s5
	s_mul_hi_u32 s50, s64, s23
	s_mul_hi_u32 s17, s64, s5
	;; [unrolled: 1-line block ×3, first 2 shown]
	s_mul_i32 s23, s65, s23
	s_add_u32 s24, s50, s24
	s_addc_u32 s17, 0, s17
	s_mul_hi_u32 s66, s65, s5
	s_add_u32 s23, s24, s23
	s_mul_i32 s5, s65, s5
	s_addc_u32 s17, s17, s67
	s_addc_u32 s23, s66, 0
	s_add_u32 s5, s17, s5
	s_addc_u32 s17, 0, s23
	s_mul_hi_u32 s23, s33, s5
	s_mul_i32 s5, s33, s5
	s_mul_i32 s17, s33, s17
	v_sub_co_u32 v2, s5, s64, s5
	s_add_i32 s23, s23, s17
	s_cmp_lg_u32 s5, 0
	s_delay_alu instid0(VALU_DEP_1) | instskip(SKIP_2) | instid1(VALU_DEP_1)
	v_sub_co_u32 v3, s5, v2, s33
	s_subb_u32 s17, s65, s23
	s_cmp_lg_u32 s5, 0
	v_cmp_le_u32_e32 vcc_lo, s33, v3
	v_sub_co_u32 v4, s5, v3, s33
	s_subb_u32 s23, s17, 0
	s_cmp_lg_u32 s5, 0
	v_cndmask_b32_e64 v5, 0, -1, vcc_lo
	s_subb_u32 s5, s23, 0
	s_cmp_eq_u32 s23, 0
	v_mov_b32_e32 v7, s5
	s_cselect_b32 vcc_lo, -1, 0
	s_cmp_eq_u32 s17, 0
	v_cndmask_b32_e32 v5, -1, v5, vcc_lo
	v_cmp_le_u32_e32 vcc_lo, s33, v2
	s_cselect_b32 s5, -1, 0
	v_cndmask_b32_e64 v6, 0, -1, vcc_lo
	s_delay_alu instid0(VALU_DEP_3) | instskip(NEXT) | instid1(VALU_DEP_2)
	v_cmp_ne_u32_e32 vcc_lo, 0, v5
	v_cndmask_b32_e64 v5, -1, v6, s5
	v_cndmask_b32_e32 v3, v3, v4, vcc_lo
	v_cndmask_b32_e32 v6, s23, v7, vcc_lo
	s_delay_alu instid0(VALU_DEP_3) | instskip(NEXT) | instid1(VALU_DEP_3)
	v_cmp_ne_u32_e32 vcc_lo, 0, v5
	v_cndmask_b32_e32 v2, v2, v3, vcc_lo
	s_delay_alu instid0(VALU_DEP_3) | instskip(NEXT) | instid1(VALU_DEP_2)
	v_cndmask_b32_e32 v4, s17, v6, vcc_lo
	v_xor_b32_e32 v2, s16, v2
	s_delay_alu instid0(VALU_DEP_2) | instskip(NEXT) | instid1(VALU_DEP_2)
	v_xor_b32_e32 v3, s16, v4
	v_sub_co_u32 v2, vcc_lo, v2, s16
	s_delay_alu instid0(VALU_DEP_2)
	v_subrev_co_ci_u32_e32 v3, vcc_lo, s16, v3, vcc_lo
	s_cbranch_execnz .LBB23_114
.LBB23_113:                             ;   in Loop: Header=BB23_33 Depth=1
	v_cvt_f32_u32_e32 v2, s33
	s_sub_i32 s5, 0, s33
	s_delay_alu instid0(VALU_DEP_1) | instskip(SKIP_2) | instid1(VALU_DEP_1)
	v_rcp_iflag_f32_e32 v2, v2
	s_waitcnt_depctr 0xfff
	v_mul_f32_e32 v2, 0x4f7ffffe, v2
	v_cvt_u32_f32_e32 v2, v2
	s_delay_alu instid0(VALU_DEP_1) | instskip(NEXT) | instid1(VALU_DEP_1)
	v_mul_lo_u32 v3, s5, v2
	v_mul_hi_u32 v3, v2, v3
	s_delay_alu instid0(VALU_DEP_1) | instskip(NEXT) | instid1(VALU_DEP_1)
	v_add_nc_u32_e32 v2, v2, v3
	v_mul_hi_u32 v2, s80, v2
	s_delay_alu instid0(VALU_DEP_1) | instskip(NEXT) | instid1(VALU_DEP_1)
	v_mul_lo_u32 v2, v2, s33
	v_sub_nc_u32_e32 v2, s80, v2
	s_delay_alu instid0(VALU_DEP_1) | instskip(SKIP_1) | instid1(VALU_DEP_2)
	v_subrev_nc_u32_e32 v3, s33, v2
	v_cmp_le_u32_e32 vcc_lo, s33, v2
	v_cndmask_b32_e32 v2, v2, v3, vcc_lo
	s_delay_alu instid0(VALU_DEP_1) | instskip(SKIP_1) | instid1(VALU_DEP_2)
	v_subrev_nc_u32_e32 v3, s33, v2
	v_cmp_le_u32_e32 vcc_lo, s33, v2
	v_cndmask_b32_e32 v12, v2, v3, vcc_lo
	s_delay_alu instid0(VALU_DEP_1)
	v_dual_mov_b32 v2, v12 :: v_dual_mov_b32 v3, v13
.LBB23_114:                             ;   in Loop: Header=BB23_33 Depth=1
	s_delay_alu instid0(VALU_DEP_1) | instskip(NEXT) | instid1(VALU_DEP_2)
	v_sub_co_u32 v2, vcc_lo, s80, v2
	v_sub_co_ci_u32_e32 v3, vcc_lo, s25, v3, vcc_lo
	s_mov_b32 s5, 0
	s_mov_b32 s16, exec_lo
                                        ; implicit-def: $vgpr28
	s_delay_alu instid0(VALU_DEP_1)
	v_cmpx_gt_i64_e64 v[2:3], v[0:1]
	s_cbranch_execz .LBB23_125
; %bb.115:                              ;   in Loop: Header=BB23_33 Depth=1
	v_dual_mov_b32 v4, v10 :: v_dual_mov_b32 v5, v11
	v_dual_mov_b32 v7, v1 :: v_dual_mov_b32 v6, v0
                                        ; implicit-def: $sgpr17
	s_set_inst_prefetch_distance 0x1
	s_branch .LBB23_117
	.p2align	6
.LBB23_116:                             ;   in Loop: Header=BB23_117 Depth=2
	s_or_b32 exec_lo, exec_lo, s23
	s_waitcnt vmcnt(0) lgkmcnt(0)
	s_barrier
	buffer_gl0_inv
	ds_load_b64 v[27:28], v13 offset:3072
	v_add_co_u32 v6, vcc_lo, v6, s33
	v_add_co_ci_u32_e32 v7, vcc_lo, 0, v7, vcc_lo
	s_waitcnt lgkmcnt(0)
	s_barrier
	buffer_gl0_inv
	v_cmp_ge_i64_e32 vcc_lo, v[6:7], v[2:3]
	v_readfirstlane_b32 s23, v27
	s_delay_alu instid0(VALU_DEP_1) | instskip(SKIP_1) | instid1(SALU_CYCLE_1)
	s_cmp_lg_u32 s23, 0
	s_cselect_b32 s23, -1, 0
	s_or_b32 s24, s23, vcc_lo
	v_add_co_u32 v4, vcc_lo, v4, s52
	s_and_b32 s24, exec_lo, s24
	v_add_co_ci_u32_e32 v5, vcc_lo, s53, v5, vcc_lo
	s_or_b32 s5, s24, s5
	s_and_not1_b32 s17, s17, exec_lo
	s_and_b32 s23, s23, exec_lo
	s_delay_alu instid0(SALU_CYCLE_1)
	s_or_b32 s17, s17, s23
	s_and_not1_b32 exec_lo, exec_lo, s5
	s_cbranch_execz .LBB23_124
.LBB23_117:                             ;   Parent Loop BB23_33 Depth=1
                                        ; =>  This Inner Loop Header: Depth=2
	s_delay_alu instid0(VALU_DEP_1)
	v_cmp_gt_i64_e32 vcc_lo, s[36:37], v[6:7]
	v_mov_b32_e32 v27, 0
	s_and_saveexec_b32 s23, vcc_lo
	s_cbranch_execz .LBB23_119
; %bb.118:                              ;   in Loop: Header=BB23_117 Depth=2
	global_load_b32 v27, v[4:5], off
.LBB23_119:                             ;   in Loop: Header=BB23_117 Depth=2
	s_or_b32 exec_lo, exec_lo, s23
	s_and_saveexec_b32 s23, vcc_lo
	s_cbranch_execz .LBB23_116
; %bb.120:                              ;   in Loop: Header=BB23_117 Depth=2
	s_waitcnt vmcnt(0)
	v_xor_b32_e32 v8, 0x80000000, v27
	s_delay_alu instid0(VALU_DEP_1) | instskip(NEXT) | instid1(VALU_DEP_1)
	v_and_b32_e32 v8, s96, v8
	v_cmp_eq_u32_e32 vcc_lo, s97, v8
	s_and_b32 exec_lo, exec_lo, vcc_lo
	s_cbranch_execz .LBB23_116
; %bb.121:                              ;   in Loop: Header=BB23_117 Depth=2
	ds_store_b64 v13, v[26:27] offset:3072
	s_branch .LBB23_116
.LBB23_122:                             ;   in Loop: Header=BB23_33 Depth=1
	s_mov_b32 s5, -1
                                        ; implicit-def: $sgpr16
                                        ; implicit-def: $sgpr23
                                        ; implicit-def: $sgpr17
	s_branch .LBB23_139
.LBB23_123:                             ;   in Loop: Header=BB23_33 Depth=1
	s_mov_b32 s16, -1
	s_mov_b32 s5, 0
                                        ; implicit-def: $sgpr17
                                        ; implicit-def: $vgpr28
	s_mov_b32 s23, s16
	s_cbranch_execnz .LBB23_126
	s_branch .LBB23_139
.LBB23_124:                             ;   in Loop: Header=BB23_33 Depth=1
	s_set_inst_prefetch_distance 0x2
	s_or_b32 exec_lo, exec_lo, s5
	s_delay_alu instid0(SALU_CYCLE_1)
	s_and_b32 s5, s17, exec_lo
.LBB23_125:                             ;   in Loop: Header=BB23_33 Depth=1
	s_or_b32 exec_lo, exec_lo, s16
	s_mov_b32 s17, -1
	s_mov_b32 s16, 0
	s_delay_alu instid0(SALU_CYCLE_1)
	s_mov_b32 s23, s16
	s_branch .LBB23_139
.LBB23_126:                             ;   in Loop: Header=BB23_33 Depth=1
	s_add_u32 s23, s78, s14
	s_addc_u32 s17, s79, s15
	s_mov_b32 s16, s51
	s_delay_alu instid0(SALU_CYCLE_1)
	s_cmp_lg_u64 s[16:17], 0
	s_cbranch_scc0 .LBB23_169
; %bb.127:                              ;   in Loop: Header=BB23_33 Depth=1
	v_cvt_f32_u32_e32 v2, s33
	s_sub_u32 s24, 0, s33
	s_subb_u32 s50, 0, 0
	s_delay_alu instid0(VALU_DEP_1) | instskip(NEXT) | instid1(VALU_DEP_1)
	v_fmac_f32_e32 v2, 0x4f800000, v51
	v_rcp_f32_e32 v2, v2
	s_waitcnt_depctr 0xfff
	v_mul_f32_e32 v2, 0x5f7ffffc, v2
	s_delay_alu instid0(VALU_DEP_1) | instskip(NEXT) | instid1(VALU_DEP_1)
	v_mul_f32_e32 v3, 0x2f800000, v2
	v_trunc_f32_e32 v3, v3
	s_delay_alu instid0(VALU_DEP_1) | instskip(SKIP_1) | instid1(VALU_DEP_2)
	v_fmac_f32_e32 v2, 0xcf800000, v3
	v_cvt_u32_f32_e32 v3, v3
	v_cvt_u32_f32_e32 v2, v2
	s_delay_alu instid0(VALU_DEP_2) | instskip(NEXT) | instid1(VALU_DEP_2)
	v_readfirstlane_b32 s5, v3
	v_readfirstlane_b32 s16, v2
	s_delay_alu instid0(VALU_DEP_2) | instskip(NEXT) | instid1(VALU_DEP_1)
	s_mul_i32 s64, s24, s5
	s_mul_hi_u32 s66, s24, s16
	s_mul_i32 s65, s50, s16
	s_add_i32 s64, s66, s64
	s_mul_i32 s67, s24, s16
	s_add_i32 s64, s64, s65
	s_mul_hi_u32 s66, s16, s67
	s_mul_hi_u32 s68, s5, s67
	s_mul_i32 s65, s5, s67
	s_mul_hi_u32 s67, s16, s64
	s_mul_i32 s16, s16, s64
	s_mul_hi_u32 s69, s5, s64
	s_add_u32 s16, s66, s16
	s_addc_u32 s66, 0, s67
	s_add_u32 s16, s16, s65
	s_mul_i32 s64, s5, s64
	s_addc_u32 s16, s66, s68
	s_addc_u32 s65, s69, 0
	s_add_u32 s16, s16, s64
	s_addc_u32 s64, 0, s65
	v_add_co_u32 v2, s16, v2, s16
	s_delay_alu instid0(VALU_DEP_1) | instskip(SKIP_1) | instid1(VALU_DEP_1)
	s_cmp_lg_u32 s16, 0
	s_addc_u32 s5, s5, s64
	v_readfirstlane_b32 s16, v2
	s_mul_i32 s64, s24, s5
	s_delay_alu instid0(VALU_DEP_1)
	s_mul_hi_u32 s65, s24, s16
	s_mul_i32 s50, s50, s16
	s_add_i32 s64, s65, s64
	s_mul_i32 s24, s24, s16
	s_add_i32 s64, s64, s50
	s_mul_hi_u32 s65, s5, s24
	s_mul_i32 s66, s5, s24
	s_mul_hi_u32 s24, s16, s24
	s_mul_hi_u32 s67, s16, s64
	s_mul_i32 s16, s16, s64
	s_mul_hi_u32 s50, s5, s64
	s_add_u32 s16, s24, s16
	s_addc_u32 s24, 0, s67
	s_add_u32 s16, s16, s66
	s_mul_i32 s64, s5, s64
	s_addc_u32 s16, s24, s65
	s_addc_u32 s24, s50, 0
	s_add_u32 s16, s16, s64
	s_addc_u32 s24, 0, s24
	v_add_co_u32 v2, s16, v2, s16
	s_delay_alu instid0(VALU_DEP_1) | instskip(SKIP_2) | instid1(VALU_DEP_1)
	s_cmp_lg_u32 s16, 0
	s_addc_u32 s5, s5, s24
	s_ashr_i32 s64, s17, 31
	v_readfirstlane_b32 s16, v2
	s_add_u32 s66, s23, s64
	s_mov_b32 s65, s64
	s_addc_u32 s67, s17, s64
	s_delay_alu instid0(SALU_CYCLE_1) | instskip(NEXT) | instid1(SALU_CYCLE_1)
	s_xor_b64 s[66:67], s[66:67], s[64:65]
	s_mul_i32 s50, s66, s5
	s_mul_hi_u32 s65, s66, s16
	s_mul_hi_u32 s24, s66, s5
	;; [unrolled: 1-line block ×3, first 2 shown]
	s_mul_i32 s16, s67, s16
	s_add_u32 s50, s65, s50
	s_addc_u32 s24, 0, s24
	s_mul_hi_u32 s68, s67, s5
	s_add_u32 s16, s50, s16
	s_mul_i32 s5, s67, s5
	s_addc_u32 s16, s24, s69
	s_addc_u32 s24, s68, 0
	s_add_u32 s5, s16, s5
	s_addc_u32 s16, 0, s24
	s_mul_hi_u32 s24, s33, s5
	s_mul_i32 s5, s33, s5
	s_mul_i32 s16, s33, s16
	v_sub_co_u32 v2, s5, s66, s5
	s_add_i32 s24, s24, s16
	s_cmp_lg_u32 s5, 0
	s_delay_alu instid0(VALU_DEP_1) | instskip(SKIP_2) | instid1(VALU_DEP_1)
	v_sub_co_u32 v3, s5, v2, s33
	s_subb_u32 s16, s67, s24
	s_cmp_lg_u32 s5, 0
	v_cmp_le_u32_e32 vcc_lo, s33, v3
	v_sub_co_u32 v4, s5, v3, s33
	s_subb_u32 s24, s16, 0
	s_cmp_lg_u32 s5, 0
	v_cndmask_b32_e64 v5, 0, -1, vcc_lo
	s_subb_u32 s5, s24, 0
	s_cmp_eq_u32 s24, 0
	v_mov_b32_e32 v7, s5
	s_cselect_b32 vcc_lo, -1, 0
	s_cmp_eq_u32 s16, 0
	v_cndmask_b32_e32 v5, -1, v5, vcc_lo
	v_cmp_le_u32_e32 vcc_lo, s33, v2
	s_cselect_b32 s5, -1, 0
	v_cndmask_b32_e64 v6, 0, -1, vcc_lo
	s_delay_alu instid0(VALU_DEP_3) | instskip(NEXT) | instid1(VALU_DEP_2)
	v_cmp_ne_u32_e32 vcc_lo, 0, v5
	v_cndmask_b32_e64 v5, -1, v6, s5
	v_cndmask_b32_e32 v3, v3, v4, vcc_lo
	v_cndmask_b32_e32 v6, s24, v7, vcc_lo
	s_delay_alu instid0(VALU_DEP_3) | instskip(NEXT) | instid1(VALU_DEP_3)
	v_cmp_ne_u32_e32 vcc_lo, 0, v5
	v_cndmask_b32_e32 v2, v2, v3, vcc_lo
	s_delay_alu instid0(VALU_DEP_3) | instskip(NEXT) | instid1(VALU_DEP_2)
	v_cndmask_b32_e32 v4, s16, v6, vcc_lo
	v_xor_b32_e32 v2, s64, v2
	s_delay_alu instid0(VALU_DEP_2) | instskip(NEXT) | instid1(VALU_DEP_2)
	v_xor_b32_e32 v3, s64, v4
	v_sub_co_u32 v2, vcc_lo, v2, s64
	s_delay_alu instid0(VALU_DEP_2)
	v_subrev_co_ci_u32_e32 v3, vcc_lo, s64, v3, vcc_lo
	s_cbranch_execnz .LBB23_129
.LBB23_128:                             ;   in Loop: Header=BB23_33 Depth=1
	v_cvt_f32_u32_e32 v2, s33
	s_sub_i32 s5, 0, s33
	s_delay_alu instid0(VALU_DEP_1) | instskip(SKIP_2) | instid1(VALU_DEP_1)
	v_rcp_iflag_f32_e32 v2, v2
	s_waitcnt_depctr 0xfff
	v_mul_f32_e32 v2, 0x4f7ffffe, v2
	v_cvt_u32_f32_e32 v2, v2
	s_delay_alu instid0(VALU_DEP_1) | instskip(NEXT) | instid1(VALU_DEP_1)
	v_mul_lo_u32 v3, s5, v2
	v_mul_hi_u32 v3, v2, v3
	s_delay_alu instid0(VALU_DEP_1) | instskip(NEXT) | instid1(VALU_DEP_1)
	v_add_nc_u32_e32 v2, v2, v3
	v_mul_hi_u32 v2, s23, v2
	s_delay_alu instid0(VALU_DEP_1) | instskip(NEXT) | instid1(VALU_DEP_1)
	v_mul_lo_u32 v2, v2, s33
	v_sub_nc_u32_e32 v2, s23, v2
	s_delay_alu instid0(VALU_DEP_1) | instskip(SKIP_1) | instid1(VALU_DEP_2)
	v_subrev_nc_u32_e32 v3, s33, v2
	v_cmp_le_u32_e32 vcc_lo, s33, v2
	v_cndmask_b32_e32 v2, v2, v3, vcc_lo
	s_delay_alu instid0(VALU_DEP_1) | instskip(SKIP_1) | instid1(VALU_DEP_2)
	v_subrev_nc_u32_e32 v3, s33, v2
	v_cmp_le_u32_e32 vcc_lo, s33, v2
	v_cndmask_b32_e32 v12, v2, v3, vcc_lo
	s_delay_alu instid0(VALU_DEP_1)
	v_dual_mov_b32 v2, v12 :: v_dual_mov_b32 v3, v13
.LBB23_129:                             ;   in Loop: Header=BB23_33 Depth=1
	s_delay_alu instid0(VALU_DEP_1) | instskip(NEXT) | instid1(VALU_DEP_2)
	v_sub_co_u32 v2, vcc_lo, s23, v2
	v_sub_co_ci_u32_e32 v3, vcc_lo, s17, v3, vcc_lo
	s_mov_b32 s5, 0
	s_mov_b32 s16, exec_lo
                                        ; implicit-def: $vgpr28
	s_delay_alu instid0(VALU_DEP_1)
	v_cmpx_gt_i64_e64 v[2:3], v[0:1]
	s_cbranch_execz .LBB23_138
; %bb.130:                              ;   in Loop: Header=BB23_33 Depth=1
	v_dual_mov_b32 v6, v14 :: v_dual_mov_b32 v5, v1
	v_mov_b32_e32 v4, v0
                                        ; implicit-def: $sgpr17
	s_set_inst_prefetch_distance 0x1
	s_branch .LBB23_132
	.p2align	6
.LBB23_131:                             ;   in Loop: Header=BB23_132 Depth=2
	s_or_b32 exec_lo, exec_lo, s23
	s_waitcnt lgkmcnt(0)
	s_barrier
	buffer_gl0_inv
	ds_load_b64 v[27:28], v13 offset:3072
	v_add_co_u32 v4, vcc_lo, v4, s33
	v_add_co_ci_u32_e32 v5, vcc_lo, 0, v5, vcc_lo
	v_add_nc_u32_e32 v6, s86, v6
	s_waitcnt lgkmcnt(0)
	s_barrier
	s_delay_alu instid0(VALU_DEP_2) | instskip(SKIP_2) | instid1(VALU_DEP_1)
	v_cmp_ge_i64_e32 vcc_lo, v[4:5], v[2:3]
	buffer_gl0_inv
	v_readfirstlane_b32 s23, v27
	s_cmp_lg_u32 s23, 0
	s_cselect_b32 s23, -1, 0
	s_delay_alu instid0(SALU_CYCLE_1) | instskip(NEXT) | instid1(SALU_CYCLE_1)
	s_or_b32 s24, s23, vcc_lo
	s_and_b32 s24, exec_lo, s24
	s_delay_alu instid0(SALU_CYCLE_1) | instskip(SKIP_2) | instid1(SALU_CYCLE_1)
	s_or_b32 s5, s24, s5
	s_and_not1_b32 s17, s17, exec_lo
	s_and_b32 s23, s23, exec_lo
	s_or_b32 s17, s17, s23
	s_and_not1_b32 exec_lo, exec_lo, s5
	s_cbranch_execz .LBB23_137
.LBB23_132:                             ;   Parent Loop BB23_33 Depth=1
                                        ; =>  This Inner Loop Header: Depth=2
	s_delay_alu instid0(VALU_DEP_1)
	v_cmp_gt_i64_e32 vcc_lo, s[14:15], v[4:5]
	v_mov_b32_e32 v27, 0
	s_and_saveexec_b32 s23, vcc_lo
	s_cbranch_execz .LBB23_134
; %bb.133:                              ;   in Loop: Header=BB23_132 Depth=2
	ds_load_b32 v27, v6
.LBB23_134:                             ;   in Loop: Header=BB23_132 Depth=2
	s_or_b32 exec_lo, exec_lo, s23
	s_and_saveexec_b32 s23, vcc_lo
	s_cbranch_execz .LBB23_131
; %bb.135:                              ;   in Loop: Header=BB23_132 Depth=2
	s_waitcnt lgkmcnt(0)
	v_xor_b32_e32 v7, 0x80000000, v27
	s_delay_alu instid0(VALU_DEP_1) | instskip(NEXT) | instid1(VALU_DEP_1)
	v_and_b32_e32 v7, s96, v7
	v_cmp_eq_u32_e32 vcc_lo, s97, v7
	s_and_b32 exec_lo, exec_lo, vcc_lo
	s_cbranch_execz .LBB23_131
; %bb.136:                              ;   in Loop: Header=BB23_132 Depth=2
	ds_store_b64 v13, v[26:27] offset:3072
	s_branch .LBB23_131
.LBB23_137:                             ;   in Loop: Header=BB23_33 Depth=1
	s_set_inst_prefetch_distance 0x2
	s_or_b32 exec_lo, exec_lo, s5
	s_delay_alu instid0(SALU_CYCLE_1)
	s_and_b32 s5, s17, exec_lo
.LBB23_138:                             ;   in Loop: Header=BB23_33 Depth=1
	s_or_b32 exec_lo, exec_lo, s16
	s_mov_b32 s23, -1
	s_mov_b32 s16, 0
	s_mov_b32 s17, 0
.LBB23_139:                             ;   in Loop: Header=BB23_33 Depth=1
	s_and_not1_b32 s14, s93, exec_lo
	s_and_b32 s15, s16, exec_lo
	s_and_not1_b32 s16, s94, exec_lo
	s_or_b32 s93, s14, s15
	s_and_not1_b32 s14, s95, exec_lo
	s_and_b32 s15, s23, exec_lo
	s_and_b32 s17, s17, exec_lo
	s_or_b32 s95, s14, s15
	s_or_b32 s94, s16, s17
	s_and_saveexec_b32 s16, s5
	s_cbranch_execz .LBB23_32
; %bb.140:                              ;   in Loop: Header=BB23_33 Depth=1
	s_xor_b32 s5, s22, -1
	s_delay_alu instid0(SALU_CYCLE_1)
	s_and_not1_b32 vcc_lo, exec_lo, s5
	s_mov_b32 s5, 1
	s_cbranch_vccnz .LBB23_151
; %bb.141:                              ;   in Loop: Header=BB23_33 Depth=1
	v_cmp_gt_i64_e64 s5, s[38:39], s[12:13]
	s_mov_b32 s14, -1
                                        ; implicit-def: $sgpr15
                                        ; implicit-def: $sgpr17
	s_delay_alu instid0(VALU_DEP_1)
	s_and_b32 vcc_lo, exec_lo, s5
                                        ; implicit-def: $sgpr5
	s_cbranch_vccnz .LBB23_147
; %bb.142:                              ;   in Loop: Header=BB23_33 Depth=1
	ds_load_b64 v[2:3], v13 offset:5120
	s_waitcnt lgkmcnt(0)
	v_cmp_ne_u64_e32 vcc_lo, 0, v[2:3]
	s_cbranch_vccnz .LBB23_146
; %bb.143:                              ;   in Loop: Header=BB23_33 Depth=1
	s_and_saveexec_b32 s5, s0
	s_cbranch_execz .LBB23_145
; %bb.144:                              ;   in Loop: Header=BB23_33 Depth=1
	v_dual_mov_b32 v2, s12 :: v_dual_mov_b32 v3, s13
	ds_store_b64 v13, v[2:3] offset:5128
.LBB23_145:                             ;   in Loop: Header=BB23_33 Depth=1
	s_or_b32 exec_lo, exec_lo, s5
	s_waitcnt lgkmcnt(0)
	s_barrier
	buffer_gl0_inv
.LBB23_146:                             ;   in Loop: Header=BB23_33 Depth=1
	s_and_b32 s15, s97, s20
	s_or_b32 s17, s96, s18
	s_mov_b32 s14, 0
	s_mov_b32 s5, 8
.LBB23_147:                             ;   in Loop: Header=BB23_33 Depth=1
	s_and_not1_b32 vcc_lo, exec_lo, s14
	s_cbranch_vccnz .LBB23_149
; %bb.148:                              ;   in Loop: Header=BB23_33 Depth=1
	s_sub_u32 s38, s38, s12
	s_subb_u32 s39, s39, s13
	s_mov_b32 s14, -1
	s_mov_b32 s5, 0
	s_mov_b32 s15, s97
	;; [unrolled: 1-line block ×3, first 2 shown]
.LBB23_149:                             ;   in Loop: Header=BB23_33 Depth=1
	s_delay_alu instid0(SALU_CYCLE_1)
	s_mov_b32 s96, s17
	s_mov_b32 s97, s15
	s_and_b32 vcc_lo, exec_lo, s14
	s_mov_b32 s17, -1
	s_cbranch_vccnz .LBB23_152
.LBB23_150:                             ;   in Loop: Header=BB23_33 Depth=1
	s_mov_b32 s12, -1
                                        ; implicit-def: $sgpr14
                                        ; implicit-def: $sgpr21
                                        ; implicit-def: $sgpr15
	s_delay_alu instid0(SALU_CYCLE_1) | instskip(NEXT) | instid1(SALU_CYCLE_1)
	s_and_saveexec_b32 s6, s12
	s_xor_b32 s6, exec_lo, s6
	s_cbranch_execz .LBB23_31
	s_branch .LBB23_298
.LBB23_151:                             ;   in Loop: Header=BB23_33 Depth=1
	s_mov_b64 s[38:39], 1
	s_mov_b32 s17, -1
	s_branch .LBB23_150
.LBB23_152:                             ;   in Loop: Header=BB23_33 Depth=1
	s_cmp_eq_u64 s[10:11], 1
	s_mov_b32 s24, -1
	s_cselect_b32 s5, -1, 0
	s_cmp_eq_u64 s[38:39], 1
	s_cselect_b32 s12, -1, 0
	s_delay_alu instid0(SALU_CYCLE_1) | instskip(NEXT) | instid1(SALU_CYCLE_1)
	s_and_b32 s23, s5, s12
	s_and_b32 vcc_lo, exec_lo, s23
	s_cbranch_vccz .LBB23_167
; %bb.153:                              ;   in Loop: Header=BB23_33 Depth=1
	ds_load_b64 v[2:3], v13 offset:5120
	s_waitcnt lgkmcnt(0)
	s_barrier
	buffer_gl0_inv
	v_readfirstlane_b32 s12, v2
	v_readfirstlane_b32 s13, v3
	s_and_saveexec_b32 s5, s3
	s_cbranch_execz .LBB23_155
; %bb.154:                              ;   in Loop: Header=BB23_33 Depth=1
	ds_store_b32 v44, v13
.LBB23_155:                             ;   in Loop: Header=BB23_33 Depth=1
	s_or_b32 exec_lo, exec_lo, s5
	s_delay_alu instid0(VALU_DEP_1)
	v_cmp_gt_i64_e64 s15, s[12:13], 0
	s_lshl_b32 s5, 1, s19
	s_and_b32 s14, s97, s20
	s_or_b32 s96, s96, s18
	s_or_b32 s97, s14, s5
	s_waitcnt lgkmcnt(0)
	s_and_b32 vcc_lo, exec_lo, s15
	s_barrier
	buffer_gl0_inv
	s_cbranch_vccnz .LBB23_170
; %bb.156:                              ;   in Loop: Header=BB23_33 Depth=1
	s_mov_b32 s24, s51
	s_delay_alu instid0(SALU_CYCLE_1)
	s_cmp_lg_u64 s[24:25], 0
	s_cbranch_scc0 .LBB23_215
; %bb.157:                              ;   in Loop: Header=BB23_33 Depth=1
	v_cvt_f32_u32_e32 v2, s33
	s_sub_u32 s15, 0, s33
	s_subb_u32 s21, 0, 0
	s_delay_alu instid0(VALU_DEP_1) | instskip(NEXT) | instid1(VALU_DEP_1)
	v_fmac_f32_e32 v2, 0x4f800000, v51
	v_rcp_f32_e32 v2, v2
	s_waitcnt_depctr 0xfff
	v_mul_f32_e32 v2, 0x5f7ffffc, v2
	s_delay_alu instid0(VALU_DEP_1) | instskip(NEXT) | instid1(VALU_DEP_1)
	v_mul_f32_e32 v3, 0x2f800000, v2
	v_trunc_f32_e32 v3, v3
	s_delay_alu instid0(VALU_DEP_1) | instskip(SKIP_1) | instid1(VALU_DEP_2)
	v_fmac_f32_e32 v2, 0xcf800000, v3
	v_cvt_u32_f32_e32 v3, v3
	v_cvt_u32_f32_e32 v2, v2
	s_delay_alu instid0(VALU_DEP_2) | instskip(NEXT) | instid1(VALU_DEP_2)
	v_readfirstlane_b32 s5, v3
	v_readfirstlane_b32 s14, v2
	s_delay_alu instid0(VALU_DEP_2) | instskip(NEXT) | instid1(VALU_DEP_1)
	s_mul_i32 s22, s15, s5
	s_mul_hi_u32 s50, s15, s14
	s_mul_i32 s24, s21, s14
	s_add_i32 s22, s50, s22
	s_mul_i32 s64, s15, s14
	s_add_i32 s22, s22, s24
	s_mul_hi_u32 s50, s14, s64
	s_mul_hi_u32 s65, s5, s64
	s_mul_i32 s24, s5, s64
	s_mul_hi_u32 s64, s14, s22
	s_mul_i32 s14, s14, s22
	s_mul_hi_u32 s66, s5, s22
	s_add_u32 s14, s50, s14
	s_addc_u32 s50, 0, s64
	s_add_u32 s14, s14, s24
	s_mul_i32 s22, s5, s22
	s_addc_u32 s14, s50, s65
	s_addc_u32 s24, s66, 0
	s_add_u32 s14, s14, s22
	s_addc_u32 s22, 0, s24
	v_add_co_u32 v2, s14, v2, s14
	s_delay_alu instid0(VALU_DEP_1) | instskip(SKIP_1) | instid1(VALU_DEP_1)
	s_cmp_lg_u32 s14, 0
	s_addc_u32 s5, s5, s22
	v_readfirstlane_b32 s14, v2
	s_mul_i32 s22, s15, s5
	s_delay_alu instid0(VALU_DEP_1)
	s_mul_hi_u32 s24, s15, s14
	s_mul_i32 s21, s21, s14
	s_add_i32 s22, s24, s22
	s_mul_i32 s15, s15, s14
	s_add_i32 s22, s22, s21
	s_mul_hi_u32 s24, s5, s15
	s_mul_i32 s50, s5, s15
	s_mul_hi_u32 s15, s14, s15
	s_mul_hi_u32 s64, s14, s22
	s_mul_i32 s14, s14, s22
	s_mul_hi_u32 s21, s5, s22
	s_add_u32 s14, s15, s14
	s_addc_u32 s15, 0, s64
	s_add_u32 s14, s14, s50
	s_mul_i32 s22, s5, s22
	s_addc_u32 s14, s15, s24
	s_addc_u32 s15, s21, 0
	s_add_u32 s14, s14, s22
	s_addc_u32 s15, 0, s15
	v_add_co_u32 v2, s14, v2, s14
	s_delay_alu instid0(VALU_DEP_1) | instskip(SKIP_2) | instid1(VALU_DEP_1)
	s_cmp_lg_u32 s14, 0
	s_addc_u32 s5, s5, s15
	s_ashr_i32 s14, s25, 31
	v_readfirstlane_b32 s21, v2
	s_add_u32 s64, s80, s14
	s_mov_b32 s15, s14
	s_addc_u32 s65, s25, s14
	s_delay_alu instid0(SALU_CYCLE_1) | instskip(NEXT) | instid1(SALU_CYCLE_1)
	s_xor_b64 s[64:65], s[64:65], s[14:15]
	s_mul_i32 s22, s64, s5
	s_mul_hi_u32 s24, s64, s21
	s_mul_hi_u32 s15, s64, s5
	;; [unrolled: 1-line block ×3, first 2 shown]
	s_mul_i32 s21, s65, s21
	s_add_u32 s22, s24, s22
	s_addc_u32 s15, 0, s15
	s_mul_hi_u32 s50, s65, s5
	s_add_u32 s21, s22, s21
	s_mul_i32 s5, s65, s5
	s_addc_u32 s15, s15, s66
	s_addc_u32 s21, s50, 0
	s_add_u32 s5, s15, s5
	s_addc_u32 s15, 0, s21
	s_mul_hi_u32 s21, s33, s5
	s_mul_i32 s5, s33, s5
	s_mul_i32 s15, s33, s15
	v_sub_co_u32 v2, s5, s64, s5
	s_add_i32 s21, s21, s15
	s_cmp_lg_u32 s5, 0
	s_delay_alu instid0(VALU_DEP_1) | instskip(SKIP_2) | instid1(VALU_DEP_1)
	v_sub_co_u32 v3, s5, v2, s33
	s_subb_u32 s15, s65, s21
	s_cmp_lg_u32 s5, 0
	v_cmp_le_u32_e32 vcc_lo, s33, v3
	v_sub_co_u32 v4, s5, v3, s33
	s_subb_u32 s21, s15, 0
	s_cmp_lg_u32 s5, 0
	v_cndmask_b32_e64 v5, 0, -1, vcc_lo
	s_subb_u32 s5, s21, 0
	s_cmp_eq_u32 s21, 0
	v_mov_b32_e32 v7, s5
	s_cselect_b32 vcc_lo, -1, 0
	s_cmp_eq_u32 s15, 0
	v_cndmask_b32_e32 v5, -1, v5, vcc_lo
	v_cmp_le_u32_e32 vcc_lo, s33, v2
	s_cselect_b32 s5, -1, 0
	v_cndmask_b32_e64 v6, 0, -1, vcc_lo
	s_delay_alu instid0(VALU_DEP_3) | instskip(NEXT) | instid1(VALU_DEP_2)
	v_cmp_ne_u32_e32 vcc_lo, 0, v5
	v_cndmask_b32_e64 v5, -1, v6, s5
	v_cndmask_b32_e32 v3, v3, v4, vcc_lo
	v_cndmask_b32_e32 v6, s21, v7, vcc_lo
	s_delay_alu instid0(VALU_DEP_3) | instskip(NEXT) | instid1(VALU_DEP_3)
	v_cmp_ne_u32_e32 vcc_lo, 0, v5
	v_cndmask_b32_e32 v2, v2, v3, vcc_lo
	s_delay_alu instid0(VALU_DEP_3) | instskip(NEXT) | instid1(VALU_DEP_2)
	v_cndmask_b32_e32 v4, s15, v6, vcc_lo
	v_xor_b32_e32 v2, s14, v2
	s_delay_alu instid0(VALU_DEP_2) | instskip(NEXT) | instid1(VALU_DEP_2)
	v_xor_b32_e32 v3, s14, v4
	v_sub_co_u32 v2, vcc_lo, v2, s14
	s_delay_alu instid0(VALU_DEP_2)
	v_subrev_co_ci_u32_e32 v3, vcc_lo, s14, v3, vcc_lo
	s_cbranch_execnz .LBB23_159
.LBB23_158:                             ;   in Loop: Header=BB23_33 Depth=1
	v_cvt_f32_u32_e32 v2, s33
	s_sub_i32 s5, 0, s33
	s_delay_alu instid0(VALU_DEP_1) | instskip(SKIP_2) | instid1(VALU_DEP_1)
	v_rcp_iflag_f32_e32 v2, v2
	s_waitcnt_depctr 0xfff
	v_mul_f32_e32 v2, 0x4f7ffffe, v2
	v_cvt_u32_f32_e32 v2, v2
	s_delay_alu instid0(VALU_DEP_1) | instskip(NEXT) | instid1(VALU_DEP_1)
	v_mul_lo_u32 v3, s5, v2
	v_mul_hi_u32 v3, v2, v3
	s_delay_alu instid0(VALU_DEP_1) | instskip(NEXT) | instid1(VALU_DEP_1)
	v_add_nc_u32_e32 v2, v2, v3
	v_mul_hi_u32 v2, s80, v2
	s_delay_alu instid0(VALU_DEP_1) | instskip(NEXT) | instid1(VALU_DEP_1)
	v_mul_lo_u32 v2, v2, s33
	v_sub_nc_u32_e32 v2, s80, v2
	s_delay_alu instid0(VALU_DEP_1) | instskip(SKIP_1) | instid1(VALU_DEP_2)
	v_subrev_nc_u32_e32 v3, s33, v2
	v_cmp_le_u32_e32 vcc_lo, s33, v2
	v_cndmask_b32_e32 v2, v2, v3, vcc_lo
	s_delay_alu instid0(VALU_DEP_1) | instskip(SKIP_1) | instid1(VALU_DEP_2)
	v_subrev_nc_u32_e32 v3, s33, v2
	v_cmp_le_u32_e32 vcc_lo, s33, v2
	v_cndmask_b32_e32 v12, v2, v3, vcc_lo
	s_delay_alu instid0(VALU_DEP_1)
	v_dual_mov_b32 v2, v12 :: v_dual_mov_b32 v3, v13
.LBB23_159:                             ;   in Loop: Header=BB23_33 Depth=1
	s_delay_alu instid0(VALU_DEP_1) | instskip(NEXT) | instid1(VALU_DEP_2)
	v_sub_co_u32 v2, vcc_lo, s80, v2
	v_sub_co_ci_u32_e32 v3, vcc_lo, s25, v3, vcc_lo
	s_mov_b32 s24, 0
	s_mov_b32 s5, exec_lo
                                        ; implicit-def: $vgpr28
	s_delay_alu instid0(VALU_DEP_1)
	v_cmpx_gt_i64_e64 v[2:3], v[0:1]
	s_cbranch_execz .LBB23_172
; %bb.160:                              ;   in Loop: Header=BB23_33 Depth=1
	v_dual_mov_b32 v4, v10 :: v_dual_mov_b32 v5, v11
	v_dual_mov_b32 v7, v1 :: v_dual_mov_b32 v6, v0
	s_mov_b32 s14, 0
                                        ; implicit-def: $sgpr15
	s_set_inst_prefetch_distance 0x1
	s_branch .LBB23_162
	.p2align	6
.LBB23_161:                             ;   in Loop: Header=BB23_162 Depth=2
	s_or_b32 exec_lo, exec_lo, s21
	s_waitcnt vmcnt(0) lgkmcnt(0)
	s_barrier
	buffer_gl0_inv
	ds_load_b64 v[27:28], v13 offset:3072
	v_add_co_u32 v6, vcc_lo, v6, s33
	v_add_co_ci_u32_e32 v7, vcc_lo, 0, v7, vcc_lo
	s_waitcnt lgkmcnt(0)
	s_barrier
	buffer_gl0_inv
	v_cmp_ge_i64_e32 vcc_lo, v[6:7], v[2:3]
	v_readfirstlane_b32 s21, v27
	s_delay_alu instid0(VALU_DEP_1) | instskip(SKIP_1) | instid1(SALU_CYCLE_1)
	s_cmp_lg_u32 s21, 0
	s_cselect_b32 s21, -1, 0
	s_or_b32 s22, s21, vcc_lo
	v_add_co_u32 v4, vcc_lo, v4, s52
	s_and_b32 s22, exec_lo, s22
	v_add_co_ci_u32_e32 v5, vcc_lo, s53, v5, vcc_lo
	s_or_b32 s14, s22, s14
	s_and_not1_b32 s15, s15, exec_lo
	s_and_b32 s21, s21, exec_lo
	s_delay_alu instid0(SALU_CYCLE_1)
	s_or_b32 s15, s15, s21
	s_and_not1_b32 exec_lo, exec_lo, s14
	s_cbranch_execz .LBB23_171
.LBB23_162:                             ;   Parent Loop BB23_33 Depth=1
                                        ; =>  This Inner Loop Header: Depth=2
	s_delay_alu instid0(VALU_DEP_1)
	v_cmp_gt_i64_e32 vcc_lo, s[36:37], v[6:7]
	v_mov_b32_e32 v27, 0
	s_and_saveexec_b32 s21, vcc_lo
	s_cbranch_execz .LBB23_164
; %bb.163:                              ;   in Loop: Header=BB23_162 Depth=2
	global_load_b32 v27, v[4:5], off
.LBB23_164:                             ;   in Loop: Header=BB23_162 Depth=2
	s_or_b32 exec_lo, exec_lo, s21
	s_and_saveexec_b32 s21, vcc_lo
	s_cbranch_execz .LBB23_161
; %bb.165:                              ;   in Loop: Header=BB23_162 Depth=2
	s_waitcnt vmcnt(0)
	v_xor_b32_e32 v8, 0x80000000, v27
	s_delay_alu instid0(VALU_DEP_1) | instskip(NEXT) | instid1(VALU_DEP_1)
	v_and_b32_e32 v8, s96, v8
	v_cmp_eq_u32_e32 vcc_lo, s97, v8
	s_and_b32 exec_lo, exec_lo, vcc_lo
	s_cbranch_execz .LBB23_161
; %bb.166:                              ;   in Loop: Header=BB23_162 Depth=2
	ds_store_b64 v13, v[26:27] offset:3072
	s_branch .LBB23_161
.LBB23_167:                             ;   in Loop: Header=BB23_33 Depth=1
                                        ; implicit-def: $sgpr15
                                        ; implicit-def: $sgpr21
                                        ; implicit-def: $sgpr14
	s_branch .LBB23_186
.LBB23_168:                             ;   in Loop: Header=BB23_33 Depth=1
                                        ; implicit-def: $vgpr2_vgpr3
	s_branch .LBB23_113
.LBB23_169:                             ;   in Loop: Header=BB23_33 Depth=1
                                        ; implicit-def: $vgpr2_vgpr3
	s_branch .LBB23_128
.LBB23_170:                             ;   in Loop: Header=BB23_33 Depth=1
	s_mov_b32 s15, -1
	s_mov_b32 s24, 0
                                        ; implicit-def: $sgpr14
                                        ; implicit-def: $vgpr28
	s_mov_b32 s21, s15
	s_cbranch_execnz .LBB23_173
	s_branch .LBB23_186
.LBB23_171:                             ;   in Loop: Header=BB23_33 Depth=1
	s_set_inst_prefetch_distance 0x2
	s_or_b32 exec_lo, exec_lo, s14
	s_delay_alu instid0(SALU_CYCLE_1)
	s_and_b32 s24, s15, exec_lo
.LBB23_172:                             ;   in Loop: Header=BB23_33 Depth=1
	s_or_b32 exec_lo, exec_lo, s5
	s_mov_b32 s14, -1
	s_mov_b32 s15, 0
	s_delay_alu instid0(SALU_CYCLE_1)
	s_mov_b32 s21, s15
	s_branch .LBB23_186
.LBB23_173:                             ;   in Loop: Header=BB23_33 Depth=1
	s_add_u32 s21, s78, s12
	s_addc_u32 s15, s79, s13
	s_mov_b32 s14, s51
	s_delay_alu instid0(SALU_CYCLE_1)
	s_cmp_lg_u64 s[14:15], 0
	s_cbranch_scc0 .LBB23_216
; %bb.174:                              ;   in Loop: Header=BB23_33 Depth=1
	v_cvt_f32_u32_e32 v2, s33
	s_sub_u32 s22, 0, s33
	s_subb_u32 s24, 0, 0
	s_delay_alu instid0(VALU_DEP_1) | instskip(NEXT) | instid1(VALU_DEP_1)
	v_fmac_f32_e32 v2, 0x4f800000, v51
	v_rcp_f32_e32 v2, v2
	s_waitcnt_depctr 0xfff
	v_mul_f32_e32 v2, 0x5f7ffffc, v2
	s_delay_alu instid0(VALU_DEP_1) | instskip(NEXT) | instid1(VALU_DEP_1)
	v_mul_f32_e32 v3, 0x2f800000, v2
	v_trunc_f32_e32 v3, v3
	s_delay_alu instid0(VALU_DEP_1) | instskip(SKIP_1) | instid1(VALU_DEP_2)
	v_fmac_f32_e32 v2, 0xcf800000, v3
	v_cvt_u32_f32_e32 v3, v3
	v_cvt_u32_f32_e32 v2, v2
	s_delay_alu instid0(VALU_DEP_2) | instskip(NEXT) | instid1(VALU_DEP_2)
	v_readfirstlane_b32 s5, v3
	v_readfirstlane_b32 s14, v2
	s_delay_alu instid0(VALU_DEP_2) | instskip(NEXT) | instid1(VALU_DEP_1)
	s_mul_i32 s50, s22, s5
	s_mul_hi_u32 s65, s22, s14
	s_mul_i32 s64, s24, s14
	s_add_i32 s50, s65, s50
	s_mul_i32 s66, s22, s14
	s_add_i32 s50, s50, s64
	s_mul_hi_u32 s65, s14, s66
	s_mul_hi_u32 s67, s5, s66
	s_mul_i32 s64, s5, s66
	s_mul_hi_u32 s66, s14, s50
	s_mul_i32 s14, s14, s50
	s_mul_hi_u32 s68, s5, s50
	s_add_u32 s14, s65, s14
	s_addc_u32 s65, 0, s66
	s_add_u32 s14, s14, s64
	s_mul_i32 s50, s5, s50
	s_addc_u32 s14, s65, s67
	s_addc_u32 s64, s68, 0
	s_add_u32 s14, s14, s50
	s_addc_u32 s50, 0, s64
	v_add_co_u32 v2, s14, v2, s14
	s_delay_alu instid0(VALU_DEP_1) | instskip(SKIP_1) | instid1(VALU_DEP_1)
	s_cmp_lg_u32 s14, 0
	s_addc_u32 s5, s5, s50
	v_readfirstlane_b32 s14, v2
	s_mul_i32 s50, s22, s5
	s_delay_alu instid0(VALU_DEP_1)
	s_mul_hi_u32 s64, s22, s14
	s_mul_i32 s24, s24, s14
	s_add_i32 s50, s64, s50
	s_mul_i32 s22, s22, s14
	s_add_i32 s50, s50, s24
	s_mul_hi_u32 s64, s5, s22
	s_mul_i32 s65, s5, s22
	s_mul_hi_u32 s22, s14, s22
	s_mul_hi_u32 s66, s14, s50
	s_mul_i32 s14, s14, s50
	s_mul_hi_u32 s24, s5, s50
	s_add_u32 s14, s22, s14
	s_addc_u32 s22, 0, s66
	s_add_u32 s14, s14, s65
	s_mul_i32 s50, s5, s50
	s_addc_u32 s14, s22, s64
	s_addc_u32 s22, s24, 0
	s_add_u32 s14, s14, s50
	s_addc_u32 s22, 0, s22
	v_add_co_u32 v2, s14, v2, s14
	s_delay_alu instid0(VALU_DEP_1) | instskip(SKIP_2) | instid1(VALU_DEP_1)
	s_cmp_lg_u32 s14, 0
	s_addc_u32 s5, s5, s22
	s_ashr_i32 s64, s15, 31
	v_readfirstlane_b32 s14, v2
	s_add_u32 s66, s21, s64
	s_mov_b32 s65, s64
	s_addc_u32 s67, s15, s64
	s_delay_alu instid0(SALU_CYCLE_1) | instskip(NEXT) | instid1(SALU_CYCLE_1)
	s_xor_b64 s[66:67], s[66:67], s[64:65]
	s_mul_i32 s24, s66, s5
	s_mul_hi_u32 s50, s66, s14
	s_mul_hi_u32 s22, s66, s5
	;; [unrolled: 1-line block ×3, first 2 shown]
	s_mul_i32 s14, s67, s14
	s_add_u32 s24, s50, s24
	s_addc_u32 s22, 0, s22
	s_mul_hi_u32 s65, s67, s5
	s_add_u32 s14, s24, s14
	s_mul_i32 s5, s67, s5
	s_addc_u32 s14, s22, s68
	s_addc_u32 s22, s65, 0
	s_add_u32 s5, s14, s5
	s_addc_u32 s14, 0, s22
	s_mul_hi_u32 s22, s33, s5
	s_mul_i32 s5, s33, s5
	s_mul_i32 s14, s33, s14
	v_sub_co_u32 v2, s5, s66, s5
	s_add_i32 s22, s22, s14
	s_cmp_lg_u32 s5, 0
	s_delay_alu instid0(VALU_DEP_1) | instskip(SKIP_2) | instid1(VALU_DEP_1)
	v_sub_co_u32 v3, s5, v2, s33
	s_subb_u32 s14, s67, s22
	s_cmp_lg_u32 s5, 0
	v_cmp_le_u32_e32 vcc_lo, s33, v3
	v_sub_co_u32 v4, s5, v3, s33
	s_subb_u32 s22, s14, 0
	s_cmp_lg_u32 s5, 0
	v_cndmask_b32_e64 v5, 0, -1, vcc_lo
	s_subb_u32 s5, s22, 0
	s_cmp_eq_u32 s22, 0
	v_mov_b32_e32 v7, s5
	s_cselect_b32 vcc_lo, -1, 0
	s_cmp_eq_u32 s14, 0
	v_cndmask_b32_e32 v5, -1, v5, vcc_lo
	v_cmp_le_u32_e32 vcc_lo, s33, v2
	s_cselect_b32 s5, -1, 0
	v_cndmask_b32_e64 v6, 0, -1, vcc_lo
	s_delay_alu instid0(VALU_DEP_3) | instskip(NEXT) | instid1(VALU_DEP_2)
	v_cmp_ne_u32_e32 vcc_lo, 0, v5
	v_cndmask_b32_e64 v5, -1, v6, s5
	v_cndmask_b32_e32 v3, v3, v4, vcc_lo
	v_cndmask_b32_e32 v6, s22, v7, vcc_lo
	s_delay_alu instid0(VALU_DEP_3) | instskip(NEXT) | instid1(VALU_DEP_3)
	v_cmp_ne_u32_e32 vcc_lo, 0, v5
	v_cndmask_b32_e32 v2, v2, v3, vcc_lo
	s_delay_alu instid0(VALU_DEP_3) | instskip(NEXT) | instid1(VALU_DEP_2)
	v_cndmask_b32_e32 v4, s14, v6, vcc_lo
	v_xor_b32_e32 v2, s64, v2
	s_delay_alu instid0(VALU_DEP_2) | instskip(NEXT) | instid1(VALU_DEP_2)
	v_xor_b32_e32 v3, s64, v4
	v_sub_co_u32 v2, vcc_lo, v2, s64
	s_delay_alu instid0(VALU_DEP_2)
	v_subrev_co_ci_u32_e32 v3, vcc_lo, s64, v3, vcc_lo
	s_cbranch_execnz .LBB23_176
.LBB23_175:                             ;   in Loop: Header=BB23_33 Depth=1
	v_cvt_f32_u32_e32 v2, s33
	s_sub_i32 s5, 0, s33
	s_delay_alu instid0(VALU_DEP_1) | instskip(SKIP_2) | instid1(VALU_DEP_1)
	v_rcp_iflag_f32_e32 v2, v2
	s_waitcnt_depctr 0xfff
	v_mul_f32_e32 v2, 0x4f7ffffe, v2
	v_cvt_u32_f32_e32 v2, v2
	s_delay_alu instid0(VALU_DEP_1) | instskip(NEXT) | instid1(VALU_DEP_1)
	v_mul_lo_u32 v3, s5, v2
	v_mul_hi_u32 v3, v2, v3
	s_delay_alu instid0(VALU_DEP_1) | instskip(NEXT) | instid1(VALU_DEP_1)
	v_add_nc_u32_e32 v2, v2, v3
	v_mul_hi_u32 v2, s21, v2
	s_delay_alu instid0(VALU_DEP_1) | instskip(NEXT) | instid1(VALU_DEP_1)
	v_mul_lo_u32 v2, v2, s33
	v_sub_nc_u32_e32 v2, s21, v2
	s_delay_alu instid0(VALU_DEP_1) | instskip(SKIP_1) | instid1(VALU_DEP_2)
	v_subrev_nc_u32_e32 v3, s33, v2
	v_cmp_le_u32_e32 vcc_lo, s33, v2
	v_cndmask_b32_e32 v2, v2, v3, vcc_lo
	s_delay_alu instid0(VALU_DEP_1) | instskip(SKIP_1) | instid1(VALU_DEP_2)
	v_subrev_nc_u32_e32 v3, s33, v2
	v_cmp_le_u32_e32 vcc_lo, s33, v2
	v_cndmask_b32_e32 v12, v2, v3, vcc_lo
	s_delay_alu instid0(VALU_DEP_1)
	v_dual_mov_b32 v2, v12 :: v_dual_mov_b32 v3, v13
.LBB23_176:                             ;   in Loop: Header=BB23_33 Depth=1
	s_delay_alu instid0(VALU_DEP_1) | instskip(NEXT) | instid1(VALU_DEP_2)
	v_sub_co_u32 v2, vcc_lo, s21, v2
	v_sub_co_ci_u32_e32 v3, vcc_lo, s15, v3, vcc_lo
	s_mov_b32 s24, 0
	s_mov_b32 s5, exec_lo
                                        ; implicit-def: $vgpr28
	s_delay_alu instid0(VALU_DEP_1)
	v_cmpx_gt_i64_e64 v[2:3], v[0:1]
	s_cbranch_execz .LBB23_185
; %bb.177:                              ;   in Loop: Header=BB23_33 Depth=1
	v_dual_mov_b32 v6, v14 :: v_dual_mov_b32 v5, v1
	v_mov_b32_e32 v4, v0
	s_mov_b32 s14, 0
                                        ; implicit-def: $sgpr15
	s_set_inst_prefetch_distance 0x1
	s_branch .LBB23_179
	.p2align	6
.LBB23_178:                             ;   in Loop: Header=BB23_179 Depth=2
	s_or_b32 exec_lo, exec_lo, s21
	s_waitcnt lgkmcnt(0)
	s_barrier
	buffer_gl0_inv
	ds_load_b64 v[27:28], v13 offset:3072
	v_add_co_u32 v4, vcc_lo, v4, s33
	v_add_co_ci_u32_e32 v5, vcc_lo, 0, v5, vcc_lo
	v_add_nc_u32_e32 v6, s86, v6
	s_waitcnt lgkmcnt(0)
	s_barrier
	s_delay_alu instid0(VALU_DEP_2) | instskip(SKIP_2) | instid1(VALU_DEP_1)
	v_cmp_ge_i64_e32 vcc_lo, v[4:5], v[2:3]
	buffer_gl0_inv
	v_readfirstlane_b32 s21, v27
	s_cmp_lg_u32 s21, 0
	s_cselect_b32 s21, -1, 0
	s_delay_alu instid0(SALU_CYCLE_1) | instskip(NEXT) | instid1(SALU_CYCLE_1)
	s_or_b32 s22, s21, vcc_lo
	s_and_b32 s22, exec_lo, s22
	s_delay_alu instid0(SALU_CYCLE_1) | instskip(SKIP_2) | instid1(SALU_CYCLE_1)
	s_or_b32 s14, s22, s14
	s_and_not1_b32 s15, s15, exec_lo
	s_and_b32 s21, s21, exec_lo
	s_or_b32 s15, s15, s21
	s_and_not1_b32 exec_lo, exec_lo, s14
	s_cbranch_execz .LBB23_184
.LBB23_179:                             ;   Parent Loop BB23_33 Depth=1
                                        ; =>  This Inner Loop Header: Depth=2
	s_delay_alu instid0(VALU_DEP_1)
	v_cmp_gt_i64_e32 vcc_lo, s[12:13], v[4:5]
	v_mov_b32_e32 v27, 0
	s_and_saveexec_b32 s21, vcc_lo
	s_cbranch_execz .LBB23_181
; %bb.180:                              ;   in Loop: Header=BB23_179 Depth=2
	ds_load_b32 v27, v6
.LBB23_181:                             ;   in Loop: Header=BB23_179 Depth=2
	s_or_b32 exec_lo, exec_lo, s21
	s_and_saveexec_b32 s21, vcc_lo
	s_cbranch_execz .LBB23_178
; %bb.182:                              ;   in Loop: Header=BB23_179 Depth=2
	s_waitcnt lgkmcnt(0)
	v_xor_b32_e32 v7, 0x80000000, v27
	s_delay_alu instid0(VALU_DEP_1) | instskip(NEXT) | instid1(VALU_DEP_1)
	v_and_b32_e32 v7, s96, v7
	v_cmp_eq_u32_e32 vcc_lo, s97, v7
	s_and_b32 exec_lo, exec_lo, vcc_lo
	s_cbranch_execz .LBB23_178
; %bb.183:                              ;   in Loop: Header=BB23_179 Depth=2
	ds_store_b64 v13, v[26:27] offset:3072
	s_branch .LBB23_178
.LBB23_184:                             ;   in Loop: Header=BB23_33 Depth=1
	s_set_inst_prefetch_distance 0x2
	s_or_b32 exec_lo, exec_lo, s14
	s_delay_alu instid0(SALU_CYCLE_1)
	s_and_b32 s24, s15, exec_lo
.LBB23_185:                             ;   in Loop: Header=BB23_33 Depth=1
	s_or_b32 exec_lo, exec_lo, s5
	s_mov_b32 s21, -1
	s_mov_b32 s15, 0
	s_mov_b32 s14, 0
.LBB23_186:                             ;   in Loop: Header=BB23_33 Depth=1
	s_mov_b32 s12, 0
                                        ; implicit-def: $sgpr5
	s_and_saveexec_b32 s22, s24
	s_cbranch_execz .LBB23_297
; %bb.187:                              ;   in Loop: Header=BB23_33 Depth=1
	s_xor_b32 s5, s23, -1
	s_delay_alu instid0(SALU_CYCLE_1)
	s_and_not1_b32 vcc_lo, exec_lo, s5
	s_mov_b32 s5, 1
	s_cbranch_vccnz .LBB23_198
; %bb.188:                              ;   in Loop: Header=BB23_33 Depth=1
	v_cmp_gt_i64_e64 s5, s[38:39], s[10:11]
	s_mov_b32 s12, -1
                                        ; implicit-def: $sgpr13
                                        ; implicit-def: $sgpr23
	s_delay_alu instid0(VALU_DEP_1)
	s_and_b32 vcc_lo, exec_lo, s5
                                        ; implicit-def: $sgpr5
	s_cbranch_vccnz .LBB23_194
; %bb.189:                              ;   in Loop: Header=BB23_33 Depth=1
	ds_load_b64 v[2:3], v13 offset:5120
	s_waitcnt lgkmcnt(0)
	v_cmp_ne_u64_e32 vcc_lo, 0, v[2:3]
	s_cbranch_vccnz .LBB23_193
; %bb.190:                              ;   in Loop: Header=BB23_33 Depth=1
	s_and_saveexec_b32 s5, s0
	s_cbranch_execz .LBB23_192
; %bb.191:                              ;   in Loop: Header=BB23_33 Depth=1
	v_dual_mov_b32 v2, s10 :: v_dual_mov_b32 v3, s11
	ds_store_b64 v13, v[2:3] offset:5128
.LBB23_192:                             ;   in Loop: Header=BB23_33 Depth=1
	s_or_b32 exec_lo, exec_lo, s5
	s_waitcnt lgkmcnt(0)
	s_barrier
	buffer_gl0_inv
.LBB23_193:                             ;   in Loop: Header=BB23_33 Depth=1
	s_lshl_b32 s5, 1, s19
	s_and_b32 s12, s97, s20
	s_or_b32 s23, s96, s18
	s_or_b32 s13, s12, s5
	s_mov_b32 s12, 0
	s_mov_b32 s5, 8
.LBB23_194:                             ;   in Loop: Header=BB23_33 Depth=1
	s_and_not1_b32 vcc_lo, exec_lo, s12
	s_cbranch_vccnz .LBB23_196
; %bb.195:                              ;   in Loop: Header=BB23_33 Depth=1
	s_sub_u32 s38, s38, s10
	s_subb_u32 s39, s39, s11
	s_mov_b32 s12, -1
	s_mov_b32 s5, 0
	s_mov_b32 s13, s97
	;; [unrolled: 1-line block ×3, first 2 shown]
.LBB23_196:                             ;   in Loop: Header=BB23_33 Depth=1
	s_delay_alu instid0(SALU_CYCLE_1)
	s_mov_b32 s96, s23
	s_mov_b32 s97, s13
	s_and_not1_b32 vcc_lo, exec_lo, s12
	s_mov_b32 s10, -1
	s_cbranch_vccz .LBB23_199
.LBB23_197:                             ;   in Loop: Header=BB23_33 Depth=1
                                        ; implicit-def: $sgpr13
                                        ; implicit-def: $sgpr23
                                        ; implicit-def: $sgpr12
	s_branch .LBB23_296
.LBB23_198:                             ;   in Loop: Header=BB23_33 Depth=1
	s_mov_b64 s[38:39], 1
	s_and_not1_b32 vcc_lo, exec_lo, s12
	s_mov_b32 s10, -1
	s_cbranch_vccnz .LBB23_197
.LBB23_199:                             ;   in Loop: Header=BB23_33 Depth=1
	s_cmp_eq_u64 s[8:9], 1
	s_mov_b32 s24, -1
	s_cselect_b32 s5, -1, 0
	s_cmp_eq_u64 s[38:39], 1
	s_cselect_b32 s10, -1, 0
	s_delay_alu instid0(SALU_CYCLE_1) | instskip(NEXT) | instid1(SALU_CYCLE_1)
	s_and_b32 s64, s5, s10
	s_and_b32 vcc_lo, exec_lo, s64
	s_cbranch_vccz .LBB23_214
; %bb.200:                              ;   in Loop: Header=BB23_33 Depth=1
	ds_load_b64 v[2:3], v13 offset:5120
	s_waitcnt lgkmcnt(0)
	s_barrier
	buffer_gl0_inv
	v_readfirstlane_b32 s10, v2
	v_readfirstlane_b32 s11, v3
	s_and_saveexec_b32 s5, s3
	s_cbranch_execz .LBB23_202
; %bb.201:                              ;   in Loop: Header=BB23_33 Depth=1
	ds_store_b32 v44, v13
.LBB23_202:                             ;   in Loop: Header=BB23_33 Depth=1
	s_or_b32 exec_lo, exec_lo, s5
	s_delay_alu instid0(VALU_DEP_1)
	v_cmp_gt_i64_e64 s13, s[10:11], 0
	s_lshl_b32 s5, 2, s19
	s_and_b32 s12, s97, s20
	s_or_b32 s96, s96, s18
	s_or_b32 s97, s12, s5
	s_waitcnt lgkmcnt(0)
	s_and_b32 vcc_lo, exec_lo, s13
	s_barrier
	buffer_gl0_inv
	s_cbranch_vccnz .LBB23_217
; %bb.203:                              ;   in Loop: Header=BB23_33 Depth=1
	s_mov_b32 s24, s51
	s_delay_alu instid0(SALU_CYCLE_1)
	s_cmp_lg_u64 s[24:25], 0
	s_cbranch_scc0 .LBB23_262
; %bb.204:                              ;   in Loop: Header=BB23_33 Depth=1
	v_cvt_f32_u32_e32 v2, s33
	s_sub_u32 s13, 0, s33
	s_subb_u32 s23, 0, 0
	s_delay_alu instid0(VALU_DEP_1) | instskip(NEXT) | instid1(VALU_DEP_1)
	v_fmac_f32_e32 v2, 0x4f800000, v51
	v_rcp_f32_e32 v2, v2
	s_waitcnt_depctr 0xfff
	v_mul_f32_e32 v2, 0x5f7ffffc, v2
	s_delay_alu instid0(VALU_DEP_1) | instskip(NEXT) | instid1(VALU_DEP_1)
	v_mul_f32_e32 v3, 0x2f800000, v2
	v_trunc_f32_e32 v3, v3
	s_delay_alu instid0(VALU_DEP_1) | instskip(SKIP_1) | instid1(VALU_DEP_2)
	v_fmac_f32_e32 v2, 0xcf800000, v3
	v_cvt_u32_f32_e32 v3, v3
	v_cvt_u32_f32_e32 v2, v2
	s_delay_alu instid0(VALU_DEP_2) | instskip(NEXT) | instid1(VALU_DEP_2)
	v_readfirstlane_b32 s5, v3
	v_readfirstlane_b32 s12, v2
	s_delay_alu instid0(VALU_DEP_2) | instskip(NEXT) | instid1(VALU_DEP_1)
	s_mul_i32 s24, s13, s5
	s_mul_hi_u32 s65, s13, s12
	s_mul_i32 s50, s23, s12
	s_add_i32 s24, s65, s24
	s_mul_i32 s66, s13, s12
	s_add_i32 s24, s24, s50
	s_mul_hi_u32 s65, s12, s66
	s_mul_hi_u32 s67, s5, s66
	s_mul_i32 s50, s5, s66
	s_mul_hi_u32 s66, s12, s24
	s_mul_i32 s12, s12, s24
	s_mul_hi_u32 s68, s5, s24
	s_add_u32 s12, s65, s12
	s_addc_u32 s65, 0, s66
	s_add_u32 s12, s12, s50
	s_mul_i32 s24, s5, s24
	s_addc_u32 s12, s65, s67
	s_addc_u32 s50, s68, 0
	s_add_u32 s12, s12, s24
	s_addc_u32 s24, 0, s50
	v_add_co_u32 v2, s12, v2, s12
	s_delay_alu instid0(VALU_DEP_1) | instskip(SKIP_1) | instid1(VALU_DEP_1)
	s_cmp_lg_u32 s12, 0
	s_addc_u32 s5, s5, s24
	v_readfirstlane_b32 s12, v2
	s_mul_i32 s24, s13, s5
	s_delay_alu instid0(VALU_DEP_1)
	s_mul_hi_u32 s50, s13, s12
	s_mul_i32 s23, s23, s12
	s_add_i32 s24, s50, s24
	s_mul_i32 s13, s13, s12
	s_add_i32 s24, s24, s23
	s_mul_hi_u32 s50, s5, s13
	s_mul_i32 s65, s5, s13
	s_mul_hi_u32 s13, s12, s13
	s_mul_hi_u32 s66, s12, s24
	s_mul_i32 s12, s12, s24
	s_mul_hi_u32 s23, s5, s24
	s_add_u32 s12, s13, s12
	s_addc_u32 s13, 0, s66
	s_add_u32 s12, s12, s65
	s_mul_i32 s24, s5, s24
	s_addc_u32 s12, s13, s50
	s_addc_u32 s13, s23, 0
	s_add_u32 s12, s12, s24
	s_addc_u32 s13, 0, s13
	v_add_co_u32 v2, s12, v2, s12
	s_delay_alu instid0(VALU_DEP_1) | instskip(SKIP_2) | instid1(VALU_DEP_1)
	s_cmp_lg_u32 s12, 0
	s_addc_u32 s5, s5, s13
	s_ashr_i32 s12, s25, 31
	v_readfirstlane_b32 s23, v2
	s_add_u32 s66, s80, s12
	s_mov_b32 s13, s12
	s_addc_u32 s67, s25, s12
	s_delay_alu instid0(SALU_CYCLE_1) | instskip(NEXT) | instid1(SALU_CYCLE_1)
	s_xor_b64 s[66:67], s[66:67], s[12:13]
	s_mul_i32 s24, s66, s5
	s_mul_hi_u32 s50, s66, s23
	s_mul_hi_u32 s13, s66, s5
	;; [unrolled: 1-line block ×3, first 2 shown]
	s_mul_i32 s23, s67, s23
	s_add_u32 s24, s50, s24
	s_addc_u32 s13, 0, s13
	s_mul_hi_u32 s65, s67, s5
	s_add_u32 s23, s24, s23
	s_mul_i32 s5, s67, s5
	s_addc_u32 s13, s13, s68
	s_addc_u32 s23, s65, 0
	s_add_u32 s5, s13, s5
	s_addc_u32 s13, 0, s23
	s_mul_hi_u32 s23, s33, s5
	s_mul_i32 s5, s33, s5
	s_mul_i32 s13, s33, s13
	v_sub_co_u32 v2, s5, s66, s5
	s_add_i32 s23, s23, s13
	s_cmp_lg_u32 s5, 0
	s_delay_alu instid0(VALU_DEP_1) | instskip(SKIP_2) | instid1(VALU_DEP_1)
	v_sub_co_u32 v3, s5, v2, s33
	s_subb_u32 s13, s67, s23
	s_cmp_lg_u32 s5, 0
	v_cmp_le_u32_e32 vcc_lo, s33, v3
	v_sub_co_u32 v4, s5, v3, s33
	s_subb_u32 s23, s13, 0
	s_cmp_lg_u32 s5, 0
	v_cndmask_b32_e64 v5, 0, -1, vcc_lo
	s_subb_u32 s5, s23, 0
	s_cmp_eq_u32 s23, 0
	v_mov_b32_e32 v7, s5
	s_cselect_b32 vcc_lo, -1, 0
	s_cmp_eq_u32 s13, 0
	v_cndmask_b32_e32 v5, -1, v5, vcc_lo
	v_cmp_le_u32_e32 vcc_lo, s33, v2
	s_cselect_b32 s5, -1, 0
	v_cndmask_b32_e64 v6, 0, -1, vcc_lo
	s_delay_alu instid0(VALU_DEP_3) | instskip(NEXT) | instid1(VALU_DEP_2)
	v_cmp_ne_u32_e32 vcc_lo, 0, v5
	v_cndmask_b32_e64 v5, -1, v6, s5
	v_cndmask_b32_e32 v3, v3, v4, vcc_lo
	v_cndmask_b32_e32 v6, s23, v7, vcc_lo
	s_delay_alu instid0(VALU_DEP_3) | instskip(NEXT) | instid1(VALU_DEP_3)
	v_cmp_ne_u32_e32 vcc_lo, 0, v5
	v_cndmask_b32_e32 v2, v2, v3, vcc_lo
	s_delay_alu instid0(VALU_DEP_3) | instskip(NEXT) | instid1(VALU_DEP_2)
	v_cndmask_b32_e32 v4, s13, v6, vcc_lo
	v_xor_b32_e32 v2, s12, v2
	s_delay_alu instid0(VALU_DEP_2) | instskip(NEXT) | instid1(VALU_DEP_2)
	v_xor_b32_e32 v3, s12, v4
	v_sub_co_u32 v2, vcc_lo, v2, s12
	s_delay_alu instid0(VALU_DEP_2)
	v_subrev_co_ci_u32_e32 v3, vcc_lo, s12, v3, vcc_lo
	s_cbranch_execnz .LBB23_206
.LBB23_205:                             ;   in Loop: Header=BB23_33 Depth=1
	v_cvt_f32_u32_e32 v2, s33
	s_sub_i32 s5, 0, s33
	s_delay_alu instid0(VALU_DEP_1) | instskip(SKIP_2) | instid1(VALU_DEP_1)
	v_rcp_iflag_f32_e32 v2, v2
	s_waitcnt_depctr 0xfff
	v_mul_f32_e32 v2, 0x4f7ffffe, v2
	v_cvt_u32_f32_e32 v2, v2
	s_delay_alu instid0(VALU_DEP_1) | instskip(NEXT) | instid1(VALU_DEP_1)
	v_mul_lo_u32 v3, s5, v2
	v_mul_hi_u32 v3, v2, v3
	s_delay_alu instid0(VALU_DEP_1) | instskip(NEXT) | instid1(VALU_DEP_1)
	v_add_nc_u32_e32 v2, v2, v3
	v_mul_hi_u32 v2, s80, v2
	s_delay_alu instid0(VALU_DEP_1) | instskip(NEXT) | instid1(VALU_DEP_1)
	v_mul_lo_u32 v2, v2, s33
	v_sub_nc_u32_e32 v2, s80, v2
	s_delay_alu instid0(VALU_DEP_1) | instskip(SKIP_1) | instid1(VALU_DEP_2)
	v_subrev_nc_u32_e32 v3, s33, v2
	v_cmp_le_u32_e32 vcc_lo, s33, v2
	v_cndmask_b32_e32 v2, v2, v3, vcc_lo
	s_delay_alu instid0(VALU_DEP_1) | instskip(SKIP_1) | instid1(VALU_DEP_2)
	v_subrev_nc_u32_e32 v3, s33, v2
	v_cmp_le_u32_e32 vcc_lo, s33, v2
	v_cndmask_b32_e32 v12, v2, v3, vcc_lo
	s_delay_alu instid0(VALU_DEP_1)
	v_dual_mov_b32 v2, v12 :: v_dual_mov_b32 v3, v13
.LBB23_206:                             ;   in Loop: Header=BB23_33 Depth=1
	s_delay_alu instid0(VALU_DEP_1) | instskip(NEXT) | instid1(VALU_DEP_2)
	v_sub_co_u32 v2, vcc_lo, s80, v2
	v_sub_co_ci_u32_e32 v3, vcc_lo, s25, v3, vcc_lo
	s_mov_b32 s24, 0
	s_mov_b32 s5, exec_lo
                                        ; implicit-def: $vgpr28
	s_delay_alu instid0(VALU_DEP_1)
	v_cmpx_gt_i64_e64 v[2:3], v[0:1]
	s_cbranch_execz .LBB23_219
; %bb.207:                              ;   in Loop: Header=BB23_33 Depth=1
	v_dual_mov_b32 v4, v10 :: v_dual_mov_b32 v5, v11
	v_dual_mov_b32 v7, v1 :: v_dual_mov_b32 v6, v0
	s_mov_b32 s12, 0
                                        ; implicit-def: $sgpr13
	s_set_inst_prefetch_distance 0x1
	s_branch .LBB23_209
	.p2align	6
.LBB23_208:                             ;   in Loop: Header=BB23_209 Depth=2
	s_or_b32 exec_lo, exec_lo, s23
	s_waitcnt vmcnt(0) lgkmcnt(0)
	s_barrier
	buffer_gl0_inv
	ds_load_b64 v[27:28], v13 offset:3072
	v_add_co_u32 v6, vcc_lo, v6, s33
	v_add_co_ci_u32_e32 v7, vcc_lo, 0, v7, vcc_lo
	s_waitcnt lgkmcnt(0)
	s_barrier
	buffer_gl0_inv
	v_cmp_ge_i64_e32 vcc_lo, v[6:7], v[2:3]
	v_readfirstlane_b32 s23, v27
	s_delay_alu instid0(VALU_DEP_1) | instskip(SKIP_1) | instid1(SALU_CYCLE_1)
	s_cmp_lg_u32 s23, 0
	s_cselect_b32 s23, -1, 0
	s_or_b32 s24, s23, vcc_lo
	v_add_co_u32 v4, vcc_lo, v4, s52
	s_and_b32 s24, exec_lo, s24
	v_add_co_ci_u32_e32 v5, vcc_lo, s53, v5, vcc_lo
	s_or_b32 s12, s24, s12
	s_and_not1_b32 s13, s13, exec_lo
	s_and_b32 s23, s23, exec_lo
	s_delay_alu instid0(SALU_CYCLE_1)
	s_or_b32 s13, s13, s23
	s_and_not1_b32 exec_lo, exec_lo, s12
	s_cbranch_execz .LBB23_218
.LBB23_209:                             ;   Parent Loop BB23_33 Depth=1
                                        ; =>  This Inner Loop Header: Depth=2
	s_delay_alu instid0(VALU_DEP_1)
	v_cmp_gt_i64_e32 vcc_lo, s[36:37], v[6:7]
	v_mov_b32_e32 v27, 0
	s_and_saveexec_b32 s23, vcc_lo
	s_cbranch_execz .LBB23_211
; %bb.210:                              ;   in Loop: Header=BB23_209 Depth=2
	global_load_b32 v27, v[4:5], off
.LBB23_211:                             ;   in Loop: Header=BB23_209 Depth=2
	s_or_b32 exec_lo, exec_lo, s23
	s_and_saveexec_b32 s23, vcc_lo
	s_cbranch_execz .LBB23_208
; %bb.212:                              ;   in Loop: Header=BB23_209 Depth=2
	s_waitcnt vmcnt(0)
	v_xor_b32_e32 v8, 0x80000000, v27
	s_delay_alu instid0(VALU_DEP_1) | instskip(NEXT) | instid1(VALU_DEP_1)
	v_and_b32_e32 v8, s96, v8
	v_cmp_eq_u32_e32 vcc_lo, s97, v8
	s_and_b32 exec_lo, exec_lo, vcc_lo
	s_cbranch_execz .LBB23_208
; %bb.213:                              ;   in Loop: Header=BB23_209 Depth=2
	ds_store_b64 v13, v[26:27] offset:3072
	s_branch .LBB23_208
.LBB23_214:                             ;   in Loop: Header=BB23_33 Depth=1
                                        ; implicit-def: $sgpr12
                                        ; implicit-def: $sgpr23
                                        ; implicit-def: $sgpr13
	s_branch .LBB23_233
.LBB23_215:                             ;   in Loop: Header=BB23_33 Depth=1
                                        ; implicit-def: $vgpr2_vgpr3
	s_branch .LBB23_158
.LBB23_216:                             ;   in Loop: Header=BB23_33 Depth=1
                                        ; implicit-def: $vgpr2_vgpr3
	s_branch .LBB23_175
.LBB23_217:                             ;   in Loop: Header=BB23_33 Depth=1
	s_mov_b32 s12, -1
	s_mov_b32 s24, 0
                                        ; implicit-def: $sgpr13
                                        ; implicit-def: $vgpr28
	s_mov_b32 s23, s12
	s_cbranch_execnz .LBB23_220
	s_branch .LBB23_233
.LBB23_218:                             ;   in Loop: Header=BB23_33 Depth=1
	s_set_inst_prefetch_distance 0x2
	s_or_b32 exec_lo, exec_lo, s12
	s_delay_alu instid0(SALU_CYCLE_1)
	s_and_b32 s24, s13, exec_lo
.LBB23_219:                             ;   in Loop: Header=BB23_33 Depth=1
	s_or_b32 exec_lo, exec_lo, s5
	s_mov_b32 s13, -1
	s_mov_b32 s12, 0
	s_delay_alu instid0(SALU_CYCLE_1)
	s_mov_b32 s23, s12
	s_branch .LBB23_233
.LBB23_220:                             ;   in Loop: Header=BB23_33 Depth=1
	s_add_u32 s23, s78, s10
	s_addc_u32 s13, s79, s11
	s_mov_b32 s12, s51
	s_delay_alu instid0(SALU_CYCLE_1)
	s_cmp_lg_u64 s[12:13], 0
	s_cbranch_scc0 .LBB23_263
; %bb.221:                              ;   in Loop: Header=BB23_33 Depth=1
	v_cvt_f32_u32_e32 v2, s33
	s_sub_u32 s24, 0, s33
	s_subb_u32 s50, 0, 0
	s_delay_alu instid0(VALU_DEP_1) | instskip(NEXT) | instid1(VALU_DEP_1)
	v_fmac_f32_e32 v2, 0x4f800000, v51
	v_rcp_f32_e32 v2, v2
	s_waitcnt_depctr 0xfff
	v_mul_f32_e32 v2, 0x5f7ffffc, v2
	s_delay_alu instid0(VALU_DEP_1) | instskip(NEXT) | instid1(VALU_DEP_1)
	v_mul_f32_e32 v3, 0x2f800000, v2
	v_trunc_f32_e32 v3, v3
	s_delay_alu instid0(VALU_DEP_1) | instskip(SKIP_1) | instid1(VALU_DEP_2)
	v_fmac_f32_e32 v2, 0xcf800000, v3
	v_cvt_u32_f32_e32 v3, v3
	v_cvt_u32_f32_e32 v2, v2
	s_delay_alu instid0(VALU_DEP_2) | instskip(NEXT) | instid1(VALU_DEP_2)
	v_readfirstlane_b32 s5, v3
	v_readfirstlane_b32 s12, v2
	s_delay_alu instid0(VALU_DEP_2) | instskip(NEXT) | instid1(VALU_DEP_1)
	s_mul_i32 s65, s24, s5
	s_mul_hi_u32 s67, s24, s12
	s_mul_i32 s66, s50, s12
	s_add_i32 s65, s67, s65
	s_mul_i32 s68, s24, s12
	s_add_i32 s65, s65, s66
	s_mul_hi_u32 s67, s12, s68
	s_mul_hi_u32 s69, s5, s68
	s_mul_i32 s66, s5, s68
	s_mul_hi_u32 s68, s12, s65
	s_mul_i32 s12, s12, s65
	s_mul_hi_u32 s70, s5, s65
	s_add_u32 s12, s67, s12
	s_addc_u32 s67, 0, s68
	s_add_u32 s12, s12, s66
	s_mul_i32 s65, s5, s65
	s_addc_u32 s12, s67, s69
	s_addc_u32 s66, s70, 0
	s_add_u32 s12, s12, s65
	s_addc_u32 s65, 0, s66
	v_add_co_u32 v2, s12, v2, s12
	s_delay_alu instid0(VALU_DEP_1) | instskip(SKIP_1) | instid1(VALU_DEP_1)
	s_cmp_lg_u32 s12, 0
	s_addc_u32 s5, s5, s65
	v_readfirstlane_b32 s12, v2
	s_mul_i32 s65, s24, s5
	s_delay_alu instid0(VALU_DEP_1)
	s_mul_hi_u32 s66, s24, s12
	s_mul_i32 s50, s50, s12
	s_add_i32 s65, s66, s65
	s_mul_i32 s24, s24, s12
	s_add_i32 s65, s65, s50
	s_mul_hi_u32 s66, s5, s24
	s_mul_i32 s67, s5, s24
	s_mul_hi_u32 s24, s12, s24
	s_mul_hi_u32 s68, s12, s65
	s_mul_i32 s12, s12, s65
	s_mul_hi_u32 s50, s5, s65
	s_add_u32 s12, s24, s12
	s_addc_u32 s24, 0, s68
	s_add_u32 s12, s12, s67
	s_mul_i32 s65, s5, s65
	s_addc_u32 s12, s24, s66
	s_addc_u32 s24, s50, 0
	s_add_u32 s12, s12, s65
	s_addc_u32 s24, 0, s24
	v_add_co_u32 v2, s12, v2, s12
	s_delay_alu instid0(VALU_DEP_1) | instskip(SKIP_2) | instid1(VALU_DEP_1)
	s_cmp_lg_u32 s12, 0
	s_addc_u32 s5, s5, s24
	s_ashr_i32 s66, s13, 31
	v_readfirstlane_b32 s12, v2
	s_add_u32 s68, s23, s66
	s_mov_b32 s67, s66
	s_addc_u32 s69, s13, s66
	s_delay_alu instid0(SALU_CYCLE_1) | instskip(NEXT) | instid1(SALU_CYCLE_1)
	s_xor_b64 s[68:69], s[68:69], s[66:67]
	s_mul_i32 s50, s68, s5
	s_mul_hi_u32 s65, s68, s12
	s_mul_hi_u32 s24, s68, s5
	;; [unrolled: 1-line block ×3, first 2 shown]
	s_mul_i32 s12, s69, s12
	s_add_u32 s50, s65, s50
	s_addc_u32 s24, 0, s24
	s_mul_hi_u32 s67, s69, s5
	s_add_u32 s12, s50, s12
	s_mul_i32 s5, s69, s5
	s_addc_u32 s12, s24, s70
	s_addc_u32 s24, s67, 0
	s_add_u32 s5, s12, s5
	s_addc_u32 s12, 0, s24
	s_mul_hi_u32 s24, s33, s5
	s_mul_i32 s5, s33, s5
	s_mul_i32 s12, s33, s12
	v_sub_co_u32 v2, s5, s68, s5
	s_add_i32 s24, s24, s12
	s_cmp_lg_u32 s5, 0
	s_delay_alu instid0(VALU_DEP_1) | instskip(SKIP_2) | instid1(VALU_DEP_1)
	v_sub_co_u32 v3, s5, v2, s33
	s_subb_u32 s12, s69, s24
	s_cmp_lg_u32 s5, 0
	v_cmp_le_u32_e32 vcc_lo, s33, v3
	v_sub_co_u32 v4, s5, v3, s33
	s_subb_u32 s24, s12, 0
	s_cmp_lg_u32 s5, 0
	v_cndmask_b32_e64 v5, 0, -1, vcc_lo
	s_subb_u32 s5, s24, 0
	s_cmp_eq_u32 s24, 0
	v_mov_b32_e32 v7, s5
	s_cselect_b32 vcc_lo, -1, 0
	s_cmp_eq_u32 s12, 0
	v_cndmask_b32_e32 v5, -1, v5, vcc_lo
	v_cmp_le_u32_e32 vcc_lo, s33, v2
	s_cselect_b32 s5, -1, 0
	v_cndmask_b32_e64 v6, 0, -1, vcc_lo
	s_delay_alu instid0(VALU_DEP_3) | instskip(NEXT) | instid1(VALU_DEP_2)
	v_cmp_ne_u32_e32 vcc_lo, 0, v5
	v_cndmask_b32_e64 v5, -1, v6, s5
	v_cndmask_b32_e32 v3, v3, v4, vcc_lo
	v_cndmask_b32_e32 v6, s24, v7, vcc_lo
	s_delay_alu instid0(VALU_DEP_3) | instskip(NEXT) | instid1(VALU_DEP_3)
	v_cmp_ne_u32_e32 vcc_lo, 0, v5
	v_cndmask_b32_e32 v2, v2, v3, vcc_lo
	s_delay_alu instid0(VALU_DEP_3) | instskip(NEXT) | instid1(VALU_DEP_2)
	v_cndmask_b32_e32 v4, s12, v6, vcc_lo
	v_xor_b32_e32 v2, s66, v2
	s_delay_alu instid0(VALU_DEP_2) | instskip(NEXT) | instid1(VALU_DEP_2)
	v_xor_b32_e32 v3, s66, v4
	v_sub_co_u32 v2, vcc_lo, v2, s66
	s_delay_alu instid0(VALU_DEP_2)
	v_subrev_co_ci_u32_e32 v3, vcc_lo, s66, v3, vcc_lo
	s_cbranch_execnz .LBB23_223
.LBB23_222:                             ;   in Loop: Header=BB23_33 Depth=1
	v_cvt_f32_u32_e32 v2, s33
	s_sub_i32 s5, 0, s33
	s_delay_alu instid0(VALU_DEP_1) | instskip(SKIP_2) | instid1(VALU_DEP_1)
	v_rcp_iflag_f32_e32 v2, v2
	s_waitcnt_depctr 0xfff
	v_mul_f32_e32 v2, 0x4f7ffffe, v2
	v_cvt_u32_f32_e32 v2, v2
	s_delay_alu instid0(VALU_DEP_1) | instskip(NEXT) | instid1(VALU_DEP_1)
	v_mul_lo_u32 v3, s5, v2
	v_mul_hi_u32 v3, v2, v3
	s_delay_alu instid0(VALU_DEP_1) | instskip(NEXT) | instid1(VALU_DEP_1)
	v_add_nc_u32_e32 v2, v2, v3
	v_mul_hi_u32 v2, s23, v2
	s_delay_alu instid0(VALU_DEP_1) | instskip(NEXT) | instid1(VALU_DEP_1)
	v_mul_lo_u32 v2, v2, s33
	v_sub_nc_u32_e32 v2, s23, v2
	s_delay_alu instid0(VALU_DEP_1) | instskip(SKIP_1) | instid1(VALU_DEP_2)
	v_subrev_nc_u32_e32 v3, s33, v2
	v_cmp_le_u32_e32 vcc_lo, s33, v2
	v_cndmask_b32_e32 v2, v2, v3, vcc_lo
	s_delay_alu instid0(VALU_DEP_1) | instskip(SKIP_1) | instid1(VALU_DEP_2)
	v_subrev_nc_u32_e32 v3, s33, v2
	v_cmp_le_u32_e32 vcc_lo, s33, v2
	v_cndmask_b32_e32 v12, v2, v3, vcc_lo
	s_delay_alu instid0(VALU_DEP_1)
	v_dual_mov_b32 v2, v12 :: v_dual_mov_b32 v3, v13
.LBB23_223:                             ;   in Loop: Header=BB23_33 Depth=1
	s_delay_alu instid0(VALU_DEP_1) | instskip(NEXT) | instid1(VALU_DEP_2)
	v_sub_co_u32 v2, vcc_lo, s23, v2
	v_sub_co_ci_u32_e32 v3, vcc_lo, s13, v3, vcc_lo
	s_mov_b32 s24, 0
	s_mov_b32 s5, exec_lo
                                        ; implicit-def: $vgpr28
	s_delay_alu instid0(VALU_DEP_1)
	v_cmpx_gt_i64_e64 v[2:3], v[0:1]
	s_cbranch_execz .LBB23_232
; %bb.224:                              ;   in Loop: Header=BB23_33 Depth=1
	v_dual_mov_b32 v6, v14 :: v_dual_mov_b32 v5, v1
	v_mov_b32_e32 v4, v0
	s_mov_b32 s12, 0
                                        ; implicit-def: $sgpr13
	s_set_inst_prefetch_distance 0x1
	s_branch .LBB23_226
	.p2align	6
.LBB23_225:                             ;   in Loop: Header=BB23_226 Depth=2
	s_or_b32 exec_lo, exec_lo, s23
	s_waitcnt lgkmcnt(0)
	s_barrier
	buffer_gl0_inv
	ds_load_b64 v[27:28], v13 offset:3072
	v_add_co_u32 v4, vcc_lo, v4, s33
	v_add_co_ci_u32_e32 v5, vcc_lo, 0, v5, vcc_lo
	v_add_nc_u32_e32 v6, s86, v6
	s_waitcnt lgkmcnt(0)
	s_barrier
	s_delay_alu instid0(VALU_DEP_2) | instskip(SKIP_2) | instid1(VALU_DEP_1)
	v_cmp_ge_i64_e32 vcc_lo, v[4:5], v[2:3]
	buffer_gl0_inv
	v_readfirstlane_b32 s23, v27
	s_cmp_lg_u32 s23, 0
	s_cselect_b32 s23, -1, 0
	s_delay_alu instid0(SALU_CYCLE_1) | instskip(NEXT) | instid1(SALU_CYCLE_1)
	s_or_b32 s24, s23, vcc_lo
	s_and_b32 s24, exec_lo, s24
	s_delay_alu instid0(SALU_CYCLE_1) | instskip(SKIP_2) | instid1(SALU_CYCLE_1)
	s_or_b32 s12, s24, s12
	s_and_not1_b32 s13, s13, exec_lo
	s_and_b32 s23, s23, exec_lo
	s_or_b32 s13, s13, s23
	s_and_not1_b32 exec_lo, exec_lo, s12
	s_cbranch_execz .LBB23_231
.LBB23_226:                             ;   Parent Loop BB23_33 Depth=1
                                        ; =>  This Inner Loop Header: Depth=2
	s_delay_alu instid0(VALU_DEP_1)
	v_cmp_gt_i64_e32 vcc_lo, s[10:11], v[4:5]
	v_mov_b32_e32 v27, 0
	s_and_saveexec_b32 s23, vcc_lo
	s_cbranch_execz .LBB23_228
; %bb.227:                              ;   in Loop: Header=BB23_226 Depth=2
	ds_load_b32 v27, v6
.LBB23_228:                             ;   in Loop: Header=BB23_226 Depth=2
	s_or_b32 exec_lo, exec_lo, s23
	s_and_saveexec_b32 s23, vcc_lo
	s_cbranch_execz .LBB23_225
; %bb.229:                              ;   in Loop: Header=BB23_226 Depth=2
	s_waitcnt lgkmcnt(0)
	v_xor_b32_e32 v7, 0x80000000, v27
	s_delay_alu instid0(VALU_DEP_1) | instskip(NEXT) | instid1(VALU_DEP_1)
	v_and_b32_e32 v7, s96, v7
	v_cmp_eq_u32_e32 vcc_lo, s97, v7
	s_and_b32 exec_lo, exec_lo, vcc_lo
	s_cbranch_execz .LBB23_225
; %bb.230:                              ;   in Loop: Header=BB23_226 Depth=2
	ds_store_b64 v13, v[26:27] offset:3072
	s_branch .LBB23_225
.LBB23_231:                             ;   in Loop: Header=BB23_33 Depth=1
	s_set_inst_prefetch_distance 0x2
	s_or_b32 exec_lo, exec_lo, s12
	s_delay_alu instid0(SALU_CYCLE_1)
	s_and_b32 s24, s13, exec_lo
.LBB23_232:                             ;   in Loop: Header=BB23_33 Depth=1
	s_or_b32 exec_lo, exec_lo, s5
	s_mov_b32 s23, -1
	s_mov_b32 s12, 0
	s_mov_b32 s13, 0
.LBB23_233:                             ;   in Loop: Header=BB23_33 Depth=1
	s_mov_b32 s10, 0
                                        ; implicit-def: $sgpr5
	s_and_saveexec_b32 s50, s24
	s_cbranch_execz .LBB23_295
; %bb.234:                              ;   in Loop: Header=BB23_33 Depth=1
	s_xor_b32 s5, s64, -1
	s_delay_alu instid0(SALU_CYCLE_1)
	s_and_not1_b32 vcc_lo, exec_lo, s5
	s_mov_b32 s5, 1
	s_cbranch_vccnz .LBB23_245
; %bb.235:                              ;   in Loop: Header=BB23_33 Depth=1
	v_cmp_gt_i64_e64 s5, s[38:39], s[8:9]
	s_mov_b32 s10, -1
                                        ; implicit-def: $sgpr11
                                        ; implicit-def: $sgpr24
	s_delay_alu instid0(VALU_DEP_1)
	s_and_b32 vcc_lo, exec_lo, s5
                                        ; implicit-def: $sgpr5
	s_cbranch_vccnz .LBB23_241
; %bb.236:                              ;   in Loop: Header=BB23_33 Depth=1
	ds_load_b64 v[2:3], v13 offset:5120
	s_waitcnt lgkmcnt(0)
	v_cmp_ne_u64_e32 vcc_lo, 0, v[2:3]
	s_cbranch_vccnz .LBB23_240
; %bb.237:                              ;   in Loop: Header=BB23_33 Depth=1
	s_and_saveexec_b32 s5, s0
	s_cbranch_execz .LBB23_239
; %bb.238:                              ;   in Loop: Header=BB23_33 Depth=1
	v_dual_mov_b32 v2, s8 :: v_dual_mov_b32 v3, s9
	ds_store_b64 v13, v[2:3] offset:5128
.LBB23_239:                             ;   in Loop: Header=BB23_33 Depth=1
	s_or_b32 exec_lo, exec_lo, s5
	s_waitcnt lgkmcnt(0)
	s_barrier
	buffer_gl0_inv
.LBB23_240:                             ;   in Loop: Header=BB23_33 Depth=1
	s_lshl_b32 s5, 2, s19
	s_and_b32 s10, s97, s20
	s_or_b32 s24, s96, s18
	s_or_b32 s11, s10, s5
	s_mov_b32 s10, 0
	s_mov_b32 s5, 8
.LBB23_241:                             ;   in Loop: Header=BB23_33 Depth=1
	s_and_not1_b32 vcc_lo, exec_lo, s10
	s_cbranch_vccnz .LBB23_243
; %bb.242:                              ;   in Loop: Header=BB23_33 Depth=1
	s_sub_u32 s38, s38, s8
	s_subb_u32 s39, s39, s9
	s_mov_b32 s10, -1
	s_mov_b32 s5, 0
	s_mov_b32 s11, s97
	s_mov_b32 s24, s96
.LBB23_243:                             ;   in Loop: Header=BB23_33 Depth=1
	s_delay_alu instid0(SALU_CYCLE_1)
	s_mov_b32 s96, s24
	s_mov_b32 s97, s11
	s_and_not1_b32 vcc_lo, exec_lo, s10
	s_mov_b32 s65, -1
	s_cbranch_vccz .LBB23_246
.LBB23_244:                             ;   in Loop: Header=BB23_33 Depth=1
                                        ; implicit-def: $sgpr10
                                        ; implicit-def: $sgpr20
                                        ; implicit-def: $sgpr11
	s_branch .LBB23_294
.LBB23_245:                             ;   in Loop: Header=BB23_33 Depth=1
	s_mov_b64 s[38:39], 1
	s_and_not1_b32 vcc_lo, exec_lo, s10
	s_mov_b32 s65, -1
	s_cbranch_vccnz .LBB23_244
.LBB23_246:                             ;   in Loop: Header=BB23_33 Depth=1
	s_cmp_eq_u64 s[6:7], 1
	s_mov_b32 s24, -1
	s_cselect_b32 s5, -1, 0
	s_cmp_eq_u64 s[38:39], 1
	s_cselect_b32 s8, -1, 0
	s_delay_alu instid0(SALU_CYCLE_1) | instskip(NEXT) | instid1(SALU_CYCLE_1)
	s_and_b32 s19, s5, s8
	s_and_b32 vcc_lo, exec_lo, s19
	s_cbranch_vccz .LBB23_261
; %bb.247:                              ;   in Loop: Header=BB23_33 Depth=1
	ds_load_b64 v[2:3], v13 offset:5120
	s_waitcnt lgkmcnt(0)
	s_barrier
	buffer_gl0_inv
	v_readfirstlane_b32 s8, v2
	v_readfirstlane_b32 s9, v3
	s_and_saveexec_b32 s5, s3
	s_cbranch_execz .LBB23_249
; %bb.248:                              ;   in Loop: Header=BB23_33 Depth=1
	ds_store_b32 v44, v13
.LBB23_249:                             ;   in Loop: Header=BB23_33 Depth=1
	s_or_b32 exec_lo, exec_lo, s5
	s_delay_alu instid0(VALU_DEP_1)
	v_cmp_gt_i64_e64 s5, s[8:9], 0
	s_or_b32 s97, s97, s18
	s_or_b32 s96, s96, s18
	s_waitcnt lgkmcnt(0)
	s_barrier
	buffer_gl0_inv
	s_and_b32 vcc_lo, exec_lo, s5
	s_cbranch_vccnz .LBB23_264
; %bb.250:                              ;   in Loop: Header=BB23_33 Depth=1
	s_mov_b32 s24, s51
	s_delay_alu instid0(SALU_CYCLE_1)
	s_cmp_lg_u64 s[24:25], 0
	s_cbranch_scc0 .LBB23_300
; %bb.251:                              ;   in Loop: Header=BB23_33 Depth=1
	v_cvt_f32_u32_e32 v2, s33
	s_sub_u32 s11, 0, s33
	s_subb_u32 s20, 0, 0
	s_delay_alu instid0(VALU_DEP_1) | instskip(NEXT) | instid1(VALU_DEP_1)
	v_fmac_f32_e32 v2, 0x4f800000, v51
	v_rcp_f32_e32 v2, v2
	s_waitcnt_depctr 0xfff
	v_mul_f32_e32 v2, 0x5f7ffffc, v2
	s_delay_alu instid0(VALU_DEP_1) | instskip(NEXT) | instid1(VALU_DEP_1)
	v_mul_f32_e32 v3, 0x2f800000, v2
	v_trunc_f32_e32 v3, v3
	s_delay_alu instid0(VALU_DEP_1) | instskip(SKIP_1) | instid1(VALU_DEP_2)
	v_fmac_f32_e32 v2, 0xcf800000, v3
	v_cvt_u32_f32_e32 v3, v3
	v_cvt_u32_f32_e32 v2, v2
	s_delay_alu instid0(VALU_DEP_2) | instskip(NEXT) | instid1(VALU_DEP_2)
	v_readfirstlane_b32 s5, v3
	v_readfirstlane_b32 s10, v2
	s_delay_alu instid0(VALU_DEP_2) | instskip(NEXT) | instid1(VALU_DEP_1)
	s_mul_i32 s24, s11, s5
	s_mul_hi_u32 s65, s11, s10
	s_mul_i32 s64, s20, s10
	s_add_i32 s24, s65, s24
	s_mul_i32 s66, s11, s10
	s_add_i32 s24, s24, s64
	s_mul_hi_u32 s65, s10, s66
	s_mul_hi_u32 s67, s5, s66
	s_mul_i32 s64, s5, s66
	s_mul_hi_u32 s66, s10, s24
	s_mul_i32 s10, s10, s24
	s_mul_hi_u32 s68, s5, s24
	s_add_u32 s10, s65, s10
	s_addc_u32 s65, 0, s66
	s_add_u32 s10, s10, s64
	s_mul_i32 s24, s5, s24
	s_addc_u32 s10, s65, s67
	s_addc_u32 s64, s68, 0
	s_add_u32 s10, s10, s24
	s_addc_u32 s24, 0, s64
	v_add_co_u32 v2, s10, v2, s10
	s_delay_alu instid0(VALU_DEP_1) | instskip(SKIP_1) | instid1(VALU_DEP_1)
	s_cmp_lg_u32 s10, 0
	s_addc_u32 s5, s5, s24
	v_readfirstlane_b32 s10, v2
	s_mul_i32 s24, s11, s5
	s_delay_alu instid0(VALU_DEP_1)
	s_mul_hi_u32 s64, s11, s10
	s_mul_i32 s20, s20, s10
	s_add_i32 s24, s64, s24
	s_mul_i32 s11, s11, s10
	s_add_i32 s24, s24, s20
	s_mul_hi_u32 s64, s5, s11
	s_mul_i32 s65, s5, s11
	s_mul_hi_u32 s11, s10, s11
	s_mul_hi_u32 s66, s10, s24
	s_mul_i32 s10, s10, s24
	s_mul_hi_u32 s20, s5, s24
	s_add_u32 s10, s11, s10
	s_addc_u32 s11, 0, s66
	s_add_u32 s10, s10, s65
	s_mul_i32 s24, s5, s24
	s_addc_u32 s10, s11, s64
	s_addc_u32 s11, s20, 0
	s_add_u32 s10, s10, s24
	s_addc_u32 s11, 0, s11
	v_add_co_u32 v2, s10, v2, s10
	s_delay_alu instid0(VALU_DEP_1) | instskip(SKIP_2) | instid1(VALU_DEP_1)
	s_cmp_lg_u32 s10, 0
	s_addc_u32 s5, s5, s11
	s_ashr_i32 s10, s25, 31
	v_readfirstlane_b32 s20, v2
	s_add_u32 s64, s80, s10
	s_mov_b32 s11, s10
	s_addc_u32 s65, s25, s10
	s_delay_alu instid0(SALU_CYCLE_1) | instskip(NEXT) | instid1(SALU_CYCLE_1)
	s_xor_b64 s[64:65], s[64:65], s[10:11]
	s_mul_i32 s24, s64, s5
	s_mul_hi_u32 s66, s64, s20
	s_mul_hi_u32 s11, s64, s5
	s_mul_hi_u32 s68, s65, s20
	s_mul_i32 s20, s65, s20
	s_add_u32 s24, s66, s24
	s_addc_u32 s11, 0, s11
	s_mul_hi_u32 s67, s65, s5
	s_add_u32 s20, s24, s20
	s_mul_i32 s5, s65, s5
	s_addc_u32 s11, s11, s68
	s_addc_u32 s20, s67, 0
	s_add_u32 s5, s11, s5
	s_addc_u32 s11, 0, s20
	s_mul_hi_u32 s20, s33, s5
	s_mul_i32 s5, s33, s5
	s_mul_i32 s11, s33, s11
	v_sub_co_u32 v2, s5, s64, s5
	s_add_i32 s20, s20, s11
	s_cmp_lg_u32 s5, 0
	s_delay_alu instid0(VALU_DEP_1) | instskip(SKIP_2) | instid1(VALU_DEP_1)
	v_sub_co_u32 v3, s5, v2, s33
	s_subb_u32 s11, s65, s20
	s_cmp_lg_u32 s5, 0
	v_cmp_le_u32_e32 vcc_lo, s33, v3
	v_sub_co_u32 v4, s5, v3, s33
	s_subb_u32 s20, s11, 0
	s_cmp_lg_u32 s5, 0
	v_cndmask_b32_e64 v5, 0, -1, vcc_lo
	s_subb_u32 s5, s20, 0
	s_cmp_eq_u32 s20, 0
	v_mov_b32_e32 v7, s5
	s_cselect_b32 vcc_lo, -1, 0
	s_cmp_eq_u32 s11, 0
	v_cndmask_b32_e32 v5, -1, v5, vcc_lo
	v_cmp_le_u32_e32 vcc_lo, s33, v2
	s_cselect_b32 s5, -1, 0
	v_cndmask_b32_e64 v6, 0, -1, vcc_lo
	s_delay_alu instid0(VALU_DEP_3) | instskip(NEXT) | instid1(VALU_DEP_2)
	v_cmp_ne_u32_e32 vcc_lo, 0, v5
	v_cndmask_b32_e64 v5, -1, v6, s5
	v_cndmask_b32_e32 v3, v3, v4, vcc_lo
	v_cndmask_b32_e32 v6, s20, v7, vcc_lo
	s_delay_alu instid0(VALU_DEP_3) | instskip(NEXT) | instid1(VALU_DEP_3)
	v_cmp_ne_u32_e32 vcc_lo, 0, v5
	v_cndmask_b32_e32 v2, v2, v3, vcc_lo
	s_delay_alu instid0(VALU_DEP_3) | instskip(NEXT) | instid1(VALU_DEP_2)
	v_cndmask_b32_e32 v4, s11, v6, vcc_lo
	v_xor_b32_e32 v2, s10, v2
	s_delay_alu instid0(VALU_DEP_2) | instskip(NEXT) | instid1(VALU_DEP_2)
	v_xor_b32_e32 v3, s10, v4
	v_sub_co_u32 v2, vcc_lo, v2, s10
	s_delay_alu instid0(VALU_DEP_2)
	v_subrev_co_ci_u32_e32 v3, vcc_lo, s10, v3, vcc_lo
	s_cbranch_execnz .LBB23_253
.LBB23_252:                             ;   in Loop: Header=BB23_33 Depth=1
	v_cvt_f32_u32_e32 v2, s33
	s_sub_i32 s5, 0, s33
	s_delay_alu instid0(VALU_DEP_1) | instskip(SKIP_2) | instid1(VALU_DEP_1)
	v_rcp_iflag_f32_e32 v2, v2
	s_waitcnt_depctr 0xfff
	v_mul_f32_e32 v2, 0x4f7ffffe, v2
	v_cvt_u32_f32_e32 v2, v2
	s_delay_alu instid0(VALU_DEP_1) | instskip(NEXT) | instid1(VALU_DEP_1)
	v_mul_lo_u32 v3, s5, v2
	v_mul_hi_u32 v3, v2, v3
	s_delay_alu instid0(VALU_DEP_1) | instskip(NEXT) | instid1(VALU_DEP_1)
	v_add_nc_u32_e32 v2, v2, v3
	v_mul_hi_u32 v2, s80, v2
	s_delay_alu instid0(VALU_DEP_1) | instskip(NEXT) | instid1(VALU_DEP_1)
	v_mul_lo_u32 v2, v2, s33
	v_sub_nc_u32_e32 v2, s80, v2
	s_delay_alu instid0(VALU_DEP_1) | instskip(SKIP_1) | instid1(VALU_DEP_2)
	v_subrev_nc_u32_e32 v3, s33, v2
	v_cmp_le_u32_e32 vcc_lo, s33, v2
	v_cndmask_b32_e32 v2, v2, v3, vcc_lo
	s_delay_alu instid0(VALU_DEP_1) | instskip(SKIP_1) | instid1(VALU_DEP_2)
	v_subrev_nc_u32_e32 v3, s33, v2
	v_cmp_le_u32_e32 vcc_lo, s33, v2
	v_cndmask_b32_e32 v12, v2, v3, vcc_lo
	s_delay_alu instid0(VALU_DEP_1)
	v_dual_mov_b32 v2, v12 :: v_dual_mov_b32 v3, v13
.LBB23_253:                             ;   in Loop: Header=BB23_33 Depth=1
	s_delay_alu instid0(VALU_DEP_1) | instskip(NEXT) | instid1(VALU_DEP_2)
	v_sub_co_u32 v2, vcc_lo, s80, v2
	v_sub_co_ci_u32_e32 v3, vcc_lo, s25, v3, vcc_lo
	s_mov_b32 s24, 0
	s_mov_b32 s5, exec_lo
                                        ; implicit-def: $vgpr28
	s_delay_alu instid0(VALU_DEP_1)
	v_cmpx_gt_i64_e64 v[2:3], v[0:1]
	s_cbranch_execz .LBB23_266
; %bb.254:                              ;   in Loop: Header=BB23_33 Depth=1
	v_dual_mov_b32 v4, v10 :: v_dual_mov_b32 v5, v11
	v_dual_mov_b32 v7, v1 :: v_dual_mov_b32 v6, v0
	s_mov_b32 s10, 0
                                        ; implicit-def: $sgpr11
	s_set_inst_prefetch_distance 0x1
	s_branch .LBB23_256
	.p2align	6
.LBB23_255:                             ;   in Loop: Header=BB23_256 Depth=2
	s_or_b32 exec_lo, exec_lo, s20
	s_waitcnt vmcnt(0) lgkmcnt(0)
	s_barrier
	buffer_gl0_inv
	ds_load_b64 v[27:28], v13 offset:3072
	v_add_co_u32 v6, vcc_lo, v6, s33
	v_add_co_ci_u32_e32 v7, vcc_lo, 0, v7, vcc_lo
	s_waitcnt lgkmcnt(0)
	s_barrier
	buffer_gl0_inv
	v_cmp_ge_i64_e32 vcc_lo, v[6:7], v[2:3]
	v_readfirstlane_b32 s20, v27
	s_delay_alu instid0(VALU_DEP_1) | instskip(SKIP_1) | instid1(SALU_CYCLE_1)
	s_cmp_lg_u32 s20, 0
	s_cselect_b32 s20, -1, 0
	s_or_b32 s24, s20, vcc_lo
	v_add_co_u32 v4, vcc_lo, v4, s52
	s_and_b32 s24, exec_lo, s24
	v_add_co_ci_u32_e32 v5, vcc_lo, s53, v5, vcc_lo
	s_or_b32 s10, s24, s10
	s_and_not1_b32 s11, s11, exec_lo
	s_and_b32 s20, s20, exec_lo
	s_delay_alu instid0(SALU_CYCLE_1)
	s_or_b32 s11, s11, s20
	s_and_not1_b32 exec_lo, exec_lo, s10
	s_cbranch_execz .LBB23_265
.LBB23_256:                             ;   Parent Loop BB23_33 Depth=1
                                        ; =>  This Inner Loop Header: Depth=2
	s_delay_alu instid0(VALU_DEP_1)
	v_cmp_gt_i64_e32 vcc_lo, s[36:37], v[6:7]
	v_mov_b32_e32 v27, 0
	s_and_saveexec_b32 s20, vcc_lo
	s_cbranch_execz .LBB23_258
; %bb.257:                              ;   in Loop: Header=BB23_256 Depth=2
	global_load_b32 v27, v[4:5], off
.LBB23_258:                             ;   in Loop: Header=BB23_256 Depth=2
	s_or_b32 exec_lo, exec_lo, s20
	s_and_saveexec_b32 s20, vcc_lo
	s_cbranch_execz .LBB23_255
; %bb.259:                              ;   in Loop: Header=BB23_256 Depth=2
	s_waitcnt vmcnt(0)
	v_xor_b32_e32 v8, 0x80000000, v27
	s_delay_alu instid0(VALU_DEP_1) | instskip(NEXT) | instid1(VALU_DEP_1)
	v_and_b32_e32 v8, s96, v8
	v_cmp_eq_u32_e32 vcc_lo, s97, v8
	s_and_b32 exec_lo, exec_lo, vcc_lo
	s_cbranch_execz .LBB23_255
; %bb.260:                              ;   in Loop: Header=BB23_256 Depth=2
	ds_store_b64 v13, v[26:27] offset:3072
	s_branch .LBB23_255
.LBB23_261:                             ;   in Loop: Header=BB23_33 Depth=1
                                        ; implicit-def: $sgpr10
                                        ; implicit-def: $sgpr20
                                        ; implicit-def: $sgpr11
	s_branch .LBB23_280
.LBB23_262:                             ;   in Loop: Header=BB23_33 Depth=1
                                        ; implicit-def: $vgpr2_vgpr3
	s_branch .LBB23_205
.LBB23_263:                             ;   in Loop: Header=BB23_33 Depth=1
                                        ; implicit-def: $vgpr2_vgpr3
	s_branch .LBB23_222
.LBB23_264:                             ;   in Loop: Header=BB23_33 Depth=1
	s_mov_b32 s10, -1
	s_mov_b32 s24, 0
                                        ; implicit-def: $sgpr11
                                        ; implicit-def: $vgpr28
	s_mov_b32 s20, s10
	s_cbranch_execnz .LBB23_267
	s_branch .LBB23_280
.LBB23_265:                             ;   in Loop: Header=BB23_33 Depth=1
	s_set_inst_prefetch_distance 0x2
	s_or_b32 exec_lo, exec_lo, s10
	s_delay_alu instid0(SALU_CYCLE_1)
	s_and_b32 s24, s11, exec_lo
.LBB23_266:                             ;   in Loop: Header=BB23_33 Depth=1
	s_or_b32 exec_lo, exec_lo, s5
	s_mov_b32 s11, -1
	s_mov_b32 s10, 0
	s_delay_alu instid0(SALU_CYCLE_1)
	s_mov_b32 s20, s10
	s_branch .LBB23_280
.LBB23_267:                             ;   in Loop: Header=BB23_33 Depth=1
	s_add_u32 s20, s78, s8
	s_addc_u32 s11, s79, s9
	s_mov_b32 s10, s51
	s_delay_alu instid0(SALU_CYCLE_1)
	s_cmp_lg_u64 s[10:11], 0
	s_cbranch_scc0 .LBB23_301
; %bb.268:                              ;   in Loop: Header=BB23_33 Depth=1
	v_cvt_f32_u32_e32 v2, s33
	s_sub_u32 s24, 0, s33
	s_subb_u32 s64, 0, 0
	s_delay_alu instid0(VALU_DEP_1) | instskip(NEXT) | instid1(VALU_DEP_1)
	v_fmac_f32_e32 v2, 0x4f800000, v51
	v_rcp_f32_e32 v2, v2
	s_waitcnt_depctr 0xfff
	v_mul_f32_e32 v2, 0x5f7ffffc, v2
	s_delay_alu instid0(VALU_DEP_1) | instskip(NEXT) | instid1(VALU_DEP_1)
	v_mul_f32_e32 v3, 0x2f800000, v2
	v_trunc_f32_e32 v3, v3
	s_delay_alu instid0(VALU_DEP_1) | instskip(SKIP_1) | instid1(VALU_DEP_2)
	v_fmac_f32_e32 v2, 0xcf800000, v3
	v_cvt_u32_f32_e32 v3, v3
	v_cvt_u32_f32_e32 v2, v2
	s_delay_alu instid0(VALU_DEP_2) | instskip(NEXT) | instid1(VALU_DEP_2)
	v_readfirstlane_b32 s5, v3
	v_readfirstlane_b32 s10, v2
	s_delay_alu instid0(VALU_DEP_2) | instskip(NEXT) | instid1(VALU_DEP_1)
	s_mul_i32 s65, s24, s5
	s_mul_hi_u32 s67, s24, s10
	s_mul_i32 s66, s64, s10
	s_add_i32 s65, s67, s65
	s_mul_i32 s68, s24, s10
	s_add_i32 s65, s65, s66
	s_mul_hi_u32 s67, s10, s68
	s_mul_hi_u32 s69, s5, s68
	s_mul_i32 s66, s5, s68
	s_mul_hi_u32 s68, s10, s65
	s_mul_i32 s10, s10, s65
	s_mul_hi_u32 s70, s5, s65
	s_add_u32 s10, s67, s10
	s_addc_u32 s67, 0, s68
	s_add_u32 s10, s10, s66
	s_mul_i32 s65, s5, s65
	s_addc_u32 s10, s67, s69
	s_addc_u32 s66, s70, 0
	s_add_u32 s10, s10, s65
	s_addc_u32 s65, 0, s66
	v_add_co_u32 v2, s10, v2, s10
	s_delay_alu instid0(VALU_DEP_1) | instskip(SKIP_1) | instid1(VALU_DEP_1)
	s_cmp_lg_u32 s10, 0
	s_addc_u32 s5, s5, s65
	v_readfirstlane_b32 s10, v2
	s_mul_i32 s65, s24, s5
	s_delay_alu instid0(VALU_DEP_1)
	s_mul_hi_u32 s66, s24, s10
	s_mul_i32 s64, s64, s10
	s_add_i32 s65, s66, s65
	s_mul_i32 s24, s24, s10
	s_add_i32 s65, s65, s64
	s_mul_hi_u32 s66, s5, s24
	s_mul_i32 s67, s5, s24
	s_mul_hi_u32 s24, s10, s24
	s_mul_hi_u32 s68, s10, s65
	s_mul_i32 s10, s10, s65
	s_mul_hi_u32 s64, s5, s65
	s_add_u32 s10, s24, s10
	s_addc_u32 s24, 0, s68
	s_add_u32 s10, s10, s67
	s_mul_i32 s65, s5, s65
	s_addc_u32 s10, s24, s66
	s_addc_u32 s24, s64, 0
	s_add_u32 s10, s10, s65
	s_addc_u32 s24, 0, s24
	v_add_co_u32 v2, s10, v2, s10
	s_delay_alu instid0(VALU_DEP_1) | instskip(SKIP_2) | instid1(VALU_DEP_1)
	s_cmp_lg_u32 s10, 0
	s_addc_u32 s5, s5, s24
	s_ashr_i32 s64, s11, 31
	v_readfirstlane_b32 s10, v2
	s_add_u32 s66, s20, s64
	s_mov_b32 s65, s64
	s_addc_u32 s67, s11, s64
	s_delay_alu instid0(SALU_CYCLE_1) | instskip(NEXT) | instid1(SALU_CYCLE_1)
	s_xor_b64 s[66:67], s[66:67], s[64:65]
	s_mul_i32 s65, s66, s5
	s_mul_hi_u32 s68, s66, s10
	s_mul_hi_u32 s24, s66, s5
	;; [unrolled: 1-line block ×3, first 2 shown]
	s_mul_i32 s10, s67, s10
	s_add_u32 s65, s68, s65
	s_addc_u32 s24, 0, s24
	s_mul_hi_u32 s69, s67, s5
	s_add_u32 s10, s65, s10
	s_mul_i32 s5, s67, s5
	s_addc_u32 s10, s24, s70
	s_addc_u32 s24, s69, 0
	s_add_u32 s5, s10, s5
	s_addc_u32 s10, 0, s24
	s_mul_hi_u32 s24, s33, s5
	s_mul_i32 s5, s33, s5
	s_mul_i32 s10, s33, s10
	v_sub_co_u32 v2, s5, s66, s5
	s_add_i32 s24, s24, s10
	s_cmp_lg_u32 s5, 0
	s_delay_alu instid0(VALU_DEP_1) | instskip(SKIP_2) | instid1(VALU_DEP_1)
	v_sub_co_u32 v3, s5, v2, s33
	s_subb_u32 s10, s67, s24
	s_cmp_lg_u32 s5, 0
	v_cmp_le_u32_e32 vcc_lo, s33, v3
	v_sub_co_u32 v4, s5, v3, s33
	s_subb_u32 s24, s10, 0
	s_cmp_lg_u32 s5, 0
	v_cndmask_b32_e64 v5, 0, -1, vcc_lo
	s_subb_u32 s5, s24, 0
	s_cmp_eq_u32 s24, 0
	v_mov_b32_e32 v7, s5
	s_cselect_b32 vcc_lo, -1, 0
	s_cmp_eq_u32 s10, 0
	v_cndmask_b32_e32 v5, -1, v5, vcc_lo
	v_cmp_le_u32_e32 vcc_lo, s33, v2
	s_cselect_b32 s5, -1, 0
	v_cndmask_b32_e64 v6, 0, -1, vcc_lo
	s_delay_alu instid0(VALU_DEP_3) | instskip(NEXT) | instid1(VALU_DEP_2)
	v_cmp_ne_u32_e32 vcc_lo, 0, v5
	v_cndmask_b32_e64 v5, -1, v6, s5
	v_cndmask_b32_e32 v3, v3, v4, vcc_lo
	v_cndmask_b32_e32 v6, s24, v7, vcc_lo
	s_delay_alu instid0(VALU_DEP_3) | instskip(NEXT) | instid1(VALU_DEP_3)
	v_cmp_ne_u32_e32 vcc_lo, 0, v5
	v_cndmask_b32_e32 v2, v2, v3, vcc_lo
	s_delay_alu instid0(VALU_DEP_3) | instskip(NEXT) | instid1(VALU_DEP_2)
	v_cndmask_b32_e32 v4, s10, v6, vcc_lo
	v_xor_b32_e32 v2, s64, v2
	s_delay_alu instid0(VALU_DEP_2) | instskip(NEXT) | instid1(VALU_DEP_2)
	v_xor_b32_e32 v3, s64, v4
	v_sub_co_u32 v2, vcc_lo, v2, s64
	s_delay_alu instid0(VALU_DEP_2)
	v_subrev_co_ci_u32_e32 v3, vcc_lo, s64, v3, vcc_lo
	s_cbranch_execnz .LBB23_270
.LBB23_269:                             ;   in Loop: Header=BB23_33 Depth=1
	v_cvt_f32_u32_e32 v2, s33
	s_sub_i32 s5, 0, s33
	s_delay_alu instid0(VALU_DEP_1) | instskip(SKIP_2) | instid1(VALU_DEP_1)
	v_rcp_iflag_f32_e32 v2, v2
	s_waitcnt_depctr 0xfff
	v_mul_f32_e32 v2, 0x4f7ffffe, v2
	v_cvt_u32_f32_e32 v2, v2
	s_delay_alu instid0(VALU_DEP_1) | instskip(NEXT) | instid1(VALU_DEP_1)
	v_mul_lo_u32 v3, s5, v2
	v_mul_hi_u32 v3, v2, v3
	s_delay_alu instid0(VALU_DEP_1) | instskip(NEXT) | instid1(VALU_DEP_1)
	v_add_nc_u32_e32 v2, v2, v3
	v_mul_hi_u32 v2, s20, v2
	s_delay_alu instid0(VALU_DEP_1) | instskip(NEXT) | instid1(VALU_DEP_1)
	v_mul_lo_u32 v2, v2, s33
	v_sub_nc_u32_e32 v2, s20, v2
	s_delay_alu instid0(VALU_DEP_1) | instskip(SKIP_1) | instid1(VALU_DEP_2)
	v_subrev_nc_u32_e32 v3, s33, v2
	v_cmp_le_u32_e32 vcc_lo, s33, v2
	v_cndmask_b32_e32 v2, v2, v3, vcc_lo
	s_delay_alu instid0(VALU_DEP_1) | instskip(SKIP_1) | instid1(VALU_DEP_2)
	v_subrev_nc_u32_e32 v3, s33, v2
	v_cmp_le_u32_e32 vcc_lo, s33, v2
	v_cndmask_b32_e32 v12, v2, v3, vcc_lo
	s_delay_alu instid0(VALU_DEP_1)
	v_dual_mov_b32 v2, v12 :: v_dual_mov_b32 v3, v13
.LBB23_270:                             ;   in Loop: Header=BB23_33 Depth=1
	s_delay_alu instid0(VALU_DEP_1) | instskip(NEXT) | instid1(VALU_DEP_2)
	v_sub_co_u32 v2, vcc_lo, s20, v2
	v_sub_co_ci_u32_e32 v3, vcc_lo, s11, v3, vcc_lo
	s_mov_b32 s24, 0
	s_mov_b32 s5, exec_lo
                                        ; implicit-def: $vgpr28
	s_delay_alu instid0(VALU_DEP_1)
	v_cmpx_gt_i64_e64 v[2:3], v[0:1]
	s_cbranch_execz .LBB23_279
; %bb.271:                              ;   in Loop: Header=BB23_33 Depth=1
	v_dual_mov_b32 v6, v14 :: v_dual_mov_b32 v5, v1
	v_mov_b32_e32 v4, v0
	s_mov_b32 s10, 0
                                        ; implicit-def: $sgpr11
	s_set_inst_prefetch_distance 0x1
	s_branch .LBB23_273
	.p2align	6
.LBB23_272:                             ;   in Loop: Header=BB23_273 Depth=2
	s_or_b32 exec_lo, exec_lo, s20
	s_waitcnt lgkmcnt(0)
	s_barrier
	buffer_gl0_inv
	ds_load_b64 v[27:28], v13 offset:3072
	v_add_co_u32 v4, vcc_lo, v4, s33
	v_add_co_ci_u32_e32 v5, vcc_lo, 0, v5, vcc_lo
	v_add_nc_u32_e32 v6, s86, v6
	s_waitcnt lgkmcnt(0)
	s_barrier
	s_delay_alu instid0(VALU_DEP_2) | instskip(SKIP_2) | instid1(VALU_DEP_1)
	v_cmp_ge_i64_e32 vcc_lo, v[4:5], v[2:3]
	buffer_gl0_inv
	v_readfirstlane_b32 s20, v27
	s_cmp_lg_u32 s20, 0
	s_cselect_b32 s20, -1, 0
	s_delay_alu instid0(SALU_CYCLE_1) | instskip(NEXT) | instid1(SALU_CYCLE_1)
	s_or_b32 s24, s20, vcc_lo
	s_and_b32 s24, exec_lo, s24
	s_delay_alu instid0(SALU_CYCLE_1) | instskip(SKIP_2) | instid1(SALU_CYCLE_1)
	s_or_b32 s10, s24, s10
	s_and_not1_b32 s11, s11, exec_lo
	s_and_b32 s20, s20, exec_lo
	s_or_b32 s11, s11, s20
	s_and_not1_b32 exec_lo, exec_lo, s10
	s_cbranch_execz .LBB23_278
.LBB23_273:                             ;   Parent Loop BB23_33 Depth=1
                                        ; =>  This Inner Loop Header: Depth=2
	s_delay_alu instid0(VALU_DEP_1)
	v_cmp_gt_i64_e32 vcc_lo, s[8:9], v[4:5]
	v_mov_b32_e32 v27, 0
	s_and_saveexec_b32 s20, vcc_lo
	s_cbranch_execz .LBB23_275
; %bb.274:                              ;   in Loop: Header=BB23_273 Depth=2
	ds_load_b32 v27, v6
.LBB23_275:                             ;   in Loop: Header=BB23_273 Depth=2
	s_or_b32 exec_lo, exec_lo, s20
	s_and_saveexec_b32 s20, vcc_lo
	s_cbranch_execz .LBB23_272
; %bb.276:                              ;   in Loop: Header=BB23_273 Depth=2
	s_waitcnt lgkmcnt(0)
	v_xor_b32_e32 v7, 0x80000000, v27
	s_delay_alu instid0(VALU_DEP_1) | instskip(NEXT) | instid1(VALU_DEP_1)
	v_and_b32_e32 v7, s96, v7
	v_cmp_eq_u32_e32 vcc_lo, s97, v7
	s_and_b32 exec_lo, exec_lo, vcc_lo
	s_cbranch_execz .LBB23_272
; %bb.277:                              ;   in Loop: Header=BB23_273 Depth=2
	ds_store_b64 v13, v[26:27] offset:3072
	s_branch .LBB23_272
.LBB23_278:                             ;   in Loop: Header=BB23_33 Depth=1
	s_set_inst_prefetch_distance 0x2
	s_or_b32 exec_lo, exec_lo, s10
	s_delay_alu instid0(SALU_CYCLE_1)
	s_and_b32 s24, s11, exec_lo
.LBB23_279:                             ;   in Loop: Header=BB23_33 Depth=1
	s_or_b32 exec_lo, exec_lo, s5
	s_mov_b32 s20, -1
	s_mov_b32 s10, 0
	s_mov_b32 s11, 0
.LBB23_280:                             ;   in Loop: Header=BB23_33 Depth=1
	s_mov_b32 s65, 0
                                        ; implicit-def: $sgpr5
                                        ; implicit-def: $sgpr8_sgpr9
	s_and_saveexec_b32 s64, s24
	s_cbranch_execz .LBB23_293
; %bb.281:                              ;   in Loop: Header=BB23_33 Depth=1
	s_xor_b32 s5, s19, -1
	s_mov_b64 s[8:9], 1
	s_and_not1_b32 vcc_lo, exec_lo, s5
	s_mov_b32 s5, 1
	s_cbranch_vccnz .LBB23_292
; %bb.282:                              ;   in Loop: Header=BB23_33 Depth=1
	v_cmp_gt_i64_e64 s5, s[38:39], s[6:7]
	s_delay_alu instid0(VALU_DEP_1)
	s_and_b32 vcc_lo, exec_lo, s5
	s_cbranch_vccnz .LBB23_288
; %bb.283:                              ;   in Loop: Header=BB23_33 Depth=1
	ds_load_b64 v[2:3], v13 offset:5120
	s_waitcnt lgkmcnt(0)
	v_cmp_ne_u64_e32 vcc_lo, 0, v[2:3]
	s_cbranch_vccnz .LBB23_287
; %bb.284:                              ;   in Loop: Header=BB23_33 Depth=1
	s_and_saveexec_b32 s5, s0
	s_cbranch_execz .LBB23_286
; %bb.285:                              ;   in Loop: Header=BB23_33 Depth=1
	v_dual_mov_b32 v2, s6 :: v_dual_mov_b32 v3, s7
	ds_store_b64 v13, v[2:3] offset:5128
.LBB23_286:                             ;   in Loop: Header=BB23_33 Depth=1
	s_or_b32 exec_lo, exec_lo, s5
	s_waitcnt lgkmcnt(0)
	s_barrier
	buffer_gl0_inv
.LBB23_287:                             ;   in Loop: Header=BB23_33 Depth=1
	s_or_b32 s19, s97, s18
	s_or_b32 s18, s96, s18
	s_mov_b32 s8, 0
	s_mov_b32 s5, 8
	s_branch .LBB23_289
.LBB23_288:                             ;   in Loop: Header=BB23_33 Depth=1
	s_mov_b32 s8, -1
                                        ; implicit-def: $sgpr5
                                        ; implicit-def: $sgpr19
                                        ; implicit-def: $sgpr18
.LBB23_289:                             ;   in Loop: Header=BB23_33 Depth=1
	s_delay_alu instid0(SALU_CYCLE_1)
	s_and_not1_b32 vcc_lo, exec_lo, s8
	s_cbranch_vccnz .LBB23_291
; %bb.290:                              ;   in Loop: Header=BB23_33 Depth=1
	s_sub_u32 s38, s38, s6
	s_subb_u32 s39, s39, s7
	s_mov_b32 s5, 8
	s_mov_b32 s19, s97
	;; [unrolled: 1-line block ×3, first 2 shown]
.LBB23_291:                             ;   in Loop: Header=BB23_33 Depth=1
	s_mov_b64 s[8:9], s[38:39]
	s_mov_b32 s97, s19
	s_mov_b32 s96, s18
.LBB23_292:                             ;   in Loop: Header=BB23_33 Depth=1
	s_mov_b32 s65, exec_lo
.LBB23_293:                             ;   in Loop: Header=BB23_33 Depth=1
	s_or_b32 exec_lo, exec_lo, s64
	s_mov_b64 s[38:39], s[8:9]
.LBB23_294:                             ;   in Loop: Header=BB23_33 Depth=1
	s_and_not1_b32 s6, s12, exec_lo
	s_and_b32 s7, s10, exec_lo
	s_and_not1_b32 s8, s13, exec_lo
	s_or_b32 s12, s6, s7
	s_and_not1_b32 s6, s23, exec_lo
	s_and_b32 s7, s20, exec_lo
	s_and_b32 s9, s11, exec_lo
	s_or_b32 s23, s6, s7
	s_or_b32 s13, s8, s9
	s_and_b32 s10, s65, exec_lo
.LBB23_295:                             ;   in Loop: Header=BB23_33 Depth=1
	s_or_b32 exec_lo, exec_lo, s50
.LBB23_296:                             ;   in Loop: Header=BB23_33 Depth=1
	s_delay_alu instid0(SALU_CYCLE_1)
	s_and_not1_b32 s6, s15, exec_lo
	s_and_b32 s7, s12, exec_lo
	s_and_not1_b32 s8, s14, exec_lo
	s_or_b32 s15, s6, s7
	s_and_not1_b32 s6, s21, exec_lo
	s_and_b32 s7, s23, exec_lo
	s_and_b32 s9, s13, exec_lo
	s_or_b32 s21, s6, s7
	s_or_b32 s14, s8, s9
	s_and_b32 s12, s10, exec_lo
.LBB23_297:                             ;   in Loop: Header=BB23_33 Depth=1
	s_or_b32 exec_lo, exec_lo, s22
	s_and_saveexec_b32 s6, s12
	s_delay_alu instid0(SALU_CYCLE_1)
	s_xor_b32 s6, exec_lo, s6
	s_cbranch_execz .LBB23_31
.LBB23_298:                             ;   in Loop: Header=BB23_33 Depth=1
	s_and_b32 s5, s5, -9
	s_delay_alu instid0(SALU_CYCLE_1)
	s_cmp_eq_u32 s5, 0
	s_cbranch_scc1 .LBB23_29
; %bb.299:                              ;   in Loop: Header=BB23_33 Depth=1
	s_mov_b32 s5, -1
	s_mov_b32 s7, -1
                                        ; implicit-def: $sgpr96
                                        ; implicit-def: $sgpr90
                                        ; implicit-def: $sgpr92
	s_branch .LBB23_30
.LBB23_300:                             ;   in Loop: Header=BB23_33 Depth=1
                                        ; implicit-def: $vgpr2_vgpr3
	s_branch .LBB23_252
.LBB23_301:                             ;   in Loop: Header=BB23_33 Depth=1
                                        ; implicit-def: $vgpr2_vgpr3
	s_branch .LBB23_269
.LBB23_302:
	s_or_b32 exec_lo, exec_lo, s87
	s_xor_b32 s5, s91, -1
	s_xor_b32 s2, s88, -1
	;; [unrolled: 1-line block ×3, first 2 shown]
	s_mov_b32 s3, 0
	s_and_saveexec_b32 s6, s2
	s_delay_alu instid0(SALU_CYCLE_1)
	s_xor_b32 s2, exec_lo, s6
	s_cbranch_execz .LBB23_325
; %bb.303:
	s_and_saveexec_b32 s3, s5
	s_delay_alu instid0(SALU_CYCLE_1)
	s_xor_b32 s3, exec_lo, s3
	s_cbranch_execz .LBB23_323
; %bb.304:
	s_and_saveexec_b32 s5, s4
	s_delay_alu instid0(SALU_CYCLE_1)
	s_xor_b32 s4, exec_lo, s5
; %bb.305:
	v_xor_b32_e32 v28, 0x80000000, v2
; %bb.306:
	s_or_b32 exec_lo, exec_lo, s4
	s_and_saveexec_b32 s4, s0
	s_cbranch_execz .LBB23_308
; %bb.307:
	v_dual_mov_b32 v2, 0 :: v_dual_mov_b32 v3, s36
	ds_store_b32 v2, v3 offset:5140
.LBB23_308:
	s_or_b32 exec_lo, exec_lo, s4
	s_waitcnt lgkmcnt(0)
	s_barrier
	buffer_gl0_inv
	s_and_saveexec_b32 s4, s1
	s_cbranch_execz .LBB23_320
; %bb.309:
	v_mov_b32_e32 v2, 0
	s_mov_b32 s5, 0
                                        ; implicit-def: $sgpr6
                                        ; implicit-def: $sgpr7
                                        ; implicit-def: $sgpr8
	ds_load_b32 v4, v2 offset:5140
	s_waitcnt lgkmcnt(0)
	v_ashrrev_i32_e32 v5, 31, v4
	s_set_inst_prefetch_distance 0x1
	s_branch .LBB23_312
	.p2align	6
.LBB23_310:                             ;   in Loop: Header=BB23_312 Depth=1
	s_or_b32 exec_lo, exec_lo, s11
	s_delay_alu instid0(SALU_CYCLE_1)
	s_and_not1_b32 s8, s8, exec_lo
	s_and_b32 s10, s10, exec_lo
	s_and_not1_b32 s7, s7, exec_lo
	s_and_b32 s1, s1, exec_lo
	s_or_b32 s8, s8, s10
	s_or_b32 s7, s7, s1
.LBB23_311:                             ;   in Loop: Header=BB23_312 Depth=1
	s_or_b32 exec_lo, exec_lo, s9
	s_delay_alu instid0(SALU_CYCLE_1) | instskip(NEXT) | instid1(SALU_CYCLE_1)
	s_and_b32 s1, exec_lo, s7
	s_or_b32 s5, s1, s5
	s_and_not1_b32 s1, s6, exec_lo
	s_and_b32 s6, s8, exec_lo
	s_delay_alu instid0(SALU_CYCLE_1)
	s_or_b32 s6, s1, s6
	s_and_not1_b32 exec_lo, exec_lo, s5
	s_cbranch_execz .LBB23_315
.LBB23_312:                             ; =>This Inner Loop Header: Depth=1
	v_dual_mov_b32 v3, v1 :: v_dual_mov_b32 v2, v0
	s_or_b32 s8, s8, exec_lo
	s_or_b32 s7, s7, exec_lo
	s_mov_b32 s9, exec_lo
                                        ; implicit-def: $vgpr0_vgpr1
	s_delay_alu instid0(VALU_DEP_1)
	v_cmpx_lt_i64_e64 v[2:3], v[4:5]
	s_cbranch_execz .LBB23_311
; %bb.313:                              ;   in Loop: Header=BB23_312 Depth=1
	global_load_b32 v0, v[10:11], off
	s_mov_b32 s1, -1
	s_mov_b32 s10, 0
	s_waitcnt vmcnt(0)
	v_cmp_ne_u32_e32 vcc_lo, v0, v28
                                        ; implicit-def: $vgpr0_vgpr1
	s_and_saveexec_b32 s11, vcc_lo
	s_cbranch_execz .LBB23_310
; %bb.314:                              ;   in Loop: Header=BB23_312 Depth=1
	v_add_co_u32 v0, vcc_lo, v2, s33
	v_add_co_ci_u32_e32 v1, vcc_lo, 0, v3, vcc_lo
	v_add_co_u32 v10, s1, v10, s52
	s_delay_alu instid0(VALU_DEP_1) | instskip(NEXT) | instid1(VALU_DEP_3)
	v_add_co_ci_u32_e64 v11, s1, s53, v11, s1
	v_cmp_le_i64_e32 vcc_lo, s[36:37], v[0:1]
	s_mov_b32 s10, exec_lo
	s_or_not1_b32 s1, vcc_lo, exec_lo
	s_branch .LBB23_310
.LBB23_315:
	s_set_inst_prefetch_distance 0x2
	s_or_b32 exec_lo, exec_lo, s5
	s_xor_b32 s1, s6, -1
	s_delay_alu instid0(SALU_CYCLE_1) | instskip(NEXT) | instid1(SALU_CYCLE_1)
	s_and_saveexec_b32 s5, s1
	s_xor_b32 s5, exec_lo, s5
	s_cbranch_execz .LBB23_320
; %bb.316:
	s_mov_b32 s5, exec_lo
	s_brev_b32 s1, -2
.LBB23_317:                             ; =>This Inner Loop Header: Depth=1
	s_ctz_i32_b32 s6, s5
	s_delay_alu instid0(SALU_CYCLE_1) | instskip(SKIP_1) | instid1(SALU_CYCLE_1)
	v_readlane_b32 s7, v2, s6
	s_lshl_b32 s6, 1, s6
	s_and_not1_b32 s5, s5, s6
	s_delay_alu instid0(VALU_DEP_1)
	s_min_i32 s1, s1, s7
	s_cmp_lg_u32 s5, 0
	s_cbranch_scc1 .LBB23_317
; %bb.318:
	v_mbcnt_lo_u32_b32 v0, exec_lo, 0
	s_mov_b32 s5, exec_lo
	s_delay_alu instid0(VALU_DEP_1)
	v_cmpx_eq_u32_e32 0, v0
	s_xor_b32 s5, exec_lo, s5
	s_cbranch_execz .LBB23_320
; %bb.319:
	v_dual_mov_b32 v0, 0 :: v_dual_mov_b32 v1, s1
	ds_min_i32 v0, v1 offset:5140
.LBB23_320:
	s_or_b32 exec_lo, exec_lo, s4
	s_waitcnt lgkmcnt(0)
	s_barrier
	buffer_gl0_inv
	s_and_saveexec_b32 s1, s0
	s_cbranch_execz .LBB23_322
; %bb.321:
	v_mov_b32_e32 v2, 0
	s_mul_i32 s0, s30, s29
	s_mul_hi_u32 s5, s30, s28
	s_mul_i32 s6, s31, s28
	s_add_i32 s0, s5, s0
	ds_load_b32 v0, v2 offset:5140
	s_mul_i32 s7, s46, s41
	s_mul_hi_u32 s8, s46, s40
	s_mul_i32 s4, s30, s28
	s_add_i32 s5, s0, s6
	s_mul_i32 s9, s47, s40
	s_add_i32 s0, s8, s7
	s_lshl_b64 s[4:5], s[4:5], 2
	s_add_i32 s7, s0, s9
	s_add_u32 s0, s48, s4
	s_addc_u32 s8, s49, s5
	s_lshl_b64 s[4:5], s[26:27], 2
	s_mul_i32 s6, s46, s40
	s_add_u32 s4, s0, s4
	s_addc_u32 s5, s8, s5
	s_lshl_b64 s[6:7], s[6:7], 3
	s_delay_alu instid0(SALU_CYCLE_1)
	s_add_u32 s0, s44, s6
	s_addc_u32 s8, s45, s7
	s_lshl_b64 s[6:7], s[34:35], 3
	s_waitcnt lgkmcnt(0)
	v_ashrrev_i32_e32 v1, 31, v0
	s_add_u32 s6, s0, s6
	s_addc_u32 s7, s8, s7
	s_clause 0x1
	global_store_b64 v2, v[0:1], s[6:7]
	global_store_b32 v2, v28, s[4:5]
.LBB23_322:
	s_or_b32 exec_lo, exec_lo, s1
.LBB23_323:
	s_or_saveexec_b32 s0, s3
	s_mov_b32 s1, 0
	s_xor_b32 exec_lo, exec_lo, s0
	s_cbranch_execnz .LBB23_331
.LBB23_324:
	s_or_b32 exec_lo, exec_lo, s0
	s_delay_alu instid0(SALU_CYCLE_1)
	s_and_b32 s3, s1, exec_lo
.LBB23_325:
	s_and_not1_saveexec_b32 s0, s2
	s_cbranch_execnz .LBB23_329
; %bb.326:
	s_or_b32 exec_lo, exec_lo, s0
	s_and_saveexec_b32 s0, s3
.LBB23_327:
	; divergent unreachable
.LBB23_328:
	s_nop 0
	s_sendmsg sendmsg(MSG_DEALLOC_VGPRS)
	s_endpgm
.LBB23_329:
	s_cbranch_execnz .LBB23_333
; %bb.330:
	s_or_b32 s3, s3, exec_lo
	s_or_b32 exec_lo, exec_lo, s0
	s_and_saveexec_b32 s0, s3
	s_cbranch_execnz .LBB23_327
	s_branch .LBB23_328
.LBB23_331:
	s_cbranch_execnz .LBB23_335
; %bb.332:
	s_mov_b32 s1, exec_lo
	s_branch .LBB23_324
.LBB23_333:
	s_trap 2
	s_sendmsg_rtn_b32 s0, sendmsg(MSG_RTN_GET_DOORBELL)
	s_mov_b32 ttmp2, m0
	s_waitcnt lgkmcnt(0)
	s_and_b32 s0, s0, 0x3ff
	s_delay_alu instid0(SALU_CYCLE_1) | instskip(NEXT) | instid1(SALU_CYCLE_1)
	s_bitset1_b32 s0, 10
	s_mov_b32 m0, s0
	s_sendmsg sendmsg(MSG_INTERRUPT)
	s_mov_b32 m0, ttmp2
.LBB23_334:                             ; =>This Inner Loop Header: Depth=1
	s_sethalt 5
	s_branch .LBB23_334
.LBB23_335:
	s_trap 2
	s_sendmsg_rtn_b32 s0, sendmsg(MSG_RTN_GET_DOORBELL)
	s_mov_b32 ttmp2, m0
	s_waitcnt lgkmcnt(0)
	s_and_b32 s0, s0, 0x3ff
	s_delay_alu instid0(SALU_CYCLE_1) | instskip(NEXT) | instid1(SALU_CYCLE_1)
	s_bitset1_b32 s0, 10
	s_mov_b32 m0, s0
	s_sendmsg sendmsg(MSG_INTERRUPT)
	s_mov_b32 m0, ttmp2
.LBB23_336:                             ; =>This Inner Loop Header: Depth=1
	s_sethalt 5
	s_branch .LBB23_336
	.section	.rodata,"a",@progbits
	.p2align	6, 0x0
	.amdhsa_kernel _ZN2at6native12_GLOBAL__N_114gatherKthValueIilLin1EEEvNS_4cuda6detail10TensorInfoIKT_T0_EES8_S8_S8_S8_NS5_IS6_S8_EENS5_IlS8_EE
		.amdhsa_group_segment_fixed_size 5144
		.amdhsa_private_segment_fixed_size 0
		.amdhsa_kernarg_size 1536
		.amdhsa_user_sgpr_count 13
		.amdhsa_user_sgpr_dispatch_ptr 0
		.amdhsa_user_sgpr_queue_ptr 0
		.amdhsa_user_sgpr_kernarg_segment_ptr 1
		.amdhsa_user_sgpr_dispatch_id 0
		.amdhsa_user_sgpr_private_segment_size 0
		.amdhsa_wavefront_size32 1
		.amdhsa_uses_dynamic_stack 0
		.amdhsa_enable_private_segment 0
		.amdhsa_system_sgpr_workgroup_id_x 1
		.amdhsa_system_sgpr_workgroup_id_y 1
		.amdhsa_system_sgpr_workgroup_id_z 1
		.amdhsa_system_sgpr_workgroup_info 0
		.amdhsa_system_vgpr_workitem_id 0
		.amdhsa_next_free_vgpr 52
		.amdhsa_next_free_sgpr 103
		.amdhsa_reserve_vcc 1
		.amdhsa_float_round_mode_32 0
		.amdhsa_float_round_mode_16_64 0
		.amdhsa_float_denorm_mode_32 3
		.amdhsa_float_denorm_mode_16_64 3
		.amdhsa_dx10_clamp 1
		.amdhsa_ieee_mode 1
		.amdhsa_fp16_overflow 0
		.amdhsa_workgroup_processor_mode 1
		.amdhsa_memory_ordered 1
		.amdhsa_forward_progress 0
		.amdhsa_shared_vgpr_count 0
		.amdhsa_exception_fp_ieee_invalid_op 0
		.amdhsa_exception_fp_denorm_src 0
		.amdhsa_exception_fp_ieee_div_zero 0
		.amdhsa_exception_fp_ieee_overflow 0
		.amdhsa_exception_fp_ieee_underflow 0
		.amdhsa_exception_fp_ieee_inexact 0
		.amdhsa_exception_int_div_zero 0
	.end_amdhsa_kernel
	.section	.text._ZN2at6native12_GLOBAL__N_114gatherKthValueIilLin1EEEvNS_4cuda6detail10TensorInfoIKT_T0_EES8_S8_S8_S8_NS5_IS6_S8_EENS5_IlS8_EE,"axG",@progbits,_ZN2at6native12_GLOBAL__N_114gatherKthValueIilLin1EEEvNS_4cuda6detail10TensorInfoIKT_T0_EES8_S8_S8_S8_NS5_IS6_S8_EENS5_IlS8_EE,comdat
.Lfunc_end23:
	.size	_ZN2at6native12_GLOBAL__N_114gatherKthValueIilLin1EEEvNS_4cuda6detail10TensorInfoIKT_T0_EES8_S8_S8_S8_NS5_IS6_S8_EENS5_IlS8_EE, .Lfunc_end23-_ZN2at6native12_GLOBAL__N_114gatherKthValueIilLin1EEEvNS_4cuda6detail10TensorInfoIKT_T0_EES8_S8_S8_S8_NS5_IS6_S8_EENS5_IlS8_EE
                                        ; -- End function
	.section	.AMDGPU.csdata,"",@progbits
; Kernel info:
; codeLenInByte = 20032
; NumSgprs: 105
; NumVgprs: 52
; ScratchSize: 0
; MemoryBound: 0
; FloatMode: 240
; IeeeMode: 1
; LDSByteSize: 5144 bytes/workgroup (compile time only)
; SGPRBlocks: 13
; VGPRBlocks: 6
; NumSGPRsForWavesPerEU: 105
; NumVGPRsForWavesPerEU: 52
; Occupancy: 16
; WaveLimiterHint : 1
; COMPUTE_PGM_RSRC2:SCRATCH_EN: 0
; COMPUTE_PGM_RSRC2:USER_SGPR: 13
; COMPUTE_PGM_RSRC2:TRAP_HANDLER: 0
; COMPUTE_PGM_RSRC2:TGID_X_EN: 1
; COMPUTE_PGM_RSRC2:TGID_Y_EN: 1
; COMPUTE_PGM_RSRC2:TGID_Z_EN: 1
; COMPUTE_PGM_RSRC2:TIDIG_COMP_CNT: 0
	.section	.text._ZN2at6native12_GLOBAL__N_114gatherKthValueIliLi1EEEvNS_4cuda6detail10TensorInfoIKT_T0_EES8_S8_S8_S8_NS5_IS6_S8_EENS5_IlS8_EE,"axG",@progbits,_ZN2at6native12_GLOBAL__N_114gatherKthValueIliLi1EEEvNS_4cuda6detail10TensorInfoIKT_T0_EES8_S8_S8_S8_NS5_IS6_S8_EENS5_IlS8_EE,comdat
	.globl	_ZN2at6native12_GLOBAL__N_114gatherKthValueIliLi1EEEvNS_4cuda6detail10TensorInfoIKT_T0_EES8_S8_S8_S8_NS5_IS6_S8_EENS5_IlS8_EE ; -- Begin function _ZN2at6native12_GLOBAL__N_114gatherKthValueIliLi1EEEvNS_4cuda6detail10TensorInfoIKT_T0_EES8_S8_S8_S8_NS5_IS6_S8_EENS5_IlS8_EE
	.p2align	8
	.type	_ZN2at6native12_GLOBAL__N_114gatherKthValueIliLi1EEEvNS_4cuda6detail10TensorInfoIKT_T0_EES8_S8_S8_S8_NS5_IS6_S8_EENS5_IlS8_EE,@function
_ZN2at6native12_GLOBAL__N_114gatherKthValueIliLi1EEEvNS_4cuda6detail10TensorInfoIKT_T0_EES8_S8_S8_S8_NS5_IS6_S8_EENS5_IlS8_EE: ; @_ZN2at6native12_GLOBAL__N_114gatherKthValueIliLi1EEEvNS_4cuda6detail10TensorInfoIKT_T0_EES8_S8_S8_S8_NS5_IS6_S8_EENS5_IlS8_EE
; %bb.0:
	s_clause 0x1
	s_load_b64 s[6:7], s[0:1], 0x298
	s_load_b128 s[36:39], s[0:1], 0xd8
	s_add_u32 s4, s0, 0x298
	s_addc_u32 s5, s1, 0
	s_waitcnt lgkmcnt(0)
	s_mul_i32 s2, s7, s15
	s_delay_alu instid0(SALU_CYCLE_1) | instskip(NEXT) | instid1(SALU_CYCLE_1)
	s_add_i32 s2, s2, s14
	s_mul_i32 s29, s2, s6
	s_delay_alu instid0(SALU_CYCLE_1) | instskip(NEXT) | instid1(SALU_CYCLE_1)
	s_add_i32 s29, s29, s13
	s_cmp_ge_i32 s29, s38
	s_cbranch_scc1 .LBB24_266
; %bb.1:
	s_clause 0x3
	s_load_b64 s[30:31], s[0:1], 0x1c0
	s_load_b64 s[34:35], s[0:1], 0xe8
	s_load_b32 s3, s[0:1], 0x6c
	s_load_b64 s[8:9], s[0:1], 0x0
	v_cmp_eq_u32_e64 s2, 0, v0
	s_mov_b32 s49, 0
	s_delay_alu instid0(VALU_DEP_1)
	s_and_saveexec_b32 s7, s2
	s_cbranch_execz .LBB24_3
; %bb.2:
	v_dual_mov_b32 v1, 0 :: v_dual_mov_b32 v2, s36
	s_delay_alu instid0(VALU_DEP_1)
	v_mov_b32_e32 v3, v1
	ds_store_b96 v1, v[1:3] offset:4096
.LBB24_3:
	s_or_b32 exec_lo, exec_lo, s7
	s_waitcnt lgkmcnt(0)
	s_barrier
	buffer_gl0_inv
	s_load_b32 s7, s[4:5], 0xc
	s_clause 0x1
	s_load_b32 s33, s[0:1], 0x22c
	s_load_b32 s38, s[0:1], 0x154
	s_mul_i32 s0, s3, s29
	v_mbcnt_lo_u32_b32 v22, -1, 0
	s_ashr_i32 s1, s0, 31
	v_cmp_gt_u32_e32 vcc_lo, 32, v0
	s_lshl_b64 s[10:11], s[0:1], 3
	v_dual_mov_b32 v12, 0 :: v_dual_lshlrev_b32 v23, 2, v0
	s_add_u32 s46, s8, s10
	s_addc_u32 s47, s9, s11
	v_cmp_gt_i32_e64 s1, 4, v22
	v_mul_lo_u32 v10, v0, s39
	v_lshrrev_b32_e32 v3, 3, v0
	v_mov_b32_e32 v11, v12
	s_mov_b32 s10, s39
	s_and_b32 s51, vcc_lo, s1
	v_mad_u64_u32 v[17:18], null, s39, v23, s[10:11]
	s_waitcnt lgkmcnt(0)
	s_and_b32 s48, s7, 0xffff
	s_bfe_u32 s3, s7, 0xb0005
	s_lshl_b32 s50, s48, 2
	s_add_i32 s53, s48, -1
	v_cvt_f32_u32_e32 v1, s50
	s_add_i32 s63, s53, s36
	s_cmpk_gt_i32 s36, 0x180
	v_cvt_f32_u32_e32 v2, s48
	s_cselect_b32 s54, -1, 0
	v_rcp_iflag_f32_e32 v1, v1
	s_cmp_gt_u32 s48, 31
	v_lshlrev_b32_e32 v24, 3, v0
	s_cselect_b32 s55, -1, 0
	s_cmp_lt_u32 s13, s6
	v_rcp_iflag_f32_e32 v2, v2
	s_cselect_b32 s6, 12, 18
	v_and_b32_e32 v27, 0x7c, v3
	s_add_u32 s40, s4, s6
	s_addc_u32 s41, s5, 0
	s_waitcnt_depctr 0xfff
	v_mul_f32_e32 v1, 0x4f7ffffe, v1
	s_add_i32 s4, s3, -1
	s_bfe_u32 s56, s48, 0x30005
	s_cmp_gt_u32 s4, 6
	v_lshlrev_b64 v[4:5], 3, v[10:11]
	v_cvt_u32_f32_e32 v1, v1
	s_cselect_b32 s57, -1, 0
	s_and_b32 s58, s3, 0x7f8
	s_cmp_lg_u32 s56, 0
	v_add_nc_u32_e32 v25, 0xc00, v24
	v_readfirstlane_b32 s4, v1
	s_cselect_b32 s59, -1, 0
	s_sub_i32 s3, 0, s50
	v_add_co_u32 v13, vcc_lo, s46, v4
	s_delay_alu instid0(VALU_DEP_2)
	s_mul_i32 s5, s3, s4
	v_add_co_ci_u32_e32 v14, vcc_lo, s47, v5, vcc_lo
	v_mov_b32_e32 v4, 0
	s_mul_hi_u32 s5, s4, s5
	v_cmp_gt_u32_e64 s0, 2, v0
	s_add_i32 s60, s4, s5
	v_cmp_gt_u32_e64 s1, s36, v0
	s_mul_hi_u32 s5, s36, s60
	v_cmp_gt_i32_e64 s3, s36, v0
	s_mul_i32 s5, s5, s50
	v_cmp_eq_u32_e64 s4, 0, v22
	s_sub_i32 s5, s36, s5
	v_lshlrev_b32_e32 v31, 2, v10
	s_sub_i32 s6, s5, s50
	s_cmp_ge_u32 s5, s50
	v_lshlrev_b32_e32 v33, 5, v0
	s_cselect_b32 s5, s6, s5
	v_lshl_or_b32 v34, v22, 2, 0xc00
	s_sub_i32 s7, s5, s50
	s_cmp_ge_u32 s5, s50
	v_mov_b32_e32 v5, 0
	s_cselect_b32 s9, s7, s5
	s_sub_i32 s5, 0, s48
	s_sub_i32 s61, s36, s9
	s_delay_alu instid0(SALU_CYCLE_1) | instskip(SKIP_3) | instid1(VALU_DEP_1)
	v_dual_mul_f32 v1, 0x4f7ffffe, v2 :: v_dual_add_nc_u32 v26, s61, v0
	s_abs_i32 s7, s63
	s_mul_i32 s52, s39, s48
	s_mov_b32 s69, 62
	v_cvt_u32_f32_e32 v1, v1
	s_mov_b64 s[42:43], 0
	s_mov_b32 s73, 0
	s_mov_b64 s[44:45], 0
                                        ; implicit-def: $sgpr67
                                        ; implicit-def: $sgpr70
                                        ; implicit-def: $sgpr68
                                        ; implicit-def: $sgpr72
                                        ; implicit-def: $sgpr74
                                        ; implicit-def: $sgpr71
	s_delay_alu instid0(VALU_DEP_1) | instskip(SKIP_2) | instid1(VALU_DEP_3)
	v_readfirstlane_b32 s6, v1
	v_lshlrev_b64 v[1:2], v22, -1
	v_mul_lo_u32 v2, v26, s39
	s_mul_i32 s5, s5, s6
	s_delay_alu instid0(SALU_CYCLE_1) | instskip(NEXT) | instid1(VALU_DEP_2)
	s_mul_hi_u32 s5, s6, s5
	v_not_b32_e32 v28, v1
	s_add_i32 s62, s6, s5
	s_delay_alu instid0(VALU_DEP_2) | instskip(SKIP_1) | instid1(SALU_CYCLE_1)
	v_ashrrev_i32_e32 v3, 31, v2
	s_mul_hi_u32 s5, s7, s62
	s_mul_i32 s5, s5, s48
	s_delay_alu instid0(VALU_DEP_1)
	v_lshlrev_b64 v[1:2], 3, v[2:3]
	s_sub_i32 s5, s7, s5
	s_ashr_i32 s7, s63, 31
	s_sub_i32 s6, s5, s48
	s_cmp_ge_u32 s5, s48
	v_or_b32_e32 v3, 3, v23
	s_cselect_b32 s5, s6, s5
	v_add_co_u32 v15, vcc_lo, s46, v1
	v_add3_u32 v1, s48, s36, v0
	s_sub_i32 s6, s5, s48
	s_cmp_ge_u32 s5, s48
	v_add_co_ci_u32_e32 v16, vcc_lo, s47, v2, vcc_lo
	s_cselect_b32 s6, s6, s5
	v_or_b32_e32 v2, 2, v23
	v_subrev_nc_u32_e32 v1, s9, v1
	s_xor_b32 s8, s6, s7
	v_mul_lo_u32 v30, s39, v3
	s_sub_i32 s7, s7, s8
	v_mul_lo_u32 v29, s39, v2
	v_mul_lo_u32 v32, s39, v1
	s_add_i32 s63, s63, s7
	v_cmp_gt_i32_e64 s5, s61, v23
	v_cmp_gt_u32_e64 s6, s36, v26
	v_cmp_gt_i32_e64 s7, s36, v26
	v_cmp_gt_i32_e64 s8, s63, v0
	v_mov_b32_e32 v1, 1
	s_lshl_b32 s64, s52, 2
	s_lshl_b32 s65, s48, 5
	;; [unrolled: 1-line block ×3, first 2 shown]
	s_branch .LBB24_8
.LBB24_4:                               ;   in Loop: Header=BB24_8 Depth=1
	s_xor_b32 s73, s73, 1
	s_add_i32 s12, s69, -2
	s_cmp_eq_u32 s69, 0
	s_mov_b32 s9, 0
	s_cselect_b32 s11, -1, 0
	s_mov_b32 s69, s12
.LBB24_5:                               ;   in Loop: Header=BB24_8 Depth=1
	s_and_not1_b32 s12, s24, exec_lo
	s_and_b32 s9, s9, exec_lo
	s_and_not1_b32 s25, s25, exec_lo
	s_or_b32 s24, s12, s9
	s_and_not1_b32 s23, s23, exec_lo
	s_or_not1_b32 s20, s11, exec_lo
	s_mov_b32 s37, s28
.LBB24_6:                               ;   in Loop: Header=BB24_8 Depth=1
	s_or_b32 exec_lo, exec_lo, s10
	s_delay_alu instid0(SALU_CYCLE_1)
	s_and_not1_b32 s9, s71, exec_lo
	s_and_b32 s10, s24, exec_lo
	s_and_not1_b32 s11, s72, exec_lo
	s_or_b32 s71, s9, s10
	s_and_not1_b32 s9, s74, exec_lo
	s_and_b32 s10, s25, exec_lo
	s_and_b32 s12, s23, exec_lo
	s_or_b32 s74, s9, s10
	s_or_b32 s72, s11, s12
	s_or_not1_b32 s14, s20, exec_lo
.LBB24_7:                               ;   in Loop: Header=BB24_8 Depth=1
	s_or_b32 exec_lo, exec_lo, s19
	s_delay_alu instid0(SALU_CYCLE_1)
	s_and_b32 s9, exec_lo, s14
	v_dual_mov_b32 v2, s42 :: v_dual_mov_b32 v3, s43
	s_or_b32 s49, s9, s49
	s_and_not1_b32 s9, s68, exec_lo
	s_and_b32 s10, s71, exec_lo
	s_and_not1_b32 s11, s67, exec_lo
	s_or_b32 s68, s9, s10
	s_and_not1_b32 s9, s70, exec_lo
	s_and_b32 s10, s74, exec_lo
	s_and_b32 s12, s72, exec_lo
	s_or_b32 s70, s9, s10
	s_or_b32 s67, s11, s12
	s_and_not1_b32 exec_lo, exec_lo, s49
	s_cbranch_execz .LBB24_242
.LBB24_8:                               ; =>This Loop Header: Depth=1
                                        ;     Child Loop BB24_16 Depth 2
                                        ;     Child Loop BB24_35 Depth 2
	;; [unrolled: 1-line block ×16, first 2 shown]
	ds_load_b64 v[2:3], v12 offset:4096
	s_waitcnt lgkmcnt(0)
	v_readfirstlane_b32 s75, v2
	s_delay_alu instid0(VALU_DEP_1)
	s_cmp_gt_i32 s75, 0
	s_cbranch_scc1 .LBB24_42
; %bb.9:                                ;   in Loop: Header=BB24_8 Depth=1
	s_and_b32 vcc_lo, exec_lo, s54
	s_cbranch_vccz .LBB24_24
; %bb.10:                               ;   in Loop: Header=BB24_8 Depth=1
	v_cmp_gt_i32_e32 vcc_lo, 0x181, v3
	s_mov_b32 s10, 0
	s_mov_b32 s9, 0
	s_cbranch_vccz .LBB24_29
; %bb.11:                               ;   in Loop: Header=BB24_8 Depth=1
	v_mov_b32_e32 v2, 0
	v_mov_b32_e32 v3, 0
	s_and_saveexec_b32 s9, s1
	s_cbranch_execz .LBB24_13
; %bb.12:                               ;   in Loop: Header=BB24_8 Depth=1
	global_load_b64 v[2:3], v[13:14], off
.LBB24_13:                              ;   in Loop: Header=BB24_8 Depth=1
	s_or_b32 exec_lo, exec_lo, s9
	s_and_saveexec_b32 s11, s1
	s_cbranch_execz .LBB24_25
; %bb.14:                               ;   in Loop: Header=BB24_8 Depth=1
	global_load_u16 v8, v12, s[40:41]
	v_mov_b32_e32 v18, v0
	s_mov_b32 s12, 0
	s_waitcnt vmcnt(0)
	v_add_nc_u32_e32 v6, v0, v8
	v_mul_lo_u32 v9, s39, v8
	s_delay_alu instid0(VALU_DEP_2)
	v_mul_lo_u32 v11, s39, v6
	s_branch .LBB24_16
.LBB24_15:                              ;   in Loop: Header=BB24_16 Depth=2
	s_or_b32 exec_lo, exec_lo, s9
	v_cmp_le_i32_e32 vcc_lo, s36, v18
	s_waitcnt vmcnt(0)
	v_dual_mov_b32 v2, v6 :: v_dual_add_nc_u32 v11, v11, v9
	v_mov_b32_e32 v3, v7
	s_or_b32 s12, vcc_lo, s12
	s_delay_alu instid0(SALU_CYCLE_1)
	s_and_not1_b32 exec_lo, exec_lo, s12
	s_cbranch_execz .LBB24_25
.LBB24_16:                              ;   Parent Loop BB24_8 Depth=1
                                        ; =>  This Inner Loop Header: Depth=2
	v_mov_b32_e32 v6, 0
	v_dual_mov_b32 v7, 0 :: v_dual_add_nc_u32 v18, v18, v8
	s_mov_b32 s9, exec_lo
	s_delay_alu instid0(VALU_DEP_1)
	v_cmpx_gt_u32_e64 s36, v18
	s_cbranch_execz .LBB24_18
; %bb.17:                               ;   in Loop: Header=BB24_16 Depth=2
	s_delay_alu instid0(VALU_DEP_4) | instskip(NEXT) | instid1(VALU_DEP_1)
	v_lshlrev_b64 v[6:7], 3, v[11:12]
	v_add_co_u32 v6, vcc_lo, s46, v6
	s_delay_alu instid0(VALU_DEP_2)
	v_add_co_ci_u32_e32 v7, vcc_lo, s47, v7, vcc_lo
	global_load_b64 v[6:7], v[6:7], off
.LBB24_18:                              ;   in Loop: Header=BB24_16 Depth=2
	s_or_b32 exec_lo, exec_lo, s9
	s_waitcnt lgkmcnt(0)
	v_xor_b32_e32 v19, 0x80000000, v3
	s_delay_alu instid0(VALU_DEP_1) | instskip(SKIP_1) | instid1(VALU_DEP_1)
	v_and_b32_e32 v20, s45, v19
	v_and_b32_e32 v19, s44, v2
	v_cmp_eq_u64_e32 vcc_lo, s[42:43], v[19:20]
	v_mov_b32_e32 v19, 0
	s_cmp_lg_u32 vcc_lo, 0
	s_cselect_b32 s9, -1, 0
	s_delay_alu instid0(SALU_CYCLE_1) | instskip(NEXT) | instid1(SALU_CYCLE_1)
	s_and_b32 s9, s4, s9
	s_and_saveexec_b32 s13, s9
	s_cbranch_execz .LBB24_22
; %bb.19:                               ;   in Loop: Header=BB24_16 Depth=2
	s_mov_b32 s16, exec_lo
	s_bcnt1_i32_b32 s14, vcc_lo
	v_mbcnt_lo_u32_b32 v19, s16, 0
	s_mov_b32 s15, exec_lo
                                        ; implicit-def: $vgpr20
	s_delay_alu instid0(VALU_DEP_1)
	v_cmpx_eq_u32_e32 0, v19
	s_cbranch_execz .LBB24_21
; %bb.20:                               ;   in Loop: Header=BB24_16 Depth=2
	s_bcnt1_i32_b32 s9, s16
	s_delay_alu instid0(SALU_CYCLE_1) | instskip(NEXT) | instid1(SALU_CYCLE_1)
	s_mul_i32 s9, s14, s9
	v_mov_b32_e32 v20, s9
	ds_add_rtn_u32 v20, v12, v20 offset:4104
.LBB24_21:                              ;   in Loop: Header=BB24_16 Depth=2
	s_or_b32 exec_lo, exec_lo, s15
	s_waitcnt lgkmcnt(0)
	v_readfirstlane_b32 s9, v20
	s_delay_alu instid0(VALU_DEP_1)
	v_mad_u32_u24 v19, s14, v19, s9
.LBB24_22:                              ;   in Loop: Header=BB24_16 Depth=2
	s_or_b32 exec_lo, exec_lo, s13
	ds_bpermute_b32 v19, v12, v19
	s_and_saveexec_b32 s9, vcc_lo
	s_cbranch_execz .LBB24_15
; %bb.23:                               ;   in Loop: Header=BB24_16 Depth=2
	v_and_b32_e32 v20, vcc_lo, v28
	s_delay_alu instid0(VALU_DEP_1) | instskip(NEXT) | instid1(VALU_DEP_1)
	v_bcnt_u32_b32 v20, v20, 0
	v_lshlrev_b32_e32 v20, 3, v20
	s_waitcnt lgkmcnt(0)
	s_delay_alu instid0(VALU_DEP_1)
	v_lshl_add_u32 v19, v19, 3, v20
	ds_store_b64 v19, v[2:3]
	s_branch .LBB24_15
.LBB24_24:                              ;   in Loop: Header=BB24_8 Depth=1
	s_mov_b32 s10, -1
	s_mov_b32 s9, 0
	s_branch .LBB24_28
.LBB24_25:                              ;   in Loop: Header=BB24_8 Depth=1
	s_or_b32 exec_lo, exec_lo, s11
	s_waitcnt vmcnt(0) lgkmcnt(0)
	s_barrier
	buffer_gl0_inv
	s_and_saveexec_b32 s9, s2
	s_cbranch_execz .LBB24_27
; %bb.26:                               ;   in Loop: Header=BB24_8 Depth=1
	ds_load_b32 v2, v12 offset:4104
	s_waitcnt lgkmcnt(0)
	ds_store_b32 v12, v2 offset:4096
.LBB24_27:                              ;   in Loop: Header=BB24_8 Depth=1
	s_or_b32 exec_lo, exec_lo, s9
	s_waitcnt lgkmcnt(0)
	s_mov_b32 s9, -1
	s_barrier
.LBB24_28:                              ;   in Loop: Header=BB24_8 Depth=1
                                        ; implicit-def: $sgpr75
.LBB24_29:                              ;   in Loop: Header=BB24_8 Depth=1
	s_and_b32 vcc_lo, exec_lo, s10
	s_cbranch_vccz .LBB24_40
; %bb.30:                               ;   in Loop: Header=BB24_8 Depth=1
	v_mov_b32_e32 v2, 0
	v_mov_b32_e32 v3, 0
	s_and_saveexec_b32 s9, s1
	s_cbranch_execz .LBB24_32
; %bb.31:                               ;   in Loop: Header=BB24_8 Depth=1
	global_load_b64 v[2:3], v[13:14], off
.LBB24_32:                              ;   in Loop: Header=BB24_8 Depth=1
	s_or_b32 exec_lo, exec_lo, s9
	s_and_saveexec_b32 s9, s3
	s_cbranch_execz .LBB24_37
; %bb.33:                               ;   in Loop: Header=BB24_8 Depth=1
	global_load_u16 v8, v12, s[40:41]
	v_mov_b32_e32 v20, v0
	s_mov_b32 s10, 0
	v_mov_b32_e32 v19, v24
	s_waitcnt vmcnt(0)
	v_add_nc_u32_e32 v6, v0, v8
	v_mul_lo_u32 v9, s39, v8
	v_lshlrev_b32_e32 v18, 3, v8
	s_delay_alu instid0(VALU_DEP_3)
	v_mul_lo_u32 v11, s39, v6
	s_set_inst_prefetch_distance 0x1
	s_branch .LBB24_35
	.p2align	6
.LBB24_34:                              ;   in Loop: Header=BB24_35 Depth=2
	s_or_b32 exec_lo, exec_lo, s11
	v_cmp_le_i32_e32 vcc_lo, s36, v20
	ds_store_b64 v19, v[2:3]
	s_waitcnt vmcnt(0)
	v_dual_mov_b32 v2, v6 :: v_dual_add_nc_u32 v19, v19, v18
	v_add_nc_u32_e32 v11, v11, v9
	v_mov_b32_e32 v3, v7
	s_or_b32 s10, vcc_lo, s10
	s_delay_alu instid0(SALU_CYCLE_1)
	s_and_not1_b32 exec_lo, exec_lo, s10
	s_cbranch_execz .LBB24_37
.LBB24_35:                              ;   Parent Loop BB24_8 Depth=1
                                        ; =>  This Inner Loop Header: Depth=2
	v_mov_b32_e32 v6, 0
	v_dual_mov_b32 v7, 0 :: v_dual_add_nc_u32 v20, v20, v8
	s_mov_b32 s11, exec_lo
	s_delay_alu instid0(VALU_DEP_1)
	v_cmpx_gt_u32_e64 s36, v20
	s_cbranch_execz .LBB24_34
; %bb.36:                               ;   in Loop: Header=BB24_35 Depth=2
	v_lshlrev_b64 v[6:7], 3, v[11:12]
	s_delay_alu instid0(VALU_DEP_1) | instskip(NEXT) | instid1(VALU_DEP_2)
	v_add_co_u32 v6, vcc_lo, s46, v6
	v_add_co_ci_u32_e32 v7, vcc_lo, s47, v7, vcc_lo
	global_load_b64 v[6:7], v[6:7], off
	s_branch .LBB24_34
.LBB24_37:                              ;   in Loop: Header=BB24_8 Depth=1
	s_set_inst_prefetch_distance 0x2
	s_or_b32 exec_lo, exec_lo, s9
	s_waitcnt vmcnt(0) lgkmcnt(0)
	s_barrier
	buffer_gl0_inv
	s_and_saveexec_b32 s9, s2
	s_cbranch_execz .LBB24_39
; %bb.38:                               ;   in Loop: Header=BB24_8 Depth=1
	v_mov_b32_e32 v2, s36
	ds_store_b32 v12, v2 offset:4096
.LBB24_39:                              ;   in Loop: Header=BB24_8 Depth=1
	s_or_b32 exec_lo, exec_lo, s9
	s_mov_b32 s9, -1
	s_waitcnt lgkmcnt(0)
	s_barrier
                                        ; implicit-def: $sgpr75
.LBB24_40:                              ;   in Loop: Header=BB24_8 Depth=1
	s_and_b32 vcc_lo, exec_lo, s9
	s_cbranch_vccz .LBB24_42
; %bb.41:                               ;   in Loop: Header=BB24_8 Depth=1
	buffer_gl0_inv
	ds_load_b32 v2, v12 offset:4096
	s_waitcnt lgkmcnt(0)
	v_readfirstlane_b32 s75, v2
.LBB24_42:                              ;   in Loop: Header=BB24_8 Depth=1
	s_delay_alu instid0(VALU_DEP_1)
	s_cmp_lt_i32 s75, 1
	s_cbranch_scc0 .LBB24_54
; %bb.43:                               ;   in Loop: Header=BB24_8 Depth=1
	v_dual_mov_b32 v6, 0 :: v_dual_mov_b32 v7, 0
	v_dual_mov_b32 v8, 0 :: v_dual_mov_b32 v9, 0
	s_mov_b32 s77, 0
	s_and_saveexec_b32 s76, s5
	s_cbranch_execz .LBB24_47
; %bb.44:                               ;   in Loop: Header=BB24_8 Depth=1
	v_mov_b32_e32 v2, v23
	s_and_b32 s78, s69, 0xfe
	s_mov_b32 s79, 0
	s_mov_b32 s80, 0
	;; [unrolled: 1-line block ×5, first 2 shown]
.LBB24_45:                              ;   Parent Loop BB24_8 Depth=1
                                        ; =>  This Inner Loop Header: Depth=2
	v_add_nc_u32_e32 v6, s79, v31
	v_add_nc_u32_e32 v8, s79, v17
	;; [unrolled: 1-line block ×5, first 2 shown]
	v_ashrrev_i32_e32 v7, 31, v6
	v_ashrrev_i32_e32 v9, 31, v8
	;; [unrolled: 1-line block ×4, first 2 shown]
	s_add_i32 s79, s79, s64
	v_lshlrev_b64 v[6:7], 3, v[6:7]
	v_lshlrev_b64 v[8:9], 3, v[8:9]
	;; [unrolled: 1-line block ×4, first 2 shown]
	s_delay_alu instid0(VALU_DEP_4)
	v_add_co_u32 v6, vcc_lo, s46, v6
	v_add_co_ci_u32_e32 v7, vcc_lo, s47, v7, vcc_lo
	v_add_co_u32 v8, vcc_lo, s46, v8
	v_add_co_ci_u32_e32 v9, vcc_lo, s47, v9, vcc_lo
	;; [unrolled: 2-line block ×4, first 2 shown]
	s_clause 0x3
	global_load_b64 v[6:7], v[6:7], off
	global_load_b64 v[8:9], v[8:9], off
	;; [unrolled: 1-line block ×4, first 2 shown]
	v_mov_b32_e32 v36, v12
	v_mov_b32_e32 v38, v12
	;; [unrolled: 1-line block ×3, first 2 shown]
	v_cmp_le_i32_e32 vcc_lo, s61, v2
	s_waitcnt vmcnt(3)
	v_xor_b32_e32 v7, 0x80000000, v7
	s_waitcnt vmcnt(2)
	v_xor_b32_e32 v9, 0x80000000, v9
	s_waitcnt vmcnt(1)
	v_and_b32_e32 v45, s44, v18
	v_xor_b32_e32 v19, 0x80000000, v19
	v_and_b32_e32 v41, s44, v6
	v_and_b32_e32 v42, s45, v7
	v_lshrrev_b64 v[6:7], s78, v[6:7]
	s_waitcnt vmcnt(0)
	v_xor_b32_e32 v21, 0x80000000, v21
	v_and_b32_e32 v43, s44, v8
	v_lshrrev_b64 v[7:8], s78, v[8:9]
	v_and_b32_e32 v44, s45, v9
	v_lshrrev_b64 v[8:9], s78, v[18:19]
	;; [unrolled: 2-line block ×3, first 2 shown]
	v_and_b32_e32 v11, 3, v6
	v_and_b32_e32 v35, 3, v7
	v_cmp_eq_u64_e64 s9, s[42:43], v[41:42]
	v_and_b32_e32 v37, 3, v8
	v_and_b32_e32 v47, s44, v20
	v_cmp_eq_u64_e64 s13, 0, v[11:12]
	;; [unrolled: 3-line block ×3, first 2 shown]
	v_cmp_eq_u64_e64 s14, 0, v[35:36]
	v_cmp_eq_u64_e64 s11, s[42:43], v[45:46]
	;; [unrolled: 1-line block ×5, first 2 shown]
	s_and_b32 s13, s9, s13
	v_cmp_eq_u64_e64 s17, 1, v[11:12]
	v_cndmask_b32_e64 v3, 0, 1, s13
	s_and_b32 s13, s10, s14
	v_cmp_eq_u64_e64 s18, 1, v[35:36]
	v_cndmask_b32_e64 v6, 0, 1, s13
	;; [unrolled: 3-line block ×4, first 2 shown]
	s_and_b32 s13, s9, s17
	v_cmp_eq_u64_e64 s21, 2, v[11:12]
	v_cmp_eq_u64_e64 s25, 3, v[11:12]
	v_cndmask_b32_e64 v9, 0, 1, s13
	s_and_b32 s13, s10, s18
	v_cmp_eq_u64_e64 s22, 2, v[35:36]
	v_cmp_eq_u64_e64 s26, 3, v[35:36]
	v_cndmask_b32_e64 v11, 0, 1, s13
	;; [unrolled: 4-line block ×4, first 2 shown]
	s_and_b32 s13, s9, s21
	s_and_b32 s9, s9, s25
	v_cndmask_b32_e64 v20, 0, 1, s13
	s_and_b32 s13, s10, s22
	v_cndmask_b32_e64 v37, 0, 1, s9
	;; [unrolled: 2-line block ×7, first 2 shown]
	v_cndmask_b32_e64 v40, 0, 1, s9
	v_cmp_ne_u32_e64 s9, 0, v3
	v_cmp_ne_u32_e64 s13, 0, v9
	;; [unrolled: 1-line block ×12, first 2 shown]
	s_bcnt1_i32_b32 s9, s9
	s_bcnt1_i32_b32 s13, s13
	;; [unrolled: 1-line block ×4, first 2 shown]
	v_cmp_ne_u32_e64 s12, 0, v8
	v_cmp_ne_u32_e64 s16, 0, v19
	;; [unrolled: 1-line block ×4, first 2 shown]
	s_bcnt1_i32_b32 s10, s10
	s_bcnt1_i32_b32 s14, s14
	s_bcnt1_i32_b32 s18, s18
	s_bcnt1_i32_b32 s22, s22
	s_add_i32 s9, s9, s83
	s_add_i32 s13, s13, s82
	s_add_i32 s17, s17, s81
	s_add_i32 s21, s21, s80
	s_bcnt1_i32_b32 s11, s11
	s_bcnt1_i32_b32 s15, s15
	s_bcnt1_i32_b32 s19, s19
	s_bcnt1_i32_b32 s23, s23
	s_add_i32 s9, s9, s10
	s_add_i32 s10, s13, s14
	s_add_i32 s13, s17, s18
	s_add_i32 s14, s21, s22
	;; [unrolled: 8-line block ×3, first 2 shown]
	s_add_i32 s83, s9, s12
	s_add_i32 s82, s10, s16
	v_mov_b32_e32 v6, s83
	s_add_i32 s81, s11, s20
	s_add_i32 s80, s13, s24
	v_dual_mov_b32 v7, s82 :: v_dual_mov_b32 v8, s81
	v_mov_b32_e32 v9, s80
	s_or_b32 s77, vcc_lo, s77
	s_delay_alu instid0(SALU_CYCLE_1)
	s_and_not1_b32 exec_lo, exec_lo, s77
	s_cbranch_execnz .LBB24_45
; %bb.46:                               ;   in Loop: Header=BB24_8 Depth=1
	s_or_b32 exec_lo, exec_lo, s77
.LBB24_47:                              ;   in Loop: Header=BB24_8 Depth=1
	s_delay_alu instid0(SALU_CYCLE_1)
	s_or_b32 exec_lo, exec_lo, s76
	v_mov_b32_e32 v18, 0
	v_mov_b32_e32 v19, 0
	s_and_saveexec_b32 s9, s6
	s_cbranch_execz .LBB24_49
; %bb.48:                               ;   in Loop: Header=BB24_8 Depth=1
	global_load_b64 v[18:19], v[15:16], off
.LBB24_49:                              ;   in Loop: Header=BB24_8 Depth=1
	s_or_b32 exec_lo, exec_lo, s9
	s_and_saveexec_b32 s13, s7
	s_cbranch_execz .LBB24_56
; %bb.50:                               ;   in Loop: Header=BB24_8 Depth=1
	v_dual_mov_b32 v2, v32 :: v_dual_mov_b32 v35, v26
	s_and_b32 s15, s69, 0xfe
	s_mov_b32 s14, 0
	s_branch .LBB24_52
.LBB24_51:                              ;   in Loop: Header=BB24_52 Depth=2
	s_or_b32 exec_lo, exec_lo, s9
	s_waitcnt vmcnt(0)
	v_xor_b32_e32 v19, 0x80000000, v19
	v_add_nc_u32_e32 v2, s52, v2
	s_delay_alu instid0(VALU_DEP_2) | instskip(SKIP_2) | instid1(VALU_DEP_3)
	v_lshrrev_b64 v[36:37], s15, v[18:19]
	v_and_b32_e32 v18, s44, v18
	v_and_b32_e32 v19, s45, v19
	;; [unrolled: 1-line block ×3, first 2 shown]
	s_delay_alu instid0(VALU_DEP_2) | instskip(NEXT) | instid1(VALU_DEP_2)
	v_cmp_eq_u64_e32 vcc_lo, s[42:43], v[18:19]
	v_cmp_eq_u64_e64 s9, 0, v[11:12]
	v_cmp_eq_u64_e64 s10, 1, v[11:12]
	;; [unrolled: 1-line block ×4, first 2 shown]
	s_delay_alu instid0(VALU_DEP_4) | instskip(NEXT) | instid1(SALU_CYCLE_1)
	s_and_b32 s9, vcc_lo, s9
	v_cndmask_b32_e64 v3, 0, 1, s9
	s_delay_alu instid0(VALU_DEP_4) | instskip(NEXT) | instid1(SALU_CYCLE_1)
	s_and_b32 s9, vcc_lo, s10
	v_cndmask_b32_e64 v11, 0, 1, s9
	s_and_b32 s9, vcc_lo, s11
	s_delay_alu instid0(SALU_CYCLE_1)
	v_cndmask_b32_e64 v18, 0, 1, s9
	s_and_b32 s9, vcc_lo, s12
	v_cmp_ne_u32_e32 vcc_lo, 0, v3
	v_cndmask_b32_e64 v19, 0, 1, s9
	v_cmp_ne_u32_e64 s9, 0, v11
	v_cmp_ne_u32_e64 s10, 0, v18
	v_cmp_le_i32_e64 s12, s36, v35
	s_bcnt1_i32_b32 s16, vcc_lo
	v_cmp_ne_u32_e64 s11, 0, v19
	v_mov_b32_e32 v18, v20
	s_bcnt1_i32_b32 s9, s9
	s_bcnt1_i32_b32 s10, s10
	v_add_nc_u32_e32 v6, s16, v6
	s_bcnt1_i32_b32 s11, s11
	v_add_nc_u32_e32 v7, s9, v7
	v_add_nc_u32_e32 v8, s10, v8
	;; [unrolled: 1-line block ×3, first 2 shown]
	v_mov_b32_e32 v19, v21
	s_or_b32 s14, s12, s14
	s_delay_alu instid0(SALU_CYCLE_1)
	s_and_not1_b32 exec_lo, exec_lo, s14
	s_cbranch_execz .LBB24_55
.LBB24_52:                              ;   Parent Loop BB24_8 Depth=1
                                        ; =>  This Inner Loop Header: Depth=2
	s_delay_alu instid0(VALU_DEP_1) | instskip(SKIP_2) | instid1(VALU_DEP_2)
	v_dual_mov_b32 v20, 0 :: v_dual_add_nc_u32 v35, s48, v35
	v_mov_b32_e32 v21, 0
	s_mov_b32 s9, exec_lo
	v_cmpx_gt_u32_e64 s36, v35
	s_cbranch_execz .LBB24_51
; %bb.53:                               ;   in Loop: Header=BB24_52 Depth=2
	v_ashrrev_i32_e32 v3, 31, v2
	s_delay_alu instid0(VALU_DEP_1) | instskip(NEXT) | instid1(VALU_DEP_1)
	v_lshlrev_b64 v[20:21], 3, v[2:3]
	v_add_co_u32 v20, vcc_lo, s46, v20
	s_delay_alu instid0(VALU_DEP_2)
	v_add_co_ci_u32_e32 v21, vcc_lo, s47, v21, vcc_lo
	global_load_b64 v[20:21], v[20:21], off
	s_branch .LBB24_51
.LBB24_54:                              ;   in Loop: Header=BB24_8 Depth=1
                                        ; implicit-def: $vgpr9
	s_cbranch_execnz .LBB24_57
	s_branch .LBB24_66
.LBB24_55:                              ;   in Loop: Header=BB24_8 Depth=1
	s_or_b32 exec_lo, exec_lo, s14
.LBB24_56:                              ;   in Loop: Header=BB24_8 Depth=1
	s_delay_alu instid0(SALU_CYCLE_1)
	s_or_b32 exec_lo, exec_lo, s13
	s_branch .LBB24_66
.LBB24_57:                              ;   in Loop: Header=BB24_8 Depth=1
	s_mul_hi_u32 s9, s75, s60
	v_dual_mov_b32 v6, 0 :: v_dual_mov_b32 v7, 0
	s_mul_i32 s9, s9, s50
	v_dual_mov_b32 v8, 0 :: v_dual_mov_b32 v9, 0
	s_sub_i32 s9, s75, s9
	s_mov_b32 s78, 0
	s_sub_i32 s10, s9, s50
	s_cmp_ge_u32 s9, s50
	s_mov_b32 s77, exec_lo
	s_cselect_b32 s9, s10, s9
	s_delay_alu instid0(SALU_CYCLE_1) | instskip(SKIP_2) | instid1(SALU_CYCLE_1)
	s_sub_i32 s10, s9, s50
	s_cmp_ge_u32 s9, s50
	s_cselect_b32 s9, s10, s9
	s_sub_i32 s76, s75, s9
	s_delay_alu instid0(SALU_CYCLE_1)
	v_cmpx_gt_u32_e64 s76, v23
	s_cbranch_execz .LBB24_61
; %bb.58:                               ;   in Loop: Header=BB24_8 Depth=1
	v_dual_mov_b32 v2, v33 :: v_dual_mov_b32 v3, v23
	s_and_b32 s79, s69, 0xfe
	s_mov_b32 s80, 0
	s_mov_b32 s81, 0
	;; [unrolled: 1-line block ×4, first 2 shown]
.LBB24_59:                              ;   Parent Loop BB24_8 Depth=1
                                        ; =>  This Inner Loop Header: Depth=2
	ds_load_b128 v[6:9], v2
	s_waitcnt vmcnt(0)
	ds_load_b128 v[18:21], v2 offset:16
	v_mov_b32_e32 v38, v12
	v_dual_mov_b32 v40, v12 :: v_dual_add_nc_u32 v3, s50, v3
	v_mov_b32_e32 v36, v12
	s_delay_alu instid0(VALU_DEP_2)
	v_cmp_le_i32_e32 vcc_lo, s76, v3
	s_waitcnt lgkmcnt(1)
	v_xor_b32_e32 v7, 0x80000000, v7
	v_xor_b32_e32 v9, 0x80000000, v9
	s_waitcnt lgkmcnt(0)
	v_xor_b32_e32 v19, 0x80000000, v19
	v_and_b32_e32 v41, s44, v6
	v_xor_b32_e32 v21, 0x80000000, v21
	v_and_b32_e32 v42, s45, v7
	v_lshrrev_b64 v[6:7], s79, v[6:7]
	v_and_b32_e32 v43, s44, v8
	v_lshrrev_b64 v[7:8], s79, v[8:9]
	;; [unrolled: 2-line block ×3, first 2 shown]
	v_and_b32_e32 v45, s44, v18
	v_and_b32_e32 v46, s45, v19
	v_lshrrev_b64 v[18:19], s79, v[20:21]
	v_and_b32_e32 v11, 3, v6
	v_and_b32_e32 v35, 3, v7
	;; [unrolled: 1-line block ×3, first 2 shown]
	v_cmp_eq_u64_e64 s9, s[42:43], v[41:42]
	v_and_b32_e32 v47, s44, v20
	v_cmp_eq_u64_e64 s13, 0, v[11:12]
	v_and_b32_e32 v48, s45, v21
	v_and_b32_e32 v39, 3, v18
	v_cmp_eq_u64_e64 s10, s[42:43], v[43:44]
	v_cmp_eq_u64_e64 s14, 0, v[35:36]
	;; [unrolled: 1-line block ×6, first 2 shown]
	s_and_b32 s13, s9, s13
	v_cmp_eq_u64_e64 s17, 1, v[11:12]
	v_cndmask_b32_e64 v6, 0, 1, s13
	s_and_b32 s13, s10, s14
	v_cmp_eq_u64_e64 s18, 1, v[35:36]
	v_cndmask_b32_e64 v7, 0, 1, s13
	;; [unrolled: 3-line block ×4, first 2 shown]
	s_and_b32 s13, s9, s17
	v_cmp_eq_u64_e64 s21, 2, v[11:12]
	v_cmp_eq_u64_e64 s25, 3, v[11:12]
	v_cndmask_b32_e64 v11, 0, 1, s13
	s_and_b32 s13, s10, s18
	v_cmp_eq_u64_e64 s22, 2, v[35:36]
	v_cmp_eq_u64_e64 s26, 3, v[35:36]
	v_cndmask_b32_e64 v18, 0, 1, s13
	s_and_b32 s13, s11, s19
	v_cmp_eq_u64_e64 s23, 2, v[37:38]
	v_cmp_eq_u64_e64 s27, 3, v[37:38]
	v_cndmask_b32_e64 v19, 0, 1, s13
	s_and_b32 s13, s12, s20
	v_cmp_eq_u64_e64 s24, 2, v[39:40]
	v_cmp_eq_u64_e64 s28, 3, v[39:40]
	v_cndmask_b32_e64 v20, 0, 1, s13
	s_and_b32 s13, s9, s21
	s_and_b32 s9, s9, s25
	v_cndmask_b32_e64 v21, 0, 1, s13
	s_and_b32 s13, s10, s22
	v_cndmask_b32_e64 v38, 0, 1, s9
	;; [unrolled: 2-line block ×7, first 2 shown]
	v_cndmask_b32_e64 v41, 0, 1, s9
	v_cmp_ne_u32_e64 s9, 0, v6
	v_cmp_ne_u32_e64 s13, 0, v11
	;; [unrolled: 1-line block ×12, first 2 shown]
	s_bcnt1_i32_b32 s9, s9
	s_bcnt1_i32_b32 s13, s13
	;; [unrolled: 1-line block ×4, first 2 shown]
	v_cmp_ne_u32_e64 s12, 0, v9
	v_cmp_ne_u32_e64 s16, 0, v20
	;; [unrolled: 1-line block ×4, first 2 shown]
	s_bcnt1_i32_b32 s10, s10
	s_bcnt1_i32_b32 s14, s14
	s_bcnt1_i32_b32 s18, s18
	s_bcnt1_i32_b32 s22, s22
	s_add_i32 s9, s9, s83
	s_add_i32 s13, s13, s82
	s_add_i32 s17, s17, s81
	s_add_i32 s21, s21, s80
	s_bcnt1_i32_b32 s11, s11
	s_bcnt1_i32_b32 s15, s15
	s_bcnt1_i32_b32 s19, s19
	s_bcnt1_i32_b32 s23, s23
	s_add_i32 s9, s9, s10
	s_add_i32 s10, s13, s14
	s_add_i32 s13, s17, s18
	s_add_i32 s14, s21, s22
	;; [unrolled: 8-line block ×3, first 2 shown]
	s_add_i32 s83, s9, s12
	s_add_i32 s82, s10, s16
	s_add_i32 s81, s11, s20
	s_add_i32 s80, s13, s24
	v_mov_b32_e32 v8, s81
	v_dual_mov_b32 v7, s82 :: v_dual_add_nc_u32 v2, s65, v2
	v_dual_mov_b32 v6, s83 :: v_dual_mov_b32 v9, s80
	s_or_b32 s78, vcc_lo, s78
	s_delay_alu instid0(SALU_CYCLE_1)
	s_and_not1_b32 exec_lo, exec_lo, s78
	s_cbranch_execnz .LBB24_59
; %bb.60:                               ;   in Loop: Header=BB24_8 Depth=1
	s_or_b32 exec_lo, exec_lo, s78
.LBB24_61:                              ;   in Loop: Header=BB24_8 Depth=1
	s_delay_alu instid0(SALU_CYCLE_1) | instskip(SKIP_2) | instid1(VALU_DEP_1)
	s_or_b32 exec_lo, exec_lo, s77
	v_add_nc_u32_e32 v2, s76, v0
	s_mov_b32 s14, exec_lo
	v_cmpx_gt_i32_e64 s75, v2
	s_cbranch_execz .LBB24_65
; %bb.62:                               ;   in Loop: Header=BB24_8 Depth=1
	v_lshlrev_b32_e32 v3, 3, v2
	s_and_b32 s16, s69, 0xfe
	s_mov_b32 s15, 0
.LBB24_63:                              ;   Parent Loop BB24_8 Depth=1
                                        ; =>  This Inner Loop Header: Depth=2
	s_waitcnt vmcnt(0)
	ds_load_b64 v[18:19], v3
	v_add_nc_u32_e32 v2, s48, v2
	v_add_nc_u32_e32 v3, s66, v3
	s_delay_alu instid0(VALU_DEP_2) | instskip(SKIP_3) | instid1(VALU_DEP_2)
	v_cmp_le_i32_e32 vcc_lo, s75, v2
	s_waitcnt lgkmcnt(0)
	v_xor_b32_e32 v19, 0x80000000, v19
	v_and_b32_e32 v20, s44, v18
	v_and_b32_e32 v21, s45, v19
	v_lshrrev_b64 v[18:19], s16, v[18:19]
	s_delay_alu instid0(VALU_DEP_2) | instskip(NEXT) | instid1(VALU_DEP_2)
	v_cmp_eq_u64_e64 s9, s[42:43], v[20:21]
	v_and_b32_e32 v11, 3, v18
	s_delay_alu instid0(VALU_DEP_1) | instskip(SKIP_3) | instid1(VALU_DEP_4)
	v_cmp_eq_u64_e64 s10, 0, v[11:12]
	v_cmp_eq_u64_e64 s11, 1, v[11:12]
	;; [unrolled: 1-line block ×4, first 2 shown]
	s_and_b32 s10, s9, s10
	s_delay_alu instid0(SALU_CYCLE_1) | instskip(NEXT) | instid1(VALU_DEP_4)
	v_cndmask_b32_e64 v11, 0, 1, s10
	s_and_b32 s10, s9, s11
	s_delay_alu instid0(SALU_CYCLE_1)
	v_cndmask_b32_e64 v18, 0, 1, s10
	s_and_b32 s10, s9, s12
	s_and_b32 s9, s9, s13
	v_cndmask_b32_e64 v19, 0, 1, s10
	v_cndmask_b32_e64 v20, 0, 1, s9
	v_cmp_ne_u32_e64 s9, 0, v11
	v_cmp_ne_u32_e64 s10, 0, v18
	s_delay_alu instid0(VALU_DEP_4) | instskip(NEXT) | instid1(VALU_DEP_4)
	v_cmp_ne_u32_e64 s11, 0, v19
	v_cmp_ne_u32_e64 s12, 0, v20
	s_delay_alu instid0(VALU_DEP_4) | instskip(NEXT) | instid1(VALU_DEP_3)
	s_bcnt1_i32_b32 s9, s9
	s_bcnt1_i32_b32 s10, s10
	v_add_nc_u32_e32 v6, s9, v6
	s_bcnt1_i32_b32 s11, s11
	s_bcnt1_i32_b32 s12, s12
	v_add_nc_u32_e32 v7, s10, v7
	v_add_nc_u32_e32 v8, s11, v8
	;; [unrolled: 1-line block ×3, first 2 shown]
	s_or_b32 s15, vcc_lo, s15
	s_delay_alu instid0(SALU_CYCLE_1)
	s_and_not1_b32 exec_lo, exec_lo, s15
	s_cbranch_execnz .LBB24_63
; %bb.64:                               ;   in Loop: Header=BB24_8 Depth=1
	s_or_b32 exec_lo, exec_lo, s15
.LBB24_65:                              ;   in Loop: Header=BB24_8 Depth=1
	s_delay_alu instid0(SALU_CYCLE_1)
	s_or_b32 exec_lo, exec_lo, s14
.LBB24_66:                              ;   in Loop: Header=BB24_8 Depth=1
	s_lshl_b32 s9, s73, 7
	s_and_saveexec_b32 s10, s4
	s_cbranch_execz .LBB24_68
; %bb.67:                               ;   in Loop: Header=BB24_8 Depth=1
	v_or_b32_e32 v2, s9, v27
	s_delay_alu instid0(VALU_DEP_1)
	v_lshlrev_b32_e32 v2, 2, v2
	ds_store_b128 v2, v[6:9] offset:3072
.LBB24_68:                              ;   in Loop: Header=BB24_8 Depth=1
	s_or_b32 exec_lo, exec_lo, s10
	s_waitcnt vmcnt(0) lgkmcnt(0)
	s_barrier
	buffer_gl0_inv
	s_and_saveexec_b32 s10, s51
	s_cbranch_execz .LBB24_78
; %bb.69:                               ;   in Loop: Header=BB24_8 Depth=1
	v_mov_b32_e32 v2, 0
	s_and_not1_b32 vcc_lo, exec_lo, s55
	s_cbranch_vccnz .LBB24_77
; %bb.70:                               ;   in Loop: Header=BB24_8 Depth=1
	v_mov_b32_e32 v2, 0
	s_and_not1_b32 vcc_lo, exec_lo, s57
	s_mov_b32 s11, 0
	s_cbranch_vccnz .LBB24_74
; %bb.71:                               ;   in Loop: Header=BB24_8 Depth=1
	v_lshl_add_u32 v3, s73, 9, v34
	v_mov_b32_e32 v2, 0
	.p2align	6
.LBB24_72:                              ;   Parent Loop BB24_8 Depth=1
                                        ; =>  This Inner Loop Header: Depth=2
	ds_load_2addr_b32 v[6:7], v3 offset1:4
	ds_load_2addr_b32 v[8:9], v3 offset0:8 offset1:12
	ds_load_2addr_b32 v[18:19], v3 offset0:16 offset1:20
	;; [unrolled: 1-line block ×3, first 2 shown]
	v_add_nc_u32_e32 v3, 0x80, v3
	s_add_i32 s11, s11, 8
	s_delay_alu instid0(SALU_CYCLE_1) | instskip(SKIP_3) | instid1(VALU_DEP_1)
	s_cmp_eq_u32 s58, s11
	s_waitcnt lgkmcnt(3)
	v_add3_u32 v2, v6, v2, v7
	s_waitcnt lgkmcnt(2)
	v_add3_u32 v2, v8, v2, v9
	s_waitcnt lgkmcnt(1)
	s_delay_alu instid0(VALU_DEP_1) | instskip(SKIP_1) | instid1(VALU_DEP_1)
	v_add3_u32 v2, v18, v2, v19
	s_waitcnt lgkmcnt(0)
	v_add3_u32 v2, v20, v2, v21
	s_cbranch_scc0 .LBB24_72
; %bb.73:                               ;   in Loop: Header=BB24_8 Depth=1
	s_mov_b32 s11, s58
.LBB24_74:                              ;   in Loop: Header=BB24_8 Depth=1
	s_and_not1_b32 vcc_lo, exec_lo, s59
	s_cbranch_vccnz .LBB24_77
; %bb.75:                               ;   in Loop: Header=BB24_8 Depth=1
	s_lshl_b32 s12, s73, 9
	s_lshl_b32 s11, s11, 4
	s_delay_alu instid0(SALU_CYCLE_1)
	v_add3_u32 v3, s12, s11, v34
	s_mov_b32 s11, s56
.LBB24_76:                              ;   Parent Loop BB24_8 Depth=1
                                        ; =>  This Inner Loop Header: Depth=2
	ds_load_b32 v6, v3
	v_add_nc_u32_e32 v3, 16, v3
	s_add_i32 s11, s11, -1
	s_delay_alu instid0(SALU_CYCLE_1)
	s_cmp_lg_u32 s11, 0
	s_waitcnt lgkmcnt(0)
	v_add_nc_u32_e32 v2, v6, v2
	s_cbranch_scc1 .LBB24_76
.LBB24_77:                              ;   in Loop: Header=BB24_8 Depth=1
	v_add_lshl_u32 v3, s9, v22, 2
	ds_store_b32 v3, v2 offset:3072
.LBB24_78:                              ;   in Loop: Header=BB24_8 Depth=1
	s_or_b32 exec_lo, exec_lo, s10
	s_lshl_b32 s9, s9, 2
	s_waitcnt lgkmcnt(0)
	v_mov_b32_e32 v2, s9
	s_barrier
	buffer_gl0_inv
	s_and_b32 s22, s69, 0xfe
	s_delay_alu instid0(SALU_CYCLE_1)
	s_lshl_b64 s[10:11], 3, s22
	ds_load_b128 v[6:9], v2 offset:3072
	s_not_b64 s[12:13], s[10:11]
	s_waitcnt lgkmcnt(0)
	v_readfirstlane_b32 s20, v6
	v_readfirstlane_b32 s27, v7
	;; [unrolled: 1-line block ×4, first 2 shown]
	s_delay_alu instid0(VALU_DEP_4) | instskip(SKIP_3) | instid1(SALU_CYCLE_1)
	s_cmp_eq_u32 s20, 1
	s_cselect_b32 s9, -1, 0
	s_cmp_eq_u32 s37, 1
	s_cselect_b32 s14, -1, 0
	s_and_b32 s15, s9, s14
	s_mov_b32 s14, -1
	s_and_b32 vcc_lo, exec_lo, s15
	s_cbranch_vccz .LBB24_90
; %bb.79:                               ;   in Loop: Header=BB24_8 Depth=1
	ds_load_b32 v2, v12 offset:4096
	s_waitcnt lgkmcnt(0)
	s_barrier
	buffer_gl0_inv
	v_readfirstlane_b32 s16, v2
	s_and_saveexec_b32 s9, s0
	s_cbranch_execz .LBB24_81
; %bb.80:                               ;   in Loop: Header=BB24_8 Depth=1
	v_mov_b32_e32 v11, v12
	ds_store_b64 v25, v[11:12]
.LBB24_81:                              ;   in Loop: Header=BB24_8 Depth=1
	s_or_b32 exec_lo, exec_lo, s9
	s_and_b64 s[42:43], s[42:43], s[12:13]
	s_or_b64 s[44:45], s[44:45], s[10:11]
	s_cmp_lt_i32 s16, 1
	s_waitcnt lgkmcnt(0)
	s_barrier
	buffer_gl0_inv
	s_cbranch_scc0 .LBB24_91
; %bb.82:                               ;   in Loop: Header=BB24_8 Depth=1
	s_mov_b32 s9, 0
                                        ; implicit-def: $vgpr4_vgpr5
	s_and_saveexec_b32 s17, s8
	s_cbranch_execz .LBB24_93
; %bb.83:                               ;   in Loop: Header=BB24_8 Depth=1
	v_mov_b32_e32 v6, v10
	v_mov_b32_e32 v8, v0
	s_mov_b32 s23, 0
                                        ; implicit-def: $sgpr19
	s_set_inst_prefetch_distance 0x1
	s_branch .LBB24_85
	.p2align	6
.LBB24_84:                              ;   in Loop: Header=BB24_85 Depth=2
	s_or_b32 exec_lo, exec_lo, s9
	s_waitcnt vmcnt(0) lgkmcnt(0)
	s_barrier
	buffer_gl0_inv
	ds_load_b128 v[2:5], v12 offset:3072
	v_add_nc_u32_e32 v8, s48, v8
	v_add_nc_u32_e32 v6, s52, v6
	s_waitcnt lgkmcnt(0)
	s_barrier
	buffer_gl0_inv
	v_cmp_le_i32_e32 vcc_lo, s63, v8
	v_readfirstlane_b32 s25, v3
	v_readfirstlane_b32 s24, v2
	s_delay_alu instid0(VALU_DEP_1) | instskip(SKIP_1) | instid1(SALU_CYCLE_1)
	s_cmp_lg_u64 s[24:25], 0
	s_cselect_b32 s9, -1, 0
	s_or_b32 s24, vcc_lo, s9
	s_delay_alu instid0(SALU_CYCLE_1) | instskip(NEXT) | instid1(SALU_CYCLE_1)
	s_and_b32 s24, exec_lo, s24
	s_or_b32 s23, s24, s23
	s_and_not1_b32 s19, s19, exec_lo
	s_and_b32 s9, s9, exec_lo
	s_delay_alu instid0(SALU_CYCLE_1)
	s_or_b32 s19, s19, s9
	s_and_not1_b32 exec_lo, exec_lo, s23
	s_cbranch_execz .LBB24_92
.LBB24_85:                              ;   Parent Loop BB24_8 Depth=1
                                        ; =>  This Inner Loop Header: Depth=2
	v_mov_b32_e32 v3, 0
	v_mov_b32_e32 v4, 0
	v_cmp_gt_i32_e32 vcc_lo, s36, v8
	s_and_saveexec_b32 s24, vcc_lo
	s_cbranch_execz .LBB24_87
; %bb.86:                               ;   in Loop: Header=BB24_85 Depth=2
	v_ashrrev_i32_e32 v7, 31, v6
	s_delay_alu instid0(VALU_DEP_1) | instskip(NEXT) | instid1(VALU_DEP_1)
	v_lshlrev_b64 v[2:3], 3, v[6:7]
	v_add_co_u32 v2, s9, s46, v2
	s_delay_alu instid0(VALU_DEP_1)
	v_add_co_ci_u32_e64 v3, s9, s47, v3, s9
	global_load_b64 v[3:4], v[2:3], off
.LBB24_87:                              ;   in Loop: Header=BB24_85 Depth=2
	s_or_b32 exec_lo, exec_lo, s24
	s_and_saveexec_b32 s9, vcc_lo
	s_cbranch_execz .LBB24_84
; %bb.88:                               ;   in Loop: Header=BB24_85 Depth=2
	s_waitcnt vmcnt(0)
	v_xor_b32_e32 v2, 0x80000000, v4
	v_and_b32_e32 v18, s44, v3
	s_delay_alu instid0(VALU_DEP_2) | instskip(NEXT) | instid1(VALU_DEP_1)
	v_and_b32_e32 v19, s45, v2
	v_cmp_eq_u64_e32 vcc_lo, s[42:43], v[18:19]
	s_and_b32 exec_lo, exec_lo, vcc_lo
	s_cbranch_execz .LBB24_84
; %bb.89:                               ;   in Loop: Header=BB24_85 Depth=2
	v_mov_b32_e32 v2, v12
	ds_store_b128 v12, v[1:4] offset:3072
	s_branch .LBB24_84
.LBB24_90:                              ;   in Loop: Header=BB24_8 Depth=1
	s_mov_b32 s9, -1
                                        ; implicit-def: $sgpr17
                                        ; implicit-def: $sgpr23
                                        ; implicit-def: $sgpr19
	s_branch .LBB24_104
.LBB24_91:                              ;   in Loop: Header=BB24_8 Depth=1
	s_mov_b32 s17, -1
	s_mov_b32 s9, 0
                                        ; implicit-def: $sgpr19
                                        ; implicit-def: $vgpr4_vgpr5
	s_mov_b32 s23, s17
	s_cbranch_execnz .LBB24_94
	s_branch .LBB24_104
.LBB24_92:                              ;   in Loop: Header=BB24_8 Depth=1
	s_set_inst_prefetch_distance 0x2
	s_or_b32 exec_lo, exec_lo, s23
	s_delay_alu instid0(SALU_CYCLE_1)
	s_and_b32 s9, s19, exec_lo
.LBB24_93:                              ;   in Loop: Header=BB24_8 Depth=1
	s_or_b32 exec_lo, exec_lo, s17
	s_mov_b32 s19, -1
	s_mov_b32 s17, 0
	s_delay_alu instid0(SALU_CYCLE_1)
	s_mov_b32 s23, s17
	s_branch .LBB24_104
.LBB24_94:                              ;   in Loop: Header=BB24_8 Depth=1
	s_add_i32 s19, s16, s53
                                        ; implicit-def: $vgpr4_vgpr5
	s_delay_alu instid0(SALU_CYCLE_1) | instskip(NEXT) | instid1(SALU_CYCLE_1)
	s_abs_i32 s9, s19
	s_mul_hi_u32 s17, s9, s62
	s_delay_alu instid0(SALU_CYCLE_1) | instskip(NEXT) | instid1(SALU_CYCLE_1)
	s_mul_i32 s17, s17, s48
	s_sub_i32 s9, s9, s17
	s_ashr_i32 s17, s19, 31
	s_sub_i32 s23, s9, s48
	s_cmp_ge_u32 s9, s48
	s_cselect_b32 s9, s23, s9
	s_delay_alu instid0(SALU_CYCLE_1) | instskip(SKIP_2) | instid1(SALU_CYCLE_1)
	s_sub_i32 s23, s9, s48
	s_cmp_ge_u32 s9, s48
	s_cselect_b32 s9, s23, s9
	s_xor_b32 s9, s9, s17
	s_delay_alu instid0(SALU_CYCLE_1)
	s_sub_i32 s9, s17, s9
	s_mov_b32 s17, exec_lo
	s_add_i32 s19, s19, s9
	s_mov_b32 s9, 0
	v_cmpx_gt_i32_e64 s19, v0
	s_cbranch_execz .LBB24_103
; %bb.95:                               ;   in Loop: Header=BB24_8 Depth=1
	v_mov_b32_e32 v6, v24
	v_mov_b32_e32 v7, v0
	s_mov_b32 s23, 0
                                        ; implicit-def: $sgpr9
	s_set_inst_prefetch_distance 0x1
	s_branch .LBB24_97
	.p2align	6
.LBB24_96:                              ;   in Loop: Header=BB24_97 Depth=2
	s_or_b32 exec_lo, exec_lo, s24
	s_waitcnt lgkmcnt(0)
	s_barrier
	buffer_gl0_inv
	ds_load_b128 v[2:5], v12 offset:3072
	v_add_nc_u32_e32 v7, s48, v7
	v_add_nc_u32_e32 v6, s66, v6
	s_waitcnt lgkmcnt(0)
	s_barrier
	buffer_gl0_inv
	v_cmp_le_i32_e32 vcc_lo, s19, v7
	v_readfirstlane_b32 s25, v3
	v_readfirstlane_b32 s24, v2
	s_delay_alu instid0(VALU_DEP_1) | instskip(SKIP_1) | instid1(SALU_CYCLE_1)
	s_cmp_lg_u64 s[24:25], 0
	s_cselect_b32 s24, -1, 0
	s_or_b32 s25, vcc_lo, s24
	s_delay_alu instid0(SALU_CYCLE_1) | instskip(NEXT) | instid1(SALU_CYCLE_1)
	s_and_b32 s25, exec_lo, s25
	s_or_b32 s23, s25, s23
	s_and_not1_b32 s9, s9, exec_lo
	s_and_b32 s24, s24, exec_lo
	s_delay_alu instid0(SALU_CYCLE_1)
	s_or_b32 s9, s9, s24
	s_and_not1_b32 exec_lo, exec_lo, s23
	s_cbranch_execz .LBB24_102
.LBB24_97:                              ;   Parent Loop BB24_8 Depth=1
                                        ; =>  This Inner Loop Header: Depth=2
	v_mov_b32_e32 v3, 0
	v_mov_b32_e32 v4, 0
	v_cmp_gt_i32_e32 vcc_lo, s16, v7
	s_and_saveexec_b32 s24, vcc_lo
	s_cbranch_execz .LBB24_99
; %bb.98:                               ;   in Loop: Header=BB24_97 Depth=2
	ds_load_b64 v[3:4], v6
.LBB24_99:                              ;   in Loop: Header=BB24_97 Depth=2
	s_or_b32 exec_lo, exec_lo, s24
	s_and_saveexec_b32 s24, vcc_lo
	s_cbranch_execz .LBB24_96
; %bb.100:                              ;   in Loop: Header=BB24_97 Depth=2
	s_waitcnt lgkmcnt(0)
	v_xor_b32_e32 v2, 0x80000000, v4
	v_and_b32_e32 v8, s44, v3
	s_delay_alu instid0(VALU_DEP_2) | instskip(NEXT) | instid1(VALU_DEP_1)
	v_and_b32_e32 v9, s45, v2
	v_cmp_eq_u64_e32 vcc_lo, s[42:43], v[8:9]
	s_and_b32 exec_lo, exec_lo, vcc_lo
	s_cbranch_execz .LBB24_96
; %bb.101:                              ;   in Loop: Header=BB24_97 Depth=2
	v_mov_b32_e32 v2, v12
	ds_store_b128 v12, v[1:4] offset:3072
	s_branch .LBB24_96
.LBB24_102:                             ;   in Loop: Header=BB24_8 Depth=1
	s_set_inst_prefetch_distance 0x2
	s_or_b32 exec_lo, exec_lo, s23
	s_delay_alu instid0(SALU_CYCLE_1)
	s_and_b32 s9, s9, exec_lo
.LBB24_103:                             ;   in Loop: Header=BB24_8 Depth=1
	s_or_b32 exec_lo, exec_lo, s17
	s_mov_b32 s23, -1
	s_mov_b32 s17, 0
	s_mov_b32 s19, 0
.LBB24_104:                             ;   in Loop: Header=BB24_8 Depth=1
	s_and_not1_b32 s16, s71, exec_lo
	s_and_b32 s17, s17, exec_lo
	s_and_b32 s19, s19, exec_lo
	s_or_b32 s71, s16, s17
	s_and_not1_b32 s16, s74, exec_lo
	s_and_b32 s17, s23, exec_lo
	s_and_not1_b32 s23, s72, exec_lo
	s_or_b32 s74, s16, s17
	s_or_b32 s72, s23, s19
	s_and_saveexec_b32 s19, s9
	s_cbranch_execz .LBB24_7
; %bb.105:                              ;   in Loop: Header=BB24_8 Depth=1
	s_xor_b32 s9, s15, -1
	s_mov_b32 s23, 0
	s_and_not1_b32 vcc_lo, exec_lo, s9
	s_mov_b32 s28, 1
	s_cbranch_vccnz .LBB24_116
; %bb.106:                              ;   in Loop: Header=BB24_8 Depth=1
	s_cmp_gt_i32 s37, s20
	s_mov_b32 s23, -1
                                        ; implicit-def: $sgpr9
                                        ; implicit-def: $sgpr14_sgpr15
                                        ; implicit-def: $sgpr16_sgpr17
	s_cbranch_scc1 .LBB24_112
; %bb.107:                              ;   in Loop: Header=BB24_8 Depth=1
	ds_load_b32 v2, v12 offset:4096
	s_waitcnt lgkmcnt(0)
	v_cmp_ne_u32_e32 vcc_lo, 0, v2
	s_cbranch_vccnz .LBB24_111
; %bb.108:                              ;   in Loop: Header=BB24_8 Depth=1
	s_and_saveexec_b32 s9, s2
	s_cbranch_execz .LBB24_110
; %bb.109:                              ;   in Loop: Header=BB24_8 Depth=1
	v_mov_b32_e32 v2, s20
	ds_store_b32 v12, v2 offset:4100
.LBB24_110:                             ;   in Loop: Header=BB24_8 Depth=1
	s_or_b32 exec_lo, exec_lo, s9
	s_waitcnt lgkmcnt(0)
	s_barrier
	buffer_gl0_inv
.LBB24_111:                             ;   in Loop: Header=BB24_8 Depth=1
	s_and_b64 s[14:15], s[42:43], s[12:13]
	s_or_b64 s[16:17], s[44:45], s[10:11]
	s_mov_b32 s23, 0
	s_mov_b32 s9, 8
.LBB24_112:                             ;   in Loop: Header=BB24_8 Depth=1
	s_and_not1_b32 vcc_lo, exec_lo, s23
	s_cbranch_vccnz .LBB24_114
; %bb.113:                              ;   in Loop: Header=BB24_8 Depth=1
	s_sub_i32 s37, s37, s20
	s_mov_b32 s23, -1
	s_mov_b32 s9, 0
	s_mov_b64 s[14:15], s[42:43]
	s_mov_b64 s[16:17], s[44:45]
.LBB24_114:                             ;   in Loop: Header=BB24_8 Depth=1
	s_delay_alu instid0(SALU_CYCLE_1)
	s_mov_b64 s[44:45], s[16:17]
	s_mov_b64 s[42:43], s[14:15]
	s_mov_b32 s28, s37
	s_and_b32 vcc_lo, exec_lo, s23
	s_mov_b32 s20, -1
	s_cbranch_vccnz .LBB24_117
.LBB24_115:                             ;   in Loop: Header=BB24_8 Depth=1
	s_mov_b32 s15, -1
                                        ; implicit-def: $sgpr23
                                        ; implicit-def: $sgpr25
                                        ; implicit-def: $sgpr24
	s_delay_alu instid0(SALU_CYCLE_1) | instskip(NEXT) | instid1(SALU_CYCLE_1)
	s_and_saveexec_b32 s10, s15
	s_xor_b32 s10, exec_lo, s10
	s_cbranch_execz .LBB24_6
	s_branch .LBB24_240
.LBB24_116:                             ;   in Loop: Header=BB24_8 Depth=1
	s_mov_b32 s9, 1
	s_and_b32 vcc_lo, exec_lo, s23
	s_mov_b32 s20, -1
	s_cbranch_vccz .LBB24_115
.LBB24_117:                             ;   in Loop: Header=BB24_8 Depth=1
	s_cmp_eq_u32 s27, 1
	s_mov_b32 s16, -1
	s_cselect_b32 s9, -1, 0
	s_cmp_eq_u32 s28, 1
	s_cselect_b32 s14, -1, 0
	s_delay_alu instid0(SALU_CYCLE_1) | instskip(NEXT) | instid1(SALU_CYCLE_1)
	s_and_b32 s14, s9, s14
	s_and_b32 vcc_lo, exec_lo, s14
	s_cbranch_vccz .LBB24_129
; %bb.118:                              ;   in Loop: Header=BB24_8 Depth=1
	ds_load_b32 v2, v12 offset:4096
	s_waitcnt lgkmcnt(0)
	s_barrier
	buffer_gl0_inv
	v_readfirstlane_b32 s15, v2
	s_and_saveexec_b32 s9, s0
	s_cbranch_execz .LBB24_120
; %bb.119:                              ;   in Loop: Header=BB24_8 Depth=1
	v_mov_b32_e32 v11, v12
	ds_store_b64 v25, v[11:12]
.LBB24_120:                             ;   in Loop: Header=BB24_8 Depth=1
	s_or_b32 exec_lo, exec_lo, s9
	s_lshl_b64 s[16:17], 1, s22
	s_and_b64 s[24:25], s[42:43], s[12:13]
	s_or_b64 s[44:45], s[44:45], s[10:11]
	s_or_b64 s[42:43], s[24:25], s[16:17]
	s_cmp_gt_i32 s15, 0
	s_waitcnt lgkmcnt(0)
	s_barrier
	buffer_gl0_inv
	s_cbranch_scc1 .LBB24_130
; %bb.121:                              ;   in Loop: Header=BB24_8 Depth=1
	s_mov_b32 s16, 0
                                        ; implicit-def: $vgpr4_vgpr5
	s_and_saveexec_b32 s17, s8
	s_cbranch_execz .LBB24_132
; %bb.122:                              ;   in Loop: Header=BB24_8 Depth=1
	v_mov_b32_e32 v6, v10
	v_mov_b32_e32 v8, v0
	s_mov_b32 s23, 0
                                        ; implicit-def: $sgpr16
	s_set_inst_prefetch_distance 0x1
	s_branch .LBB24_124
	.p2align	6
.LBB24_123:                             ;   in Loop: Header=BB24_124 Depth=2
	s_or_b32 exec_lo, exec_lo, s9
	s_waitcnt vmcnt(0) lgkmcnt(0)
	s_barrier
	buffer_gl0_inv
	ds_load_b128 v[2:5], v12 offset:3072
	v_add_nc_u32_e32 v8, s48, v8
	v_add_nc_u32_e32 v6, s52, v6
	s_waitcnt lgkmcnt(0)
	s_barrier
	buffer_gl0_inv
	v_cmp_le_i32_e32 vcc_lo, s63, v8
	v_readfirstlane_b32 s25, v3
	v_readfirstlane_b32 s24, v2
	s_delay_alu instid0(VALU_DEP_1) | instskip(SKIP_1) | instid1(SALU_CYCLE_1)
	s_cmp_lg_u64 s[24:25], 0
	s_cselect_b32 s9, -1, 0
	s_or_b32 s24, vcc_lo, s9
	s_delay_alu instid0(SALU_CYCLE_1) | instskip(NEXT) | instid1(SALU_CYCLE_1)
	s_and_b32 s24, exec_lo, s24
	s_or_b32 s23, s24, s23
	s_and_not1_b32 s16, s16, exec_lo
	s_and_b32 s9, s9, exec_lo
	s_delay_alu instid0(SALU_CYCLE_1)
	s_or_b32 s16, s16, s9
	s_and_not1_b32 exec_lo, exec_lo, s23
	s_cbranch_execz .LBB24_131
.LBB24_124:                             ;   Parent Loop BB24_8 Depth=1
                                        ; =>  This Inner Loop Header: Depth=2
	v_mov_b32_e32 v3, 0
	v_mov_b32_e32 v4, 0
	v_cmp_gt_i32_e32 vcc_lo, s36, v8
	s_and_saveexec_b32 s24, vcc_lo
	s_cbranch_execz .LBB24_126
; %bb.125:                              ;   in Loop: Header=BB24_124 Depth=2
	v_ashrrev_i32_e32 v7, 31, v6
	s_delay_alu instid0(VALU_DEP_1) | instskip(NEXT) | instid1(VALU_DEP_1)
	v_lshlrev_b64 v[2:3], 3, v[6:7]
	v_add_co_u32 v2, s9, s46, v2
	s_delay_alu instid0(VALU_DEP_1)
	v_add_co_ci_u32_e64 v3, s9, s47, v3, s9
	global_load_b64 v[3:4], v[2:3], off
.LBB24_126:                             ;   in Loop: Header=BB24_124 Depth=2
	s_or_b32 exec_lo, exec_lo, s24
	s_and_saveexec_b32 s9, vcc_lo
	s_cbranch_execz .LBB24_123
; %bb.127:                              ;   in Loop: Header=BB24_124 Depth=2
	s_waitcnt vmcnt(0)
	v_xor_b32_e32 v2, 0x80000000, v4
	v_and_b32_e32 v18, s44, v3
	s_delay_alu instid0(VALU_DEP_2) | instskip(NEXT) | instid1(VALU_DEP_1)
	v_and_b32_e32 v19, s45, v2
	v_cmp_eq_u64_e32 vcc_lo, s[42:43], v[18:19]
	s_and_b32 exec_lo, exec_lo, vcc_lo
	s_cbranch_execz .LBB24_123
; %bb.128:                              ;   in Loop: Header=BB24_124 Depth=2
	v_mov_b32_e32 v2, v12
	ds_store_b128 v12, v[1:4] offset:3072
	s_branch .LBB24_123
.LBB24_129:                             ;   in Loop: Header=BB24_8 Depth=1
                                        ; implicit-def: $sgpr24
                                        ; implicit-def: $sgpr25
                                        ; implicit-def: $sgpr23
	s_branch .LBB24_143
.LBB24_130:                             ;   in Loop: Header=BB24_8 Depth=1
	s_mov_b32 s24, -1
	s_mov_b32 s16, 0
                                        ; implicit-def: $sgpr23
                                        ; implicit-def: $vgpr4_vgpr5
	s_mov_b32 s25, s24
	s_cbranch_execnz .LBB24_133
	s_branch .LBB24_143
.LBB24_131:                             ;   in Loop: Header=BB24_8 Depth=1
	s_set_inst_prefetch_distance 0x2
	s_or_b32 exec_lo, exec_lo, s23
	s_delay_alu instid0(SALU_CYCLE_1)
	s_and_b32 s16, s16, exec_lo
.LBB24_132:                             ;   in Loop: Header=BB24_8 Depth=1
	s_or_b32 exec_lo, exec_lo, s17
	s_mov_b32 s23, -1
	s_mov_b32 s24, 0
	s_delay_alu instid0(SALU_CYCLE_1)
	s_mov_b32 s25, s24
	s_branch .LBB24_143
.LBB24_133:                             ;   in Loop: Header=BB24_8 Depth=1
	s_add_i32 s17, s15, s53
                                        ; implicit-def: $vgpr4_vgpr5
	s_delay_alu instid0(SALU_CYCLE_1) | instskip(NEXT) | instid1(SALU_CYCLE_1)
	s_abs_i32 s9, s17
	s_mul_hi_u32 s16, s9, s62
	s_delay_alu instid0(SALU_CYCLE_1) | instskip(NEXT) | instid1(SALU_CYCLE_1)
	s_mul_i32 s16, s16, s48
	s_sub_i32 s9, s9, s16
	s_ashr_i32 s16, s17, 31
	s_sub_i32 s23, s9, s48
	s_cmp_ge_u32 s9, s48
	s_cselect_b32 s9, s23, s9
	s_delay_alu instid0(SALU_CYCLE_1) | instskip(SKIP_2) | instid1(SALU_CYCLE_1)
	s_sub_i32 s23, s9, s48
	s_cmp_ge_u32 s9, s48
	s_cselect_b32 s9, s23, s9
	s_xor_b32 s9, s9, s16
	s_delay_alu instid0(SALU_CYCLE_1)
	s_sub_i32 s9, s16, s9
	s_mov_b32 s16, 0
	s_add_i32 s17, s17, s9
	s_mov_b32 s9, exec_lo
	v_cmpx_gt_i32_e64 s17, v0
	s_cbranch_execz .LBB24_142
; %bb.134:                              ;   in Loop: Header=BB24_8 Depth=1
	v_mov_b32_e32 v6, v24
	v_mov_b32_e32 v7, v0
	s_mov_b32 s23, 0
                                        ; implicit-def: $sgpr16
	s_set_inst_prefetch_distance 0x1
	s_branch .LBB24_136
	.p2align	6
.LBB24_135:                             ;   in Loop: Header=BB24_136 Depth=2
	s_or_b32 exec_lo, exec_lo, s24
	s_waitcnt lgkmcnt(0)
	s_barrier
	buffer_gl0_inv
	ds_load_b128 v[2:5], v12 offset:3072
	v_add_nc_u32_e32 v7, s48, v7
	v_add_nc_u32_e32 v6, s66, v6
	s_waitcnt lgkmcnt(0)
	s_barrier
	buffer_gl0_inv
	v_cmp_le_i32_e32 vcc_lo, s17, v7
	v_readfirstlane_b32 s25, v3
	v_readfirstlane_b32 s24, v2
	s_delay_alu instid0(VALU_DEP_1) | instskip(SKIP_1) | instid1(SALU_CYCLE_1)
	s_cmp_lg_u64 s[24:25], 0
	s_cselect_b32 s24, -1, 0
	s_or_b32 s25, vcc_lo, s24
	s_delay_alu instid0(SALU_CYCLE_1) | instskip(NEXT) | instid1(SALU_CYCLE_1)
	s_and_b32 s25, exec_lo, s25
	s_or_b32 s23, s25, s23
	s_and_not1_b32 s16, s16, exec_lo
	s_and_b32 s24, s24, exec_lo
	s_delay_alu instid0(SALU_CYCLE_1)
	s_or_b32 s16, s16, s24
	s_and_not1_b32 exec_lo, exec_lo, s23
	s_cbranch_execz .LBB24_141
.LBB24_136:                             ;   Parent Loop BB24_8 Depth=1
                                        ; =>  This Inner Loop Header: Depth=2
	v_mov_b32_e32 v3, 0
	v_mov_b32_e32 v4, 0
	v_cmp_gt_i32_e32 vcc_lo, s15, v7
	s_and_saveexec_b32 s24, vcc_lo
	s_cbranch_execz .LBB24_138
; %bb.137:                              ;   in Loop: Header=BB24_136 Depth=2
	ds_load_b64 v[3:4], v6
.LBB24_138:                             ;   in Loop: Header=BB24_136 Depth=2
	s_or_b32 exec_lo, exec_lo, s24
	s_and_saveexec_b32 s24, vcc_lo
	s_cbranch_execz .LBB24_135
; %bb.139:                              ;   in Loop: Header=BB24_136 Depth=2
	s_waitcnt lgkmcnt(0)
	v_xor_b32_e32 v2, 0x80000000, v4
	v_and_b32_e32 v8, s44, v3
	s_delay_alu instid0(VALU_DEP_2) | instskip(NEXT) | instid1(VALU_DEP_1)
	v_and_b32_e32 v9, s45, v2
	v_cmp_eq_u64_e32 vcc_lo, s[42:43], v[8:9]
	s_and_b32 exec_lo, exec_lo, vcc_lo
	s_cbranch_execz .LBB24_135
; %bb.140:                              ;   in Loop: Header=BB24_136 Depth=2
	v_mov_b32_e32 v2, v12
	ds_store_b128 v12, v[1:4] offset:3072
	s_branch .LBB24_135
.LBB24_141:                             ;   in Loop: Header=BB24_8 Depth=1
	s_set_inst_prefetch_distance 0x2
	s_or_b32 exec_lo, exec_lo, s23
	s_delay_alu instid0(SALU_CYCLE_1)
	s_and_b32 s16, s16, exec_lo
.LBB24_142:                             ;   in Loop: Header=BB24_8 Depth=1
	s_or_b32 exec_lo, exec_lo, s9
	s_mov_b32 s25, -1
	s_mov_b32 s24, 0
	s_mov_b32 s23, 0
.LBB24_143:                             ;   in Loop: Header=BB24_8 Depth=1
	s_mov_b32 s15, 0
                                        ; implicit-def: $sgpr9
	s_and_saveexec_b32 s26, s16
	s_cbranch_execz .LBB24_239
; %bb.144:                              ;   in Loop: Header=BB24_8 Depth=1
	s_xor_b32 s9, s14, -1
	s_mov_b32 s37, 0
	s_and_not1_b32 vcc_lo, exec_lo, s9
	s_mov_b32 s76, 1
	s_cbranch_vccnz .LBB24_155
; %bb.145:                              ;   in Loop: Header=BB24_8 Depth=1
	s_cmp_gt_i32 s28, s27
	s_mov_b32 s37, -1
                                        ; implicit-def: $sgpr9
                                        ; implicit-def: $sgpr14_sgpr15
                                        ; implicit-def: $sgpr16_sgpr17
	s_cbranch_scc1 .LBB24_151
; %bb.146:                              ;   in Loop: Header=BB24_8 Depth=1
	ds_load_b32 v2, v12 offset:4096
	s_waitcnt lgkmcnt(0)
	v_cmp_ne_u32_e32 vcc_lo, 0, v2
	s_cbranch_vccnz .LBB24_150
; %bb.147:                              ;   in Loop: Header=BB24_8 Depth=1
	s_and_saveexec_b32 s9, s2
	s_cbranch_execz .LBB24_149
; %bb.148:                              ;   in Loop: Header=BB24_8 Depth=1
	v_mov_b32_e32 v2, s27
	ds_store_b32 v12, v2 offset:4100
.LBB24_149:                             ;   in Loop: Header=BB24_8 Depth=1
	s_or_b32 exec_lo, exec_lo, s9
	s_waitcnt lgkmcnt(0)
	s_barrier
	buffer_gl0_inv
.LBB24_150:                             ;   in Loop: Header=BB24_8 Depth=1
	s_lshl_b64 s[14:15], 1, s22
	s_and_b64 s[16:17], s[42:43], s[12:13]
	s_mov_b32 s37, 0
	s_or_b64 s[14:15], s[16:17], s[14:15]
	s_or_b64 s[16:17], s[44:45], s[10:11]
	s_mov_b32 s9, 8
.LBB24_151:                             ;   in Loop: Header=BB24_8 Depth=1
	s_and_not1_b32 vcc_lo, exec_lo, s37
	s_cbranch_vccnz .LBB24_153
; %bb.152:                              ;   in Loop: Header=BB24_8 Depth=1
	s_sub_i32 s28, s28, s27
	s_mov_b32 s37, -1
	s_mov_b32 s9, 0
	s_mov_b64 s[14:15], s[42:43]
	s_mov_b64 s[16:17], s[44:45]
.LBB24_153:                             ;   in Loop: Header=BB24_8 Depth=1
	s_delay_alu instid0(SALU_CYCLE_1)
	s_mov_b64 s[44:45], s[16:17]
	s_mov_b64 s[42:43], s[14:15]
	s_mov_b32 s76, s28
	s_and_not1_b32 vcc_lo, exec_lo, s37
	s_mov_b32 s15, -1
	s_cbranch_vccz .LBB24_156
.LBB24_154:                             ;   in Loop: Header=BB24_8 Depth=1
                                        ; implicit-def: $sgpr28
                                        ; implicit-def: $sgpr37
                                        ; implicit-def: $sgpr27
	s_branch .LBB24_238
.LBB24_155:                             ;   in Loop: Header=BB24_8 Depth=1
	s_mov_b32 s9, 1
	s_and_not1_b32 vcc_lo, exec_lo, s37
	s_mov_b32 s15, -1
	s_cbranch_vccnz .LBB24_154
.LBB24_156:                             ;   in Loop: Header=BB24_8 Depth=1
	s_cmp_eq_u32 s21, 1
	s_mov_b32 s16, -1
	s_cselect_b32 s9, -1, 0
	s_cmp_eq_u32 s76, 1
	s_cselect_b32 s14, -1, 0
	s_delay_alu instid0(SALU_CYCLE_1) | instskip(NEXT) | instid1(SALU_CYCLE_1)
	s_and_b32 s14, s9, s14
	s_and_b32 vcc_lo, exec_lo, s14
	s_cbranch_vccz .LBB24_168
; %bb.157:                              ;   in Loop: Header=BB24_8 Depth=1
	ds_load_b32 v2, v12 offset:4096
	s_waitcnt lgkmcnt(0)
	s_barrier
	buffer_gl0_inv
	v_readfirstlane_b32 s15, v2
	s_and_saveexec_b32 s9, s0
	s_cbranch_execz .LBB24_159
; %bb.158:                              ;   in Loop: Header=BB24_8 Depth=1
	v_mov_b32_e32 v11, v12
	ds_store_b64 v25, v[11:12]
.LBB24_159:                             ;   in Loop: Header=BB24_8 Depth=1
	s_or_b32 exec_lo, exec_lo, s9
	s_lshl_b64 s[16:17], 2, s22
	s_and_b64 s[42:43], s[42:43], s[12:13]
	s_or_b64 s[44:45], s[44:45], s[10:11]
	s_or_b64 s[42:43], s[42:43], s[16:17]
	s_cmp_gt_i32 s15, 0
	s_waitcnt lgkmcnt(0)
	s_barrier
	buffer_gl0_inv
	s_cbranch_scc1 .LBB24_169
; %bb.160:                              ;   in Loop: Header=BB24_8 Depth=1
	s_mov_b32 s16, 0
                                        ; implicit-def: $vgpr4_vgpr5
	s_and_saveexec_b32 s17, s8
	s_cbranch_execz .LBB24_171
; %bb.161:                              ;   in Loop: Header=BB24_8 Depth=1
	v_mov_b32_e32 v6, v10
	v_mov_b32_e32 v8, v0
	s_mov_b32 s27, 0
                                        ; implicit-def: $sgpr16
	s_set_inst_prefetch_distance 0x1
	s_branch .LBB24_163
	.p2align	6
.LBB24_162:                             ;   in Loop: Header=BB24_163 Depth=2
	s_or_b32 exec_lo, exec_lo, s9
	s_waitcnt vmcnt(0) lgkmcnt(0)
	s_barrier
	buffer_gl0_inv
	ds_load_b128 v[2:5], v12 offset:3072
	v_add_nc_u32_e32 v8, s48, v8
	v_add_nc_u32_e32 v6, s52, v6
	s_waitcnt lgkmcnt(0)
	s_barrier
	buffer_gl0_inv
	v_cmp_le_i32_e32 vcc_lo, s63, v8
	v_readfirstlane_b32 s79, v3
	v_readfirstlane_b32 s78, v2
	s_delay_alu instid0(VALU_DEP_1) | instskip(SKIP_1) | instid1(SALU_CYCLE_1)
	s_cmp_lg_u64 s[78:79], 0
	s_cselect_b32 s9, -1, 0
	s_or_b32 s28, vcc_lo, s9
	s_delay_alu instid0(SALU_CYCLE_1) | instskip(NEXT) | instid1(SALU_CYCLE_1)
	s_and_b32 s28, exec_lo, s28
	s_or_b32 s27, s28, s27
	s_and_not1_b32 s16, s16, exec_lo
	s_and_b32 s9, s9, exec_lo
	s_delay_alu instid0(SALU_CYCLE_1)
	s_or_b32 s16, s16, s9
	s_and_not1_b32 exec_lo, exec_lo, s27
	s_cbranch_execz .LBB24_170
.LBB24_163:                             ;   Parent Loop BB24_8 Depth=1
                                        ; =>  This Inner Loop Header: Depth=2
	v_mov_b32_e32 v3, 0
	v_mov_b32_e32 v4, 0
	v_cmp_gt_i32_e32 vcc_lo, s36, v8
	s_and_saveexec_b32 s28, vcc_lo
	s_cbranch_execz .LBB24_165
; %bb.164:                              ;   in Loop: Header=BB24_163 Depth=2
	v_ashrrev_i32_e32 v7, 31, v6
	s_delay_alu instid0(VALU_DEP_1) | instskip(NEXT) | instid1(VALU_DEP_1)
	v_lshlrev_b64 v[2:3], 3, v[6:7]
	v_add_co_u32 v2, s9, s46, v2
	s_delay_alu instid0(VALU_DEP_1)
	v_add_co_ci_u32_e64 v3, s9, s47, v3, s9
	global_load_b64 v[3:4], v[2:3], off
.LBB24_165:                             ;   in Loop: Header=BB24_163 Depth=2
	s_or_b32 exec_lo, exec_lo, s28
	s_and_saveexec_b32 s9, vcc_lo
	s_cbranch_execz .LBB24_162
; %bb.166:                              ;   in Loop: Header=BB24_163 Depth=2
	s_waitcnt vmcnt(0)
	v_xor_b32_e32 v2, 0x80000000, v4
	v_and_b32_e32 v18, s44, v3
	s_delay_alu instid0(VALU_DEP_2) | instskip(NEXT) | instid1(VALU_DEP_1)
	v_and_b32_e32 v19, s45, v2
	v_cmp_eq_u64_e32 vcc_lo, s[42:43], v[18:19]
	s_and_b32 exec_lo, exec_lo, vcc_lo
	s_cbranch_execz .LBB24_162
; %bb.167:                              ;   in Loop: Header=BB24_163 Depth=2
	v_mov_b32_e32 v2, v12
	ds_store_b128 v12, v[1:4] offset:3072
	s_branch .LBB24_162
.LBB24_168:                             ;   in Loop: Header=BB24_8 Depth=1
                                        ; implicit-def: $sgpr27
                                        ; implicit-def: $sgpr37
                                        ; implicit-def: $sgpr28
	s_branch .LBB24_182
.LBB24_169:                             ;   in Loop: Header=BB24_8 Depth=1
	s_mov_b32 s27, -1
	s_mov_b32 s16, 0
                                        ; implicit-def: $sgpr28
                                        ; implicit-def: $vgpr4_vgpr5
	s_mov_b32 s37, s27
	s_cbranch_execnz .LBB24_172
	s_branch .LBB24_182
.LBB24_170:                             ;   in Loop: Header=BB24_8 Depth=1
	s_set_inst_prefetch_distance 0x2
	s_or_b32 exec_lo, exec_lo, s27
	s_delay_alu instid0(SALU_CYCLE_1)
	s_and_b32 s16, s16, exec_lo
.LBB24_171:                             ;   in Loop: Header=BB24_8 Depth=1
	s_or_b32 exec_lo, exec_lo, s17
	s_mov_b32 s28, -1
	s_mov_b32 s27, 0
	s_delay_alu instid0(SALU_CYCLE_1)
	s_mov_b32 s37, s27
	s_branch .LBB24_182
.LBB24_172:                             ;   in Loop: Header=BB24_8 Depth=1
	s_add_i32 s17, s15, s53
                                        ; implicit-def: $vgpr4_vgpr5
	s_delay_alu instid0(SALU_CYCLE_1) | instskip(NEXT) | instid1(SALU_CYCLE_1)
	s_abs_i32 s9, s17
	s_mul_hi_u32 s16, s9, s62
	s_delay_alu instid0(SALU_CYCLE_1) | instskip(NEXT) | instid1(SALU_CYCLE_1)
	s_mul_i32 s16, s16, s48
	s_sub_i32 s9, s9, s16
	s_ashr_i32 s16, s17, 31
	s_sub_i32 s27, s9, s48
	s_cmp_ge_u32 s9, s48
	s_cselect_b32 s9, s27, s9
	s_delay_alu instid0(SALU_CYCLE_1) | instskip(SKIP_2) | instid1(SALU_CYCLE_1)
	s_sub_i32 s27, s9, s48
	s_cmp_ge_u32 s9, s48
	s_cselect_b32 s9, s27, s9
	s_xor_b32 s9, s9, s16
	s_delay_alu instid0(SALU_CYCLE_1)
	s_sub_i32 s9, s16, s9
	s_mov_b32 s16, 0
	s_add_i32 s17, s17, s9
	s_mov_b32 s9, exec_lo
	v_cmpx_gt_i32_e64 s17, v0
	s_cbranch_execz .LBB24_181
; %bb.173:                              ;   in Loop: Header=BB24_8 Depth=1
	v_mov_b32_e32 v6, v24
	v_mov_b32_e32 v7, v0
	s_mov_b32 s27, 0
                                        ; implicit-def: $sgpr16
	s_set_inst_prefetch_distance 0x1
	s_branch .LBB24_175
	.p2align	6
.LBB24_174:                             ;   in Loop: Header=BB24_175 Depth=2
	s_or_b32 exec_lo, exec_lo, s28
	s_waitcnt lgkmcnt(0)
	s_barrier
	buffer_gl0_inv
	ds_load_b128 v[2:5], v12 offset:3072
	v_add_nc_u32_e32 v7, s48, v7
	v_add_nc_u32_e32 v6, s66, v6
	s_waitcnt lgkmcnt(0)
	s_barrier
	buffer_gl0_inv
	v_cmp_le_i32_e32 vcc_lo, s17, v7
	v_readfirstlane_b32 s79, v3
	v_readfirstlane_b32 s78, v2
	s_delay_alu instid0(VALU_DEP_1) | instskip(SKIP_1) | instid1(SALU_CYCLE_1)
	s_cmp_lg_u64 s[78:79], 0
	s_cselect_b32 s28, -1, 0
	s_or_b32 s37, vcc_lo, s28
	s_delay_alu instid0(SALU_CYCLE_1) | instskip(NEXT) | instid1(SALU_CYCLE_1)
	s_and_b32 s37, exec_lo, s37
	s_or_b32 s27, s37, s27
	s_and_not1_b32 s16, s16, exec_lo
	s_and_b32 s28, s28, exec_lo
	s_delay_alu instid0(SALU_CYCLE_1)
	s_or_b32 s16, s16, s28
	s_and_not1_b32 exec_lo, exec_lo, s27
	s_cbranch_execz .LBB24_180
.LBB24_175:                             ;   Parent Loop BB24_8 Depth=1
                                        ; =>  This Inner Loop Header: Depth=2
	v_mov_b32_e32 v3, 0
	v_mov_b32_e32 v4, 0
	v_cmp_gt_i32_e32 vcc_lo, s15, v7
	s_and_saveexec_b32 s28, vcc_lo
	s_cbranch_execz .LBB24_177
; %bb.176:                              ;   in Loop: Header=BB24_175 Depth=2
	ds_load_b64 v[3:4], v6
.LBB24_177:                             ;   in Loop: Header=BB24_175 Depth=2
	s_or_b32 exec_lo, exec_lo, s28
	s_and_saveexec_b32 s28, vcc_lo
	s_cbranch_execz .LBB24_174
; %bb.178:                              ;   in Loop: Header=BB24_175 Depth=2
	s_waitcnt lgkmcnt(0)
	v_xor_b32_e32 v2, 0x80000000, v4
	v_and_b32_e32 v8, s44, v3
	s_delay_alu instid0(VALU_DEP_2) | instskip(NEXT) | instid1(VALU_DEP_1)
	v_and_b32_e32 v9, s45, v2
	v_cmp_eq_u64_e32 vcc_lo, s[42:43], v[8:9]
	s_and_b32 exec_lo, exec_lo, vcc_lo
	s_cbranch_execz .LBB24_174
; %bb.179:                              ;   in Loop: Header=BB24_175 Depth=2
	v_mov_b32_e32 v2, v12
	ds_store_b128 v12, v[1:4] offset:3072
	s_branch .LBB24_174
.LBB24_180:                             ;   in Loop: Header=BB24_8 Depth=1
	s_set_inst_prefetch_distance 0x2
	s_or_b32 exec_lo, exec_lo, s27
	s_delay_alu instid0(SALU_CYCLE_1)
	s_and_b32 s16, s16, exec_lo
.LBB24_181:                             ;   in Loop: Header=BB24_8 Depth=1
	s_or_b32 exec_lo, exec_lo, s9
	s_mov_b32 s37, -1
	s_mov_b32 s27, 0
	s_mov_b32 s28, 0
.LBB24_182:                             ;   in Loop: Header=BB24_8 Depth=1
	s_mov_b32 s15, 0
                                        ; implicit-def: $sgpr9
	s_and_saveexec_b32 s75, s16
	s_cbranch_execz .LBB24_237
; %bb.183:                              ;   in Loop: Header=BB24_8 Depth=1
	s_xor_b32 s9, s14, -1
	s_mov_b32 s77, 0
	s_and_not1_b32 vcc_lo, exec_lo, s9
	s_mov_b32 s14, 1
	s_cbranch_vccnz .LBB24_194
; %bb.184:                              ;   in Loop: Header=BB24_8 Depth=1
	s_cmp_gt_i32 s76, s21
	s_mov_b32 s77, -1
                                        ; implicit-def: $sgpr9
                                        ; implicit-def: $sgpr14_sgpr15
                                        ; implicit-def: $sgpr16_sgpr17
	s_cbranch_scc1 .LBB24_190
; %bb.185:                              ;   in Loop: Header=BB24_8 Depth=1
	ds_load_b32 v2, v12 offset:4096
	s_waitcnt lgkmcnt(0)
	v_cmp_ne_u32_e32 vcc_lo, 0, v2
	s_cbranch_vccnz .LBB24_189
; %bb.186:                              ;   in Loop: Header=BB24_8 Depth=1
	s_and_saveexec_b32 s9, s2
	s_cbranch_execz .LBB24_188
; %bb.187:                              ;   in Loop: Header=BB24_8 Depth=1
	v_mov_b32_e32 v2, s21
	ds_store_b32 v12, v2 offset:4100
.LBB24_188:                             ;   in Loop: Header=BB24_8 Depth=1
	s_or_b32 exec_lo, exec_lo, s9
	s_waitcnt lgkmcnt(0)
	s_barrier
	buffer_gl0_inv
.LBB24_189:                             ;   in Loop: Header=BB24_8 Depth=1
	s_lshl_b64 s[14:15], 2, s22
	s_and_b64 s[12:13], s[42:43], s[12:13]
	s_or_b64 s[16:17], s[44:45], s[10:11]
	s_or_b64 s[14:15], s[12:13], s[14:15]
	s_mov_b32 s77, 0
	s_mov_b32 s9, 8
.LBB24_190:                             ;   in Loop: Header=BB24_8 Depth=1
	s_and_not1_b32 vcc_lo, exec_lo, s77
	s_cbranch_vccnz .LBB24_192
; %bb.191:                              ;   in Loop: Header=BB24_8 Depth=1
	s_sub_i32 s76, s76, s21
	s_mov_b32 s77, -1
	s_mov_b32 s9, 0
	s_mov_b64 s[14:15], s[42:43]
	s_mov_b64 s[16:17], s[44:45]
.LBB24_192:                             ;   in Loop: Header=BB24_8 Depth=1
	s_delay_alu instid0(SALU_CYCLE_1)
	s_mov_b64 s[44:45], s[16:17]
	s_mov_b64 s[42:43], s[14:15]
	s_mov_b32 s14, s76
	s_and_not1_b32 vcc_lo, exec_lo, s77
	s_mov_b32 s13, -1
	s_cbranch_vccz .LBB24_195
.LBB24_193:                             ;   in Loop: Header=BB24_8 Depth=1
                                        ; implicit-def: $sgpr15
                                        ; implicit-def: $sgpr17
                                        ; implicit-def: $sgpr16
	s_branch .LBB24_236
.LBB24_194:                             ;   in Loop: Header=BB24_8 Depth=1
	s_mov_b32 s9, 1
	s_and_not1_b32 vcc_lo, exec_lo, s77
	s_mov_b32 s13, -1
	s_cbranch_vccnz .LBB24_193
.LBB24_195:                             ;   in Loop: Header=BB24_8 Depth=1
	s_cmp_eq_u32 s18, 1
	s_mov_b32 s21, -1
	s_cselect_b32 s9, -1, 0
	s_cmp_eq_u32 s14, 1
	s_cselect_b32 s12, -1, 0
	s_delay_alu instid0(SALU_CYCLE_1) | instskip(NEXT) | instid1(SALU_CYCLE_1)
	s_and_b32 s12, s9, s12
	s_and_b32 vcc_lo, exec_lo, s12
	s_cbranch_vccz .LBB24_207
; %bb.196:                              ;   in Loop: Header=BB24_8 Depth=1
	ds_load_b32 v2, v12 offset:4096
	s_waitcnt lgkmcnt(0)
	s_barrier
	buffer_gl0_inv
	v_readfirstlane_b32 s13, v2
	s_and_saveexec_b32 s9, s0
	s_cbranch_execz .LBB24_198
; %bb.197:                              ;   in Loop: Header=BB24_8 Depth=1
	v_mov_b32_e32 v11, v12
	ds_store_b64 v25, v[11:12]
.LBB24_198:                             ;   in Loop: Header=BB24_8 Depth=1
	s_or_b32 exec_lo, exec_lo, s9
	s_or_b64 s[42:43], s[42:43], s[10:11]
	s_or_b64 s[44:45], s[44:45], s[10:11]
	s_cmp_gt_i32 s13, 0
	s_waitcnt lgkmcnt(0)
	s_barrier
	buffer_gl0_inv
	s_cbranch_scc1 .LBB24_208
; %bb.199:                              ;   in Loop: Header=BB24_8 Depth=1
	s_mov_b32 s21, 0
                                        ; implicit-def: $vgpr4_vgpr5
	s_and_saveexec_b32 s15, s8
	s_cbranch_execz .LBB24_210
; %bb.200:                              ;   in Loop: Header=BB24_8 Depth=1
	v_mov_b32_e32 v6, v10
	v_mov_b32_e32 v8, v0
	s_mov_b32 s17, 0
                                        ; implicit-def: $sgpr16
	s_set_inst_prefetch_distance 0x1
	s_branch .LBB24_202
	.p2align	6
.LBB24_201:                             ;   in Loop: Header=BB24_202 Depth=2
	s_or_b32 exec_lo, exec_lo, s9
	s_waitcnt vmcnt(0) lgkmcnt(0)
	s_barrier
	buffer_gl0_inv
	ds_load_b128 v[2:5], v12 offset:3072
	v_add_nc_u32_e32 v8, s48, v8
	v_add_nc_u32_e32 v6, s52, v6
	s_waitcnt lgkmcnt(0)
	s_barrier
	buffer_gl0_inv
	v_cmp_le_i32_e32 vcc_lo, s63, v8
	v_readfirstlane_b32 s77, v3
	v_readfirstlane_b32 s76, v2
	s_delay_alu instid0(VALU_DEP_1) | instskip(SKIP_1) | instid1(SALU_CYCLE_1)
	s_cmp_lg_u64 s[76:77], 0
	s_cselect_b32 s9, -1, 0
	s_or_b32 s21, vcc_lo, s9
	s_delay_alu instid0(SALU_CYCLE_1) | instskip(NEXT) | instid1(SALU_CYCLE_1)
	s_and_b32 s21, exec_lo, s21
	s_or_b32 s17, s21, s17
	s_and_not1_b32 s16, s16, exec_lo
	s_and_b32 s9, s9, exec_lo
	s_delay_alu instid0(SALU_CYCLE_1)
	s_or_b32 s16, s16, s9
	s_and_not1_b32 exec_lo, exec_lo, s17
	s_cbranch_execz .LBB24_209
.LBB24_202:                             ;   Parent Loop BB24_8 Depth=1
                                        ; =>  This Inner Loop Header: Depth=2
	v_mov_b32_e32 v3, 0
	v_mov_b32_e32 v4, 0
	v_cmp_gt_i32_e32 vcc_lo, s36, v8
	s_and_saveexec_b32 s21, vcc_lo
	s_cbranch_execz .LBB24_204
; %bb.203:                              ;   in Loop: Header=BB24_202 Depth=2
	v_ashrrev_i32_e32 v7, 31, v6
	s_delay_alu instid0(VALU_DEP_1) | instskip(NEXT) | instid1(VALU_DEP_1)
	v_lshlrev_b64 v[2:3], 3, v[6:7]
	v_add_co_u32 v2, s9, s46, v2
	s_delay_alu instid0(VALU_DEP_1)
	v_add_co_ci_u32_e64 v3, s9, s47, v3, s9
	global_load_b64 v[3:4], v[2:3], off
.LBB24_204:                             ;   in Loop: Header=BB24_202 Depth=2
	s_or_b32 exec_lo, exec_lo, s21
	s_and_saveexec_b32 s9, vcc_lo
	s_cbranch_execz .LBB24_201
; %bb.205:                              ;   in Loop: Header=BB24_202 Depth=2
	s_waitcnt vmcnt(0)
	v_xor_b32_e32 v2, 0x80000000, v4
	v_and_b32_e32 v18, s44, v3
	s_delay_alu instid0(VALU_DEP_2) | instskip(NEXT) | instid1(VALU_DEP_1)
	v_and_b32_e32 v19, s45, v2
	v_cmp_eq_u64_e32 vcc_lo, s[42:43], v[18:19]
	s_and_b32 exec_lo, exec_lo, vcc_lo
	s_cbranch_execz .LBB24_201
; %bb.206:                              ;   in Loop: Header=BB24_202 Depth=2
	v_mov_b32_e32 v2, v12
	ds_store_b128 v12, v[1:4] offset:3072
	s_branch .LBB24_201
.LBB24_207:                             ;   in Loop: Header=BB24_8 Depth=1
                                        ; implicit-def: $sgpr15
                                        ; implicit-def: $sgpr17
                                        ; implicit-def: $sgpr16
	s_branch .LBB24_221
.LBB24_208:                             ;   in Loop: Header=BB24_8 Depth=1
	s_mov_b32 s15, -1
	s_mov_b32 s21, 0
                                        ; implicit-def: $sgpr16
                                        ; implicit-def: $vgpr4_vgpr5
	s_mov_b32 s17, s15
	s_cbranch_execnz .LBB24_211
	s_branch .LBB24_221
.LBB24_209:                             ;   in Loop: Header=BB24_8 Depth=1
	s_set_inst_prefetch_distance 0x2
	s_or_b32 exec_lo, exec_lo, s17
	s_delay_alu instid0(SALU_CYCLE_1)
	s_and_b32 s21, s16, exec_lo
.LBB24_210:                             ;   in Loop: Header=BB24_8 Depth=1
	s_or_b32 exec_lo, exec_lo, s15
	s_mov_b32 s16, -1
	s_mov_b32 s15, 0
	s_delay_alu instid0(SALU_CYCLE_1)
	s_mov_b32 s17, s15
	s_branch .LBB24_221
.LBB24_211:                             ;   in Loop: Header=BB24_8 Depth=1
	s_add_i32 s15, s13, s53
	s_mov_b32 s21, 0
	s_abs_i32 s9, s15
                                        ; implicit-def: $vgpr4_vgpr5
	s_delay_alu instid0(SALU_CYCLE_1) | instskip(NEXT) | instid1(SALU_CYCLE_1)
	s_mul_hi_u32 s16, s9, s62
	s_mul_i32 s16, s16, s48
	s_delay_alu instid0(SALU_CYCLE_1) | instskip(SKIP_4) | instid1(SALU_CYCLE_1)
	s_sub_i32 s9, s9, s16
	s_ashr_i32 s16, s15, 31
	s_sub_i32 s17, s9, s48
	s_cmp_ge_u32 s9, s48
	s_cselect_b32 s9, s17, s9
	s_sub_i32 s17, s9, s48
	s_cmp_ge_u32 s9, s48
	s_cselect_b32 s9, s17, s9
	s_delay_alu instid0(SALU_CYCLE_1) | instskip(NEXT) | instid1(SALU_CYCLE_1)
	s_xor_b32 s9, s9, s16
	s_sub_i32 s9, s16, s9
	s_delay_alu instid0(SALU_CYCLE_1)
	s_add_i32 s15, s15, s9
	s_mov_b32 s9, exec_lo
	v_cmpx_gt_i32_e64 s15, v0
	s_cbranch_execz .LBB24_220
; %bb.212:                              ;   in Loop: Header=BB24_8 Depth=1
	v_mov_b32_e32 v6, v24
	v_mov_b32_e32 v7, v0
	s_mov_b32 s17, 0
                                        ; implicit-def: $sgpr16
	s_set_inst_prefetch_distance 0x1
	s_branch .LBB24_214
	.p2align	6
.LBB24_213:                             ;   in Loop: Header=BB24_214 Depth=2
	s_or_b32 exec_lo, exec_lo, s21
	s_waitcnt lgkmcnt(0)
	s_barrier
	buffer_gl0_inv
	ds_load_b128 v[2:5], v12 offset:3072
	v_add_nc_u32_e32 v7, s48, v7
	v_add_nc_u32_e32 v6, s66, v6
	s_waitcnt lgkmcnt(0)
	s_barrier
	buffer_gl0_inv
	v_cmp_le_i32_e32 vcc_lo, s15, v7
	v_readfirstlane_b32 s77, v3
	v_readfirstlane_b32 s76, v2
	s_delay_alu instid0(VALU_DEP_1) | instskip(SKIP_1) | instid1(SALU_CYCLE_1)
	s_cmp_lg_u64 s[76:77], 0
	s_cselect_b32 s21, -1, 0
	s_or_b32 s22, vcc_lo, s21
	s_delay_alu instid0(SALU_CYCLE_1) | instskip(NEXT) | instid1(SALU_CYCLE_1)
	s_and_b32 s22, exec_lo, s22
	s_or_b32 s17, s22, s17
	s_and_not1_b32 s16, s16, exec_lo
	s_and_b32 s21, s21, exec_lo
	s_delay_alu instid0(SALU_CYCLE_1)
	s_or_b32 s16, s16, s21
	s_and_not1_b32 exec_lo, exec_lo, s17
	s_cbranch_execz .LBB24_219
.LBB24_214:                             ;   Parent Loop BB24_8 Depth=1
                                        ; =>  This Inner Loop Header: Depth=2
	v_mov_b32_e32 v3, 0
	v_mov_b32_e32 v4, 0
	v_cmp_gt_i32_e32 vcc_lo, s13, v7
	s_and_saveexec_b32 s21, vcc_lo
	s_cbranch_execz .LBB24_216
; %bb.215:                              ;   in Loop: Header=BB24_214 Depth=2
	ds_load_b64 v[3:4], v6
.LBB24_216:                             ;   in Loop: Header=BB24_214 Depth=2
	s_or_b32 exec_lo, exec_lo, s21
	s_and_saveexec_b32 s21, vcc_lo
	s_cbranch_execz .LBB24_213
; %bb.217:                              ;   in Loop: Header=BB24_214 Depth=2
	s_waitcnt lgkmcnt(0)
	v_xor_b32_e32 v2, 0x80000000, v4
	v_and_b32_e32 v8, s44, v3
	s_delay_alu instid0(VALU_DEP_2) | instskip(NEXT) | instid1(VALU_DEP_1)
	v_and_b32_e32 v9, s45, v2
	v_cmp_eq_u64_e32 vcc_lo, s[42:43], v[8:9]
	s_and_b32 exec_lo, exec_lo, vcc_lo
	s_cbranch_execz .LBB24_213
; %bb.218:                              ;   in Loop: Header=BB24_214 Depth=2
	v_mov_b32_e32 v2, v12
	ds_store_b128 v12, v[1:4] offset:3072
	s_branch .LBB24_213
.LBB24_219:                             ;   in Loop: Header=BB24_8 Depth=1
	s_set_inst_prefetch_distance 0x2
	s_or_b32 exec_lo, exec_lo, s17
	s_delay_alu instid0(SALU_CYCLE_1)
	s_and_b32 s21, s16, exec_lo
.LBB24_220:                             ;   in Loop: Header=BB24_8 Depth=1
	s_or_b32 exec_lo, exec_lo, s9
	s_mov_b32 s17, -1
	s_mov_b32 s15, 0
	s_mov_b32 s16, 0
.LBB24_221:                             ;   in Loop: Header=BB24_8 Depth=1
	s_mov_b32 s13, 0
                                        ; implicit-def: $sgpr9
	s_and_saveexec_b32 s22, s21
	s_cbranch_execz .LBB24_235
; %bb.222:                              ;   in Loop: Header=BB24_8 Depth=1
	s_xor_b32 s9, s12, -1
	s_delay_alu instid0(SALU_CYCLE_1)
	s_and_not1_b32 vcc_lo, exec_lo, s9
	s_mov_b32 s9, 1
	s_cbranch_vccnz .LBB24_229
; %bb.223:                              ;   in Loop: Header=BB24_8 Depth=1
	s_cmp_gt_i32 s14, s18
	s_cbranch_scc1 .LBB24_230
; %bb.224:                              ;   in Loop: Header=BB24_8 Depth=1
	ds_load_b32 v2, v12 offset:4096
	s_waitcnt lgkmcnt(0)
	v_cmp_ne_u32_e32 vcc_lo, 0, v2
	s_cbranch_vccnz .LBB24_228
; %bb.225:                              ;   in Loop: Header=BB24_8 Depth=1
	s_and_saveexec_b32 s9, s2
	s_cbranch_execz .LBB24_227
; %bb.226:                              ;   in Loop: Header=BB24_8 Depth=1
	v_mov_b32_e32 v2, s18
	ds_store_b32 v12, v2 offset:4100
.LBB24_227:                             ;   in Loop: Header=BB24_8 Depth=1
	s_or_b32 exec_lo, exec_lo, s9
	s_waitcnt lgkmcnt(0)
	s_barrier
	buffer_gl0_inv
.LBB24_228:                             ;   in Loop: Header=BB24_8 Depth=1
	s_or_b64 s[12:13], s[42:43], s[10:11]
	s_or_b64 s[10:11], s[44:45], s[10:11]
	s_mov_b32 s21, 0
	s_mov_b32 s9, 8
	s_branch .LBB24_231
.LBB24_229:                             ;   in Loop: Header=BB24_8 Depth=1
	s_mov_b32 s14, 1
	s_branch .LBB24_234
.LBB24_230:                             ;   in Loop: Header=BB24_8 Depth=1
	s_mov_b32 s21, -1
                                        ; implicit-def: $sgpr9
                                        ; implicit-def: $sgpr12_sgpr13
                                        ; implicit-def: $sgpr10_sgpr11
.LBB24_231:                             ;   in Loop: Header=BB24_8 Depth=1
	s_delay_alu instid0(SALU_CYCLE_1)
	s_and_not1_b32 vcc_lo, exec_lo, s21
	s_cbranch_vccnz .LBB24_233
; %bb.232:                              ;   in Loop: Header=BB24_8 Depth=1
	s_sub_i32 s14, s14, s18
	s_mov_b32 s9, 8
	s_mov_b64 s[12:13], s[42:43]
	s_mov_b64 s[10:11], s[44:45]
.LBB24_233:                             ;   in Loop: Header=BB24_8 Depth=1
	s_mov_b64 s[42:43], s[12:13]
	s_mov_b64 s[44:45], s[10:11]
.LBB24_234:                             ;   in Loop: Header=BB24_8 Depth=1
	s_mov_b32 s13, exec_lo
.LBB24_235:                             ;   in Loop: Header=BB24_8 Depth=1
	s_or_b32 exec_lo, exec_lo, s22
.LBB24_236:                             ;   in Loop: Header=BB24_8 Depth=1
	s_delay_alu instid0(SALU_CYCLE_1)
	s_and_not1_b32 s10, s27, exec_lo
	s_and_b32 s11, s15, exec_lo
	s_and_not1_b32 s12, s28, exec_lo
	s_or_b32 s27, s10, s11
	s_and_not1_b32 s10, s37, exec_lo
	s_and_b32 s11, s17, exec_lo
	s_and_b32 s15, s16, exec_lo
	s_or_b32 s37, s10, s11
	s_or_b32 s28, s12, s15
	s_and_b32 s15, s13, exec_lo
	s_mov_b32 s76, s14
.LBB24_237:                             ;   in Loop: Header=BB24_8 Depth=1
	s_or_b32 exec_lo, exec_lo, s75
.LBB24_238:                             ;   in Loop: Header=BB24_8 Depth=1
	s_delay_alu instid0(SALU_CYCLE_1)
	s_and_not1_b32 s10, s24, exec_lo
	s_and_b32 s11, s27, exec_lo
	s_and_not1_b32 s12, s23, exec_lo
	s_or_b32 s24, s10, s11
	s_and_not1_b32 s10, s25, exec_lo
	s_and_b32 s11, s37, exec_lo
	s_and_b32 s13, s28, exec_lo
	s_or_b32 s25, s10, s11
	s_or_b32 s23, s12, s13
	s_and_b32 s15, s15, exec_lo
	s_mov_b32 s28, s76
.LBB24_239:                             ;   in Loop: Header=BB24_8 Depth=1
	s_or_b32 exec_lo, exec_lo, s26
	s_and_saveexec_b32 s10, s15
	s_delay_alu instid0(SALU_CYCLE_1)
	s_xor_b32 s10, exec_lo, s10
	s_cbranch_execz .LBB24_6
.LBB24_240:                             ;   in Loop: Header=BB24_8 Depth=1
	s_and_b32 s9, s9, -9
	s_delay_alu instid0(SALU_CYCLE_1)
	s_cmp_eq_u32 s9, 0
	s_cbranch_scc1 .LBB24_4
; %bb.241:                              ;   in Loop: Header=BB24_8 Depth=1
	s_mov_b32 s9, -1
	s_mov_b32 s11, -1
                                        ; implicit-def: $sgpr44_sgpr45
                                        ; implicit-def: $sgpr28
                                        ; implicit-def: $sgpr69
                                        ; implicit-def: $sgpr73
	s_branch .LBB24_5
.LBB24_242:
	s_or_b32 exec_lo, exec_lo, s49
	s_xor_b32 s4, s70, -1
	s_xor_b32 s0, s67, -1
	;; [unrolled: 1-line block ×3, first 2 shown]
	s_mov_b32 s1, 0
	s_and_saveexec_b32 s5, s0
	s_delay_alu instid0(SALU_CYCLE_1)
	s_xor_b32 s0, exec_lo, s5
	s_cbranch_execz .LBB24_263
; %bb.243:
	s_and_saveexec_b32 s1, s4
	s_delay_alu instid0(SALU_CYCLE_1)
	s_xor_b32 s1, exec_lo, s1
	s_cbranch_execz .LBB24_261
; %bb.244:
	s_and_saveexec_b32 s4, s3
	s_delay_alu instid0(SALU_CYCLE_1)
	s_xor_b32 s3, exec_lo, s4
; %bb.245:
	v_xor_b32_e32 v3, 0x80000000, v3
	s_delay_alu instid0(VALU_DEP_1)
	v_dual_mov_b32 v5, v3 :: v_dual_mov_b32 v4, v2
; %bb.246:
	s_or_b32 exec_lo, exec_lo, s3
	s_and_saveexec_b32 s3, s2
	s_cbranch_execz .LBB24_248
; %bb.247:
	v_dual_mov_b32 v1, 0 :: v_dual_mov_b32 v2, s36
	ds_store_b32 v1, v2 offset:4108
.LBB24_248:
	s_or_b32 exec_lo, exec_lo, s3
	v_mov_b32_e32 v1, 0
	s_waitcnt lgkmcnt(0)
	s_barrier
	buffer_gl0_inv
	s_mov_b32 s3, exec_lo
	ds_load_b32 v1, v1 offset:4108
	s_waitcnt lgkmcnt(0)
	v_min_i32_e32 v1, s36, v1
	s_delay_alu instid0(VALU_DEP_1)
	v_cmpx_lt_i32_e64 v0, v1
	s_cbranch_execz .LBB24_258
; %bb.249:
	s_mov_b32 s4, 0
                                        ; implicit-def: $sgpr5
                                        ; implicit-def: $sgpr7
                                        ; implicit-def: $sgpr6
	s_set_inst_prefetch_distance 0x1
	s_branch .LBB24_251
	.p2align	6
.LBB24_250:                             ;   in Loop: Header=BB24_251 Depth=1
	s_or_b32 exec_lo, exec_lo, s8
	s_delay_alu instid0(SALU_CYCLE_1) | instskip(NEXT) | instid1(SALU_CYCLE_1)
	s_and_b32 s8, exec_lo, s7
	s_or_b32 s4, s8, s4
	s_and_not1_b32 s5, s5, exec_lo
	s_and_b32 s8, s6, exec_lo
	s_delay_alu instid0(SALU_CYCLE_1)
	s_or_b32 s5, s5, s8
	s_and_not1_b32 exec_lo, exec_lo, s4
	s_cbranch_execz .LBB24_253
.LBB24_251:                             ; =>This Inner Loop Header: Depth=1
	v_ashrrev_i32_e32 v11, 31, v10
	s_or_b32 s6, s6, exec_lo
	s_or_b32 s7, s7, exec_lo
	s_delay_alu instid0(VALU_DEP_1) | instskip(NEXT) | instid1(VALU_DEP_1)
	v_lshlrev_b64 v[2:3], 3, v[10:11]
	v_add_co_u32 v2, vcc_lo, s46, v2
	s_delay_alu instid0(VALU_DEP_2)
	v_add_co_ci_u32_e32 v3, vcc_lo, s47, v3, vcc_lo
	global_load_b64 v[2:3], v[2:3], off
	s_waitcnt vmcnt(0)
	v_cmp_ne_u64_e32 vcc_lo, v[2:3], v[4:5]
	v_mov_b32_e32 v2, v0
                                        ; implicit-def: $vgpr0
	s_and_saveexec_b32 s8, vcc_lo
	s_cbranch_execz .LBB24_250
; %bb.252:                              ;   in Loop: Header=BB24_251 Depth=1
	s_delay_alu instid0(VALU_DEP_1) | instskip(SKIP_3) | instid1(VALU_DEP_2)
	v_add_nc_u32_e32 v0, s48, v2
	s_and_not1_b32 s7, s7, exec_lo
	v_add_nc_u32_e32 v10, s52, v10
	s_and_not1_b32 s6, s6, exec_lo
	v_cmp_ge_i32_e32 vcc_lo, v0, v1
	s_and_b32 s9, vcc_lo, exec_lo
	s_delay_alu instid0(SALU_CYCLE_1)
	s_or_b32 s7, s7, s9
	s_branch .LBB24_250
.LBB24_253:
	s_set_inst_prefetch_distance 0x2
	s_or_b32 exec_lo, exec_lo, s4
	s_and_saveexec_b32 s4, s5
	s_delay_alu instid0(SALU_CYCLE_1)
	s_xor_b32 s4, exec_lo, s4
	s_cbranch_execz .LBB24_258
; %bb.254:
	s_mov_b32 s5, exec_lo
	s_brev_b32 s4, -2
.LBB24_255:                             ; =>This Inner Loop Header: Depth=1
	s_ctz_i32_b32 s6, s5
	s_delay_alu instid0(SALU_CYCLE_1) | instskip(SKIP_1) | instid1(SALU_CYCLE_1)
	v_readlane_b32 s7, v2, s6
	s_lshl_b32 s6, 1, s6
	s_and_not1_b32 s5, s5, s6
	s_delay_alu instid0(VALU_DEP_1)
	s_min_i32 s4, s4, s7
	s_cmp_lg_u32 s5, 0
	s_cbranch_scc1 .LBB24_255
; %bb.256:
	v_mbcnt_lo_u32_b32 v0, exec_lo, 0
	s_mov_b32 s5, exec_lo
	s_delay_alu instid0(VALU_DEP_1)
	v_cmpx_eq_u32_e32 0, v0
	s_xor_b32 s5, exec_lo, s5
	s_cbranch_execz .LBB24_258
; %bb.257:
	v_dual_mov_b32 v0, 0 :: v_dual_mov_b32 v1, s4
	ds_min_i32 v0, v1 offset:4108
.LBB24_258:
	s_or_b32 exec_lo, exec_lo, s3
	s_waitcnt lgkmcnt(0)
	s_barrier
	buffer_gl0_inv
	s_and_saveexec_b32 s3, s2
	s_cbranch_execz .LBB24_260
; %bb.259:
	v_mov_b32_e32 v2, 0
	s_mul_i32 s4, s38, s29
	s_mul_i32 s6, s33, s29
	s_ashr_i32 s5, s4, 31
	s_delay_alu instid0(SALU_CYCLE_1) | instskip(SKIP_4) | instid1(SALU_CYCLE_1)
	s_lshl_b64 s[4:5], s[4:5], 3
	ds_load_b32 v0, v2 offset:4108
	s_add_u32 s4, s34, s4
	s_addc_u32 s5, s35, s5
	s_ashr_i32 s7, s6, 31
	s_lshl_b64 s[6:7], s[6:7], 3
	s_delay_alu instid0(SALU_CYCLE_1)
	s_add_u32 s6, s30, s6
	s_addc_u32 s7, s31, s7
	s_waitcnt lgkmcnt(0)
	v_ashrrev_i32_e32 v1, 31, v0
	s_clause 0x1
	global_store_b64 v2, v[0:1], s[6:7]
	global_store_b64 v2, v[4:5], s[4:5]
.LBB24_260:
	s_or_b32 exec_lo, exec_lo, s3
.LBB24_261:
	s_or_saveexec_b32 s1, s1
	s_mov_b32 s2, 0
	s_xor_b32 exec_lo, exec_lo, s1
	s_cbranch_execnz .LBB24_269
.LBB24_262:
	s_or_b32 exec_lo, exec_lo, s1
	s_delay_alu instid0(SALU_CYCLE_1)
	s_and_b32 s1, s2, exec_lo
.LBB24_263:
	s_and_not1_saveexec_b32 s0, s0
	s_cbranch_execnz .LBB24_267
; %bb.264:
	s_or_b32 exec_lo, exec_lo, s0
	s_and_saveexec_b32 s0, s1
.LBB24_265:
	; divergent unreachable
.LBB24_266:
	s_nop 0
	s_sendmsg sendmsg(MSG_DEALLOC_VGPRS)
	s_endpgm
.LBB24_267:
	s_cbranch_execnz .LBB24_271
; %bb.268:
	s_or_b32 s1, s1, exec_lo
	s_or_b32 exec_lo, exec_lo, s0
	s_and_saveexec_b32 s0, s1
	s_cbranch_execnz .LBB24_265
	s_branch .LBB24_266
.LBB24_269:
	s_cbranch_execnz .LBB24_273
; %bb.270:
	s_mov_b32 s2, exec_lo
	s_branch .LBB24_262
.LBB24_271:
	s_trap 2
	s_sendmsg_rtn_b32 s0, sendmsg(MSG_RTN_GET_DOORBELL)
	s_mov_b32 ttmp2, m0
	s_waitcnt lgkmcnt(0)
	s_and_b32 s0, s0, 0x3ff
	s_delay_alu instid0(SALU_CYCLE_1) | instskip(NEXT) | instid1(SALU_CYCLE_1)
	s_bitset1_b32 s0, 10
	s_mov_b32 m0, s0
	s_sendmsg sendmsg(MSG_INTERRUPT)
	s_mov_b32 m0, ttmp2
.LBB24_272:                             ; =>This Inner Loop Header: Depth=1
	s_sethalt 5
	s_branch .LBB24_272
.LBB24_273:
	s_trap 2
	s_sendmsg_rtn_b32 s0, sendmsg(MSG_RTN_GET_DOORBELL)
	s_mov_b32 ttmp2, m0
	s_waitcnt lgkmcnt(0)
	s_and_b32 s0, s0, 0x3ff
	s_delay_alu instid0(SALU_CYCLE_1) | instskip(NEXT) | instid1(SALU_CYCLE_1)
	s_bitset1_b32 s0, 10
	s_mov_b32 m0, s0
	s_sendmsg sendmsg(MSG_INTERRUPT)
	s_mov_b32 m0, ttmp2
.LBB24_274:                             ; =>This Inner Loop Header: Depth=1
	s_sethalt 5
	s_branch .LBB24_274
	.section	.rodata,"a",@progbits
	.p2align	6, 0x0
	.amdhsa_kernel _ZN2at6native12_GLOBAL__N_114gatherKthValueIliLi1EEEvNS_4cuda6detail10TensorInfoIKT_T0_EES8_S8_S8_S8_NS5_IS6_S8_EENS5_IlS8_EE
		.amdhsa_group_segment_fixed_size 4112
		.amdhsa_private_segment_fixed_size 0
		.amdhsa_kernarg_size 920
		.amdhsa_user_sgpr_count 13
		.amdhsa_user_sgpr_dispatch_ptr 0
		.amdhsa_user_sgpr_queue_ptr 0
		.amdhsa_user_sgpr_kernarg_segment_ptr 1
		.amdhsa_user_sgpr_dispatch_id 0
		.amdhsa_user_sgpr_private_segment_size 0
		.amdhsa_wavefront_size32 1
		.amdhsa_uses_dynamic_stack 0
		.amdhsa_enable_private_segment 0
		.amdhsa_system_sgpr_workgroup_id_x 1
		.amdhsa_system_sgpr_workgroup_id_y 1
		.amdhsa_system_sgpr_workgroup_id_z 1
		.amdhsa_system_sgpr_workgroup_info 0
		.amdhsa_system_vgpr_workitem_id 0
		.amdhsa_next_free_vgpr 49
		.amdhsa_next_free_sgpr 84
		.amdhsa_reserve_vcc 1
		.amdhsa_float_round_mode_32 0
		.amdhsa_float_round_mode_16_64 0
		.amdhsa_float_denorm_mode_32 3
		.amdhsa_float_denorm_mode_16_64 3
		.amdhsa_dx10_clamp 1
		.amdhsa_ieee_mode 1
		.amdhsa_fp16_overflow 0
		.amdhsa_workgroup_processor_mode 1
		.amdhsa_memory_ordered 1
		.amdhsa_forward_progress 0
		.amdhsa_shared_vgpr_count 0
		.amdhsa_exception_fp_ieee_invalid_op 0
		.amdhsa_exception_fp_denorm_src 0
		.amdhsa_exception_fp_ieee_div_zero 0
		.amdhsa_exception_fp_ieee_overflow 0
		.amdhsa_exception_fp_ieee_underflow 0
		.amdhsa_exception_fp_ieee_inexact 0
		.amdhsa_exception_int_div_zero 0
	.end_amdhsa_kernel
	.section	.text._ZN2at6native12_GLOBAL__N_114gatherKthValueIliLi1EEEvNS_4cuda6detail10TensorInfoIKT_T0_EES8_S8_S8_S8_NS5_IS6_S8_EENS5_IlS8_EE,"axG",@progbits,_ZN2at6native12_GLOBAL__N_114gatherKthValueIliLi1EEEvNS_4cuda6detail10TensorInfoIKT_T0_EES8_S8_S8_S8_NS5_IS6_S8_EENS5_IlS8_EE,comdat
.Lfunc_end24:
	.size	_ZN2at6native12_GLOBAL__N_114gatherKthValueIliLi1EEEvNS_4cuda6detail10TensorInfoIKT_T0_EES8_S8_S8_S8_NS5_IS6_S8_EENS5_IlS8_EE, .Lfunc_end24-_ZN2at6native12_GLOBAL__N_114gatherKthValueIliLi1EEEvNS_4cuda6detail10TensorInfoIKT_T0_EES8_S8_S8_S8_NS5_IS6_S8_EENS5_IlS8_EE
                                        ; -- End function
	.section	.AMDGPU.csdata,"",@progbits
; Kernel info:
; codeLenInByte = 9924
; NumSgprs: 86
; NumVgprs: 49
; ScratchSize: 0
; MemoryBound: 0
; FloatMode: 240
; IeeeMode: 1
; LDSByteSize: 4112 bytes/workgroup (compile time only)
; SGPRBlocks: 10
; VGPRBlocks: 6
; NumSGPRsForWavesPerEU: 86
; NumVGPRsForWavesPerEU: 49
; Occupancy: 16
; WaveLimiterHint : 1
; COMPUTE_PGM_RSRC2:SCRATCH_EN: 0
; COMPUTE_PGM_RSRC2:USER_SGPR: 13
; COMPUTE_PGM_RSRC2:TRAP_HANDLER: 0
; COMPUTE_PGM_RSRC2:TGID_X_EN: 1
; COMPUTE_PGM_RSRC2:TGID_Y_EN: 1
; COMPUTE_PGM_RSRC2:TGID_Z_EN: 1
; COMPUTE_PGM_RSRC2:TIDIG_COMP_CNT: 0
	.section	.text._ZN2at6native12_GLOBAL__N_114gatherKthValueIliLi2EEEvNS_4cuda6detail10TensorInfoIKT_T0_EES8_S8_S8_S8_NS5_IS6_S8_EENS5_IlS8_EE,"axG",@progbits,_ZN2at6native12_GLOBAL__N_114gatherKthValueIliLi2EEEvNS_4cuda6detail10TensorInfoIKT_T0_EES8_S8_S8_S8_NS5_IS6_S8_EENS5_IlS8_EE,comdat
	.globl	_ZN2at6native12_GLOBAL__N_114gatherKthValueIliLi2EEEvNS_4cuda6detail10TensorInfoIKT_T0_EES8_S8_S8_S8_NS5_IS6_S8_EENS5_IlS8_EE ; -- Begin function _ZN2at6native12_GLOBAL__N_114gatherKthValueIliLi2EEEvNS_4cuda6detail10TensorInfoIKT_T0_EES8_S8_S8_S8_NS5_IS6_S8_EENS5_IlS8_EE
	.p2align	8
	.type	_ZN2at6native12_GLOBAL__N_114gatherKthValueIliLi2EEEvNS_4cuda6detail10TensorInfoIKT_T0_EES8_S8_S8_S8_NS5_IS6_S8_EENS5_IlS8_EE,@function
_ZN2at6native12_GLOBAL__N_114gatherKthValueIliLi2EEEvNS_4cuda6detail10TensorInfoIKT_T0_EES8_S8_S8_S8_NS5_IS6_S8_EENS5_IlS8_EE: ; @_ZN2at6native12_GLOBAL__N_114gatherKthValueIliLi2EEEvNS_4cuda6detail10TensorInfoIKT_T0_EES8_S8_S8_S8_NS5_IS6_S8_EENS5_IlS8_EE
; %bb.0:
	s_clause 0x1
	s_load_b64 s[4:5], s[0:1], 0x298
	s_load_b128 s[36:39], s[0:1], 0xd8
	s_add_u32 s2, s0, 0x298
	s_addc_u32 s3, s1, 0
	s_waitcnt lgkmcnt(0)
	s_mul_i32 s5, s5, s15
	s_delay_alu instid0(SALU_CYCLE_1) | instskip(NEXT) | instid1(SALU_CYCLE_1)
	s_add_i32 s5, s5, s14
	s_mul_i32 s29, s5, s4
	s_delay_alu instid0(SALU_CYCLE_1) | instskip(NEXT) | instid1(SALU_CYCLE_1)
	s_add_i32 s29, s29, s13
	s_cmp_ge_i32 s29, s38
	s_cbranch_scc1 .LBB25_266
; %bb.1:
	s_clause 0x8
	s_load_b32 s5, s[0:1], 0xc
	s_load_b32 s38, s[0:1], 0xf4
	;; [unrolled: 1-line block ×3, first 2 shown]
	s_load_b64 s[42:43], s[0:1], 0x154
	s_load_b64 s[34:35], s[0:1], 0xe8
	;; [unrolled: 1-line block ×6, first 2 shown]
	v_cmp_eq_u32_e64 s0, 0, v0
	s_abs_i32 s51, s29
	s_ashr_i32 s52, s29, 31
	s_mov_b32 s61, 0
	s_waitcnt lgkmcnt(0)
	s_abs_i32 s10, s5
	s_abs_i32 s53, s38
	;; [unrolled: 1-line block ×3, first 2 shown]
	v_cvt_f32_u32_e32 v1, s10
	v_cvt_f32_u32_e32 v2, s53
	;; [unrolled: 1-line block ×3, first 2 shown]
	s_sub_i32 s11, 0, s10
	s_sub_i32 s16, 0, s53
	v_rcp_iflag_f32_e32 v1, v1
	v_rcp_iflag_f32_e32 v2, v2
	;; [unrolled: 1-line block ×3, first 2 shown]
	s_sub_i32 s17, 0, s50
	s_ashr_i32 s1, s5, 31
	s_waitcnt_depctr 0xfff
	v_dual_mul_f32 v1, 0x4f7ffffe, v1 :: v_dual_mul_f32 v2, 0x4f7ffffe, v2
	v_mul_f32_e32 v3, 0x4f7ffffe, v3
	s_delay_alu instid0(VALU_DEP_2) | instskip(NEXT) | instid1(VALU_DEP_3)
	v_cvt_u32_f32_e32 v1, v1
	v_cvt_u32_f32_e32 v2, v2
	s_delay_alu instid0(VALU_DEP_3) | instskip(NEXT) | instid1(VALU_DEP_3)
	v_cvt_u32_f32_e32 v3, v3
	v_readfirstlane_b32 s12, v1
	s_delay_alu instid0(VALU_DEP_3) | instskip(NEXT) | instid1(VALU_DEP_3)
	v_readfirstlane_b32 s14, v2
	v_readfirstlane_b32 s15, v3
	s_delay_alu instid0(VALU_DEP_3) | instskip(NEXT) | instid1(VALU_DEP_2)
	s_mul_i32 s11, s11, s12
	s_mul_i32 s16, s16, s14
	s_delay_alu instid0(VALU_DEP_1)
	s_mul_i32 s17, s17, s15
	s_mul_hi_u32 s11, s12, s11
	s_mul_hi_u32 s16, s14, s16
	;; [unrolled: 1-line block ×3, first 2 shown]
	s_add_i32 s12, s12, s11
	s_add_i32 s14, s14, s16
	;; [unrolled: 1-line block ×3, first 2 shown]
	s_mul_hi_u32 s11, s51, s12
	s_mul_hi_u32 s56, s51, s14
	;; [unrolled: 1-line block ×3, first 2 shown]
	s_and_saveexec_b32 s12, s0
	s_cbranch_execz .LBB25_3
; %bb.2:
	v_dual_mov_b32 v1, 0 :: v_dual_mov_b32 v2, s36
	s_delay_alu instid0(VALU_DEP_1)
	v_mov_b32_e32 v3, v1
	ds_store_b96 v1, v[1:3] offset:4096
.LBB25_3:
	s_or_b32 exec_lo, exec_lo, s12
	s_mul_i32 s12, s11, s10
	s_ashr_i32 s57, s38, 31
	s_sub_i32 s12, s51, s12
	s_ashr_i32 s55, s33, 31
	s_xor_b32 s1, s52, s1
	s_add_i32 s14, s11, 1
	s_sub_i32 s15, s12, s10
	s_cmp_ge_u32 s12, s10
	s_waitcnt lgkmcnt(0)
	s_cselect_b32 s11, s14, s11
	s_cselect_b32 s12, s15, s12
	s_add_i32 s14, s11, 1
	s_cmp_ge_u32 s12, s10
	s_barrier
	s_cselect_b32 s10, s14, s11
	buffer_gl0_inv
	s_load_b32 s11, s[2:3], 0xc
	s_xor_b32 s10, s10, s1
	v_mbcnt_lo_u32_b32 v22, -1, 0
	s_sub_i32 s1, s10, s1
	v_cmp_gt_u32_e32 vcc_lo, 32, v0
	s_mul_i32 s5, s1, s5
	s_mul_i32 s1, s1, s8
	s_sub_i32 s5, s29, s5
	v_dual_mov_b32 v12, 0 :: v_dual_lshlrev_b32 v23, 2, v0
	s_mul_i32 s5, s5, s9
	v_mul_lo_u32 v10, v0, s39
	s_add_i32 s8, s1, s5
	v_cmp_gt_i32_e64 s1, 4, v22
	s_ashr_i32 s9, s8, 31
	s_mov_b32 s10, s39
	s_lshl_b64 s[8:9], s[8:9], 3
	v_lshlrev_b32_e32 v33, 5, v0
	s_add_u32 s58, s6, s8
	s_addc_u32 s59, s7, s9
	s_waitcnt lgkmcnt(0)
	s_and_b32 s60, s11, 0xffff
	s_bfe_u32 s5, s11, 0xb0005
	s_lshl_b32 s62, s60, 2
	s_add_i32 s64, s60, -1
	v_cvt_f32_u32_e32 v1, s62
	s_and_b32 s65, vcc_lo, s1
	s_add_i32 s75, s64, s36
	s_cmpk_gt_i32 s36, 0x180
	v_mad_u64_u32 v[17:18], null, s39, v23, s[10:11]
	v_rcp_iflag_f32_e32 v1, v1
	s_cselect_b32 s66, -1, 0
	s_cmp_gt_u32 s60, 31
	v_lshlrev_b32_e32 v24, 3, v0
	s_cselect_b32 s67, -1, 0
	s_cmp_lt_u32 s13, s4
	v_cmp_gt_u32_e64 s1, 2, v0
	s_cselect_b32 s4, 12, 18
	v_lshlrev_b32_e32 v31, 2, v10
	s_add_u32 s44, s2, s4
	s_waitcnt_depctr 0xfff
	v_mul_f32_e32 v1, 0x4f7ffffe, v1
	s_addc_u32 s45, s3, 0
	s_add_i32 s2, s5, -1
	s_bfe_u32 s68, s60, 0x30005
	s_cmp_gt_u32 s2, 6
	v_cvt_u32_f32_e32 v1, v1
	s_cselect_b32 s69, -1, 0
	s_and_b32 s70, s5, 0x7f8
	s_cmp_lg_u32 s68, 0
	v_add_nc_u32_e32 v25, 0xc00, v24
	v_readfirstlane_b32 s3, v1
	s_cselect_b32 s71, -1, 0
	s_sub_i32 s4, 0, s62
	v_cvt_f32_u32_e32 v1, s60
	v_cmp_gt_u32_e64 s2, s36, v0
	s_mul_i32 s4, s4, s3
	v_lshl_or_b32 v34, v22, 2, 0xc00
	s_mul_hi_u32 s4, s3, s4
	v_rcp_iflag_f32_e32 v1, v1
	s_add_i32 s72, s3, s4
	v_cmp_eq_u32_e64 s3, 0, v22
	s_mul_hi_u32 s4, s36, s72
	s_mul_i32 s63, s39, s60
	s_mul_i32 s4, s4, s62
	s_mov_b32 s81, 62
	s_sub_i32 s4, s36, s4
	s_mov_b64 s[46:47], 0
	s_sub_i32 s5, s4, s62
	s_cmp_ge_u32 s4, s62
	s_waitcnt_depctr 0xfff
	v_mul_f32_e32 v3, 0x4f7ffffe, v1
	s_cselect_b32 s4, s5, s4
	s_mov_b32 s85, 0
	s_sub_i32 s5, s4, s62
	s_cmp_ge_u32 s4, s62
	v_cvt_u32_f32_e32 v3, v3
	s_cselect_b32 s9, s5, s4
	s_sub_i32 s6, 0, s60
	s_sub_i32 s73, s36, s9
	s_delay_alu instid0(SALU_CYCLE_1) | instskip(SKIP_3) | instid1(VALU_DEP_3)
	v_dual_mov_b32 v11, v12 :: v_dual_add_nc_u32 v26, s73, v0
	v_readfirstlane_b32 s5, v3
	s_abs_i32 s7, s75
	v_lshlrev_b64 v[3:4], v22, -1
	v_lshlrev_b64 v[1:2], 3, v[10:11]
	v_mov_b32_e32 v4, 0
	s_mul_i32 s6, s6, s5
	v_cmp_gt_i32_e64 s4, s36, v0
	s_mul_hi_u32 s6, s5, s6
	v_not_b32_e32 v28, v3
	v_add_co_u32 v13, vcc_lo, s58, v1
	v_mul_lo_u32 v1, v26, s39
	v_add_co_ci_u32_e32 v14, vcc_lo, s59, v2, vcc_lo
	v_lshrrev_b32_e32 v2, 3, v0
	s_add_i32 s74, s5, s6
	v_or_b32_e32 v3, 3, v23
	s_mul_hi_u32 s5, s7, s74
	v_mov_b32_e32 v5, 0
	v_and_b32_e32 v27, 0x7c, v2
	v_ashrrev_i32_e32 v2, 31, v1
	s_mul_i32 s5, s5, s60
	v_mul_lo_u32 v30, s39, v3
	s_sub_i32 s5, s7, s5
	s_ashr_i32 s7, s75, 31
	v_lshlrev_b64 v[1:2], 3, v[1:2]
	s_sub_i32 s6, s5, s60
	s_cmp_ge_u32 s5, s60
	s_mov_b64 s[48:49], 0
	s_cselect_b32 s5, s6, s5
                                        ; implicit-def: $sgpr79
                                        ; implicit-def: $sgpr82
                                        ; implicit-def: $sgpr80
                                        ; implicit-def: $sgpr84
                                        ; implicit-def: $sgpr86
                                        ; implicit-def: $sgpr83
	s_delay_alu instid0(VALU_DEP_1)
	v_add_co_u32 v15, vcc_lo, s58, v1
	v_add3_u32 v1, s60, s36, v0
	s_sub_i32 s6, s5, s60
	s_cmp_ge_u32 s5, s60
	v_add_co_ci_u32_e32 v16, vcc_lo, s59, v2, vcc_lo
	s_cselect_b32 s6, s6, s5
	v_or_b32_e32 v2, 2, v23
	v_subrev_nc_u32_e32 v1, s9, v1
	s_xor_b32 s8, s6, s7
	v_cmp_gt_i32_e64 s5, s73, v23
	s_sub_i32 s7, s7, s8
	v_mul_lo_u32 v29, s39, v2
	v_mul_lo_u32 v32, s39, v1
	s_add_i32 s75, s75, s7
	v_cmp_gt_u32_e64 s6, s36, v26
	v_cmp_gt_i32_e64 s7, s36, v26
	v_cmp_gt_i32_e64 s8, s75, v0
	v_mov_b32_e32 v1, 1
	s_lshl_b32 s76, s63, 2
	s_lshl_b32 s77, s60, 5
	;; [unrolled: 1-line block ×3, first 2 shown]
	s_branch .LBB25_8
.LBB25_4:                               ;   in Loop: Header=BB25_8 Depth=1
	s_xor_b32 s85, s85, 1
	s_add_i32 s12, s81, -2
	s_cmp_eq_u32 s81, 0
	s_mov_b32 s9, 0
	s_cselect_b32 s11, -1, 0
	s_mov_b32 s81, s12
.LBB25_5:                               ;   in Loop: Header=BB25_8 Depth=1
	s_and_not1_b32 s12, s24, exec_lo
	s_and_b32 s9, s9, exec_lo
	s_and_not1_b32 s25, s25, exec_lo
	s_or_b32 s24, s12, s9
	s_and_not1_b32 s23, s23, exec_lo
	s_or_not1_b32 s20, s11, exec_lo
	s_mov_b32 s37, s28
.LBB25_6:                               ;   in Loop: Header=BB25_8 Depth=1
	s_or_b32 exec_lo, exec_lo, s10
	s_delay_alu instid0(SALU_CYCLE_1)
	s_and_not1_b32 s9, s83, exec_lo
	s_and_b32 s10, s24, exec_lo
	s_and_not1_b32 s11, s84, exec_lo
	s_or_b32 s83, s9, s10
	s_and_not1_b32 s9, s86, exec_lo
	s_and_b32 s10, s25, exec_lo
	s_and_b32 s12, s23, exec_lo
	s_or_b32 s86, s9, s10
	s_or_b32 s84, s11, s12
	s_or_not1_b32 s14, s20, exec_lo
.LBB25_7:                               ;   in Loop: Header=BB25_8 Depth=1
	s_or_b32 exec_lo, exec_lo, s19
	s_delay_alu instid0(SALU_CYCLE_1)
	s_and_b32 s9, exec_lo, s14
	v_dual_mov_b32 v2, s46 :: v_dual_mov_b32 v3, s47
	s_or_b32 s61, s9, s61
	s_and_not1_b32 s9, s80, exec_lo
	s_and_b32 s10, s83, exec_lo
	s_and_not1_b32 s11, s79, exec_lo
	s_or_b32 s80, s9, s10
	s_and_not1_b32 s9, s82, exec_lo
	s_and_b32 s10, s86, exec_lo
	s_and_b32 s12, s84, exec_lo
	s_or_b32 s82, s9, s10
	s_or_b32 s79, s11, s12
	s_and_not1_b32 exec_lo, exec_lo, s61
	s_cbranch_execz .LBB25_242
.LBB25_8:                               ; =>This Loop Header: Depth=1
                                        ;     Child Loop BB25_16 Depth 2
                                        ;     Child Loop BB25_35 Depth 2
	;; [unrolled: 1-line block ×16, first 2 shown]
	ds_load_b64 v[2:3], v12 offset:4096
	s_waitcnt lgkmcnt(0)
	v_readfirstlane_b32 s87, v2
	s_delay_alu instid0(VALU_DEP_1)
	s_cmp_gt_i32 s87, 0
	s_cbranch_scc1 .LBB25_42
; %bb.9:                                ;   in Loop: Header=BB25_8 Depth=1
	s_and_b32 vcc_lo, exec_lo, s66
	s_cbranch_vccz .LBB25_24
; %bb.10:                               ;   in Loop: Header=BB25_8 Depth=1
	v_cmp_gt_i32_e32 vcc_lo, 0x181, v3
	s_mov_b32 s10, 0
	s_mov_b32 s9, 0
	s_cbranch_vccz .LBB25_29
; %bb.11:                               ;   in Loop: Header=BB25_8 Depth=1
	v_mov_b32_e32 v2, 0
	v_mov_b32_e32 v3, 0
	s_and_saveexec_b32 s9, s2
	s_cbranch_execz .LBB25_13
; %bb.12:                               ;   in Loop: Header=BB25_8 Depth=1
	global_load_b64 v[2:3], v[13:14], off
.LBB25_13:                              ;   in Loop: Header=BB25_8 Depth=1
	s_or_b32 exec_lo, exec_lo, s9
	s_and_saveexec_b32 s11, s2
	s_cbranch_execz .LBB25_25
; %bb.14:                               ;   in Loop: Header=BB25_8 Depth=1
	global_load_u16 v8, v12, s[44:45]
	v_mov_b32_e32 v18, v0
	s_mov_b32 s12, 0
	s_waitcnt vmcnt(0)
	v_add_nc_u32_e32 v6, v0, v8
	v_mul_lo_u32 v9, s39, v8
	s_delay_alu instid0(VALU_DEP_2)
	v_mul_lo_u32 v11, s39, v6
	s_branch .LBB25_16
.LBB25_15:                              ;   in Loop: Header=BB25_16 Depth=2
	s_or_b32 exec_lo, exec_lo, s9
	v_cmp_le_i32_e32 vcc_lo, s36, v18
	s_waitcnt vmcnt(0)
	v_dual_mov_b32 v2, v6 :: v_dual_add_nc_u32 v11, v11, v9
	v_mov_b32_e32 v3, v7
	s_or_b32 s12, vcc_lo, s12
	s_delay_alu instid0(SALU_CYCLE_1)
	s_and_not1_b32 exec_lo, exec_lo, s12
	s_cbranch_execz .LBB25_25
.LBB25_16:                              ;   Parent Loop BB25_8 Depth=1
                                        ; =>  This Inner Loop Header: Depth=2
	v_mov_b32_e32 v6, 0
	v_dual_mov_b32 v7, 0 :: v_dual_add_nc_u32 v18, v18, v8
	s_mov_b32 s9, exec_lo
	s_delay_alu instid0(VALU_DEP_1)
	v_cmpx_gt_u32_e64 s36, v18
	s_cbranch_execz .LBB25_18
; %bb.17:                               ;   in Loop: Header=BB25_16 Depth=2
	s_delay_alu instid0(VALU_DEP_4) | instskip(NEXT) | instid1(VALU_DEP_1)
	v_lshlrev_b64 v[6:7], 3, v[11:12]
	v_add_co_u32 v6, vcc_lo, s58, v6
	s_delay_alu instid0(VALU_DEP_2)
	v_add_co_ci_u32_e32 v7, vcc_lo, s59, v7, vcc_lo
	global_load_b64 v[6:7], v[6:7], off
.LBB25_18:                              ;   in Loop: Header=BB25_16 Depth=2
	s_or_b32 exec_lo, exec_lo, s9
	s_waitcnt lgkmcnt(0)
	v_xor_b32_e32 v19, 0x80000000, v3
	s_delay_alu instid0(VALU_DEP_1) | instskip(SKIP_1) | instid1(VALU_DEP_1)
	v_and_b32_e32 v20, s49, v19
	v_and_b32_e32 v19, s48, v2
	v_cmp_eq_u64_e32 vcc_lo, s[46:47], v[19:20]
	v_mov_b32_e32 v19, 0
	s_cmp_lg_u32 vcc_lo, 0
	s_cselect_b32 s9, -1, 0
	s_delay_alu instid0(SALU_CYCLE_1) | instskip(NEXT) | instid1(SALU_CYCLE_1)
	s_and_b32 s9, s3, s9
	s_and_saveexec_b32 s13, s9
	s_cbranch_execz .LBB25_22
; %bb.19:                               ;   in Loop: Header=BB25_16 Depth=2
	s_mov_b32 s16, exec_lo
	s_bcnt1_i32_b32 s14, vcc_lo
	v_mbcnt_lo_u32_b32 v19, s16, 0
	s_mov_b32 s15, exec_lo
                                        ; implicit-def: $vgpr20
	s_delay_alu instid0(VALU_DEP_1)
	v_cmpx_eq_u32_e32 0, v19
	s_cbranch_execz .LBB25_21
; %bb.20:                               ;   in Loop: Header=BB25_16 Depth=2
	s_bcnt1_i32_b32 s9, s16
	s_delay_alu instid0(SALU_CYCLE_1) | instskip(NEXT) | instid1(SALU_CYCLE_1)
	s_mul_i32 s9, s14, s9
	v_mov_b32_e32 v20, s9
	ds_add_rtn_u32 v20, v12, v20 offset:4104
.LBB25_21:                              ;   in Loop: Header=BB25_16 Depth=2
	s_or_b32 exec_lo, exec_lo, s15
	s_waitcnt lgkmcnt(0)
	v_readfirstlane_b32 s9, v20
	s_delay_alu instid0(VALU_DEP_1)
	v_mad_u32_u24 v19, s14, v19, s9
.LBB25_22:                              ;   in Loop: Header=BB25_16 Depth=2
	s_or_b32 exec_lo, exec_lo, s13
	ds_bpermute_b32 v19, v12, v19
	s_and_saveexec_b32 s9, vcc_lo
	s_cbranch_execz .LBB25_15
; %bb.23:                               ;   in Loop: Header=BB25_16 Depth=2
	v_and_b32_e32 v20, vcc_lo, v28
	s_delay_alu instid0(VALU_DEP_1) | instskip(NEXT) | instid1(VALU_DEP_1)
	v_bcnt_u32_b32 v20, v20, 0
	v_lshlrev_b32_e32 v20, 3, v20
	s_waitcnt lgkmcnt(0)
	s_delay_alu instid0(VALU_DEP_1)
	v_lshl_add_u32 v19, v19, 3, v20
	ds_store_b64 v19, v[2:3]
	s_branch .LBB25_15
.LBB25_24:                              ;   in Loop: Header=BB25_8 Depth=1
	s_mov_b32 s10, -1
	s_mov_b32 s9, 0
	s_branch .LBB25_28
.LBB25_25:                              ;   in Loop: Header=BB25_8 Depth=1
	s_or_b32 exec_lo, exec_lo, s11
	s_waitcnt vmcnt(0) lgkmcnt(0)
	s_barrier
	buffer_gl0_inv
	s_and_saveexec_b32 s9, s0
	s_cbranch_execz .LBB25_27
; %bb.26:                               ;   in Loop: Header=BB25_8 Depth=1
	ds_load_b32 v2, v12 offset:4104
	s_waitcnt lgkmcnt(0)
	ds_store_b32 v12, v2 offset:4096
.LBB25_27:                              ;   in Loop: Header=BB25_8 Depth=1
	s_or_b32 exec_lo, exec_lo, s9
	s_waitcnt lgkmcnt(0)
	s_mov_b32 s9, -1
	s_barrier
.LBB25_28:                              ;   in Loop: Header=BB25_8 Depth=1
                                        ; implicit-def: $sgpr87
.LBB25_29:                              ;   in Loop: Header=BB25_8 Depth=1
	s_and_b32 vcc_lo, exec_lo, s10
	s_cbranch_vccz .LBB25_40
; %bb.30:                               ;   in Loop: Header=BB25_8 Depth=1
	v_mov_b32_e32 v2, 0
	v_mov_b32_e32 v3, 0
	s_and_saveexec_b32 s9, s2
	s_cbranch_execz .LBB25_32
; %bb.31:                               ;   in Loop: Header=BB25_8 Depth=1
	global_load_b64 v[2:3], v[13:14], off
.LBB25_32:                              ;   in Loop: Header=BB25_8 Depth=1
	s_or_b32 exec_lo, exec_lo, s9
	s_and_saveexec_b32 s9, s4
	s_cbranch_execz .LBB25_37
; %bb.33:                               ;   in Loop: Header=BB25_8 Depth=1
	global_load_u16 v8, v12, s[44:45]
	v_mov_b32_e32 v20, v0
	s_mov_b32 s10, 0
	v_mov_b32_e32 v19, v24
	s_waitcnt vmcnt(0)
	v_add_nc_u32_e32 v6, v0, v8
	v_mul_lo_u32 v9, s39, v8
	v_lshlrev_b32_e32 v18, 3, v8
	s_delay_alu instid0(VALU_DEP_3)
	v_mul_lo_u32 v11, s39, v6
	s_set_inst_prefetch_distance 0x1
	s_branch .LBB25_35
	.p2align	6
.LBB25_34:                              ;   in Loop: Header=BB25_35 Depth=2
	s_or_b32 exec_lo, exec_lo, s11
	v_cmp_le_i32_e32 vcc_lo, s36, v20
	ds_store_b64 v19, v[2:3]
	s_waitcnt vmcnt(0)
	v_dual_mov_b32 v2, v6 :: v_dual_add_nc_u32 v19, v19, v18
	v_add_nc_u32_e32 v11, v11, v9
	v_mov_b32_e32 v3, v7
	s_or_b32 s10, vcc_lo, s10
	s_delay_alu instid0(SALU_CYCLE_1)
	s_and_not1_b32 exec_lo, exec_lo, s10
	s_cbranch_execz .LBB25_37
.LBB25_35:                              ;   Parent Loop BB25_8 Depth=1
                                        ; =>  This Inner Loop Header: Depth=2
	v_mov_b32_e32 v6, 0
	v_dual_mov_b32 v7, 0 :: v_dual_add_nc_u32 v20, v20, v8
	s_mov_b32 s11, exec_lo
	s_delay_alu instid0(VALU_DEP_1)
	v_cmpx_gt_u32_e64 s36, v20
	s_cbranch_execz .LBB25_34
; %bb.36:                               ;   in Loop: Header=BB25_35 Depth=2
	v_lshlrev_b64 v[6:7], 3, v[11:12]
	s_delay_alu instid0(VALU_DEP_1) | instskip(NEXT) | instid1(VALU_DEP_2)
	v_add_co_u32 v6, vcc_lo, s58, v6
	v_add_co_ci_u32_e32 v7, vcc_lo, s59, v7, vcc_lo
	global_load_b64 v[6:7], v[6:7], off
	s_branch .LBB25_34
.LBB25_37:                              ;   in Loop: Header=BB25_8 Depth=1
	s_set_inst_prefetch_distance 0x2
	s_or_b32 exec_lo, exec_lo, s9
	s_waitcnt vmcnt(0) lgkmcnt(0)
	s_barrier
	buffer_gl0_inv
	s_and_saveexec_b32 s9, s0
	s_cbranch_execz .LBB25_39
; %bb.38:                               ;   in Loop: Header=BB25_8 Depth=1
	v_mov_b32_e32 v2, s36
	ds_store_b32 v12, v2 offset:4096
.LBB25_39:                              ;   in Loop: Header=BB25_8 Depth=1
	s_or_b32 exec_lo, exec_lo, s9
	s_mov_b32 s9, -1
	s_waitcnt lgkmcnt(0)
	s_barrier
                                        ; implicit-def: $sgpr87
.LBB25_40:                              ;   in Loop: Header=BB25_8 Depth=1
	s_and_b32 vcc_lo, exec_lo, s9
	s_cbranch_vccz .LBB25_42
; %bb.41:                               ;   in Loop: Header=BB25_8 Depth=1
	buffer_gl0_inv
	ds_load_b32 v2, v12 offset:4096
	s_waitcnt lgkmcnt(0)
	v_readfirstlane_b32 s87, v2
.LBB25_42:                              ;   in Loop: Header=BB25_8 Depth=1
	s_delay_alu instid0(VALU_DEP_1)
	s_cmp_lt_i32 s87, 1
	s_cbranch_scc0 .LBB25_54
; %bb.43:                               ;   in Loop: Header=BB25_8 Depth=1
	v_dual_mov_b32 v6, 0 :: v_dual_mov_b32 v7, 0
	v_dual_mov_b32 v8, 0 :: v_dual_mov_b32 v9, 0
	s_mov_b32 s89, 0
	s_and_saveexec_b32 s88, s5
	s_cbranch_execz .LBB25_47
; %bb.44:                               ;   in Loop: Header=BB25_8 Depth=1
	v_mov_b32_e32 v2, v23
	s_and_b32 s90, s81, 0xfe
	s_mov_b32 s91, 0
	s_mov_b32 s92, 0
	;; [unrolled: 1-line block ×5, first 2 shown]
.LBB25_45:                              ;   Parent Loop BB25_8 Depth=1
                                        ; =>  This Inner Loop Header: Depth=2
	v_add_nc_u32_e32 v6, s91, v31
	v_add_nc_u32_e32 v8, s91, v17
	;; [unrolled: 1-line block ×5, first 2 shown]
	v_ashrrev_i32_e32 v7, 31, v6
	v_ashrrev_i32_e32 v9, 31, v8
	;; [unrolled: 1-line block ×4, first 2 shown]
	s_add_i32 s91, s91, s76
	v_lshlrev_b64 v[6:7], 3, v[6:7]
	v_lshlrev_b64 v[8:9], 3, v[8:9]
	;; [unrolled: 1-line block ×4, first 2 shown]
	s_delay_alu instid0(VALU_DEP_4)
	v_add_co_u32 v6, vcc_lo, s58, v6
	v_add_co_ci_u32_e32 v7, vcc_lo, s59, v7, vcc_lo
	v_add_co_u32 v8, vcc_lo, s58, v8
	v_add_co_ci_u32_e32 v9, vcc_lo, s59, v9, vcc_lo
	;; [unrolled: 2-line block ×4, first 2 shown]
	s_clause 0x3
	global_load_b64 v[6:7], v[6:7], off
	global_load_b64 v[8:9], v[8:9], off
	;; [unrolled: 1-line block ×4, first 2 shown]
	v_mov_b32_e32 v36, v12
	v_mov_b32_e32 v38, v12
	;; [unrolled: 1-line block ×3, first 2 shown]
	v_cmp_le_i32_e32 vcc_lo, s73, v2
	s_waitcnt vmcnt(3)
	v_xor_b32_e32 v7, 0x80000000, v7
	s_waitcnt vmcnt(2)
	v_xor_b32_e32 v9, 0x80000000, v9
	s_waitcnt vmcnt(1)
	v_and_b32_e32 v45, s48, v18
	v_xor_b32_e32 v19, 0x80000000, v19
	v_and_b32_e32 v41, s48, v6
	v_and_b32_e32 v42, s49, v7
	v_lshrrev_b64 v[6:7], s90, v[6:7]
	s_waitcnt vmcnt(0)
	v_xor_b32_e32 v21, 0x80000000, v21
	v_and_b32_e32 v43, s48, v8
	v_lshrrev_b64 v[7:8], s90, v[8:9]
	v_and_b32_e32 v44, s49, v9
	v_lshrrev_b64 v[8:9], s90, v[18:19]
	;; [unrolled: 2-line block ×3, first 2 shown]
	v_and_b32_e32 v11, 3, v6
	v_and_b32_e32 v35, 3, v7
	v_cmp_eq_u64_e64 s9, s[46:47], v[41:42]
	v_and_b32_e32 v37, 3, v8
	v_and_b32_e32 v47, s48, v20
	v_cmp_eq_u64_e64 s13, 0, v[11:12]
	;; [unrolled: 3-line block ×3, first 2 shown]
	v_cmp_eq_u64_e64 s14, 0, v[35:36]
	v_cmp_eq_u64_e64 s11, s[46:47], v[45:46]
	;; [unrolled: 1-line block ×5, first 2 shown]
	s_and_b32 s13, s9, s13
	v_cmp_eq_u64_e64 s17, 1, v[11:12]
	v_cndmask_b32_e64 v3, 0, 1, s13
	s_and_b32 s13, s10, s14
	v_cmp_eq_u64_e64 s18, 1, v[35:36]
	v_cndmask_b32_e64 v6, 0, 1, s13
	;; [unrolled: 3-line block ×4, first 2 shown]
	s_and_b32 s13, s9, s17
	v_cmp_eq_u64_e64 s21, 2, v[11:12]
	v_cmp_eq_u64_e64 s25, 3, v[11:12]
	v_cndmask_b32_e64 v9, 0, 1, s13
	s_and_b32 s13, s10, s18
	v_cmp_eq_u64_e64 s22, 2, v[35:36]
	v_cmp_eq_u64_e64 s26, 3, v[35:36]
	v_cndmask_b32_e64 v11, 0, 1, s13
	s_and_b32 s13, s11, s19
	v_cmp_eq_u64_e64 s23, 2, v[37:38]
	v_cmp_eq_u64_e64 s27, 3, v[37:38]
	v_cndmask_b32_e64 v18, 0, 1, s13
	s_and_b32 s13, s12, s20
	v_cmp_eq_u64_e64 s24, 2, v[39:40]
	v_cmp_eq_u64_e64 s28, 3, v[39:40]
	v_cndmask_b32_e64 v19, 0, 1, s13
	s_and_b32 s13, s9, s21
	s_and_b32 s9, s9, s25
	v_cndmask_b32_e64 v20, 0, 1, s13
	s_and_b32 s13, s10, s22
	v_cndmask_b32_e64 v37, 0, 1, s9
	;; [unrolled: 2-line block ×7, first 2 shown]
	v_cndmask_b32_e64 v40, 0, 1, s9
	v_cmp_ne_u32_e64 s9, 0, v3
	v_cmp_ne_u32_e64 s13, 0, v9
	;; [unrolled: 1-line block ×12, first 2 shown]
	s_bcnt1_i32_b32 s9, s9
	s_bcnt1_i32_b32 s13, s13
	;; [unrolled: 1-line block ×4, first 2 shown]
	v_cmp_ne_u32_e64 s12, 0, v8
	v_cmp_ne_u32_e64 s16, 0, v19
	;; [unrolled: 1-line block ×4, first 2 shown]
	s_bcnt1_i32_b32 s10, s10
	s_bcnt1_i32_b32 s14, s14
	s_bcnt1_i32_b32 s18, s18
	s_bcnt1_i32_b32 s22, s22
	s_add_i32 s9, s9, s95
	s_add_i32 s13, s13, s94
	s_add_i32 s17, s17, s93
	s_add_i32 s21, s21, s92
	s_bcnt1_i32_b32 s11, s11
	s_bcnt1_i32_b32 s15, s15
	s_bcnt1_i32_b32 s19, s19
	s_bcnt1_i32_b32 s23, s23
	s_add_i32 s9, s9, s10
	s_add_i32 s10, s13, s14
	s_add_i32 s13, s17, s18
	s_add_i32 s14, s21, s22
	;; [unrolled: 8-line block ×3, first 2 shown]
	s_add_i32 s95, s9, s12
	s_add_i32 s94, s10, s16
	v_mov_b32_e32 v6, s95
	s_add_i32 s93, s11, s20
	s_add_i32 s92, s13, s24
	v_dual_mov_b32 v7, s94 :: v_dual_mov_b32 v8, s93
	v_mov_b32_e32 v9, s92
	s_or_b32 s89, vcc_lo, s89
	s_delay_alu instid0(SALU_CYCLE_1)
	s_and_not1_b32 exec_lo, exec_lo, s89
	s_cbranch_execnz .LBB25_45
; %bb.46:                               ;   in Loop: Header=BB25_8 Depth=1
	s_or_b32 exec_lo, exec_lo, s89
.LBB25_47:                              ;   in Loop: Header=BB25_8 Depth=1
	s_delay_alu instid0(SALU_CYCLE_1)
	s_or_b32 exec_lo, exec_lo, s88
	v_mov_b32_e32 v18, 0
	v_mov_b32_e32 v19, 0
	s_and_saveexec_b32 s9, s6
	s_cbranch_execz .LBB25_49
; %bb.48:                               ;   in Loop: Header=BB25_8 Depth=1
	global_load_b64 v[18:19], v[15:16], off
.LBB25_49:                              ;   in Loop: Header=BB25_8 Depth=1
	s_or_b32 exec_lo, exec_lo, s9
	s_and_saveexec_b32 s13, s7
	s_cbranch_execz .LBB25_56
; %bb.50:                               ;   in Loop: Header=BB25_8 Depth=1
	v_dual_mov_b32 v2, v32 :: v_dual_mov_b32 v35, v26
	s_and_b32 s15, s81, 0xfe
	s_mov_b32 s14, 0
	s_branch .LBB25_52
.LBB25_51:                              ;   in Loop: Header=BB25_52 Depth=2
	s_or_b32 exec_lo, exec_lo, s9
	s_waitcnt vmcnt(0)
	v_xor_b32_e32 v19, 0x80000000, v19
	v_add_nc_u32_e32 v2, s63, v2
	s_delay_alu instid0(VALU_DEP_2) | instskip(SKIP_2) | instid1(VALU_DEP_3)
	v_lshrrev_b64 v[36:37], s15, v[18:19]
	v_and_b32_e32 v18, s48, v18
	v_and_b32_e32 v19, s49, v19
	;; [unrolled: 1-line block ×3, first 2 shown]
	s_delay_alu instid0(VALU_DEP_2) | instskip(NEXT) | instid1(VALU_DEP_2)
	v_cmp_eq_u64_e32 vcc_lo, s[46:47], v[18:19]
	v_cmp_eq_u64_e64 s9, 0, v[11:12]
	v_cmp_eq_u64_e64 s10, 1, v[11:12]
	;; [unrolled: 1-line block ×4, first 2 shown]
	s_delay_alu instid0(VALU_DEP_4) | instskip(NEXT) | instid1(SALU_CYCLE_1)
	s_and_b32 s9, vcc_lo, s9
	v_cndmask_b32_e64 v3, 0, 1, s9
	s_delay_alu instid0(VALU_DEP_4) | instskip(NEXT) | instid1(SALU_CYCLE_1)
	s_and_b32 s9, vcc_lo, s10
	v_cndmask_b32_e64 v11, 0, 1, s9
	s_and_b32 s9, vcc_lo, s11
	s_delay_alu instid0(SALU_CYCLE_1)
	v_cndmask_b32_e64 v18, 0, 1, s9
	s_and_b32 s9, vcc_lo, s12
	v_cmp_ne_u32_e32 vcc_lo, 0, v3
	v_cndmask_b32_e64 v19, 0, 1, s9
	v_cmp_ne_u32_e64 s9, 0, v11
	v_cmp_ne_u32_e64 s10, 0, v18
	v_cmp_le_i32_e64 s12, s36, v35
	s_bcnt1_i32_b32 s16, vcc_lo
	v_cmp_ne_u32_e64 s11, 0, v19
	v_mov_b32_e32 v18, v20
	s_bcnt1_i32_b32 s9, s9
	s_bcnt1_i32_b32 s10, s10
	v_add_nc_u32_e32 v6, s16, v6
	s_bcnt1_i32_b32 s11, s11
	v_add_nc_u32_e32 v7, s9, v7
	v_add_nc_u32_e32 v8, s10, v8
	;; [unrolled: 1-line block ×3, first 2 shown]
	v_mov_b32_e32 v19, v21
	s_or_b32 s14, s12, s14
	s_delay_alu instid0(SALU_CYCLE_1)
	s_and_not1_b32 exec_lo, exec_lo, s14
	s_cbranch_execz .LBB25_55
.LBB25_52:                              ;   Parent Loop BB25_8 Depth=1
                                        ; =>  This Inner Loop Header: Depth=2
	s_delay_alu instid0(VALU_DEP_1) | instskip(SKIP_2) | instid1(VALU_DEP_2)
	v_dual_mov_b32 v20, 0 :: v_dual_add_nc_u32 v35, s60, v35
	v_mov_b32_e32 v21, 0
	s_mov_b32 s9, exec_lo
	v_cmpx_gt_u32_e64 s36, v35
	s_cbranch_execz .LBB25_51
; %bb.53:                               ;   in Loop: Header=BB25_52 Depth=2
	v_ashrrev_i32_e32 v3, 31, v2
	s_delay_alu instid0(VALU_DEP_1) | instskip(NEXT) | instid1(VALU_DEP_1)
	v_lshlrev_b64 v[20:21], 3, v[2:3]
	v_add_co_u32 v20, vcc_lo, s58, v20
	s_delay_alu instid0(VALU_DEP_2)
	v_add_co_ci_u32_e32 v21, vcc_lo, s59, v21, vcc_lo
	global_load_b64 v[20:21], v[20:21], off
	s_branch .LBB25_51
.LBB25_54:                              ;   in Loop: Header=BB25_8 Depth=1
                                        ; implicit-def: $vgpr9
	s_cbranch_execnz .LBB25_57
	s_branch .LBB25_66
.LBB25_55:                              ;   in Loop: Header=BB25_8 Depth=1
	s_or_b32 exec_lo, exec_lo, s14
.LBB25_56:                              ;   in Loop: Header=BB25_8 Depth=1
	s_delay_alu instid0(SALU_CYCLE_1)
	s_or_b32 exec_lo, exec_lo, s13
	s_branch .LBB25_66
.LBB25_57:                              ;   in Loop: Header=BB25_8 Depth=1
	s_mul_hi_u32 s9, s87, s72
	v_dual_mov_b32 v6, 0 :: v_dual_mov_b32 v7, 0
	s_mul_i32 s9, s9, s62
	v_dual_mov_b32 v8, 0 :: v_dual_mov_b32 v9, 0
	s_sub_i32 s9, s87, s9
	s_mov_b32 s90, 0
	s_sub_i32 s10, s9, s62
	s_cmp_ge_u32 s9, s62
	s_mov_b32 s89, exec_lo
	s_cselect_b32 s9, s10, s9
	s_delay_alu instid0(SALU_CYCLE_1) | instskip(SKIP_2) | instid1(SALU_CYCLE_1)
	s_sub_i32 s10, s9, s62
	s_cmp_ge_u32 s9, s62
	s_cselect_b32 s9, s10, s9
	s_sub_i32 s88, s87, s9
	s_delay_alu instid0(SALU_CYCLE_1)
	v_cmpx_gt_u32_e64 s88, v23
	s_cbranch_execz .LBB25_61
; %bb.58:                               ;   in Loop: Header=BB25_8 Depth=1
	v_dual_mov_b32 v2, v33 :: v_dual_mov_b32 v3, v23
	s_and_b32 s91, s81, 0xfe
	s_mov_b32 s92, 0
	s_mov_b32 s93, 0
	;; [unrolled: 1-line block ×4, first 2 shown]
.LBB25_59:                              ;   Parent Loop BB25_8 Depth=1
                                        ; =>  This Inner Loop Header: Depth=2
	ds_load_b128 v[6:9], v2
	s_waitcnt vmcnt(0)
	ds_load_b128 v[18:21], v2 offset:16
	v_mov_b32_e32 v38, v12
	v_dual_mov_b32 v40, v12 :: v_dual_add_nc_u32 v3, s62, v3
	v_mov_b32_e32 v36, v12
	s_delay_alu instid0(VALU_DEP_2)
	v_cmp_le_i32_e32 vcc_lo, s88, v3
	s_waitcnt lgkmcnt(1)
	v_xor_b32_e32 v7, 0x80000000, v7
	v_xor_b32_e32 v9, 0x80000000, v9
	s_waitcnt lgkmcnt(0)
	v_xor_b32_e32 v19, 0x80000000, v19
	v_and_b32_e32 v41, s48, v6
	v_xor_b32_e32 v21, 0x80000000, v21
	v_and_b32_e32 v42, s49, v7
	v_lshrrev_b64 v[6:7], s91, v[6:7]
	v_and_b32_e32 v43, s48, v8
	v_lshrrev_b64 v[7:8], s91, v[8:9]
	;; [unrolled: 2-line block ×3, first 2 shown]
	v_and_b32_e32 v45, s48, v18
	v_and_b32_e32 v46, s49, v19
	v_lshrrev_b64 v[18:19], s91, v[20:21]
	v_and_b32_e32 v11, 3, v6
	v_and_b32_e32 v35, 3, v7
	v_and_b32_e32 v37, 3, v8
	v_cmp_eq_u64_e64 s9, s[46:47], v[41:42]
	v_and_b32_e32 v47, s48, v20
	v_cmp_eq_u64_e64 s13, 0, v[11:12]
	v_and_b32_e32 v48, s49, v21
	v_and_b32_e32 v39, 3, v18
	v_cmp_eq_u64_e64 s10, s[46:47], v[43:44]
	v_cmp_eq_u64_e64 s14, 0, v[35:36]
	;; [unrolled: 1-line block ×6, first 2 shown]
	s_and_b32 s13, s9, s13
	v_cmp_eq_u64_e64 s17, 1, v[11:12]
	v_cndmask_b32_e64 v6, 0, 1, s13
	s_and_b32 s13, s10, s14
	v_cmp_eq_u64_e64 s18, 1, v[35:36]
	v_cndmask_b32_e64 v7, 0, 1, s13
	;; [unrolled: 3-line block ×4, first 2 shown]
	s_and_b32 s13, s9, s17
	v_cmp_eq_u64_e64 s21, 2, v[11:12]
	v_cmp_eq_u64_e64 s25, 3, v[11:12]
	v_cndmask_b32_e64 v11, 0, 1, s13
	s_and_b32 s13, s10, s18
	v_cmp_eq_u64_e64 s22, 2, v[35:36]
	v_cmp_eq_u64_e64 s26, 3, v[35:36]
	v_cndmask_b32_e64 v18, 0, 1, s13
	;; [unrolled: 4-line block ×4, first 2 shown]
	s_and_b32 s13, s9, s21
	s_and_b32 s9, s9, s25
	v_cndmask_b32_e64 v21, 0, 1, s13
	s_and_b32 s13, s10, s22
	v_cndmask_b32_e64 v38, 0, 1, s9
	;; [unrolled: 2-line block ×7, first 2 shown]
	v_cndmask_b32_e64 v41, 0, 1, s9
	v_cmp_ne_u32_e64 s9, 0, v6
	v_cmp_ne_u32_e64 s13, 0, v11
	v_cmp_ne_u32_e64 s17, 0, v21
	v_cmp_ne_u32_e64 s21, 0, v38
	v_cmp_ne_u32_e64 s10, 0, v7
	v_cmp_ne_u32_e64 s14, 0, v18
	v_cmp_ne_u32_e64 s18, 0, v35
	v_cmp_ne_u32_e64 s22, 0, v39
	v_cmp_ne_u32_e64 s11, 0, v8
	v_cmp_ne_u32_e64 s15, 0, v19
	v_cmp_ne_u32_e64 s19, 0, v36
	v_cmp_ne_u32_e64 s23, 0, v40
	s_bcnt1_i32_b32 s9, s9
	s_bcnt1_i32_b32 s13, s13
	;; [unrolled: 1-line block ×4, first 2 shown]
	v_cmp_ne_u32_e64 s12, 0, v9
	v_cmp_ne_u32_e64 s16, 0, v20
	;; [unrolled: 1-line block ×4, first 2 shown]
	s_bcnt1_i32_b32 s10, s10
	s_bcnt1_i32_b32 s14, s14
	s_bcnt1_i32_b32 s18, s18
	s_bcnt1_i32_b32 s22, s22
	s_add_i32 s9, s9, s95
	s_add_i32 s13, s13, s94
	s_add_i32 s17, s17, s93
	s_add_i32 s21, s21, s92
	s_bcnt1_i32_b32 s11, s11
	s_bcnt1_i32_b32 s15, s15
	s_bcnt1_i32_b32 s19, s19
	s_bcnt1_i32_b32 s23, s23
	s_add_i32 s9, s9, s10
	s_add_i32 s10, s13, s14
	s_add_i32 s13, s17, s18
	s_add_i32 s14, s21, s22
	;; [unrolled: 8-line block ×3, first 2 shown]
	s_add_i32 s95, s9, s12
	s_add_i32 s94, s10, s16
	;; [unrolled: 1-line block ×4, first 2 shown]
	v_mov_b32_e32 v8, s93
	v_dual_mov_b32 v7, s94 :: v_dual_add_nc_u32 v2, s77, v2
	v_dual_mov_b32 v6, s95 :: v_dual_mov_b32 v9, s92
	s_or_b32 s90, vcc_lo, s90
	s_delay_alu instid0(SALU_CYCLE_1)
	s_and_not1_b32 exec_lo, exec_lo, s90
	s_cbranch_execnz .LBB25_59
; %bb.60:                               ;   in Loop: Header=BB25_8 Depth=1
	s_or_b32 exec_lo, exec_lo, s90
.LBB25_61:                              ;   in Loop: Header=BB25_8 Depth=1
	s_delay_alu instid0(SALU_CYCLE_1) | instskip(SKIP_2) | instid1(VALU_DEP_1)
	s_or_b32 exec_lo, exec_lo, s89
	v_add_nc_u32_e32 v2, s88, v0
	s_mov_b32 s14, exec_lo
	v_cmpx_gt_i32_e64 s87, v2
	s_cbranch_execz .LBB25_65
; %bb.62:                               ;   in Loop: Header=BB25_8 Depth=1
	v_lshlrev_b32_e32 v3, 3, v2
	s_and_b32 s16, s81, 0xfe
	s_mov_b32 s15, 0
.LBB25_63:                              ;   Parent Loop BB25_8 Depth=1
                                        ; =>  This Inner Loop Header: Depth=2
	s_waitcnt vmcnt(0)
	ds_load_b64 v[18:19], v3
	v_add_nc_u32_e32 v2, s60, v2
	v_add_nc_u32_e32 v3, s78, v3
	s_delay_alu instid0(VALU_DEP_2) | instskip(SKIP_3) | instid1(VALU_DEP_2)
	v_cmp_le_i32_e32 vcc_lo, s87, v2
	s_waitcnt lgkmcnt(0)
	v_xor_b32_e32 v19, 0x80000000, v19
	v_and_b32_e32 v20, s48, v18
	v_and_b32_e32 v21, s49, v19
	v_lshrrev_b64 v[18:19], s16, v[18:19]
	s_delay_alu instid0(VALU_DEP_2) | instskip(NEXT) | instid1(VALU_DEP_2)
	v_cmp_eq_u64_e64 s9, s[46:47], v[20:21]
	v_and_b32_e32 v11, 3, v18
	s_delay_alu instid0(VALU_DEP_1) | instskip(SKIP_3) | instid1(VALU_DEP_4)
	v_cmp_eq_u64_e64 s10, 0, v[11:12]
	v_cmp_eq_u64_e64 s11, 1, v[11:12]
	;; [unrolled: 1-line block ×4, first 2 shown]
	s_and_b32 s10, s9, s10
	s_delay_alu instid0(SALU_CYCLE_1) | instskip(NEXT) | instid1(VALU_DEP_4)
	v_cndmask_b32_e64 v11, 0, 1, s10
	s_and_b32 s10, s9, s11
	s_delay_alu instid0(SALU_CYCLE_1)
	v_cndmask_b32_e64 v18, 0, 1, s10
	s_and_b32 s10, s9, s12
	s_and_b32 s9, s9, s13
	v_cndmask_b32_e64 v19, 0, 1, s10
	v_cndmask_b32_e64 v20, 0, 1, s9
	v_cmp_ne_u32_e64 s9, 0, v11
	v_cmp_ne_u32_e64 s10, 0, v18
	s_delay_alu instid0(VALU_DEP_4) | instskip(NEXT) | instid1(VALU_DEP_4)
	v_cmp_ne_u32_e64 s11, 0, v19
	v_cmp_ne_u32_e64 s12, 0, v20
	s_delay_alu instid0(VALU_DEP_4) | instskip(NEXT) | instid1(VALU_DEP_3)
	s_bcnt1_i32_b32 s9, s9
	s_bcnt1_i32_b32 s10, s10
	v_add_nc_u32_e32 v6, s9, v6
	s_bcnt1_i32_b32 s11, s11
	s_bcnt1_i32_b32 s12, s12
	v_add_nc_u32_e32 v7, s10, v7
	v_add_nc_u32_e32 v8, s11, v8
	;; [unrolled: 1-line block ×3, first 2 shown]
	s_or_b32 s15, vcc_lo, s15
	s_delay_alu instid0(SALU_CYCLE_1)
	s_and_not1_b32 exec_lo, exec_lo, s15
	s_cbranch_execnz .LBB25_63
; %bb.64:                               ;   in Loop: Header=BB25_8 Depth=1
	s_or_b32 exec_lo, exec_lo, s15
.LBB25_65:                              ;   in Loop: Header=BB25_8 Depth=1
	s_delay_alu instid0(SALU_CYCLE_1)
	s_or_b32 exec_lo, exec_lo, s14
.LBB25_66:                              ;   in Loop: Header=BB25_8 Depth=1
	s_lshl_b32 s9, s85, 7
	s_and_saveexec_b32 s10, s3
	s_cbranch_execz .LBB25_68
; %bb.67:                               ;   in Loop: Header=BB25_8 Depth=1
	v_or_b32_e32 v2, s9, v27
	s_delay_alu instid0(VALU_DEP_1)
	v_lshlrev_b32_e32 v2, 2, v2
	ds_store_b128 v2, v[6:9] offset:3072
.LBB25_68:                              ;   in Loop: Header=BB25_8 Depth=1
	s_or_b32 exec_lo, exec_lo, s10
	s_waitcnt vmcnt(0) lgkmcnt(0)
	s_barrier
	buffer_gl0_inv
	s_and_saveexec_b32 s10, s65
	s_cbranch_execz .LBB25_78
; %bb.69:                               ;   in Loop: Header=BB25_8 Depth=1
	v_mov_b32_e32 v2, 0
	s_and_not1_b32 vcc_lo, exec_lo, s67
	s_cbranch_vccnz .LBB25_77
; %bb.70:                               ;   in Loop: Header=BB25_8 Depth=1
	v_mov_b32_e32 v2, 0
	s_and_not1_b32 vcc_lo, exec_lo, s69
	s_mov_b32 s11, 0
	s_cbranch_vccnz .LBB25_74
; %bb.71:                               ;   in Loop: Header=BB25_8 Depth=1
	v_lshl_add_u32 v3, s85, 9, v34
	v_mov_b32_e32 v2, 0
	.p2align	6
.LBB25_72:                              ;   Parent Loop BB25_8 Depth=1
                                        ; =>  This Inner Loop Header: Depth=2
	ds_load_2addr_b32 v[6:7], v3 offset1:4
	ds_load_2addr_b32 v[8:9], v3 offset0:8 offset1:12
	ds_load_2addr_b32 v[18:19], v3 offset0:16 offset1:20
	;; [unrolled: 1-line block ×3, first 2 shown]
	v_add_nc_u32_e32 v3, 0x80, v3
	s_add_i32 s11, s11, 8
	s_delay_alu instid0(SALU_CYCLE_1) | instskip(SKIP_3) | instid1(VALU_DEP_1)
	s_cmp_eq_u32 s70, s11
	s_waitcnt lgkmcnt(3)
	v_add3_u32 v2, v6, v2, v7
	s_waitcnt lgkmcnt(2)
	v_add3_u32 v2, v8, v2, v9
	s_waitcnt lgkmcnt(1)
	s_delay_alu instid0(VALU_DEP_1) | instskip(SKIP_1) | instid1(VALU_DEP_1)
	v_add3_u32 v2, v18, v2, v19
	s_waitcnt lgkmcnt(0)
	v_add3_u32 v2, v20, v2, v21
	s_cbranch_scc0 .LBB25_72
; %bb.73:                               ;   in Loop: Header=BB25_8 Depth=1
	s_mov_b32 s11, s70
.LBB25_74:                              ;   in Loop: Header=BB25_8 Depth=1
	s_and_not1_b32 vcc_lo, exec_lo, s71
	s_cbranch_vccnz .LBB25_77
; %bb.75:                               ;   in Loop: Header=BB25_8 Depth=1
	s_lshl_b32 s12, s85, 9
	s_lshl_b32 s11, s11, 4
	s_delay_alu instid0(SALU_CYCLE_1)
	v_add3_u32 v3, s12, s11, v34
	s_mov_b32 s11, s68
.LBB25_76:                              ;   Parent Loop BB25_8 Depth=1
                                        ; =>  This Inner Loop Header: Depth=2
	ds_load_b32 v6, v3
	v_add_nc_u32_e32 v3, 16, v3
	s_add_i32 s11, s11, -1
	s_delay_alu instid0(SALU_CYCLE_1)
	s_cmp_lg_u32 s11, 0
	s_waitcnt lgkmcnt(0)
	v_add_nc_u32_e32 v2, v6, v2
	s_cbranch_scc1 .LBB25_76
.LBB25_77:                              ;   in Loop: Header=BB25_8 Depth=1
	v_add_lshl_u32 v3, s9, v22, 2
	ds_store_b32 v3, v2 offset:3072
.LBB25_78:                              ;   in Loop: Header=BB25_8 Depth=1
	s_or_b32 exec_lo, exec_lo, s10
	s_lshl_b32 s9, s9, 2
	s_waitcnt lgkmcnt(0)
	v_mov_b32_e32 v2, s9
	s_barrier
	buffer_gl0_inv
	s_and_b32 s22, s81, 0xfe
	s_delay_alu instid0(SALU_CYCLE_1)
	s_lshl_b64 s[10:11], 3, s22
	ds_load_b128 v[6:9], v2 offset:3072
	s_not_b64 s[12:13], s[10:11]
	s_waitcnt lgkmcnt(0)
	v_readfirstlane_b32 s20, v6
	v_readfirstlane_b32 s27, v7
	;; [unrolled: 1-line block ×4, first 2 shown]
	s_delay_alu instid0(VALU_DEP_4) | instskip(SKIP_3) | instid1(SALU_CYCLE_1)
	s_cmp_eq_u32 s20, 1
	s_cselect_b32 s9, -1, 0
	s_cmp_eq_u32 s37, 1
	s_cselect_b32 s14, -1, 0
	s_and_b32 s15, s9, s14
	s_mov_b32 s14, -1
	s_and_b32 vcc_lo, exec_lo, s15
	s_cbranch_vccz .LBB25_90
; %bb.79:                               ;   in Loop: Header=BB25_8 Depth=1
	ds_load_b32 v2, v12 offset:4096
	s_waitcnt lgkmcnt(0)
	s_barrier
	buffer_gl0_inv
	v_readfirstlane_b32 s16, v2
	s_and_saveexec_b32 s9, s1
	s_cbranch_execz .LBB25_81
; %bb.80:                               ;   in Loop: Header=BB25_8 Depth=1
	v_mov_b32_e32 v11, v12
	ds_store_b64 v25, v[11:12]
.LBB25_81:                              ;   in Loop: Header=BB25_8 Depth=1
	s_or_b32 exec_lo, exec_lo, s9
	s_and_b64 s[46:47], s[46:47], s[12:13]
	s_or_b64 s[48:49], s[48:49], s[10:11]
	s_cmp_lt_i32 s16, 1
	s_waitcnt lgkmcnt(0)
	s_barrier
	buffer_gl0_inv
	s_cbranch_scc0 .LBB25_91
; %bb.82:                               ;   in Loop: Header=BB25_8 Depth=1
	s_mov_b32 s9, 0
                                        ; implicit-def: $vgpr4_vgpr5
	s_and_saveexec_b32 s17, s8
	s_cbranch_execz .LBB25_93
; %bb.83:                               ;   in Loop: Header=BB25_8 Depth=1
	v_mov_b32_e32 v6, v10
	v_mov_b32_e32 v8, v0
	s_mov_b32 s23, 0
                                        ; implicit-def: $sgpr19
	s_set_inst_prefetch_distance 0x1
	s_branch .LBB25_85
	.p2align	6
.LBB25_84:                              ;   in Loop: Header=BB25_85 Depth=2
	s_or_b32 exec_lo, exec_lo, s9
	s_waitcnt vmcnt(0) lgkmcnt(0)
	s_barrier
	buffer_gl0_inv
	ds_load_b128 v[2:5], v12 offset:3072
	v_add_nc_u32_e32 v8, s60, v8
	v_add_nc_u32_e32 v6, s63, v6
	s_waitcnt lgkmcnt(0)
	s_barrier
	buffer_gl0_inv
	v_cmp_le_i32_e32 vcc_lo, s75, v8
	v_readfirstlane_b32 s25, v3
	v_readfirstlane_b32 s24, v2
	s_delay_alu instid0(VALU_DEP_1) | instskip(SKIP_1) | instid1(SALU_CYCLE_1)
	s_cmp_lg_u64 s[24:25], 0
	s_cselect_b32 s9, -1, 0
	s_or_b32 s24, vcc_lo, s9
	s_delay_alu instid0(SALU_CYCLE_1) | instskip(NEXT) | instid1(SALU_CYCLE_1)
	s_and_b32 s24, exec_lo, s24
	s_or_b32 s23, s24, s23
	s_and_not1_b32 s19, s19, exec_lo
	s_and_b32 s9, s9, exec_lo
	s_delay_alu instid0(SALU_CYCLE_1)
	s_or_b32 s19, s19, s9
	s_and_not1_b32 exec_lo, exec_lo, s23
	s_cbranch_execz .LBB25_92
.LBB25_85:                              ;   Parent Loop BB25_8 Depth=1
                                        ; =>  This Inner Loop Header: Depth=2
	v_mov_b32_e32 v3, 0
	v_mov_b32_e32 v4, 0
	v_cmp_gt_i32_e32 vcc_lo, s36, v8
	s_and_saveexec_b32 s24, vcc_lo
	s_cbranch_execz .LBB25_87
; %bb.86:                               ;   in Loop: Header=BB25_85 Depth=2
	v_ashrrev_i32_e32 v7, 31, v6
	s_delay_alu instid0(VALU_DEP_1) | instskip(NEXT) | instid1(VALU_DEP_1)
	v_lshlrev_b64 v[2:3], 3, v[6:7]
	v_add_co_u32 v2, s9, s58, v2
	s_delay_alu instid0(VALU_DEP_1)
	v_add_co_ci_u32_e64 v3, s9, s59, v3, s9
	global_load_b64 v[3:4], v[2:3], off
.LBB25_87:                              ;   in Loop: Header=BB25_85 Depth=2
	s_or_b32 exec_lo, exec_lo, s24
	s_and_saveexec_b32 s9, vcc_lo
	s_cbranch_execz .LBB25_84
; %bb.88:                               ;   in Loop: Header=BB25_85 Depth=2
	s_waitcnt vmcnt(0)
	v_xor_b32_e32 v2, 0x80000000, v4
	v_and_b32_e32 v18, s48, v3
	s_delay_alu instid0(VALU_DEP_2) | instskip(NEXT) | instid1(VALU_DEP_1)
	v_and_b32_e32 v19, s49, v2
	v_cmp_eq_u64_e32 vcc_lo, s[46:47], v[18:19]
	s_and_b32 exec_lo, exec_lo, vcc_lo
	s_cbranch_execz .LBB25_84
; %bb.89:                               ;   in Loop: Header=BB25_85 Depth=2
	v_mov_b32_e32 v2, v12
	ds_store_b128 v12, v[1:4] offset:3072
	s_branch .LBB25_84
.LBB25_90:                              ;   in Loop: Header=BB25_8 Depth=1
	s_mov_b32 s9, -1
                                        ; implicit-def: $sgpr17
                                        ; implicit-def: $sgpr23
                                        ; implicit-def: $sgpr19
	s_branch .LBB25_104
.LBB25_91:                              ;   in Loop: Header=BB25_8 Depth=1
	s_mov_b32 s17, -1
	s_mov_b32 s9, 0
                                        ; implicit-def: $sgpr19
                                        ; implicit-def: $vgpr4_vgpr5
	s_mov_b32 s23, s17
	s_cbranch_execnz .LBB25_94
	s_branch .LBB25_104
.LBB25_92:                              ;   in Loop: Header=BB25_8 Depth=1
	s_set_inst_prefetch_distance 0x2
	s_or_b32 exec_lo, exec_lo, s23
	s_delay_alu instid0(SALU_CYCLE_1)
	s_and_b32 s9, s19, exec_lo
.LBB25_93:                              ;   in Loop: Header=BB25_8 Depth=1
	s_or_b32 exec_lo, exec_lo, s17
	s_mov_b32 s19, -1
	s_mov_b32 s17, 0
	s_delay_alu instid0(SALU_CYCLE_1)
	s_mov_b32 s23, s17
	s_branch .LBB25_104
.LBB25_94:                              ;   in Loop: Header=BB25_8 Depth=1
	s_add_i32 s19, s16, s64
                                        ; implicit-def: $vgpr4_vgpr5
	s_delay_alu instid0(SALU_CYCLE_1) | instskip(NEXT) | instid1(SALU_CYCLE_1)
	s_abs_i32 s9, s19
	s_mul_hi_u32 s17, s9, s74
	s_delay_alu instid0(SALU_CYCLE_1) | instskip(NEXT) | instid1(SALU_CYCLE_1)
	s_mul_i32 s17, s17, s60
	s_sub_i32 s9, s9, s17
	s_ashr_i32 s17, s19, 31
	s_sub_i32 s23, s9, s60
	s_cmp_ge_u32 s9, s60
	s_cselect_b32 s9, s23, s9
	s_delay_alu instid0(SALU_CYCLE_1) | instskip(SKIP_2) | instid1(SALU_CYCLE_1)
	s_sub_i32 s23, s9, s60
	s_cmp_ge_u32 s9, s60
	s_cselect_b32 s9, s23, s9
	s_xor_b32 s9, s9, s17
	s_delay_alu instid0(SALU_CYCLE_1)
	s_sub_i32 s9, s17, s9
	s_mov_b32 s17, exec_lo
	s_add_i32 s19, s19, s9
	s_mov_b32 s9, 0
	v_cmpx_gt_i32_e64 s19, v0
	s_cbranch_execz .LBB25_103
; %bb.95:                               ;   in Loop: Header=BB25_8 Depth=1
	v_mov_b32_e32 v6, v24
	v_mov_b32_e32 v7, v0
	s_mov_b32 s23, 0
                                        ; implicit-def: $sgpr9
	s_set_inst_prefetch_distance 0x1
	s_branch .LBB25_97
	.p2align	6
.LBB25_96:                              ;   in Loop: Header=BB25_97 Depth=2
	s_or_b32 exec_lo, exec_lo, s24
	s_waitcnt lgkmcnt(0)
	s_barrier
	buffer_gl0_inv
	ds_load_b128 v[2:5], v12 offset:3072
	v_add_nc_u32_e32 v7, s60, v7
	v_add_nc_u32_e32 v6, s78, v6
	s_waitcnt lgkmcnt(0)
	s_barrier
	buffer_gl0_inv
	v_cmp_le_i32_e32 vcc_lo, s19, v7
	v_readfirstlane_b32 s25, v3
	v_readfirstlane_b32 s24, v2
	s_delay_alu instid0(VALU_DEP_1) | instskip(SKIP_1) | instid1(SALU_CYCLE_1)
	s_cmp_lg_u64 s[24:25], 0
	s_cselect_b32 s24, -1, 0
	s_or_b32 s25, vcc_lo, s24
	s_delay_alu instid0(SALU_CYCLE_1) | instskip(NEXT) | instid1(SALU_CYCLE_1)
	s_and_b32 s25, exec_lo, s25
	s_or_b32 s23, s25, s23
	s_and_not1_b32 s9, s9, exec_lo
	s_and_b32 s24, s24, exec_lo
	s_delay_alu instid0(SALU_CYCLE_1)
	s_or_b32 s9, s9, s24
	s_and_not1_b32 exec_lo, exec_lo, s23
	s_cbranch_execz .LBB25_102
.LBB25_97:                              ;   Parent Loop BB25_8 Depth=1
                                        ; =>  This Inner Loop Header: Depth=2
	v_mov_b32_e32 v3, 0
	v_mov_b32_e32 v4, 0
	v_cmp_gt_i32_e32 vcc_lo, s16, v7
	s_and_saveexec_b32 s24, vcc_lo
	s_cbranch_execz .LBB25_99
; %bb.98:                               ;   in Loop: Header=BB25_97 Depth=2
	ds_load_b64 v[3:4], v6
.LBB25_99:                              ;   in Loop: Header=BB25_97 Depth=2
	s_or_b32 exec_lo, exec_lo, s24
	s_and_saveexec_b32 s24, vcc_lo
	s_cbranch_execz .LBB25_96
; %bb.100:                              ;   in Loop: Header=BB25_97 Depth=2
	s_waitcnt lgkmcnt(0)
	v_xor_b32_e32 v2, 0x80000000, v4
	v_and_b32_e32 v8, s48, v3
	s_delay_alu instid0(VALU_DEP_2) | instskip(NEXT) | instid1(VALU_DEP_1)
	v_and_b32_e32 v9, s49, v2
	v_cmp_eq_u64_e32 vcc_lo, s[46:47], v[8:9]
	s_and_b32 exec_lo, exec_lo, vcc_lo
	s_cbranch_execz .LBB25_96
; %bb.101:                              ;   in Loop: Header=BB25_97 Depth=2
	v_mov_b32_e32 v2, v12
	ds_store_b128 v12, v[1:4] offset:3072
	s_branch .LBB25_96
.LBB25_102:                             ;   in Loop: Header=BB25_8 Depth=1
	s_set_inst_prefetch_distance 0x2
	s_or_b32 exec_lo, exec_lo, s23
	s_delay_alu instid0(SALU_CYCLE_1)
	s_and_b32 s9, s9, exec_lo
.LBB25_103:                             ;   in Loop: Header=BB25_8 Depth=1
	s_or_b32 exec_lo, exec_lo, s17
	s_mov_b32 s23, -1
	s_mov_b32 s17, 0
	s_mov_b32 s19, 0
.LBB25_104:                             ;   in Loop: Header=BB25_8 Depth=1
	s_and_not1_b32 s16, s83, exec_lo
	s_and_b32 s17, s17, exec_lo
	s_and_b32 s19, s19, exec_lo
	s_or_b32 s83, s16, s17
	s_and_not1_b32 s16, s86, exec_lo
	s_and_b32 s17, s23, exec_lo
	s_and_not1_b32 s23, s84, exec_lo
	s_or_b32 s86, s16, s17
	s_or_b32 s84, s23, s19
	s_and_saveexec_b32 s19, s9
	s_cbranch_execz .LBB25_7
; %bb.105:                              ;   in Loop: Header=BB25_8 Depth=1
	s_xor_b32 s9, s15, -1
	s_mov_b32 s23, 0
	s_and_not1_b32 vcc_lo, exec_lo, s9
	s_mov_b32 s28, 1
	s_cbranch_vccnz .LBB25_116
; %bb.106:                              ;   in Loop: Header=BB25_8 Depth=1
	s_cmp_gt_i32 s37, s20
	s_mov_b32 s23, -1
                                        ; implicit-def: $sgpr9
                                        ; implicit-def: $sgpr14_sgpr15
                                        ; implicit-def: $sgpr16_sgpr17
	s_cbranch_scc1 .LBB25_112
; %bb.107:                              ;   in Loop: Header=BB25_8 Depth=1
	ds_load_b32 v2, v12 offset:4096
	s_waitcnt lgkmcnt(0)
	v_cmp_ne_u32_e32 vcc_lo, 0, v2
	s_cbranch_vccnz .LBB25_111
; %bb.108:                              ;   in Loop: Header=BB25_8 Depth=1
	s_and_saveexec_b32 s9, s0
	s_cbranch_execz .LBB25_110
; %bb.109:                              ;   in Loop: Header=BB25_8 Depth=1
	v_mov_b32_e32 v2, s20
	ds_store_b32 v12, v2 offset:4100
.LBB25_110:                             ;   in Loop: Header=BB25_8 Depth=1
	s_or_b32 exec_lo, exec_lo, s9
	s_waitcnt lgkmcnt(0)
	s_barrier
	buffer_gl0_inv
.LBB25_111:                             ;   in Loop: Header=BB25_8 Depth=1
	s_and_b64 s[14:15], s[46:47], s[12:13]
	s_or_b64 s[16:17], s[48:49], s[10:11]
	s_mov_b32 s23, 0
	s_mov_b32 s9, 8
.LBB25_112:                             ;   in Loop: Header=BB25_8 Depth=1
	s_and_not1_b32 vcc_lo, exec_lo, s23
	s_cbranch_vccnz .LBB25_114
; %bb.113:                              ;   in Loop: Header=BB25_8 Depth=1
	s_sub_i32 s37, s37, s20
	s_mov_b32 s23, -1
	s_mov_b32 s9, 0
	s_mov_b64 s[14:15], s[46:47]
	s_mov_b64 s[16:17], s[48:49]
.LBB25_114:                             ;   in Loop: Header=BB25_8 Depth=1
	s_delay_alu instid0(SALU_CYCLE_1)
	s_mov_b64 s[48:49], s[16:17]
	s_mov_b64 s[46:47], s[14:15]
	s_mov_b32 s28, s37
	s_and_b32 vcc_lo, exec_lo, s23
	s_mov_b32 s20, -1
	s_cbranch_vccnz .LBB25_117
.LBB25_115:                             ;   in Loop: Header=BB25_8 Depth=1
	s_mov_b32 s15, -1
                                        ; implicit-def: $sgpr23
                                        ; implicit-def: $sgpr25
                                        ; implicit-def: $sgpr24
	s_delay_alu instid0(SALU_CYCLE_1) | instskip(NEXT) | instid1(SALU_CYCLE_1)
	s_and_saveexec_b32 s10, s15
	s_xor_b32 s10, exec_lo, s10
	s_cbranch_execz .LBB25_6
	s_branch .LBB25_240
.LBB25_116:                             ;   in Loop: Header=BB25_8 Depth=1
	s_mov_b32 s9, 1
	s_and_b32 vcc_lo, exec_lo, s23
	s_mov_b32 s20, -1
	s_cbranch_vccz .LBB25_115
.LBB25_117:                             ;   in Loop: Header=BB25_8 Depth=1
	s_cmp_eq_u32 s27, 1
	s_mov_b32 s16, -1
	s_cselect_b32 s9, -1, 0
	s_cmp_eq_u32 s28, 1
	s_cselect_b32 s14, -1, 0
	s_delay_alu instid0(SALU_CYCLE_1) | instskip(NEXT) | instid1(SALU_CYCLE_1)
	s_and_b32 s14, s9, s14
	s_and_b32 vcc_lo, exec_lo, s14
	s_cbranch_vccz .LBB25_129
; %bb.118:                              ;   in Loop: Header=BB25_8 Depth=1
	ds_load_b32 v2, v12 offset:4096
	s_waitcnt lgkmcnt(0)
	s_barrier
	buffer_gl0_inv
	v_readfirstlane_b32 s15, v2
	s_and_saveexec_b32 s9, s1
	s_cbranch_execz .LBB25_120
; %bb.119:                              ;   in Loop: Header=BB25_8 Depth=1
	v_mov_b32_e32 v11, v12
	ds_store_b64 v25, v[11:12]
.LBB25_120:                             ;   in Loop: Header=BB25_8 Depth=1
	s_or_b32 exec_lo, exec_lo, s9
	s_lshl_b64 s[16:17], 1, s22
	s_and_b64 s[24:25], s[46:47], s[12:13]
	s_or_b64 s[48:49], s[48:49], s[10:11]
	s_or_b64 s[46:47], s[24:25], s[16:17]
	s_cmp_gt_i32 s15, 0
	s_waitcnt lgkmcnt(0)
	s_barrier
	buffer_gl0_inv
	s_cbranch_scc1 .LBB25_130
; %bb.121:                              ;   in Loop: Header=BB25_8 Depth=1
	s_mov_b32 s16, 0
                                        ; implicit-def: $vgpr4_vgpr5
	s_and_saveexec_b32 s17, s8
	s_cbranch_execz .LBB25_132
; %bb.122:                              ;   in Loop: Header=BB25_8 Depth=1
	v_mov_b32_e32 v6, v10
	v_mov_b32_e32 v8, v0
	s_mov_b32 s23, 0
                                        ; implicit-def: $sgpr16
	s_set_inst_prefetch_distance 0x1
	s_branch .LBB25_124
	.p2align	6
.LBB25_123:                             ;   in Loop: Header=BB25_124 Depth=2
	s_or_b32 exec_lo, exec_lo, s9
	s_waitcnt vmcnt(0) lgkmcnt(0)
	s_barrier
	buffer_gl0_inv
	ds_load_b128 v[2:5], v12 offset:3072
	v_add_nc_u32_e32 v8, s60, v8
	v_add_nc_u32_e32 v6, s63, v6
	s_waitcnt lgkmcnt(0)
	s_barrier
	buffer_gl0_inv
	v_cmp_le_i32_e32 vcc_lo, s75, v8
	v_readfirstlane_b32 s25, v3
	v_readfirstlane_b32 s24, v2
	s_delay_alu instid0(VALU_DEP_1) | instskip(SKIP_1) | instid1(SALU_CYCLE_1)
	s_cmp_lg_u64 s[24:25], 0
	s_cselect_b32 s9, -1, 0
	s_or_b32 s24, vcc_lo, s9
	s_delay_alu instid0(SALU_CYCLE_1) | instskip(NEXT) | instid1(SALU_CYCLE_1)
	s_and_b32 s24, exec_lo, s24
	s_or_b32 s23, s24, s23
	s_and_not1_b32 s16, s16, exec_lo
	s_and_b32 s9, s9, exec_lo
	s_delay_alu instid0(SALU_CYCLE_1)
	s_or_b32 s16, s16, s9
	s_and_not1_b32 exec_lo, exec_lo, s23
	s_cbranch_execz .LBB25_131
.LBB25_124:                             ;   Parent Loop BB25_8 Depth=1
                                        ; =>  This Inner Loop Header: Depth=2
	v_mov_b32_e32 v3, 0
	v_mov_b32_e32 v4, 0
	v_cmp_gt_i32_e32 vcc_lo, s36, v8
	s_and_saveexec_b32 s24, vcc_lo
	s_cbranch_execz .LBB25_126
; %bb.125:                              ;   in Loop: Header=BB25_124 Depth=2
	v_ashrrev_i32_e32 v7, 31, v6
	s_delay_alu instid0(VALU_DEP_1) | instskip(NEXT) | instid1(VALU_DEP_1)
	v_lshlrev_b64 v[2:3], 3, v[6:7]
	v_add_co_u32 v2, s9, s58, v2
	s_delay_alu instid0(VALU_DEP_1)
	v_add_co_ci_u32_e64 v3, s9, s59, v3, s9
	global_load_b64 v[3:4], v[2:3], off
.LBB25_126:                             ;   in Loop: Header=BB25_124 Depth=2
	s_or_b32 exec_lo, exec_lo, s24
	s_and_saveexec_b32 s9, vcc_lo
	s_cbranch_execz .LBB25_123
; %bb.127:                              ;   in Loop: Header=BB25_124 Depth=2
	s_waitcnt vmcnt(0)
	v_xor_b32_e32 v2, 0x80000000, v4
	v_and_b32_e32 v18, s48, v3
	s_delay_alu instid0(VALU_DEP_2) | instskip(NEXT) | instid1(VALU_DEP_1)
	v_and_b32_e32 v19, s49, v2
	v_cmp_eq_u64_e32 vcc_lo, s[46:47], v[18:19]
	s_and_b32 exec_lo, exec_lo, vcc_lo
	s_cbranch_execz .LBB25_123
; %bb.128:                              ;   in Loop: Header=BB25_124 Depth=2
	v_mov_b32_e32 v2, v12
	ds_store_b128 v12, v[1:4] offset:3072
	s_branch .LBB25_123
.LBB25_129:                             ;   in Loop: Header=BB25_8 Depth=1
                                        ; implicit-def: $sgpr24
                                        ; implicit-def: $sgpr25
                                        ; implicit-def: $sgpr23
	s_branch .LBB25_143
.LBB25_130:                             ;   in Loop: Header=BB25_8 Depth=1
	s_mov_b32 s24, -1
	s_mov_b32 s16, 0
                                        ; implicit-def: $sgpr23
                                        ; implicit-def: $vgpr4_vgpr5
	s_mov_b32 s25, s24
	s_cbranch_execnz .LBB25_133
	s_branch .LBB25_143
.LBB25_131:                             ;   in Loop: Header=BB25_8 Depth=1
	s_set_inst_prefetch_distance 0x2
	s_or_b32 exec_lo, exec_lo, s23
	s_delay_alu instid0(SALU_CYCLE_1)
	s_and_b32 s16, s16, exec_lo
.LBB25_132:                             ;   in Loop: Header=BB25_8 Depth=1
	s_or_b32 exec_lo, exec_lo, s17
	s_mov_b32 s23, -1
	s_mov_b32 s24, 0
	s_delay_alu instid0(SALU_CYCLE_1)
	s_mov_b32 s25, s24
	s_branch .LBB25_143
.LBB25_133:                             ;   in Loop: Header=BB25_8 Depth=1
	s_add_i32 s17, s15, s64
                                        ; implicit-def: $vgpr4_vgpr5
	s_delay_alu instid0(SALU_CYCLE_1) | instskip(NEXT) | instid1(SALU_CYCLE_1)
	s_abs_i32 s9, s17
	s_mul_hi_u32 s16, s9, s74
	s_delay_alu instid0(SALU_CYCLE_1) | instskip(NEXT) | instid1(SALU_CYCLE_1)
	s_mul_i32 s16, s16, s60
	s_sub_i32 s9, s9, s16
	s_ashr_i32 s16, s17, 31
	s_sub_i32 s23, s9, s60
	s_cmp_ge_u32 s9, s60
	s_cselect_b32 s9, s23, s9
	s_delay_alu instid0(SALU_CYCLE_1) | instskip(SKIP_2) | instid1(SALU_CYCLE_1)
	s_sub_i32 s23, s9, s60
	s_cmp_ge_u32 s9, s60
	s_cselect_b32 s9, s23, s9
	s_xor_b32 s9, s9, s16
	s_delay_alu instid0(SALU_CYCLE_1)
	s_sub_i32 s9, s16, s9
	s_mov_b32 s16, 0
	s_add_i32 s17, s17, s9
	s_mov_b32 s9, exec_lo
	v_cmpx_gt_i32_e64 s17, v0
	s_cbranch_execz .LBB25_142
; %bb.134:                              ;   in Loop: Header=BB25_8 Depth=1
	v_mov_b32_e32 v6, v24
	v_mov_b32_e32 v7, v0
	s_mov_b32 s23, 0
                                        ; implicit-def: $sgpr16
	s_set_inst_prefetch_distance 0x1
	s_branch .LBB25_136
	.p2align	6
.LBB25_135:                             ;   in Loop: Header=BB25_136 Depth=2
	s_or_b32 exec_lo, exec_lo, s24
	s_waitcnt lgkmcnt(0)
	s_barrier
	buffer_gl0_inv
	ds_load_b128 v[2:5], v12 offset:3072
	v_add_nc_u32_e32 v7, s60, v7
	v_add_nc_u32_e32 v6, s78, v6
	s_waitcnt lgkmcnt(0)
	s_barrier
	buffer_gl0_inv
	v_cmp_le_i32_e32 vcc_lo, s17, v7
	v_readfirstlane_b32 s25, v3
	v_readfirstlane_b32 s24, v2
	s_delay_alu instid0(VALU_DEP_1) | instskip(SKIP_1) | instid1(SALU_CYCLE_1)
	s_cmp_lg_u64 s[24:25], 0
	s_cselect_b32 s24, -1, 0
	s_or_b32 s25, vcc_lo, s24
	s_delay_alu instid0(SALU_CYCLE_1) | instskip(NEXT) | instid1(SALU_CYCLE_1)
	s_and_b32 s25, exec_lo, s25
	s_or_b32 s23, s25, s23
	s_and_not1_b32 s16, s16, exec_lo
	s_and_b32 s24, s24, exec_lo
	s_delay_alu instid0(SALU_CYCLE_1)
	s_or_b32 s16, s16, s24
	s_and_not1_b32 exec_lo, exec_lo, s23
	s_cbranch_execz .LBB25_141
.LBB25_136:                             ;   Parent Loop BB25_8 Depth=1
                                        ; =>  This Inner Loop Header: Depth=2
	v_mov_b32_e32 v3, 0
	v_mov_b32_e32 v4, 0
	v_cmp_gt_i32_e32 vcc_lo, s15, v7
	s_and_saveexec_b32 s24, vcc_lo
	s_cbranch_execz .LBB25_138
; %bb.137:                              ;   in Loop: Header=BB25_136 Depth=2
	ds_load_b64 v[3:4], v6
.LBB25_138:                             ;   in Loop: Header=BB25_136 Depth=2
	s_or_b32 exec_lo, exec_lo, s24
	s_and_saveexec_b32 s24, vcc_lo
	s_cbranch_execz .LBB25_135
; %bb.139:                              ;   in Loop: Header=BB25_136 Depth=2
	s_waitcnt lgkmcnt(0)
	v_xor_b32_e32 v2, 0x80000000, v4
	v_and_b32_e32 v8, s48, v3
	s_delay_alu instid0(VALU_DEP_2) | instskip(NEXT) | instid1(VALU_DEP_1)
	v_and_b32_e32 v9, s49, v2
	v_cmp_eq_u64_e32 vcc_lo, s[46:47], v[8:9]
	s_and_b32 exec_lo, exec_lo, vcc_lo
	s_cbranch_execz .LBB25_135
; %bb.140:                              ;   in Loop: Header=BB25_136 Depth=2
	v_mov_b32_e32 v2, v12
	ds_store_b128 v12, v[1:4] offset:3072
	s_branch .LBB25_135
.LBB25_141:                             ;   in Loop: Header=BB25_8 Depth=1
	s_set_inst_prefetch_distance 0x2
	s_or_b32 exec_lo, exec_lo, s23
	s_delay_alu instid0(SALU_CYCLE_1)
	s_and_b32 s16, s16, exec_lo
.LBB25_142:                             ;   in Loop: Header=BB25_8 Depth=1
	s_or_b32 exec_lo, exec_lo, s9
	s_mov_b32 s25, -1
	s_mov_b32 s24, 0
	s_mov_b32 s23, 0
.LBB25_143:                             ;   in Loop: Header=BB25_8 Depth=1
	s_mov_b32 s15, 0
                                        ; implicit-def: $sgpr9
	s_and_saveexec_b32 s26, s16
	s_cbranch_execz .LBB25_239
; %bb.144:                              ;   in Loop: Header=BB25_8 Depth=1
	s_xor_b32 s9, s14, -1
	s_mov_b32 s37, 0
	s_and_not1_b32 vcc_lo, exec_lo, s9
	s_mov_b32 s88, 1
	s_cbranch_vccnz .LBB25_155
; %bb.145:                              ;   in Loop: Header=BB25_8 Depth=1
	s_cmp_gt_i32 s28, s27
	s_mov_b32 s37, -1
                                        ; implicit-def: $sgpr9
                                        ; implicit-def: $sgpr14_sgpr15
                                        ; implicit-def: $sgpr16_sgpr17
	s_cbranch_scc1 .LBB25_151
; %bb.146:                              ;   in Loop: Header=BB25_8 Depth=1
	ds_load_b32 v2, v12 offset:4096
	s_waitcnt lgkmcnt(0)
	v_cmp_ne_u32_e32 vcc_lo, 0, v2
	s_cbranch_vccnz .LBB25_150
; %bb.147:                              ;   in Loop: Header=BB25_8 Depth=1
	s_and_saveexec_b32 s9, s0
	s_cbranch_execz .LBB25_149
; %bb.148:                              ;   in Loop: Header=BB25_8 Depth=1
	v_mov_b32_e32 v2, s27
	ds_store_b32 v12, v2 offset:4100
.LBB25_149:                             ;   in Loop: Header=BB25_8 Depth=1
	s_or_b32 exec_lo, exec_lo, s9
	s_waitcnt lgkmcnt(0)
	s_barrier
	buffer_gl0_inv
.LBB25_150:                             ;   in Loop: Header=BB25_8 Depth=1
	s_lshl_b64 s[14:15], 1, s22
	s_and_b64 s[16:17], s[46:47], s[12:13]
	s_mov_b32 s37, 0
	s_or_b64 s[14:15], s[16:17], s[14:15]
	s_or_b64 s[16:17], s[48:49], s[10:11]
	s_mov_b32 s9, 8
.LBB25_151:                             ;   in Loop: Header=BB25_8 Depth=1
	s_and_not1_b32 vcc_lo, exec_lo, s37
	s_cbranch_vccnz .LBB25_153
; %bb.152:                              ;   in Loop: Header=BB25_8 Depth=1
	s_sub_i32 s28, s28, s27
	s_mov_b32 s37, -1
	s_mov_b32 s9, 0
	s_mov_b64 s[14:15], s[46:47]
	s_mov_b64 s[16:17], s[48:49]
.LBB25_153:                             ;   in Loop: Header=BB25_8 Depth=1
	s_delay_alu instid0(SALU_CYCLE_1)
	s_mov_b64 s[48:49], s[16:17]
	s_mov_b64 s[46:47], s[14:15]
	s_mov_b32 s88, s28
	s_and_not1_b32 vcc_lo, exec_lo, s37
	s_mov_b32 s15, -1
	s_cbranch_vccz .LBB25_156
.LBB25_154:                             ;   in Loop: Header=BB25_8 Depth=1
                                        ; implicit-def: $sgpr28
                                        ; implicit-def: $sgpr37
                                        ; implicit-def: $sgpr27
	s_branch .LBB25_238
.LBB25_155:                             ;   in Loop: Header=BB25_8 Depth=1
	s_mov_b32 s9, 1
	s_and_not1_b32 vcc_lo, exec_lo, s37
	s_mov_b32 s15, -1
	s_cbranch_vccnz .LBB25_154
.LBB25_156:                             ;   in Loop: Header=BB25_8 Depth=1
	s_cmp_eq_u32 s21, 1
	s_mov_b32 s16, -1
	s_cselect_b32 s9, -1, 0
	s_cmp_eq_u32 s88, 1
	s_cselect_b32 s14, -1, 0
	s_delay_alu instid0(SALU_CYCLE_1) | instskip(NEXT) | instid1(SALU_CYCLE_1)
	s_and_b32 s14, s9, s14
	s_and_b32 vcc_lo, exec_lo, s14
	s_cbranch_vccz .LBB25_168
; %bb.157:                              ;   in Loop: Header=BB25_8 Depth=1
	ds_load_b32 v2, v12 offset:4096
	s_waitcnt lgkmcnt(0)
	s_barrier
	buffer_gl0_inv
	v_readfirstlane_b32 s15, v2
	s_and_saveexec_b32 s9, s1
	s_cbranch_execz .LBB25_159
; %bb.158:                              ;   in Loop: Header=BB25_8 Depth=1
	v_mov_b32_e32 v11, v12
	ds_store_b64 v25, v[11:12]
.LBB25_159:                             ;   in Loop: Header=BB25_8 Depth=1
	s_or_b32 exec_lo, exec_lo, s9
	s_lshl_b64 s[16:17], 2, s22
	s_and_b64 s[46:47], s[46:47], s[12:13]
	s_or_b64 s[48:49], s[48:49], s[10:11]
	s_or_b64 s[46:47], s[46:47], s[16:17]
	s_cmp_gt_i32 s15, 0
	s_waitcnt lgkmcnt(0)
	s_barrier
	buffer_gl0_inv
	s_cbranch_scc1 .LBB25_169
; %bb.160:                              ;   in Loop: Header=BB25_8 Depth=1
	s_mov_b32 s16, 0
                                        ; implicit-def: $vgpr4_vgpr5
	s_and_saveexec_b32 s17, s8
	s_cbranch_execz .LBB25_171
; %bb.161:                              ;   in Loop: Header=BB25_8 Depth=1
	v_mov_b32_e32 v6, v10
	v_mov_b32_e32 v8, v0
	s_mov_b32 s27, 0
                                        ; implicit-def: $sgpr16
	s_set_inst_prefetch_distance 0x1
	s_branch .LBB25_163
	.p2align	6
.LBB25_162:                             ;   in Loop: Header=BB25_163 Depth=2
	s_or_b32 exec_lo, exec_lo, s9
	s_waitcnt vmcnt(0) lgkmcnt(0)
	s_barrier
	buffer_gl0_inv
	ds_load_b128 v[2:5], v12 offset:3072
	v_add_nc_u32_e32 v8, s60, v8
	v_add_nc_u32_e32 v6, s63, v6
	s_waitcnt lgkmcnt(0)
	s_barrier
	buffer_gl0_inv
	v_cmp_le_i32_e32 vcc_lo, s75, v8
	v_readfirstlane_b32 s91, v3
	v_readfirstlane_b32 s90, v2
	s_delay_alu instid0(VALU_DEP_1) | instskip(SKIP_1) | instid1(SALU_CYCLE_1)
	s_cmp_lg_u64 s[90:91], 0
	s_cselect_b32 s9, -1, 0
	s_or_b32 s28, vcc_lo, s9
	s_delay_alu instid0(SALU_CYCLE_1) | instskip(NEXT) | instid1(SALU_CYCLE_1)
	s_and_b32 s28, exec_lo, s28
	s_or_b32 s27, s28, s27
	s_and_not1_b32 s16, s16, exec_lo
	s_and_b32 s9, s9, exec_lo
	s_delay_alu instid0(SALU_CYCLE_1)
	s_or_b32 s16, s16, s9
	s_and_not1_b32 exec_lo, exec_lo, s27
	s_cbranch_execz .LBB25_170
.LBB25_163:                             ;   Parent Loop BB25_8 Depth=1
                                        ; =>  This Inner Loop Header: Depth=2
	v_mov_b32_e32 v3, 0
	v_mov_b32_e32 v4, 0
	v_cmp_gt_i32_e32 vcc_lo, s36, v8
	s_and_saveexec_b32 s28, vcc_lo
	s_cbranch_execz .LBB25_165
; %bb.164:                              ;   in Loop: Header=BB25_163 Depth=2
	v_ashrrev_i32_e32 v7, 31, v6
	s_delay_alu instid0(VALU_DEP_1) | instskip(NEXT) | instid1(VALU_DEP_1)
	v_lshlrev_b64 v[2:3], 3, v[6:7]
	v_add_co_u32 v2, s9, s58, v2
	s_delay_alu instid0(VALU_DEP_1)
	v_add_co_ci_u32_e64 v3, s9, s59, v3, s9
	global_load_b64 v[3:4], v[2:3], off
.LBB25_165:                             ;   in Loop: Header=BB25_163 Depth=2
	s_or_b32 exec_lo, exec_lo, s28
	s_and_saveexec_b32 s9, vcc_lo
	s_cbranch_execz .LBB25_162
; %bb.166:                              ;   in Loop: Header=BB25_163 Depth=2
	s_waitcnt vmcnt(0)
	v_xor_b32_e32 v2, 0x80000000, v4
	v_and_b32_e32 v18, s48, v3
	s_delay_alu instid0(VALU_DEP_2) | instskip(NEXT) | instid1(VALU_DEP_1)
	v_and_b32_e32 v19, s49, v2
	v_cmp_eq_u64_e32 vcc_lo, s[46:47], v[18:19]
	s_and_b32 exec_lo, exec_lo, vcc_lo
	s_cbranch_execz .LBB25_162
; %bb.167:                              ;   in Loop: Header=BB25_163 Depth=2
	v_mov_b32_e32 v2, v12
	ds_store_b128 v12, v[1:4] offset:3072
	s_branch .LBB25_162
.LBB25_168:                             ;   in Loop: Header=BB25_8 Depth=1
                                        ; implicit-def: $sgpr27
                                        ; implicit-def: $sgpr37
                                        ; implicit-def: $sgpr28
	s_branch .LBB25_182
.LBB25_169:                             ;   in Loop: Header=BB25_8 Depth=1
	s_mov_b32 s27, -1
	s_mov_b32 s16, 0
                                        ; implicit-def: $sgpr28
                                        ; implicit-def: $vgpr4_vgpr5
	s_mov_b32 s37, s27
	s_cbranch_execnz .LBB25_172
	s_branch .LBB25_182
.LBB25_170:                             ;   in Loop: Header=BB25_8 Depth=1
	s_set_inst_prefetch_distance 0x2
	s_or_b32 exec_lo, exec_lo, s27
	s_delay_alu instid0(SALU_CYCLE_1)
	s_and_b32 s16, s16, exec_lo
.LBB25_171:                             ;   in Loop: Header=BB25_8 Depth=1
	s_or_b32 exec_lo, exec_lo, s17
	s_mov_b32 s28, -1
	s_mov_b32 s27, 0
	s_delay_alu instid0(SALU_CYCLE_1)
	s_mov_b32 s37, s27
	s_branch .LBB25_182
.LBB25_172:                             ;   in Loop: Header=BB25_8 Depth=1
	s_add_i32 s17, s15, s64
                                        ; implicit-def: $vgpr4_vgpr5
	s_delay_alu instid0(SALU_CYCLE_1) | instskip(NEXT) | instid1(SALU_CYCLE_1)
	s_abs_i32 s9, s17
	s_mul_hi_u32 s16, s9, s74
	s_delay_alu instid0(SALU_CYCLE_1) | instskip(NEXT) | instid1(SALU_CYCLE_1)
	s_mul_i32 s16, s16, s60
	s_sub_i32 s9, s9, s16
	s_ashr_i32 s16, s17, 31
	s_sub_i32 s27, s9, s60
	s_cmp_ge_u32 s9, s60
	s_cselect_b32 s9, s27, s9
	s_delay_alu instid0(SALU_CYCLE_1) | instskip(SKIP_2) | instid1(SALU_CYCLE_1)
	s_sub_i32 s27, s9, s60
	s_cmp_ge_u32 s9, s60
	s_cselect_b32 s9, s27, s9
	s_xor_b32 s9, s9, s16
	s_delay_alu instid0(SALU_CYCLE_1)
	s_sub_i32 s9, s16, s9
	s_mov_b32 s16, 0
	s_add_i32 s17, s17, s9
	s_mov_b32 s9, exec_lo
	v_cmpx_gt_i32_e64 s17, v0
	s_cbranch_execz .LBB25_181
; %bb.173:                              ;   in Loop: Header=BB25_8 Depth=1
	v_mov_b32_e32 v6, v24
	v_mov_b32_e32 v7, v0
	s_mov_b32 s27, 0
                                        ; implicit-def: $sgpr16
	s_set_inst_prefetch_distance 0x1
	s_branch .LBB25_175
	.p2align	6
.LBB25_174:                             ;   in Loop: Header=BB25_175 Depth=2
	s_or_b32 exec_lo, exec_lo, s28
	s_waitcnt lgkmcnt(0)
	s_barrier
	buffer_gl0_inv
	ds_load_b128 v[2:5], v12 offset:3072
	v_add_nc_u32_e32 v7, s60, v7
	v_add_nc_u32_e32 v6, s78, v6
	s_waitcnt lgkmcnt(0)
	s_barrier
	buffer_gl0_inv
	v_cmp_le_i32_e32 vcc_lo, s17, v7
	v_readfirstlane_b32 s91, v3
	v_readfirstlane_b32 s90, v2
	s_delay_alu instid0(VALU_DEP_1) | instskip(SKIP_1) | instid1(SALU_CYCLE_1)
	s_cmp_lg_u64 s[90:91], 0
	s_cselect_b32 s28, -1, 0
	s_or_b32 s37, vcc_lo, s28
	s_delay_alu instid0(SALU_CYCLE_1) | instskip(NEXT) | instid1(SALU_CYCLE_1)
	s_and_b32 s37, exec_lo, s37
	s_or_b32 s27, s37, s27
	s_and_not1_b32 s16, s16, exec_lo
	s_and_b32 s28, s28, exec_lo
	s_delay_alu instid0(SALU_CYCLE_1)
	s_or_b32 s16, s16, s28
	s_and_not1_b32 exec_lo, exec_lo, s27
	s_cbranch_execz .LBB25_180
.LBB25_175:                             ;   Parent Loop BB25_8 Depth=1
                                        ; =>  This Inner Loop Header: Depth=2
	v_mov_b32_e32 v3, 0
	v_mov_b32_e32 v4, 0
	v_cmp_gt_i32_e32 vcc_lo, s15, v7
	s_and_saveexec_b32 s28, vcc_lo
	s_cbranch_execz .LBB25_177
; %bb.176:                              ;   in Loop: Header=BB25_175 Depth=2
	ds_load_b64 v[3:4], v6
.LBB25_177:                             ;   in Loop: Header=BB25_175 Depth=2
	s_or_b32 exec_lo, exec_lo, s28
	s_and_saveexec_b32 s28, vcc_lo
	s_cbranch_execz .LBB25_174
; %bb.178:                              ;   in Loop: Header=BB25_175 Depth=2
	s_waitcnt lgkmcnt(0)
	v_xor_b32_e32 v2, 0x80000000, v4
	v_and_b32_e32 v8, s48, v3
	s_delay_alu instid0(VALU_DEP_2) | instskip(NEXT) | instid1(VALU_DEP_1)
	v_and_b32_e32 v9, s49, v2
	v_cmp_eq_u64_e32 vcc_lo, s[46:47], v[8:9]
	s_and_b32 exec_lo, exec_lo, vcc_lo
	s_cbranch_execz .LBB25_174
; %bb.179:                              ;   in Loop: Header=BB25_175 Depth=2
	v_mov_b32_e32 v2, v12
	ds_store_b128 v12, v[1:4] offset:3072
	s_branch .LBB25_174
.LBB25_180:                             ;   in Loop: Header=BB25_8 Depth=1
	s_set_inst_prefetch_distance 0x2
	s_or_b32 exec_lo, exec_lo, s27
	s_delay_alu instid0(SALU_CYCLE_1)
	s_and_b32 s16, s16, exec_lo
.LBB25_181:                             ;   in Loop: Header=BB25_8 Depth=1
	s_or_b32 exec_lo, exec_lo, s9
	s_mov_b32 s37, -1
	s_mov_b32 s27, 0
	s_mov_b32 s28, 0
.LBB25_182:                             ;   in Loop: Header=BB25_8 Depth=1
	s_mov_b32 s15, 0
                                        ; implicit-def: $sgpr9
	s_and_saveexec_b32 s87, s16
	s_cbranch_execz .LBB25_237
; %bb.183:                              ;   in Loop: Header=BB25_8 Depth=1
	s_xor_b32 s9, s14, -1
	s_mov_b32 s89, 0
	s_and_not1_b32 vcc_lo, exec_lo, s9
	s_mov_b32 s14, 1
	s_cbranch_vccnz .LBB25_194
; %bb.184:                              ;   in Loop: Header=BB25_8 Depth=1
	s_cmp_gt_i32 s88, s21
	s_mov_b32 s89, -1
                                        ; implicit-def: $sgpr9
                                        ; implicit-def: $sgpr14_sgpr15
                                        ; implicit-def: $sgpr16_sgpr17
	s_cbranch_scc1 .LBB25_190
; %bb.185:                              ;   in Loop: Header=BB25_8 Depth=1
	ds_load_b32 v2, v12 offset:4096
	s_waitcnt lgkmcnt(0)
	v_cmp_ne_u32_e32 vcc_lo, 0, v2
	s_cbranch_vccnz .LBB25_189
; %bb.186:                              ;   in Loop: Header=BB25_8 Depth=1
	s_and_saveexec_b32 s9, s0
	s_cbranch_execz .LBB25_188
; %bb.187:                              ;   in Loop: Header=BB25_8 Depth=1
	v_mov_b32_e32 v2, s21
	ds_store_b32 v12, v2 offset:4100
.LBB25_188:                             ;   in Loop: Header=BB25_8 Depth=1
	s_or_b32 exec_lo, exec_lo, s9
	s_waitcnt lgkmcnt(0)
	s_barrier
	buffer_gl0_inv
.LBB25_189:                             ;   in Loop: Header=BB25_8 Depth=1
	s_lshl_b64 s[14:15], 2, s22
	s_and_b64 s[12:13], s[46:47], s[12:13]
	s_or_b64 s[16:17], s[48:49], s[10:11]
	s_or_b64 s[14:15], s[12:13], s[14:15]
	s_mov_b32 s89, 0
	s_mov_b32 s9, 8
.LBB25_190:                             ;   in Loop: Header=BB25_8 Depth=1
	s_and_not1_b32 vcc_lo, exec_lo, s89
	s_cbranch_vccnz .LBB25_192
; %bb.191:                              ;   in Loop: Header=BB25_8 Depth=1
	s_sub_i32 s88, s88, s21
	s_mov_b32 s89, -1
	s_mov_b32 s9, 0
	s_mov_b64 s[14:15], s[46:47]
	s_mov_b64 s[16:17], s[48:49]
.LBB25_192:                             ;   in Loop: Header=BB25_8 Depth=1
	s_delay_alu instid0(SALU_CYCLE_1)
	s_mov_b64 s[48:49], s[16:17]
	s_mov_b64 s[46:47], s[14:15]
	s_mov_b32 s14, s88
	s_and_not1_b32 vcc_lo, exec_lo, s89
	s_mov_b32 s13, -1
	s_cbranch_vccz .LBB25_195
.LBB25_193:                             ;   in Loop: Header=BB25_8 Depth=1
                                        ; implicit-def: $sgpr15
                                        ; implicit-def: $sgpr17
                                        ; implicit-def: $sgpr16
	s_branch .LBB25_236
.LBB25_194:                             ;   in Loop: Header=BB25_8 Depth=1
	s_mov_b32 s9, 1
	s_and_not1_b32 vcc_lo, exec_lo, s89
	s_mov_b32 s13, -1
	s_cbranch_vccnz .LBB25_193
.LBB25_195:                             ;   in Loop: Header=BB25_8 Depth=1
	s_cmp_eq_u32 s18, 1
	s_mov_b32 s21, -1
	s_cselect_b32 s9, -1, 0
	s_cmp_eq_u32 s14, 1
	s_cselect_b32 s12, -1, 0
	s_delay_alu instid0(SALU_CYCLE_1) | instskip(NEXT) | instid1(SALU_CYCLE_1)
	s_and_b32 s12, s9, s12
	s_and_b32 vcc_lo, exec_lo, s12
	s_cbranch_vccz .LBB25_207
; %bb.196:                              ;   in Loop: Header=BB25_8 Depth=1
	ds_load_b32 v2, v12 offset:4096
	s_waitcnt lgkmcnt(0)
	s_barrier
	buffer_gl0_inv
	v_readfirstlane_b32 s13, v2
	s_and_saveexec_b32 s9, s1
	s_cbranch_execz .LBB25_198
; %bb.197:                              ;   in Loop: Header=BB25_8 Depth=1
	v_mov_b32_e32 v11, v12
	ds_store_b64 v25, v[11:12]
.LBB25_198:                             ;   in Loop: Header=BB25_8 Depth=1
	s_or_b32 exec_lo, exec_lo, s9
	s_or_b64 s[46:47], s[46:47], s[10:11]
	s_or_b64 s[48:49], s[48:49], s[10:11]
	s_cmp_gt_i32 s13, 0
	s_waitcnt lgkmcnt(0)
	s_barrier
	buffer_gl0_inv
	s_cbranch_scc1 .LBB25_208
; %bb.199:                              ;   in Loop: Header=BB25_8 Depth=1
	s_mov_b32 s21, 0
                                        ; implicit-def: $vgpr4_vgpr5
	s_and_saveexec_b32 s15, s8
	s_cbranch_execz .LBB25_210
; %bb.200:                              ;   in Loop: Header=BB25_8 Depth=1
	v_mov_b32_e32 v6, v10
	v_mov_b32_e32 v8, v0
	s_mov_b32 s17, 0
                                        ; implicit-def: $sgpr16
	s_set_inst_prefetch_distance 0x1
	s_branch .LBB25_202
	.p2align	6
.LBB25_201:                             ;   in Loop: Header=BB25_202 Depth=2
	s_or_b32 exec_lo, exec_lo, s9
	s_waitcnt vmcnt(0) lgkmcnt(0)
	s_barrier
	buffer_gl0_inv
	ds_load_b128 v[2:5], v12 offset:3072
	v_add_nc_u32_e32 v8, s60, v8
	v_add_nc_u32_e32 v6, s63, v6
	s_waitcnt lgkmcnt(0)
	s_barrier
	buffer_gl0_inv
	v_cmp_le_i32_e32 vcc_lo, s75, v8
	v_readfirstlane_b32 s89, v3
	v_readfirstlane_b32 s88, v2
	s_delay_alu instid0(VALU_DEP_1) | instskip(SKIP_1) | instid1(SALU_CYCLE_1)
	s_cmp_lg_u64 s[88:89], 0
	s_cselect_b32 s9, -1, 0
	s_or_b32 s21, vcc_lo, s9
	s_delay_alu instid0(SALU_CYCLE_1) | instskip(NEXT) | instid1(SALU_CYCLE_1)
	s_and_b32 s21, exec_lo, s21
	s_or_b32 s17, s21, s17
	s_and_not1_b32 s16, s16, exec_lo
	s_and_b32 s9, s9, exec_lo
	s_delay_alu instid0(SALU_CYCLE_1)
	s_or_b32 s16, s16, s9
	s_and_not1_b32 exec_lo, exec_lo, s17
	s_cbranch_execz .LBB25_209
.LBB25_202:                             ;   Parent Loop BB25_8 Depth=1
                                        ; =>  This Inner Loop Header: Depth=2
	v_mov_b32_e32 v3, 0
	v_mov_b32_e32 v4, 0
	v_cmp_gt_i32_e32 vcc_lo, s36, v8
	s_and_saveexec_b32 s21, vcc_lo
	s_cbranch_execz .LBB25_204
; %bb.203:                              ;   in Loop: Header=BB25_202 Depth=2
	v_ashrrev_i32_e32 v7, 31, v6
	s_delay_alu instid0(VALU_DEP_1) | instskip(NEXT) | instid1(VALU_DEP_1)
	v_lshlrev_b64 v[2:3], 3, v[6:7]
	v_add_co_u32 v2, s9, s58, v2
	s_delay_alu instid0(VALU_DEP_1)
	v_add_co_ci_u32_e64 v3, s9, s59, v3, s9
	global_load_b64 v[3:4], v[2:3], off
.LBB25_204:                             ;   in Loop: Header=BB25_202 Depth=2
	s_or_b32 exec_lo, exec_lo, s21
	s_and_saveexec_b32 s9, vcc_lo
	s_cbranch_execz .LBB25_201
; %bb.205:                              ;   in Loop: Header=BB25_202 Depth=2
	s_waitcnt vmcnt(0)
	v_xor_b32_e32 v2, 0x80000000, v4
	v_and_b32_e32 v18, s48, v3
	s_delay_alu instid0(VALU_DEP_2) | instskip(NEXT) | instid1(VALU_DEP_1)
	v_and_b32_e32 v19, s49, v2
	v_cmp_eq_u64_e32 vcc_lo, s[46:47], v[18:19]
	s_and_b32 exec_lo, exec_lo, vcc_lo
	s_cbranch_execz .LBB25_201
; %bb.206:                              ;   in Loop: Header=BB25_202 Depth=2
	v_mov_b32_e32 v2, v12
	ds_store_b128 v12, v[1:4] offset:3072
	s_branch .LBB25_201
.LBB25_207:                             ;   in Loop: Header=BB25_8 Depth=1
                                        ; implicit-def: $sgpr15
                                        ; implicit-def: $sgpr17
                                        ; implicit-def: $sgpr16
	s_branch .LBB25_221
.LBB25_208:                             ;   in Loop: Header=BB25_8 Depth=1
	s_mov_b32 s15, -1
	s_mov_b32 s21, 0
                                        ; implicit-def: $sgpr16
                                        ; implicit-def: $vgpr4_vgpr5
	s_mov_b32 s17, s15
	s_cbranch_execnz .LBB25_211
	s_branch .LBB25_221
.LBB25_209:                             ;   in Loop: Header=BB25_8 Depth=1
	s_set_inst_prefetch_distance 0x2
	s_or_b32 exec_lo, exec_lo, s17
	s_delay_alu instid0(SALU_CYCLE_1)
	s_and_b32 s21, s16, exec_lo
.LBB25_210:                             ;   in Loop: Header=BB25_8 Depth=1
	s_or_b32 exec_lo, exec_lo, s15
	s_mov_b32 s16, -1
	s_mov_b32 s15, 0
	s_delay_alu instid0(SALU_CYCLE_1)
	s_mov_b32 s17, s15
	s_branch .LBB25_221
.LBB25_211:                             ;   in Loop: Header=BB25_8 Depth=1
	s_add_i32 s15, s13, s64
	s_mov_b32 s21, 0
	s_abs_i32 s9, s15
                                        ; implicit-def: $vgpr4_vgpr5
	s_delay_alu instid0(SALU_CYCLE_1) | instskip(NEXT) | instid1(SALU_CYCLE_1)
	s_mul_hi_u32 s16, s9, s74
	s_mul_i32 s16, s16, s60
	s_delay_alu instid0(SALU_CYCLE_1) | instskip(SKIP_4) | instid1(SALU_CYCLE_1)
	s_sub_i32 s9, s9, s16
	s_ashr_i32 s16, s15, 31
	s_sub_i32 s17, s9, s60
	s_cmp_ge_u32 s9, s60
	s_cselect_b32 s9, s17, s9
	s_sub_i32 s17, s9, s60
	s_cmp_ge_u32 s9, s60
	s_cselect_b32 s9, s17, s9
	s_delay_alu instid0(SALU_CYCLE_1) | instskip(NEXT) | instid1(SALU_CYCLE_1)
	s_xor_b32 s9, s9, s16
	s_sub_i32 s9, s16, s9
	s_delay_alu instid0(SALU_CYCLE_1)
	s_add_i32 s15, s15, s9
	s_mov_b32 s9, exec_lo
	v_cmpx_gt_i32_e64 s15, v0
	s_cbranch_execz .LBB25_220
; %bb.212:                              ;   in Loop: Header=BB25_8 Depth=1
	v_mov_b32_e32 v6, v24
	v_mov_b32_e32 v7, v0
	s_mov_b32 s17, 0
                                        ; implicit-def: $sgpr16
	s_set_inst_prefetch_distance 0x1
	s_branch .LBB25_214
	.p2align	6
.LBB25_213:                             ;   in Loop: Header=BB25_214 Depth=2
	s_or_b32 exec_lo, exec_lo, s21
	s_waitcnt lgkmcnt(0)
	s_barrier
	buffer_gl0_inv
	ds_load_b128 v[2:5], v12 offset:3072
	v_add_nc_u32_e32 v7, s60, v7
	v_add_nc_u32_e32 v6, s78, v6
	s_waitcnt lgkmcnt(0)
	s_barrier
	buffer_gl0_inv
	v_cmp_le_i32_e32 vcc_lo, s15, v7
	v_readfirstlane_b32 s89, v3
	v_readfirstlane_b32 s88, v2
	s_delay_alu instid0(VALU_DEP_1) | instskip(SKIP_1) | instid1(SALU_CYCLE_1)
	s_cmp_lg_u64 s[88:89], 0
	s_cselect_b32 s21, -1, 0
	s_or_b32 s22, vcc_lo, s21
	s_delay_alu instid0(SALU_CYCLE_1) | instskip(NEXT) | instid1(SALU_CYCLE_1)
	s_and_b32 s22, exec_lo, s22
	s_or_b32 s17, s22, s17
	s_and_not1_b32 s16, s16, exec_lo
	s_and_b32 s21, s21, exec_lo
	s_delay_alu instid0(SALU_CYCLE_1)
	s_or_b32 s16, s16, s21
	s_and_not1_b32 exec_lo, exec_lo, s17
	s_cbranch_execz .LBB25_219
.LBB25_214:                             ;   Parent Loop BB25_8 Depth=1
                                        ; =>  This Inner Loop Header: Depth=2
	v_mov_b32_e32 v3, 0
	v_mov_b32_e32 v4, 0
	v_cmp_gt_i32_e32 vcc_lo, s13, v7
	s_and_saveexec_b32 s21, vcc_lo
	s_cbranch_execz .LBB25_216
; %bb.215:                              ;   in Loop: Header=BB25_214 Depth=2
	ds_load_b64 v[3:4], v6
.LBB25_216:                             ;   in Loop: Header=BB25_214 Depth=2
	s_or_b32 exec_lo, exec_lo, s21
	s_and_saveexec_b32 s21, vcc_lo
	s_cbranch_execz .LBB25_213
; %bb.217:                              ;   in Loop: Header=BB25_214 Depth=2
	s_waitcnt lgkmcnt(0)
	v_xor_b32_e32 v2, 0x80000000, v4
	v_and_b32_e32 v8, s48, v3
	s_delay_alu instid0(VALU_DEP_2) | instskip(NEXT) | instid1(VALU_DEP_1)
	v_and_b32_e32 v9, s49, v2
	v_cmp_eq_u64_e32 vcc_lo, s[46:47], v[8:9]
	s_and_b32 exec_lo, exec_lo, vcc_lo
	s_cbranch_execz .LBB25_213
; %bb.218:                              ;   in Loop: Header=BB25_214 Depth=2
	v_mov_b32_e32 v2, v12
	ds_store_b128 v12, v[1:4] offset:3072
	s_branch .LBB25_213
.LBB25_219:                             ;   in Loop: Header=BB25_8 Depth=1
	s_set_inst_prefetch_distance 0x2
	s_or_b32 exec_lo, exec_lo, s17
	s_delay_alu instid0(SALU_CYCLE_1)
	s_and_b32 s21, s16, exec_lo
.LBB25_220:                             ;   in Loop: Header=BB25_8 Depth=1
	s_or_b32 exec_lo, exec_lo, s9
	s_mov_b32 s17, -1
	s_mov_b32 s15, 0
	s_mov_b32 s16, 0
.LBB25_221:                             ;   in Loop: Header=BB25_8 Depth=1
	s_mov_b32 s13, 0
                                        ; implicit-def: $sgpr9
	s_and_saveexec_b32 s22, s21
	s_cbranch_execz .LBB25_235
; %bb.222:                              ;   in Loop: Header=BB25_8 Depth=1
	s_xor_b32 s9, s12, -1
	s_delay_alu instid0(SALU_CYCLE_1)
	s_and_not1_b32 vcc_lo, exec_lo, s9
	s_mov_b32 s9, 1
	s_cbranch_vccnz .LBB25_229
; %bb.223:                              ;   in Loop: Header=BB25_8 Depth=1
	s_cmp_gt_i32 s14, s18
	s_cbranch_scc1 .LBB25_230
; %bb.224:                              ;   in Loop: Header=BB25_8 Depth=1
	ds_load_b32 v2, v12 offset:4096
	s_waitcnt lgkmcnt(0)
	v_cmp_ne_u32_e32 vcc_lo, 0, v2
	s_cbranch_vccnz .LBB25_228
; %bb.225:                              ;   in Loop: Header=BB25_8 Depth=1
	s_and_saveexec_b32 s9, s0
	s_cbranch_execz .LBB25_227
; %bb.226:                              ;   in Loop: Header=BB25_8 Depth=1
	v_mov_b32_e32 v2, s18
	ds_store_b32 v12, v2 offset:4100
.LBB25_227:                             ;   in Loop: Header=BB25_8 Depth=1
	s_or_b32 exec_lo, exec_lo, s9
	s_waitcnt lgkmcnt(0)
	s_barrier
	buffer_gl0_inv
.LBB25_228:                             ;   in Loop: Header=BB25_8 Depth=1
	s_or_b64 s[12:13], s[46:47], s[10:11]
	s_or_b64 s[10:11], s[48:49], s[10:11]
	s_mov_b32 s21, 0
	s_mov_b32 s9, 8
	s_branch .LBB25_231
.LBB25_229:                             ;   in Loop: Header=BB25_8 Depth=1
	s_mov_b32 s14, 1
	s_branch .LBB25_234
.LBB25_230:                             ;   in Loop: Header=BB25_8 Depth=1
	s_mov_b32 s21, -1
                                        ; implicit-def: $sgpr9
                                        ; implicit-def: $sgpr12_sgpr13
                                        ; implicit-def: $sgpr10_sgpr11
.LBB25_231:                             ;   in Loop: Header=BB25_8 Depth=1
	s_delay_alu instid0(SALU_CYCLE_1)
	s_and_not1_b32 vcc_lo, exec_lo, s21
	s_cbranch_vccnz .LBB25_233
; %bb.232:                              ;   in Loop: Header=BB25_8 Depth=1
	s_sub_i32 s14, s14, s18
	s_mov_b32 s9, 8
	s_mov_b64 s[12:13], s[46:47]
	s_mov_b64 s[10:11], s[48:49]
.LBB25_233:                             ;   in Loop: Header=BB25_8 Depth=1
	s_mov_b64 s[46:47], s[12:13]
	s_mov_b64 s[48:49], s[10:11]
.LBB25_234:                             ;   in Loop: Header=BB25_8 Depth=1
	s_mov_b32 s13, exec_lo
.LBB25_235:                             ;   in Loop: Header=BB25_8 Depth=1
	s_or_b32 exec_lo, exec_lo, s22
.LBB25_236:                             ;   in Loop: Header=BB25_8 Depth=1
	s_delay_alu instid0(SALU_CYCLE_1)
	s_and_not1_b32 s10, s27, exec_lo
	s_and_b32 s11, s15, exec_lo
	s_and_not1_b32 s12, s28, exec_lo
	s_or_b32 s27, s10, s11
	s_and_not1_b32 s10, s37, exec_lo
	s_and_b32 s11, s17, exec_lo
	s_and_b32 s15, s16, exec_lo
	s_or_b32 s37, s10, s11
	s_or_b32 s28, s12, s15
	s_and_b32 s15, s13, exec_lo
	s_mov_b32 s88, s14
.LBB25_237:                             ;   in Loop: Header=BB25_8 Depth=1
	s_or_b32 exec_lo, exec_lo, s87
.LBB25_238:                             ;   in Loop: Header=BB25_8 Depth=1
	s_delay_alu instid0(SALU_CYCLE_1)
	s_and_not1_b32 s10, s24, exec_lo
	s_and_b32 s11, s27, exec_lo
	s_and_not1_b32 s12, s23, exec_lo
	s_or_b32 s24, s10, s11
	s_and_not1_b32 s10, s25, exec_lo
	s_and_b32 s11, s37, exec_lo
	s_and_b32 s13, s28, exec_lo
	s_or_b32 s25, s10, s11
	s_or_b32 s23, s12, s13
	s_and_b32 s15, s15, exec_lo
	s_mov_b32 s28, s88
.LBB25_239:                             ;   in Loop: Header=BB25_8 Depth=1
	s_or_b32 exec_lo, exec_lo, s26
	s_and_saveexec_b32 s10, s15
	s_delay_alu instid0(SALU_CYCLE_1)
	s_xor_b32 s10, exec_lo, s10
	s_cbranch_execz .LBB25_6
.LBB25_240:                             ;   in Loop: Header=BB25_8 Depth=1
	s_and_b32 s9, s9, -9
	s_delay_alu instid0(SALU_CYCLE_1)
	s_cmp_eq_u32 s9, 0
	s_cbranch_scc1 .LBB25_4
; %bb.241:                              ;   in Loop: Header=BB25_8 Depth=1
	s_mov_b32 s9, -1
	s_mov_b32 s11, -1
                                        ; implicit-def: $sgpr48_sgpr49
                                        ; implicit-def: $sgpr28
                                        ; implicit-def: $sgpr81
                                        ; implicit-def: $sgpr85
	s_branch .LBB25_5
.LBB25_242:
	s_or_b32 exec_lo, exec_lo, s61
	s_xor_b32 s4, s82, -1
	s_xor_b32 s1, s79, -1
	;; [unrolled: 1-line block ×3, first 2 shown]
	s_mov_b32 s2, 0
	s_and_saveexec_b32 s5, s1
	s_delay_alu instid0(SALU_CYCLE_1)
	s_xor_b32 s1, exec_lo, s5
	s_cbranch_execz .LBB25_263
; %bb.243:
	s_and_saveexec_b32 s2, s4
	s_delay_alu instid0(SALU_CYCLE_1)
	s_xor_b32 s2, exec_lo, s2
	s_cbranch_execz .LBB25_261
; %bb.244:
	s_and_saveexec_b32 s4, s3
	s_delay_alu instid0(SALU_CYCLE_1)
	s_xor_b32 s3, exec_lo, s4
; %bb.245:
	v_xor_b32_e32 v3, 0x80000000, v3
	s_delay_alu instid0(VALU_DEP_1)
	v_dual_mov_b32 v5, v3 :: v_dual_mov_b32 v4, v2
; %bb.246:
	s_or_b32 exec_lo, exec_lo, s3
	s_and_saveexec_b32 s3, s0
	s_cbranch_execz .LBB25_248
; %bb.247:
	v_dual_mov_b32 v1, 0 :: v_dual_mov_b32 v2, s36
	ds_store_b32 v1, v2 offset:4108
.LBB25_248:
	s_or_b32 exec_lo, exec_lo, s3
	v_mov_b32_e32 v1, 0
	s_waitcnt lgkmcnt(0)
	s_barrier
	buffer_gl0_inv
	s_mov_b32 s3, exec_lo
	ds_load_b32 v1, v1 offset:4108
	s_waitcnt lgkmcnt(0)
	v_min_i32_e32 v1, s36, v1
	s_delay_alu instid0(VALU_DEP_1)
	v_cmpx_lt_i32_e64 v0, v1
	s_cbranch_execz .LBB25_258
; %bb.249:
	s_mov_b32 s4, 0
                                        ; implicit-def: $sgpr5
                                        ; implicit-def: $sgpr7
                                        ; implicit-def: $sgpr6
	s_set_inst_prefetch_distance 0x1
	s_branch .LBB25_251
	.p2align	6
.LBB25_250:                             ;   in Loop: Header=BB25_251 Depth=1
	s_or_b32 exec_lo, exec_lo, s8
	s_delay_alu instid0(SALU_CYCLE_1) | instskip(NEXT) | instid1(SALU_CYCLE_1)
	s_and_b32 s8, exec_lo, s7
	s_or_b32 s4, s8, s4
	s_and_not1_b32 s5, s5, exec_lo
	s_and_b32 s8, s6, exec_lo
	s_delay_alu instid0(SALU_CYCLE_1)
	s_or_b32 s5, s5, s8
	s_and_not1_b32 exec_lo, exec_lo, s4
	s_cbranch_execz .LBB25_253
.LBB25_251:                             ; =>This Inner Loop Header: Depth=1
	v_ashrrev_i32_e32 v11, 31, v10
	s_or_b32 s6, s6, exec_lo
	s_or_b32 s7, s7, exec_lo
	s_delay_alu instid0(VALU_DEP_1) | instskip(NEXT) | instid1(VALU_DEP_1)
	v_lshlrev_b64 v[2:3], 3, v[10:11]
	v_add_co_u32 v2, vcc_lo, s58, v2
	s_delay_alu instid0(VALU_DEP_2)
	v_add_co_ci_u32_e32 v3, vcc_lo, s59, v3, vcc_lo
	global_load_b64 v[2:3], v[2:3], off
	s_waitcnt vmcnt(0)
	v_cmp_ne_u64_e32 vcc_lo, v[2:3], v[4:5]
	v_mov_b32_e32 v2, v0
                                        ; implicit-def: $vgpr0
	s_and_saveexec_b32 s8, vcc_lo
	s_cbranch_execz .LBB25_250
; %bb.252:                              ;   in Loop: Header=BB25_251 Depth=1
	s_delay_alu instid0(VALU_DEP_1) | instskip(SKIP_3) | instid1(VALU_DEP_2)
	v_add_nc_u32_e32 v0, s60, v2
	s_and_not1_b32 s7, s7, exec_lo
	v_add_nc_u32_e32 v10, s63, v10
	s_and_not1_b32 s6, s6, exec_lo
	v_cmp_ge_i32_e32 vcc_lo, v0, v1
	s_and_b32 s9, vcc_lo, exec_lo
	s_delay_alu instid0(SALU_CYCLE_1)
	s_or_b32 s7, s7, s9
	s_branch .LBB25_250
.LBB25_253:
	s_set_inst_prefetch_distance 0x2
	s_or_b32 exec_lo, exec_lo, s4
	s_and_saveexec_b32 s4, s5
	s_delay_alu instid0(SALU_CYCLE_1)
	s_xor_b32 s4, exec_lo, s4
	s_cbranch_execz .LBB25_258
; %bb.254:
	s_mov_b32 s5, exec_lo
	s_brev_b32 s4, -2
.LBB25_255:                             ; =>This Inner Loop Header: Depth=1
	s_ctz_i32_b32 s6, s5
	s_delay_alu instid0(SALU_CYCLE_1) | instskip(SKIP_1) | instid1(SALU_CYCLE_1)
	v_readlane_b32 s7, v2, s6
	s_lshl_b32 s6, 1, s6
	s_and_not1_b32 s5, s5, s6
	s_delay_alu instid0(VALU_DEP_1)
	s_min_i32 s4, s4, s7
	s_cmp_lg_u32 s5, 0
	s_cbranch_scc1 .LBB25_255
; %bb.256:
	v_mbcnt_lo_u32_b32 v0, exec_lo, 0
	s_mov_b32 s5, exec_lo
	s_delay_alu instid0(VALU_DEP_1)
	v_cmpx_eq_u32_e32 0, v0
	s_xor_b32 s5, exec_lo, s5
	s_cbranch_execz .LBB25_258
; %bb.257:
	v_dual_mov_b32 v0, 0 :: v_dual_mov_b32 v1, s4
	ds_min_i32 v0, v1 offset:4108
.LBB25_258:
	s_or_b32 exec_lo, exec_lo, s3
	s_waitcnt lgkmcnt(0)
	s_barrier
	buffer_gl0_inv
	s_and_saveexec_b32 s3, s0
	s_cbranch_execz .LBB25_260
; %bb.259:
	s_mul_i32 s0, s56, s53
	s_xor_b32 s4, s52, s57
	s_sub_i32 s0, s51, s0
	s_add_i32 s5, s56, 1
	s_sub_i32 s6, s0, s53
	s_cmp_ge_u32 s0, s53
	v_mov_b32_e32 v2, 0
	s_cselect_b32 s5, s5, s56
	s_cselect_b32 s0, s6, s0
	s_add_i32 s6, s5, 1
	s_cmp_ge_u32 s0, s53
	s_mul_i32 s0, s54, s50
	s_cselect_b32 s5, s6, s5
	s_sub_i32 s0, s51, s0
	s_xor_b32 s5, s5, s4
	s_xor_b32 s6, s52, s55
	s_sub_i32 s4, s5, s4
	s_add_i32 s7, s54, 1
	s_mul_i32 s5, s4, s38
	s_mul_i32 s4, s4, s42
	s_sub_i32 s5, s29, s5
	s_sub_i32 s8, s0, s50
	s_mul_i32 s5, s5, s43
	ds_load_b32 v0, v2 offset:4108
	s_add_i32 s4, s4, s5
	s_cmp_ge_u32 s0, s50
	s_cselect_b32 s5, s7, s54
	s_cselect_b32 s0, s8, s0
	s_add_i32 s7, s5, 1
	s_cmp_ge_u32 s0, s50
	s_cselect_b32 s0, s7, s5
	s_ashr_i32 s5, s4, 31
	s_xor_b32 s0, s0, s6
	s_lshl_b64 s[4:5], s[4:5], 3
	s_sub_i32 s0, s0, s6
	s_delay_alu instid0(SALU_CYCLE_1) | instskip(SKIP_2) | instid1(SALU_CYCLE_1)
	s_mul_i32 s6, s0, s33
	s_mul_i32 s0, s0, s40
	s_sub_i32 s6, s29, s6
	s_mul_i32 s6, s6, s41
	s_waitcnt lgkmcnt(0)
	v_ashrrev_i32_e32 v1, 31, v0
	s_add_i32 s6, s0, s6
	s_add_u32 s4, s34, s4
	s_addc_u32 s5, s35, s5
	s_ashr_i32 s7, s6, 31
	s_delay_alu instid0(SALU_CYCLE_1) | instskip(NEXT) | instid1(SALU_CYCLE_1)
	s_lshl_b64 s[6:7], s[6:7], 3
	s_add_u32 s6, s30, s6
	s_addc_u32 s7, s31, s7
	s_clause 0x1
	global_store_b64 v2, v[0:1], s[6:7]
	global_store_b64 v2, v[4:5], s[4:5]
.LBB25_260:
	s_or_b32 exec_lo, exec_lo, s3
.LBB25_261:
	s_or_saveexec_b32 s0, s2
	s_mov_b32 s2, 0
	s_xor_b32 exec_lo, exec_lo, s0
	s_cbranch_execnz .LBB25_269
.LBB25_262:
	s_or_b32 exec_lo, exec_lo, s0
	s_delay_alu instid0(SALU_CYCLE_1)
	s_and_b32 s2, s2, exec_lo
.LBB25_263:
	s_and_not1_saveexec_b32 s0, s1
	s_cbranch_execnz .LBB25_267
; %bb.264:
	s_or_b32 exec_lo, exec_lo, s0
	s_and_saveexec_b32 s0, s2
.LBB25_265:
	; divergent unreachable
.LBB25_266:
	s_nop 0
	s_sendmsg sendmsg(MSG_DEALLOC_VGPRS)
	s_endpgm
.LBB25_267:
	s_cbranch_execnz .LBB25_271
; %bb.268:
	s_or_b32 s2, s2, exec_lo
	s_or_b32 exec_lo, exec_lo, s0
	s_and_saveexec_b32 s0, s2
	s_cbranch_execnz .LBB25_265
	s_branch .LBB25_266
.LBB25_269:
	s_cbranch_execnz .LBB25_273
; %bb.270:
	s_mov_b32 s2, exec_lo
	s_branch .LBB25_262
.LBB25_271:
	s_trap 2
	s_sendmsg_rtn_b32 s0, sendmsg(MSG_RTN_GET_DOORBELL)
	s_mov_b32 ttmp2, m0
	s_waitcnt lgkmcnt(0)
	s_and_b32 s0, s0, 0x3ff
	s_delay_alu instid0(SALU_CYCLE_1) | instskip(NEXT) | instid1(SALU_CYCLE_1)
	s_bitset1_b32 s0, 10
	s_mov_b32 m0, s0
	s_sendmsg sendmsg(MSG_INTERRUPT)
	s_mov_b32 m0, ttmp2
.LBB25_272:                             ; =>This Inner Loop Header: Depth=1
	s_sethalt 5
	s_branch .LBB25_272
.LBB25_273:
	s_trap 2
	s_sendmsg_rtn_b32 s0, sendmsg(MSG_RTN_GET_DOORBELL)
	s_mov_b32 ttmp2, m0
	s_waitcnt lgkmcnt(0)
	s_and_b32 s0, s0, 0x3ff
	s_delay_alu instid0(SALU_CYCLE_1) | instskip(NEXT) | instid1(SALU_CYCLE_1)
	s_bitset1_b32 s0, 10
	s_mov_b32 m0, s0
	s_sendmsg sendmsg(MSG_INTERRUPT)
	s_mov_b32 m0, ttmp2
.LBB25_274:                             ; =>This Inner Loop Header: Depth=1
	s_sethalt 5
	s_branch .LBB25_274
	.section	.rodata,"a",@progbits
	.p2align	6, 0x0
	.amdhsa_kernel _ZN2at6native12_GLOBAL__N_114gatherKthValueIliLi2EEEvNS_4cuda6detail10TensorInfoIKT_T0_EES8_S8_S8_S8_NS5_IS6_S8_EENS5_IlS8_EE
		.amdhsa_group_segment_fixed_size 4112
		.amdhsa_private_segment_fixed_size 0
		.amdhsa_kernarg_size 920
		.amdhsa_user_sgpr_count 13
		.amdhsa_user_sgpr_dispatch_ptr 0
		.amdhsa_user_sgpr_queue_ptr 0
		.amdhsa_user_sgpr_kernarg_segment_ptr 1
		.amdhsa_user_sgpr_dispatch_id 0
		.amdhsa_user_sgpr_private_segment_size 0
		.amdhsa_wavefront_size32 1
		.amdhsa_uses_dynamic_stack 0
		.amdhsa_enable_private_segment 0
		.amdhsa_system_sgpr_workgroup_id_x 1
		.amdhsa_system_sgpr_workgroup_id_y 1
		.amdhsa_system_sgpr_workgroup_id_z 1
		.amdhsa_system_sgpr_workgroup_info 0
		.amdhsa_system_vgpr_workitem_id 0
		.amdhsa_next_free_vgpr 49
		.amdhsa_next_free_sgpr 96
		.amdhsa_reserve_vcc 1
		.amdhsa_float_round_mode_32 0
		.amdhsa_float_round_mode_16_64 0
		.amdhsa_float_denorm_mode_32 3
		.amdhsa_float_denorm_mode_16_64 3
		.amdhsa_dx10_clamp 1
		.amdhsa_ieee_mode 1
		.amdhsa_fp16_overflow 0
		.amdhsa_workgroup_processor_mode 1
		.amdhsa_memory_ordered 1
		.amdhsa_forward_progress 0
		.amdhsa_shared_vgpr_count 0
		.amdhsa_exception_fp_ieee_invalid_op 0
		.amdhsa_exception_fp_denorm_src 0
		.amdhsa_exception_fp_ieee_div_zero 0
		.amdhsa_exception_fp_ieee_overflow 0
		.amdhsa_exception_fp_ieee_underflow 0
		.amdhsa_exception_fp_ieee_inexact 0
		.amdhsa_exception_int_div_zero 0
	.end_amdhsa_kernel
	.section	.text._ZN2at6native12_GLOBAL__N_114gatherKthValueIliLi2EEEvNS_4cuda6detail10TensorInfoIKT_T0_EES8_S8_S8_S8_NS5_IS6_S8_EENS5_IlS8_EE,"axG",@progbits,_ZN2at6native12_GLOBAL__N_114gatherKthValueIliLi2EEEvNS_4cuda6detail10TensorInfoIKT_T0_EES8_S8_S8_S8_NS5_IS6_S8_EENS5_IlS8_EE,comdat
.Lfunc_end25:
	.size	_ZN2at6native12_GLOBAL__N_114gatherKthValueIliLi2EEEvNS_4cuda6detail10TensorInfoIKT_T0_EES8_S8_S8_S8_NS5_IS6_S8_EENS5_IlS8_EE, .Lfunc_end25-_ZN2at6native12_GLOBAL__N_114gatherKthValueIliLi2EEEvNS_4cuda6detail10TensorInfoIKT_T0_EES8_S8_S8_S8_NS5_IS6_S8_EENS5_IlS8_EE
                                        ; -- End function
	.section	.AMDGPU.csdata,"",@progbits
; Kernel info:
; codeLenInByte = 10320
; NumSgprs: 98
; NumVgprs: 49
; ScratchSize: 0
; MemoryBound: 0
; FloatMode: 240
; IeeeMode: 1
; LDSByteSize: 4112 bytes/workgroup (compile time only)
; SGPRBlocks: 12
; VGPRBlocks: 6
; NumSGPRsForWavesPerEU: 98
; NumVGPRsForWavesPerEU: 49
; Occupancy: 16
; WaveLimiterHint : 1
; COMPUTE_PGM_RSRC2:SCRATCH_EN: 0
; COMPUTE_PGM_RSRC2:USER_SGPR: 13
; COMPUTE_PGM_RSRC2:TRAP_HANDLER: 0
; COMPUTE_PGM_RSRC2:TGID_X_EN: 1
; COMPUTE_PGM_RSRC2:TGID_Y_EN: 1
; COMPUTE_PGM_RSRC2:TGID_Z_EN: 1
; COMPUTE_PGM_RSRC2:TIDIG_COMP_CNT: 0
	.section	.text._ZN2at6native12_GLOBAL__N_114gatherKthValueIliLi3EEEvNS_4cuda6detail10TensorInfoIKT_T0_EES8_S8_S8_S8_NS5_IS6_S8_EENS5_IlS8_EE,"axG",@progbits,_ZN2at6native12_GLOBAL__N_114gatherKthValueIliLi3EEEvNS_4cuda6detail10TensorInfoIKT_T0_EES8_S8_S8_S8_NS5_IS6_S8_EENS5_IlS8_EE,comdat
	.globl	_ZN2at6native12_GLOBAL__N_114gatherKthValueIliLi3EEEvNS_4cuda6detail10TensorInfoIKT_T0_EES8_S8_S8_S8_NS5_IS6_S8_EENS5_IlS8_EE ; -- Begin function _ZN2at6native12_GLOBAL__N_114gatherKthValueIliLi3EEEvNS_4cuda6detail10TensorInfoIKT_T0_EES8_S8_S8_S8_NS5_IS6_S8_EENS5_IlS8_EE
	.p2align	8
	.type	_ZN2at6native12_GLOBAL__N_114gatherKthValueIliLi3EEEvNS_4cuda6detail10TensorInfoIKT_T0_EES8_S8_S8_S8_NS5_IS6_S8_EENS5_IlS8_EE,@function
_ZN2at6native12_GLOBAL__N_114gatherKthValueIliLi3EEEvNS_4cuda6detail10TensorInfoIKT_T0_EES8_S8_S8_S8_NS5_IS6_S8_EENS5_IlS8_EE: ; @_ZN2at6native12_GLOBAL__N_114gatherKthValueIliLi3EEEvNS_4cuda6detail10TensorInfoIKT_T0_EES8_S8_S8_S8_NS5_IS6_S8_EENS5_IlS8_EE
; %bb.0:
	s_clause 0x1
	s_load_b64 s[8:9], s[0:1], 0x298
	s_load_b128 s[44:47], s[0:1], 0xd8
	s_add_u32 s2, s0, 0x298
	s_addc_u32 s3, s1, 0
	s_waitcnt lgkmcnt(0)
	s_mul_i32 s4, s9, s15
	s_delay_alu instid0(SALU_CYCLE_1) | instskip(NEXT) | instid1(SALU_CYCLE_1)
	s_add_i32 s4, s4, s14
	s_mul_i32 s29, s4, s8
	s_delay_alu instid0(SALU_CYCLE_1) | instskip(NEXT) | instid1(SALU_CYCLE_1)
	s_add_i32 s29, s29, s13
	s_cmp_ge_i32 s29, s46
	s_cbranch_scc1 .LBB26_266
; %bb.1:
	s_clause 0x3
	s_load_b64 s[10:11], s[0:1], 0xc
	s_load_b64 s[30:31], s[0:1], 0xf4
	;; [unrolled: 1-line block ×4, first 2 shown]
	s_abs_i32 s14, s29
	s_mov_b32 s69, 0
	s_waitcnt lgkmcnt(0)
	s_ashr_i32 s4, s11, 31
	s_delay_alu instid0(SALU_CYCLE_1) | instskip(NEXT) | instid1(SALU_CYCLE_1)
	s_add_i32 s5, s11, s4
	s_xor_b32 s5, s5, s4
	s_delay_alu instid0(SALU_CYCLE_1) | instskip(SKIP_1) | instid1(VALU_DEP_1)
	v_cvt_f32_u32_e32 v1, s5
	s_sub_i32 s7, 0, s5
	v_rcp_iflag_f32_e32 v1, v1
	s_waitcnt_depctr 0xfff
	v_mul_f32_e32 v1, 0x4f7ffffe, v1
	s_delay_alu instid0(VALU_DEP_1) | instskip(NEXT) | instid1(VALU_DEP_1)
	v_cvt_u32_f32_e32 v1, v1
	v_readfirstlane_b32 s6, v1
	s_delay_alu instid0(VALU_DEP_1) | instskip(NEXT) | instid1(SALU_CYCLE_1)
	s_mul_i32 s7, s7, s6
	s_mul_hi_u32 s7, s6, s7
	s_delay_alu instid0(SALU_CYCLE_1)
	s_add_i32 s6, s6, s7
	s_ashr_i32 s7, s29, 31
	s_mul_hi_u32 s6, s14, s6
	s_xor_b32 s4, s7, s4
	s_mul_i32 s9, s6, s5
	s_add_i32 s12, s6, 1
	s_sub_i32 s9, s14, s9
	s_delay_alu instid0(SALU_CYCLE_1)
	s_sub_i32 s15, s9, s5
	s_cmp_ge_u32 s9, s5
	s_cselect_b32 s6, s12, s6
	s_cselect_b32 s9, s15, s9
	s_add_i32 s12, s6, 1
	s_cmp_ge_u32 s9, s5
	s_cselect_b32 s5, s12, s6
	s_ashr_i32 s6, s31, 31
	s_abs_i32 s12, s10
	s_add_i32 s9, s31, s6
	v_cvt_f32_u32_e32 v2, s12
	s_xor_b32 s15, s9, s6
	s_xor_b32 s5, s5, s4
	v_cvt_f32_u32_e32 v1, s15
	s_sub_i32 s9, s5, s4
	v_rcp_iflag_f32_e32 v2, v2
	s_xor_b32 s5, s7, s6
	s_sub_i32 s6, 0, s15
	v_rcp_iflag_f32_e32 v1, v1
	s_sub_i32 s19, 0, s12
	s_ashr_i32 s16, s10, 31
	s_ashr_i32 s17, s9, 31
	s_abs_i32 s18, s9
	s_waitcnt_depctr 0xfff
	v_dual_mul_f32 v2, 0x4f7ffffe, v2 :: v_dual_mul_f32 v1, 0x4f7ffffe, v1
	s_delay_alu instid0(VALU_DEP_1) | instskip(NEXT) | instid1(VALU_DEP_2)
	v_cvt_u32_f32_e32 v2, v2
	v_cvt_u32_f32_e32 v1, v1
	s_delay_alu instid0(VALU_DEP_2) | instskip(NEXT) | instid1(VALU_DEP_2)
	v_readfirstlane_b32 s20, v2
	v_readfirstlane_b32 s4, v1
	s_delay_alu instid0(VALU_DEP_2) | instskip(NEXT) | instid1(VALU_DEP_1)
	s_mul_i32 s19, s19, s20
	s_mul_i32 s6, s6, s4
	s_delay_alu instid0(SALU_CYCLE_1) | instskip(NEXT) | instid1(SALU_CYCLE_1)
	s_mul_hi_u32 s6, s4, s6
	s_add_i32 s4, s4, s6
	s_mul_hi_u32 s6, s20, s19
	s_mul_hi_u32 s4, s14, s4
	s_add_i32 s20, s20, s6
	s_mul_i32 s19, s4, s15
	s_delay_alu instid0(SALU_CYCLE_1)
	s_sub_i32 s6, s14, s19
	s_add_i32 s19, s4, 1
	s_sub_i32 s21, s6, s15
	s_cmp_ge_u32 s6, s15
	s_cselect_b32 s4, s19, s4
	s_cselect_b32 s6, s21, s6
	s_add_i32 s19, s4, 1
	s_cmp_ge_u32 s6, s15
	s_cselect_b32 s4, s19, s4
	s_ashr_i32 s6, s35, 31
	s_abs_i32 s58, s30
	s_add_i32 s15, s35, s6
	v_cvt_f32_u32_e32 v2, s58
	s_xor_b32 s15, s15, s6
	s_xor_b32 s22, s7, s6
	v_cvt_f32_u32_e32 v1, s15
	s_sub_i32 s6, 0, s15
	v_rcp_iflag_f32_e32 v2, v2
	s_xor_b32 s4, s4, s5
	s_sub_i32 s21, 0, s58
	v_rcp_iflag_f32_e32 v1, v1
	s_sub_i32 s46, s4, s5
	s_delay_alu instid0(SALU_CYCLE_1) | instskip(SKIP_2) | instid1(VALU_DEP_1)
	s_abs_i32 s59, s46
	s_waitcnt_depctr 0xfff
	v_dual_mul_f32 v2, 0x4f7ffffe, v2 :: v_dual_mul_f32 v1, 0x4f7ffffe, v1
	v_cvt_u32_f32_e32 v2, v2
	s_delay_alu instid0(VALU_DEP_2) | instskip(NEXT) | instid1(VALU_DEP_2)
	v_cvt_u32_f32_e32 v1, v1
	v_readfirstlane_b32 s7, v2
	s_delay_alu instid0(VALU_DEP_2) | instskip(NEXT) | instid1(VALU_DEP_2)
	v_readfirstlane_b32 s19, v1
	s_mul_i32 s21, s21, s7
	s_delay_alu instid0(SALU_CYCLE_1) | instskip(NEXT) | instid1(VALU_DEP_1)
	s_mul_hi_u32 s5, s7, s21
	s_mul_i32 s6, s6, s19
	s_delay_alu instid0(SALU_CYCLE_1) | instskip(NEXT) | instid1(SALU_CYCLE_1)
	s_mul_hi_u32 s4, s19, s6
	s_add_i32 s19, s19, s4
	s_delay_alu instid0(SALU_CYCLE_1)
	s_mul_hi_u32 s4, s14, s19
	s_add_i32 s19, s7, s5
	s_mul_i32 s6, s4, s15
	s_mul_hi_u32 s63, s59, s19
	s_sub_i32 s5, s14, s6
	s_add_i32 s6, s4, 1
	s_sub_i32 s7, s5, s15
	s_cmp_ge_u32 s5, s15
	s_cselect_b32 s4, s6, s4
	s_cselect_b32 s5, s7, s5
	s_add_i32 s6, s4, 1
	s_cmp_ge_u32 s5, s15
	s_clause 0x1
	s_load_b128 s[40:43], s[0:1], 0x154
	s_load_b64 s[14:15], s[0:1], 0x0
	s_cselect_b32 s21, s6, s4
	s_abs_i32 s33, s34
	s_clause 0x2
	s_load_b128 s[36:39], s[0:1], 0x22c
	s_load_b64 s[50:51], s[0:1], 0xe8
	s_load_b128 s[4:7], s[0:1], 0x6c
	v_cvt_f32_u32_e32 v1, s33
	s_mul_hi_u32 s1, s18, s20
	s_sub_i32 s20, 0, s33
	s_xor_b32 s0, s21, s22
	s_delay_alu instid0(VALU_DEP_1)
	v_rcp_iflag_f32_e32 v1, v1
	s_waitcnt lgkmcnt(0)
	s_sub_i32 s39, s0, s22
	v_cmp_eq_u32_e64 s0, 0, v0
	s_abs_i32 s60, s39
	s_waitcnt_depctr 0xfff
	v_mul_f32_e32 v1, 0x4f7ffffe, v1
	s_delay_alu instid0(VALU_DEP_1) | instskip(NEXT) | instid1(VALU_DEP_1)
	v_cvt_u32_f32_e32 v1, v1
	v_readfirstlane_b32 s7, v1
	s_delay_alu instid0(VALU_DEP_1) | instskip(NEXT) | instid1(SALU_CYCLE_1)
	s_mul_i32 s20, s20, s7
	s_mul_hi_u32 s20, s7, s20
	s_delay_alu instid0(SALU_CYCLE_1) | instskip(NEXT) | instid1(SALU_CYCLE_1)
	s_add_i32 s7, s7, s20
	s_mul_hi_u32 s43, s60, s7
	s_and_saveexec_b32 s7, s0
	s_cbranch_execz .LBB26_3
; %bb.2:
	v_dual_mov_b32 v1, 0 :: v_dual_mov_b32 v2, s44
	s_delay_alu instid0(VALU_DEP_1)
	v_mov_b32_e32 v3, v1
	ds_store_b96 v1, v[1:3] offset:4096
.LBB26_3:
	s_or_b32 exec_lo, exec_lo, s7
	s_mul_i32 s7, s9, s11
	s_mul_i32 s11, s1, s12
	s_ashr_i32 s64, s46, 31
	s_sub_i32 s11, s18, s11
	s_ashr_i32 s65, s30, 31
	s_ashr_i32 s61, s39, 31
	;; [unrolled: 1-line block ×3, first 2 shown]
	s_sub_i32 s7, s29, s7
	s_xor_b32 s16, s17, s16
	s_add_i32 s17, s1, 1
	s_sub_i32 s18, s11, s12
	s_cmp_ge_u32 s11, s12
	s_waitcnt lgkmcnt(0)
	s_cselect_b32 s1, s17, s1
	s_cselect_b32 s11, s18, s11
	s_add_i32 s17, s1, 1
	s_cmp_ge_u32 s11, s12
	s_barrier
	s_cselect_b32 s1, s17, s1
	buffer_gl0_inv
	s_load_b32 s11, s[2:3], 0xc
	s_xor_b32 s1, s1, s16
	s_mul_i32 s7, s7, s6
	s_sub_i32 s1, s1, s16
	v_mbcnt_lo_u32_b32 v22, -1, 0
	s_mul_i32 s10, s1, s10
	s_mul_i32 s1, s1, s4
	s_sub_i32 s9, s9, s10
	v_cmp_gt_u32_e32 vcc_lo, 32, v0
	s_mul_i32 s5, s9, s5
	v_dual_mov_b32 v12, 0 :: v_dual_lshlrev_b32 v23, 2, v0
	s_add_i32 s5, s5, s7
	v_mul_lo_u32 v10, v0, s47
	s_add_i32 s4, s5, s1
	v_cmp_gt_i32_e64 s1, 4, v22
	s_ashr_i32 s5, s4, 31
	s_mov_b32 s10, s47
	s_lshl_b64 s[4:5], s[4:5], 3
	v_lshlrev_b32_e32 v33, 5, v0
	s_add_u32 s66, s14, s4
	s_addc_u32 s67, s15, s5
	s_waitcnt lgkmcnt(0)
	s_and_b32 s68, s11, 0xffff
	s_bfe_u32 s4, s11, 0xb0005
	s_lshl_b32 s70, s68, 2
	s_add_i32 s72, s68, -1
	v_cvt_f32_u32_e32 v1, s70
	s_and_b32 s73, vcc_lo, s1
	s_add_i32 s83, s72, s44
	s_cmpk_gt_i32 s44, 0x180
	v_mad_u64_u32 v[17:18], null, s47, v23, s[10:11]
	v_rcp_iflag_f32_e32 v1, v1
	s_cselect_b32 s74, -1, 0
	s_cmp_gt_u32 s68, 31
	v_lshlrev_b32_e32 v24, 3, v0
	s_cselect_b32 s75, -1, 0
	s_cmp_lt_u32 s13, s8
	v_lshlrev_b32_e32 v31, 2, v10
	s_cselect_b32 s1, 12, 18
	v_add_nc_u32_e32 v25, 0xc00, v24
	s_add_u32 s52, s2, s1
	s_waitcnt_depctr 0xfff
	v_mul_f32_e32 v1, 0x4f7ffffe, v1
	s_addc_u32 s53, s3, 0
	s_add_i32 s1, s4, -1
	s_bfe_u32 s76, s68, 0x30005
	s_cmp_gt_u32 s1, 6
	v_cvt_u32_f32_e32 v1, v1
	s_cselect_b32 s77, -1, 0
	s_and_b32 s78, s4, 0x7f8
	s_cmp_lg_u32 s76, 0
	v_cmp_eq_u32_e64 s1, 0, v22
	v_readfirstlane_b32 s2, v1
	s_cselect_b32 s79, -1, 0
	s_sub_i32 s3, 0, s70
	v_cvt_f32_u32_e32 v1, s68
	v_lshl_or_b32 v34, v22, 2, 0xc00
	s_mul_i32 s3, s3, s2
	s_mul_i32 s71, s47, s68
	s_mul_hi_u32 s3, s2, s3
	v_rcp_iflag_f32_e32 v3, v1
	s_add_i32 s80, s2, s3
	v_cmp_gt_u32_e64 s2, 2, v0
	s_mul_hi_u32 s3, s44, s80
	s_mov_b32 s89, 62
	s_mul_i32 s3, s3, s70
	s_mov_b64 s[54:55], 0
	s_sub_i32 s3, s44, s3
	s_mov_b32 s93, 0
	s_sub_i32 s4, s3, s70
	s_cmp_ge_u32 s3, s70
	s_waitcnt_depctr 0xfff
	v_mul_f32_e32 v3, 0x4f7ffffe, v3
	s_cselect_b32 s4, s4, s3
	v_cmp_gt_u32_e64 s3, s44, v0
	s_sub_i32 s5, s4, s70
	s_cmp_ge_u32 s4, s70
	v_cvt_u32_f32_e32 v3, v3
	s_cselect_b32 s9, s5, s4
	s_sub_i32 s6, 0, s68
	s_sub_i32 s81, s44, s9
	s_delay_alu instid0(SALU_CYCLE_1) | instskip(SKIP_3) | instid1(VALU_DEP_3)
	v_dual_mov_b32 v11, v12 :: v_dual_add_nc_u32 v26, s81, v0
	v_readfirstlane_b32 s5, v3
	s_abs_i32 s7, s83
	v_lshlrev_b64 v[3:4], v22, -1
	v_lshlrev_b64 v[1:2], 3, v[10:11]
	v_mov_b32_e32 v4, 0
	s_mul_i32 s6, s6, s5
	v_cmp_gt_i32_e64 s4, s44, v0
	s_mul_hi_u32 s6, s5, s6
	v_not_b32_e32 v28, v3
	v_add_co_u32 v13, vcc_lo, s66, v1
	v_mul_lo_u32 v1, v26, s47
	v_add_co_ci_u32_e32 v14, vcc_lo, s67, v2, vcc_lo
	v_lshrrev_b32_e32 v2, 3, v0
	s_add_i32 s82, s5, s6
	v_or_b32_e32 v3, 3, v23
	s_mul_hi_u32 s5, s7, s82
	v_mov_b32_e32 v5, 0
	v_and_b32_e32 v27, 0x7c, v2
	v_ashrrev_i32_e32 v2, 31, v1
	s_mul_i32 s5, s5, s68
	v_mul_lo_u32 v30, s47, v3
	s_sub_i32 s5, s7, s5
	s_ashr_i32 s7, s83, 31
	v_lshlrev_b64 v[1:2], 3, v[1:2]
	s_sub_i32 s6, s5, s68
	s_cmp_ge_u32 s5, s68
	s_mov_b64 s[56:57], 0
	s_cselect_b32 s5, s6, s5
                                        ; implicit-def: $sgpr87
                                        ; implicit-def: $sgpr90
                                        ; implicit-def: $sgpr88
                                        ; implicit-def: $sgpr92
                                        ; implicit-def: $sgpr94
                                        ; implicit-def: $sgpr91
	s_delay_alu instid0(VALU_DEP_1)
	v_add_co_u32 v15, vcc_lo, s66, v1
	v_add3_u32 v1, s68, s44, v0
	s_sub_i32 s6, s5, s68
	s_cmp_ge_u32 s5, s68
	v_add_co_ci_u32_e32 v16, vcc_lo, s67, v2, vcc_lo
	s_cselect_b32 s6, s6, s5
	v_or_b32_e32 v2, 2, v23
	v_subrev_nc_u32_e32 v1, s9, v1
	s_xor_b32 s8, s6, s7
	v_cmp_gt_i32_e64 s5, s81, v23
	s_sub_i32 s7, s7, s8
	v_mul_lo_u32 v29, s47, v2
	v_mul_lo_u32 v32, s47, v1
	s_add_i32 s83, s83, s7
	v_cmp_gt_u32_e64 s6, s44, v26
	v_cmp_gt_i32_e64 s7, s44, v26
	v_cmp_gt_i32_e64 s8, s83, v0
	v_mov_b32_e32 v1, 1
	s_lshl_b32 s84, s71, 2
	s_lshl_b32 s85, s68, 5
	;; [unrolled: 1-line block ×3, first 2 shown]
	s_branch .LBB26_8
.LBB26_4:                               ;   in Loop: Header=BB26_8 Depth=1
	s_xor_b32 s93, s93, 1
	s_add_i32 s12, s89, -2
	s_cmp_eq_u32 s89, 0
	s_mov_b32 s9, 0
	s_cselect_b32 s11, -1, 0
	s_mov_b32 s89, s12
.LBB26_5:                               ;   in Loop: Header=BB26_8 Depth=1
	s_and_not1_b32 s12, s24, exec_lo
	s_and_b32 s9, s9, exec_lo
	s_and_not1_b32 s25, s25, exec_lo
	s_or_b32 s24, s12, s9
	s_and_not1_b32 s23, s23, exec_lo
	s_or_not1_b32 s20, s11, exec_lo
	s_mov_b32 s45, s28
.LBB26_6:                               ;   in Loop: Header=BB26_8 Depth=1
	s_or_b32 exec_lo, exec_lo, s10
	s_delay_alu instid0(SALU_CYCLE_1)
	s_and_not1_b32 s9, s91, exec_lo
	s_and_b32 s10, s24, exec_lo
	s_and_not1_b32 s11, s92, exec_lo
	s_or_b32 s91, s9, s10
	s_and_not1_b32 s9, s94, exec_lo
	s_and_b32 s10, s25, exec_lo
	s_and_b32 s12, s23, exec_lo
	s_or_b32 s94, s9, s10
	s_or_b32 s92, s11, s12
	s_or_not1_b32 s14, s20, exec_lo
.LBB26_7:                               ;   in Loop: Header=BB26_8 Depth=1
	s_or_b32 exec_lo, exec_lo, s19
	s_delay_alu instid0(SALU_CYCLE_1)
	s_and_b32 s9, exec_lo, s14
	v_dual_mov_b32 v2, s54 :: v_dual_mov_b32 v3, s55
	s_or_b32 s69, s9, s69
	s_and_not1_b32 s9, s88, exec_lo
	s_and_b32 s10, s91, exec_lo
	s_and_not1_b32 s11, s87, exec_lo
	s_or_b32 s88, s9, s10
	s_and_not1_b32 s9, s90, exec_lo
	s_and_b32 s10, s94, exec_lo
	s_and_b32 s12, s92, exec_lo
	s_or_b32 s90, s9, s10
	s_or_b32 s87, s11, s12
	s_and_not1_b32 exec_lo, exec_lo, s69
	s_cbranch_execz .LBB26_242
.LBB26_8:                               ; =>This Loop Header: Depth=1
                                        ;     Child Loop BB26_16 Depth 2
                                        ;     Child Loop BB26_35 Depth 2
	;; [unrolled: 1-line block ×16, first 2 shown]
	ds_load_b64 v[2:3], v12 offset:4096
	s_waitcnt lgkmcnt(0)
	v_readfirstlane_b32 s95, v2
	s_delay_alu instid0(VALU_DEP_1)
	s_cmp_gt_i32 s95, 0
	s_cbranch_scc1 .LBB26_42
; %bb.9:                                ;   in Loop: Header=BB26_8 Depth=1
	s_and_b32 vcc_lo, exec_lo, s74
	s_cbranch_vccz .LBB26_24
; %bb.10:                               ;   in Loop: Header=BB26_8 Depth=1
	v_cmp_gt_i32_e32 vcc_lo, 0x181, v3
	s_mov_b32 s10, 0
	s_mov_b32 s9, 0
	s_cbranch_vccz .LBB26_29
; %bb.11:                               ;   in Loop: Header=BB26_8 Depth=1
	v_mov_b32_e32 v2, 0
	v_mov_b32_e32 v3, 0
	s_and_saveexec_b32 s9, s3
	s_cbranch_execz .LBB26_13
; %bb.12:                               ;   in Loop: Header=BB26_8 Depth=1
	global_load_b64 v[2:3], v[13:14], off
.LBB26_13:                              ;   in Loop: Header=BB26_8 Depth=1
	s_or_b32 exec_lo, exec_lo, s9
	s_and_saveexec_b32 s11, s3
	s_cbranch_execz .LBB26_25
; %bb.14:                               ;   in Loop: Header=BB26_8 Depth=1
	global_load_u16 v8, v12, s[52:53]
	v_mov_b32_e32 v18, v0
	s_mov_b32 s12, 0
	s_waitcnt vmcnt(0)
	v_add_nc_u32_e32 v6, v0, v8
	v_mul_lo_u32 v9, s47, v8
	s_delay_alu instid0(VALU_DEP_2)
	v_mul_lo_u32 v11, s47, v6
	s_branch .LBB26_16
.LBB26_15:                              ;   in Loop: Header=BB26_16 Depth=2
	s_or_b32 exec_lo, exec_lo, s9
	v_cmp_le_i32_e32 vcc_lo, s44, v18
	s_waitcnt vmcnt(0)
	v_dual_mov_b32 v2, v6 :: v_dual_add_nc_u32 v11, v11, v9
	v_mov_b32_e32 v3, v7
	s_or_b32 s12, vcc_lo, s12
	s_delay_alu instid0(SALU_CYCLE_1)
	s_and_not1_b32 exec_lo, exec_lo, s12
	s_cbranch_execz .LBB26_25
.LBB26_16:                              ;   Parent Loop BB26_8 Depth=1
                                        ; =>  This Inner Loop Header: Depth=2
	v_mov_b32_e32 v6, 0
	v_dual_mov_b32 v7, 0 :: v_dual_add_nc_u32 v18, v18, v8
	s_mov_b32 s9, exec_lo
	s_delay_alu instid0(VALU_DEP_1)
	v_cmpx_gt_u32_e64 s44, v18
	s_cbranch_execz .LBB26_18
; %bb.17:                               ;   in Loop: Header=BB26_16 Depth=2
	s_delay_alu instid0(VALU_DEP_4) | instskip(NEXT) | instid1(VALU_DEP_1)
	v_lshlrev_b64 v[6:7], 3, v[11:12]
	v_add_co_u32 v6, vcc_lo, s66, v6
	s_delay_alu instid0(VALU_DEP_2)
	v_add_co_ci_u32_e32 v7, vcc_lo, s67, v7, vcc_lo
	global_load_b64 v[6:7], v[6:7], off
.LBB26_18:                              ;   in Loop: Header=BB26_16 Depth=2
	s_or_b32 exec_lo, exec_lo, s9
	s_waitcnt lgkmcnt(0)
	v_xor_b32_e32 v19, 0x80000000, v3
	s_delay_alu instid0(VALU_DEP_1) | instskip(SKIP_1) | instid1(VALU_DEP_1)
	v_and_b32_e32 v20, s57, v19
	v_and_b32_e32 v19, s56, v2
	v_cmp_eq_u64_e32 vcc_lo, s[54:55], v[19:20]
	v_mov_b32_e32 v19, 0
	s_cmp_lg_u32 vcc_lo, 0
	s_cselect_b32 s9, -1, 0
	s_delay_alu instid0(SALU_CYCLE_1) | instskip(NEXT) | instid1(SALU_CYCLE_1)
	s_and_b32 s9, s1, s9
	s_and_saveexec_b32 s13, s9
	s_cbranch_execz .LBB26_22
; %bb.19:                               ;   in Loop: Header=BB26_16 Depth=2
	s_mov_b32 s16, exec_lo
	s_bcnt1_i32_b32 s14, vcc_lo
	v_mbcnt_lo_u32_b32 v19, s16, 0
	s_mov_b32 s15, exec_lo
                                        ; implicit-def: $vgpr20
	s_delay_alu instid0(VALU_DEP_1)
	v_cmpx_eq_u32_e32 0, v19
	s_cbranch_execz .LBB26_21
; %bb.20:                               ;   in Loop: Header=BB26_16 Depth=2
	s_bcnt1_i32_b32 s9, s16
	s_delay_alu instid0(SALU_CYCLE_1) | instskip(NEXT) | instid1(SALU_CYCLE_1)
	s_mul_i32 s9, s14, s9
	v_mov_b32_e32 v20, s9
	ds_add_rtn_u32 v20, v12, v20 offset:4104
.LBB26_21:                              ;   in Loop: Header=BB26_16 Depth=2
	s_or_b32 exec_lo, exec_lo, s15
	s_waitcnt lgkmcnt(0)
	v_readfirstlane_b32 s9, v20
	s_delay_alu instid0(VALU_DEP_1)
	v_mad_u32_u24 v19, s14, v19, s9
.LBB26_22:                              ;   in Loop: Header=BB26_16 Depth=2
	s_or_b32 exec_lo, exec_lo, s13
	ds_bpermute_b32 v19, v12, v19
	s_and_saveexec_b32 s9, vcc_lo
	s_cbranch_execz .LBB26_15
; %bb.23:                               ;   in Loop: Header=BB26_16 Depth=2
	v_and_b32_e32 v20, vcc_lo, v28
	s_delay_alu instid0(VALU_DEP_1) | instskip(NEXT) | instid1(VALU_DEP_1)
	v_bcnt_u32_b32 v20, v20, 0
	v_lshlrev_b32_e32 v20, 3, v20
	s_waitcnt lgkmcnt(0)
	s_delay_alu instid0(VALU_DEP_1)
	v_lshl_add_u32 v19, v19, 3, v20
	ds_store_b64 v19, v[2:3]
	s_branch .LBB26_15
.LBB26_24:                              ;   in Loop: Header=BB26_8 Depth=1
	s_mov_b32 s10, -1
	s_mov_b32 s9, 0
	s_branch .LBB26_28
.LBB26_25:                              ;   in Loop: Header=BB26_8 Depth=1
	s_or_b32 exec_lo, exec_lo, s11
	s_waitcnt vmcnt(0) lgkmcnt(0)
	s_barrier
	buffer_gl0_inv
	s_and_saveexec_b32 s9, s0
	s_cbranch_execz .LBB26_27
; %bb.26:                               ;   in Loop: Header=BB26_8 Depth=1
	ds_load_b32 v2, v12 offset:4104
	s_waitcnt lgkmcnt(0)
	ds_store_b32 v12, v2 offset:4096
.LBB26_27:                              ;   in Loop: Header=BB26_8 Depth=1
	s_or_b32 exec_lo, exec_lo, s9
	s_waitcnt lgkmcnt(0)
	s_mov_b32 s9, -1
	s_barrier
.LBB26_28:                              ;   in Loop: Header=BB26_8 Depth=1
                                        ; implicit-def: $sgpr95
.LBB26_29:                              ;   in Loop: Header=BB26_8 Depth=1
	s_and_b32 vcc_lo, exec_lo, s10
	s_cbranch_vccz .LBB26_40
; %bb.30:                               ;   in Loop: Header=BB26_8 Depth=1
	v_mov_b32_e32 v2, 0
	v_mov_b32_e32 v3, 0
	s_and_saveexec_b32 s9, s3
	s_cbranch_execz .LBB26_32
; %bb.31:                               ;   in Loop: Header=BB26_8 Depth=1
	global_load_b64 v[2:3], v[13:14], off
.LBB26_32:                              ;   in Loop: Header=BB26_8 Depth=1
	s_or_b32 exec_lo, exec_lo, s9
	s_and_saveexec_b32 s9, s4
	s_cbranch_execz .LBB26_37
; %bb.33:                               ;   in Loop: Header=BB26_8 Depth=1
	global_load_u16 v8, v12, s[52:53]
	v_mov_b32_e32 v20, v0
	s_mov_b32 s10, 0
	v_mov_b32_e32 v19, v24
	s_waitcnt vmcnt(0)
	v_add_nc_u32_e32 v6, v0, v8
	v_mul_lo_u32 v9, s47, v8
	v_lshlrev_b32_e32 v18, 3, v8
	s_delay_alu instid0(VALU_DEP_3)
	v_mul_lo_u32 v11, s47, v6
	s_set_inst_prefetch_distance 0x1
	s_branch .LBB26_35
	.p2align	6
.LBB26_34:                              ;   in Loop: Header=BB26_35 Depth=2
	s_or_b32 exec_lo, exec_lo, s11
	v_cmp_le_i32_e32 vcc_lo, s44, v20
	ds_store_b64 v19, v[2:3]
	s_waitcnt vmcnt(0)
	v_dual_mov_b32 v2, v6 :: v_dual_add_nc_u32 v19, v19, v18
	v_add_nc_u32_e32 v11, v11, v9
	v_mov_b32_e32 v3, v7
	s_or_b32 s10, vcc_lo, s10
	s_delay_alu instid0(SALU_CYCLE_1)
	s_and_not1_b32 exec_lo, exec_lo, s10
	s_cbranch_execz .LBB26_37
.LBB26_35:                              ;   Parent Loop BB26_8 Depth=1
                                        ; =>  This Inner Loop Header: Depth=2
	v_mov_b32_e32 v6, 0
	v_dual_mov_b32 v7, 0 :: v_dual_add_nc_u32 v20, v20, v8
	s_mov_b32 s11, exec_lo
	s_delay_alu instid0(VALU_DEP_1)
	v_cmpx_gt_u32_e64 s44, v20
	s_cbranch_execz .LBB26_34
; %bb.36:                               ;   in Loop: Header=BB26_35 Depth=2
	v_lshlrev_b64 v[6:7], 3, v[11:12]
	s_delay_alu instid0(VALU_DEP_1) | instskip(NEXT) | instid1(VALU_DEP_2)
	v_add_co_u32 v6, vcc_lo, s66, v6
	v_add_co_ci_u32_e32 v7, vcc_lo, s67, v7, vcc_lo
	global_load_b64 v[6:7], v[6:7], off
	s_branch .LBB26_34
.LBB26_37:                              ;   in Loop: Header=BB26_8 Depth=1
	s_set_inst_prefetch_distance 0x2
	s_or_b32 exec_lo, exec_lo, s9
	s_waitcnt vmcnt(0) lgkmcnt(0)
	s_barrier
	buffer_gl0_inv
	s_and_saveexec_b32 s9, s0
	s_cbranch_execz .LBB26_39
; %bb.38:                               ;   in Loop: Header=BB26_8 Depth=1
	v_mov_b32_e32 v2, s44
	ds_store_b32 v12, v2 offset:4096
.LBB26_39:                              ;   in Loop: Header=BB26_8 Depth=1
	s_or_b32 exec_lo, exec_lo, s9
	s_mov_b32 s9, -1
	s_waitcnt lgkmcnt(0)
	s_barrier
                                        ; implicit-def: $sgpr95
.LBB26_40:                              ;   in Loop: Header=BB26_8 Depth=1
	s_and_b32 vcc_lo, exec_lo, s9
	s_cbranch_vccz .LBB26_42
; %bb.41:                               ;   in Loop: Header=BB26_8 Depth=1
	buffer_gl0_inv
	ds_load_b32 v2, v12 offset:4096
	s_waitcnt lgkmcnt(0)
	v_readfirstlane_b32 s95, v2
.LBB26_42:                              ;   in Loop: Header=BB26_8 Depth=1
	s_delay_alu instid0(VALU_DEP_1)
	s_cmp_lt_i32 s95, 1
	s_cbranch_scc0 .LBB26_54
; %bb.43:                               ;   in Loop: Header=BB26_8 Depth=1
	v_dual_mov_b32 v6, 0 :: v_dual_mov_b32 v7, 0
	v_dual_mov_b32 v8, 0 :: v_dual_mov_b32 v9, 0
	s_mov_b32 s97, 0
	s_and_saveexec_b32 s96, s5
	s_cbranch_execz .LBB26_47
; %bb.44:                               ;   in Loop: Header=BB26_8 Depth=1
	v_mov_b32_e32 v2, v23
	s_and_b32 s98, s89, 0xfe
	s_mov_b32 s99, 0
	s_mov_b32 s100, 0
	;; [unrolled: 1-line block ×5, first 2 shown]
.LBB26_45:                              ;   Parent Loop BB26_8 Depth=1
                                        ; =>  This Inner Loop Header: Depth=2
	v_add_nc_u32_e32 v6, s99, v31
	v_add_nc_u32_e32 v8, s99, v17
	;; [unrolled: 1-line block ×5, first 2 shown]
	v_ashrrev_i32_e32 v7, 31, v6
	v_ashrrev_i32_e32 v9, 31, v8
	;; [unrolled: 1-line block ×4, first 2 shown]
	s_add_i32 s99, s99, s84
	v_lshlrev_b64 v[6:7], 3, v[6:7]
	v_lshlrev_b64 v[8:9], 3, v[8:9]
	;; [unrolled: 1-line block ×4, first 2 shown]
	s_delay_alu instid0(VALU_DEP_4)
	v_add_co_u32 v6, vcc_lo, s66, v6
	v_add_co_ci_u32_e32 v7, vcc_lo, s67, v7, vcc_lo
	v_add_co_u32 v8, vcc_lo, s66, v8
	v_add_co_ci_u32_e32 v9, vcc_lo, s67, v9, vcc_lo
	;; [unrolled: 2-line block ×4, first 2 shown]
	s_clause 0x3
	global_load_b64 v[6:7], v[6:7], off
	global_load_b64 v[8:9], v[8:9], off
	global_load_b64 v[18:19], v[18:19], off
	global_load_b64 v[20:21], v[20:21], off
	v_mov_b32_e32 v36, v12
	v_mov_b32_e32 v38, v12
	;; [unrolled: 1-line block ×3, first 2 shown]
	v_cmp_le_i32_e32 vcc_lo, s81, v2
	s_waitcnt vmcnt(3)
	v_xor_b32_e32 v7, 0x80000000, v7
	s_waitcnt vmcnt(2)
	v_xor_b32_e32 v9, 0x80000000, v9
	s_waitcnt vmcnt(1)
	v_and_b32_e32 v45, s56, v18
	v_xor_b32_e32 v19, 0x80000000, v19
	v_and_b32_e32 v41, s56, v6
	v_and_b32_e32 v42, s57, v7
	v_lshrrev_b64 v[6:7], s98, v[6:7]
	s_waitcnt vmcnt(0)
	v_xor_b32_e32 v21, 0x80000000, v21
	v_and_b32_e32 v43, s56, v8
	v_lshrrev_b64 v[7:8], s98, v[8:9]
	v_and_b32_e32 v44, s57, v9
	v_lshrrev_b64 v[8:9], s98, v[18:19]
	;; [unrolled: 2-line block ×3, first 2 shown]
	v_and_b32_e32 v11, 3, v6
	v_and_b32_e32 v35, 3, v7
	v_cmp_eq_u64_e64 s9, s[54:55], v[41:42]
	v_and_b32_e32 v37, 3, v8
	v_and_b32_e32 v47, s56, v20
	v_cmp_eq_u64_e64 s13, 0, v[11:12]
	;; [unrolled: 3-line block ×3, first 2 shown]
	v_cmp_eq_u64_e64 s14, 0, v[35:36]
	v_cmp_eq_u64_e64 s11, s[54:55], v[45:46]
	;; [unrolled: 1-line block ×5, first 2 shown]
	s_and_b32 s13, s9, s13
	v_cmp_eq_u64_e64 s17, 1, v[11:12]
	v_cndmask_b32_e64 v3, 0, 1, s13
	s_and_b32 s13, s10, s14
	v_cmp_eq_u64_e64 s18, 1, v[35:36]
	v_cndmask_b32_e64 v6, 0, 1, s13
	;; [unrolled: 3-line block ×4, first 2 shown]
	s_and_b32 s13, s9, s17
	v_cmp_eq_u64_e64 s21, 2, v[11:12]
	v_cmp_eq_u64_e64 s25, 3, v[11:12]
	v_cndmask_b32_e64 v9, 0, 1, s13
	s_and_b32 s13, s10, s18
	v_cmp_eq_u64_e64 s22, 2, v[35:36]
	v_cmp_eq_u64_e64 s26, 3, v[35:36]
	v_cndmask_b32_e64 v11, 0, 1, s13
	;; [unrolled: 4-line block ×4, first 2 shown]
	s_and_b32 s13, s9, s21
	s_and_b32 s9, s9, s25
	v_cndmask_b32_e64 v20, 0, 1, s13
	s_and_b32 s13, s10, s22
	v_cndmask_b32_e64 v37, 0, 1, s9
	;; [unrolled: 2-line block ×7, first 2 shown]
	v_cndmask_b32_e64 v40, 0, 1, s9
	v_cmp_ne_u32_e64 s9, 0, v3
	v_cmp_ne_u32_e64 s13, 0, v9
	;; [unrolled: 1-line block ×12, first 2 shown]
	s_bcnt1_i32_b32 s9, s9
	s_bcnt1_i32_b32 s13, s13
	;; [unrolled: 1-line block ×4, first 2 shown]
	v_cmp_ne_u32_e64 s12, 0, v8
	v_cmp_ne_u32_e64 s16, 0, v19
	;; [unrolled: 1-line block ×4, first 2 shown]
	s_bcnt1_i32_b32 s10, s10
	s_bcnt1_i32_b32 s14, s14
	s_bcnt1_i32_b32 s18, s18
	s_bcnt1_i32_b32 s22, s22
	s_add_i32 s9, s9, s103
	s_add_i32 s13, s13, s102
	s_add_i32 s17, s17, s101
	s_add_i32 s21, s21, s100
	s_bcnt1_i32_b32 s11, s11
	s_bcnt1_i32_b32 s15, s15
	s_bcnt1_i32_b32 s19, s19
	s_bcnt1_i32_b32 s23, s23
	s_add_i32 s9, s9, s10
	s_add_i32 s10, s13, s14
	s_add_i32 s13, s17, s18
	s_add_i32 s14, s21, s22
	;; [unrolled: 8-line block ×3, first 2 shown]
	s_add_i32 s103, s9, s12
	s_add_i32 s102, s10, s16
	v_mov_b32_e32 v6, s103
	s_add_i32 s101, s11, s20
	s_add_i32 s100, s13, s24
	v_dual_mov_b32 v7, s102 :: v_dual_mov_b32 v8, s101
	v_mov_b32_e32 v9, s100
	s_or_b32 s97, vcc_lo, s97
	s_delay_alu instid0(SALU_CYCLE_1)
	s_and_not1_b32 exec_lo, exec_lo, s97
	s_cbranch_execnz .LBB26_45
; %bb.46:                               ;   in Loop: Header=BB26_8 Depth=1
	s_or_b32 exec_lo, exec_lo, s97
.LBB26_47:                              ;   in Loop: Header=BB26_8 Depth=1
	s_delay_alu instid0(SALU_CYCLE_1)
	s_or_b32 exec_lo, exec_lo, s96
	v_mov_b32_e32 v18, 0
	v_mov_b32_e32 v19, 0
	s_and_saveexec_b32 s9, s6
	s_cbranch_execz .LBB26_49
; %bb.48:                               ;   in Loop: Header=BB26_8 Depth=1
	global_load_b64 v[18:19], v[15:16], off
.LBB26_49:                              ;   in Loop: Header=BB26_8 Depth=1
	s_or_b32 exec_lo, exec_lo, s9
	s_and_saveexec_b32 s13, s7
	s_cbranch_execz .LBB26_56
; %bb.50:                               ;   in Loop: Header=BB26_8 Depth=1
	v_dual_mov_b32 v2, v32 :: v_dual_mov_b32 v35, v26
	s_and_b32 s15, s89, 0xfe
	s_mov_b32 s14, 0
	s_branch .LBB26_52
.LBB26_51:                              ;   in Loop: Header=BB26_52 Depth=2
	s_or_b32 exec_lo, exec_lo, s9
	s_waitcnt vmcnt(0)
	v_xor_b32_e32 v19, 0x80000000, v19
	v_add_nc_u32_e32 v2, s71, v2
	s_delay_alu instid0(VALU_DEP_2) | instskip(SKIP_2) | instid1(VALU_DEP_3)
	v_lshrrev_b64 v[36:37], s15, v[18:19]
	v_and_b32_e32 v18, s56, v18
	v_and_b32_e32 v19, s57, v19
	;; [unrolled: 1-line block ×3, first 2 shown]
	s_delay_alu instid0(VALU_DEP_2) | instskip(NEXT) | instid1(VALU_DEP_2)
	v_cmp_eq_u64_e32 vcc_lo, s[54:55], v[18:19]
	v_cmp_eq_u64_e64 s9, 0, v[11:12]
	v_cmp_eq_u64_e64 s10, 1, v[11:12]
	;; [unrolled: 1-line block ×4, first 2 shown]
	s_delay_alu instid0(VALU_DEP_4) | instskip(NEXT) | instid1(SALU_CYCLE_1)
	s_and_b32 s9, vcc_lo, s9
	v_cndmask_b32_e64 v3, 0, 1, s9
	s_delay_alu instid0(VALU_DEP_4) | instskip(NEXT) | instid1(SALU_CYCLE_1)
	s_and_b32 s9, vcc_lo, s10
	v_cndmask_b32_e64 v11, 0, 1, s9
	s_and_b32 s9, vcc_lo, s11
	s_delay_alu instid0(SALU_CYCLE_1)
	v_cndmask_b32_e64 v18, 0, 1, s9
	s_and_b32 s9, vcc_lo, s12
	v_cmp_ne_u32_e32 vcc_lo, 0, v3
	v_cndmask_b32_e64 v19, 0, 1, s9
	v_cmp_ne_u32_e64 s9, 0, v11
	v_cmp_ne_u32_e64 s10, 0, v18
	v_cmp_le_i32_e64 s12, s44, v35
	s_bcnt1_i32_b32 s16, vcc_lo
	v_cmp_ne_u32_e64 s11, 0, v19
	v_mov_b32_e32 v18, v20
	s_bcnt1_i32_b32 s9, s9
	s_bcnt1_i32_b32 s10, s10
	v_add_nc_u32_e32 v6, s16, v6
	s_bcnt1_i32_b32 s11, s11
	v_add_nc_u32_e32 v7, s9, v7
	v_add_nc_u32_e32 v8, s10, v8
	;; [unrolled: 1-line block ×3, first 2 shown]
	v_mov_b32_e32 v19, v21
	s_or_b32 s14, s12, s14
	s_delay_alu instid0(SALU_CYCLE_1)
	s_and_not1_b32 exec_lo, exec_lo, s14
	s_cbranch_execz .LBB26_55
.LBB26_52:                              ;   Parent Loop BB26_8 Depth=1
                                        ; =>  This Inner Loop Header: Depth=2
	s_delay_alu instid0(VALU_DEP_1) | instskip(SKIP_2) | instid1(VALU_DEP_2)
	v_dual_mov_b32 v20, 0 :: v_dual_add_nc_u32 v35, s68, v35
	v_mov_b32_e32 v21, 0
	s_mov_b32 s9, exec_lo
	v_cmpx_gt_u32_e64 s44, v35
	s_cbranch_execz .LBB26_51
; %bb.53:                               ;   in Loop: Header=BB26_52 Depth=2
	v_ashrrev_i32_e32 v3, 31, v2
	s_delay_alu instid0(VALU_DEP_1) | instskip(NEXT) | instid1(VALU_DEP_1)
	v_lshlrev_b64 v[20:21], 3, v[2:3]
	v_add_co_u32 v20, vcc_lo, s66, v20
	s_delay_alu instid0(VALU_DEP_2)
	v_add_co_ci_u32_e32 v21, vcc_lo, s67, v21, vcc_lo
	global_load_b64 v[20:21], v[20:21], off
	s_branch .LBB26_51
.LBB26_54:                              ;   in Loop: Header=BB26_8 Depth=1
                                        ; implicit-def: $vgpr9
	s_cbranch_execnz .LBB26_57
	s_branch .LBB26_66
.LBB26_55:                              ;   in Loop: Header=BB26_8 Depth=1
	s_or_b32 exec_lo, exec_lo, s14
.LBB26_56:                              ;   in Loop: Header=BB26_8 Depth=1
	s_delay_alu instid0(SALU_CYCLE_1)
	s_or_b32 exec_lo, exec_lo, s13
	s_branch .LBB26_66
.LBB26_57:                              ;   in Loop: Header=BB26_8 Depth=1
	s_mul_hi_u32 s9, s95, s80
	v_dual_mov_b32 v6, 0 :: v_dual_mov_b32 v7, 0
	s_mul_i32 s9, s9, s70
	v_dual_mov_b32 v8, 0 :: v_dual_mov_b32 v9, 0
	s_sub_i32 s9, s95, s9
	s_mov_b32 s98, 0
	s_sub_i32 s10, s9, s70
	s_cmp_ge_u32 s9, s70
	s_mov_b32 s97, exec_lo
	s_cselect_b32 s9, s10, s9
	s_delay_alu instid0(SALU_CYCLE_1) | instskip(SKIP_2) | instid1(SALU_CYCLE_1)
	s_sub_i32 s10, s9, s70
	s_cmp_ge_u32 s9, s70
	s_cselect_b32 s9, s10, s9
	s_sub_i32 s96, s95, s9
	s_delay_alu instid0(SALU_CYCLE_1)
	v_cmpx_gt_u32_e64 s96, v23
	s_cbranch_execz .LBB26_61
; %bb.58:                               ;   in Loop: Header=BB26_8 Depth=1
	v_dual_mov_b32 v2, v33 :: v_dual_mov_b32 v3, v23
	s_and_b32 s99, s89, 0xfe
	s_mov_b32 s100, 0
	s_mov_b32 s101, 0
	;; [unrolled: 1-line block ×4, first 2 shown]
.LBB26_59:                              ;   Parent Loop BB26_8 Depth=1
                                        ; =>  This Inner Loop Header: Depth=2
	ds_load_b128 v[6:9], v2
	s_waitcnt vmcnt(0)
	ds_load_b128 v[18:21], v2 offset:16
	v_mov_b32_e32 v38, v12
	v_dual_mov_b32 v40, v12 :: v_dual_add_nc_u32 v3, s70, v3
	v_mov_b32_e32 v36, v12
	s_delay_alu instid0(VALU_DEP_2)
	v_cmp_le_i32_e32 vcc_lo, s96, v3
	s_waitcnt lgkmcnt(1)
	v_xor_b32_e32 v7, 0x80000000, v7
	v_xor_b32_e32 v9, 0x80000000, v9
	s_waitcnt lgkmcnt(0)
	v_xor_b32_e32 v19, 0x80000000, v19
	v_and_b32_e32 v41, s56, v6
	v_xor_b32_e32 v21, 0x80000000, v21
	v_and_b32_e32 v42, s57, v7
	v_lshrrev_b64 v[6:7], s99, v[6:7]
	v_and_b32_e32 v43, s56, v8
	v_lshrrev_b64 v[7:8], s99, v[8:9]
	;; [unrolled: 2-line block ×3, first 2 shown]
	v_and_b32_e32 v45, s56, v18
	v_and_b32_e32 v46, s57, v19
	v_lshrrev_b64 v[18:19], s99, v[20:21]
	v_and_b32_e32 v11, 3, v6
	v_and_b32_e32 v35, 3, v7
	;; [unrolled: 1-line block ×3, first 2 shown]
	v_cmp_eq_u64_e64 s9, s[54:55], v[41:42]
	v_and_b32_e32 v47, s56, v20
	v_cmp_eq_u64_e64 s13, 0, v[11:12]
	v_and_b32_e32 v48, s57, v21
	v_and_b32_e32 v39, 3, v18
	v_cmp_eq_u64_e64 s10, s[54:55], v[43:44]
	v_cmp_eq_u64_e64 s14, 0, v[35:36]
	v_cmp_eq_u64_e64 s11, s[54:55], v[45:46]
	v_cmp_eq_u64_e64 s15, 0, v[37:38]
	v_cmp_eq_u64_e64 s12, s[54:55], v[47:48]
	v_cmp_eq_u64_e64 s16, 0, v[39:40]
	s_and_b32 s13, s9, s13
	v_cmp_eq_u64_e64 s17, 1, v[11:12]
	v_cndmask_b32_e64 v6, 0, 1, s13
	s_and_b32 s13, s10, s14
	v_cmp_eq_u64_e64 s18, 1, v[35:36]
	v_cndmask_b32_e64 v7, 0, 1, s13
	;; [unrolled: 3-line block ×4, first 2 shown]
	s_and_b32 s13, s9, s17
	v_cmp_eq_u64_e64 s21, 2, v[11:12]
	v_cmp_eq_u64_e64 s25, 3, v[11:12]
	v_cndmask_b32_e64 v11, 0, 1, s13
	s_and_b32 s13, s10, s18
	v_cmp_eq_u64_e64 s22, 2, v[35:36]
	v_cmp_eq_u64_e64 s26, 3, v[35:36]
	v_cndmask_b32_e64 v18, 0, 1, s13
	s_and_b32 s13, s11, s19
	v_cmp_eq_u64_e64 s23, 2, v[37:38]
	v_cmp_eq_u64_e64 s27, 3, v[37:38]
	v_cndmask_b32_e64 v19, 0, 1, s13
	s_and_b32 s13, s12, s20
	v_cmp_eq_u64_e64 s24, 2, v[39:40]
	v_cmp_eq_u64_e64 s28, 3, v[39:40]
	v_cndmask_b32_e64 v20, 0, 1, s13
	s_and_b32 s13, s9, s21
	s_and_b32 s9, s9, s25
	v_cndmask_b32_e64 v21, 0, 1, s13
	s_and_b32 s13, s10, s22
	v_cndmask_b32_e64 v38, 0, 1, s9
	;; [unrolled: 2-line block ×7, first 2 shown]
	v_cndmask_b32_e64 v41, 0, 1, s9
	v_cmp_ne_u32_e64 s9, 0, v6
	v_cmp_ne_u32_e64 s13, 0, v11
	;; [unrolled: 1-line block ×12, first 2 shown]
	s_bcnt1_i32_b32 s9, s9
	s_bcnt1_i32_b32 s13, s13
	;; [unrolled: 1-line block ×4, first 2 shown]
	v_cmp_ne_u32_e64 s12, 0, v9
	v_cmp_ne_u32_e64 s16, 0, v20
	;; [unrolled: 1-line block ×4, first 2 shown]
	s_bcnt1_i32_b32 s10, s10
	s_bcnt1_i32_b32 s14, s14
	s_bcnt1_i32_b32 s18, s18
	s_bcnt1_i32_b32 s22, s22
	s_add_i32 s9, s9, s103
	s_add_i32 s13, s13, s102
	s_add_i32 s17, s17, s101
	s_add_i32 s21, s21, s100
	s_bcnt1_i32_b32 s11, s11
	s_bcnt1_i32_b32 s15, s15
	s_bcnt1_i32_b32 s19, s19
	s_bcnt1_i32_b32 s23, s23
	s_add_i32 s9, s9, s10
	s_add_i32 s10, s13, s14
	s_add_i32 s13, s17, s18
	s_add_i32 s14, s21, s22
	;; [unrolled: 8-line block ×3, first 2 shown]
	s_add_i32 s103, s9, s12
	s_add_i32 s102, s10, s16
	;; [unrolled: 1-line block ×4, first 2 shown]
	v_mov_b32_e32 v8, s101
	v_dual_mov_b32 v7, s102 :: v_dual_add_nc_u32 v2, s85, v2
	v_dual_mov_b32 v6, s103 :: v_dual_mov_b32 v9, s100
	s_or_b32 s98, vcc_lo, s98
	s_delay_alu instid0(SALU_CYCLE_1)
	s_and_not1_b32 exec_lo, exec_lo, s98
	s_cbranch_execnz .LBB26_59
; %bb.60:                               ;   in Loop: Header=BB26_8 Depth=1
	s_or_b32 exec_lo, exec_lo, s98
.LBB26_61:                              ;   in Loop: Header=BB26_8 Depth=1
	s_delay_alu instid0(SALU_CYCLE_1) | instskip(SKIP_2) | instid1(VALU_DEP_1)
	s_or_b32 exec_lo, exec_lo, s97
	v_add_nc_u32_e32 v2, s96, v0
	s_mov_b32 s14, exec_lo
	v_cmpx_gt_i32_e64 s95, v2
	s_cbranch_execz .LBB26_65
; %bb.62:                               ;   in Loop: Header=BB26_8 Depth=1
	v_lshlrev_b32_e32 v3, 3, v2
	s_and_b32 s16, s89, 0xfe
	s_mov_b32 s15, 0
.LBB26_63:                              ;   Parent Loop BB26_8 Depth=1
                                        ; =>  This Inner Loop Header: Depth=2
	s_waitcnt vmcnt(0)
	ds_load_b64 v[18:19], v3
	v_add_nc_u32_e32 v2, s68, v2
	v_add_nc_u32_e32 v3, s86, v3
	s_delay_alu instid0(VALU_DEP_2) | instskip(SKIP_3) | instid1(VALU_DEP_2)
	v_cmp_le_i32_e32 vcc_lo, s95, v2
	s_waitcnt lgkmcnt(0)
	v_xor_b32_e32 v19, 0x80000000, v19
	v_and_b32_e32 v20, s56, v18
	v_and_b32_e32 v21, s57, v19
	v_lshrrev_b64 v[18:19], s16, v[18:19]
	s_delay_alu instid0(VALU_DEP_2) | instskip(NEXT) | instid1(VALU_DEP_2)
	v_cmp_eq_u64_e64 s9, s[54:55], v[20:21]
	v_and_b32_e32 v11, 3, v18
	s_delay_alu instid0(VALU_DEP_1) | instskip(SKIP_3) | instid1(VALU_DEP_4)
	v_cmp_eq_u64_e64 s10, 0, v[11:12]
	v_cmp_eq_u64_e64 s11, 1, v[11:12]
	;; [unrolled: 1-line block ×4, first 2 shown]
	s_and_b32 s10, s9, s10
	s_delay_alu instid0(SALU_CYCLE_1) | instskip(NEXT) | instid1(VALU_DEP_4)
	v_cndmask_b32_e64 v11, 0, 1, s10
	s_and_b32 s10, s9, s11
	s_delay_alu instid0(SALU_CYCLE_1)
	v_cndmask_b32_e64 v18, 0, 1, s10
	s_and_b32 s10, s9, s12
	s_and_b32 s9, s9, s13
	v_cndmask_b32_e64 v19, 0, 1, s10
	v_cndmask_b32_e64 v20, 0, 1, s9
	v_cmp_ne_u32_e64 s9, 0, v11
	v_cmp_ne_u32_e64 s10, 0, v18
	s_delay_alu instid0(VALU_DEP_4) | instskip(NEXT) | instid1(VALU_DEP_4)
	v_cmp_ne_u32_e64 s11, 0, v19
	v_cmp_ne_u32_e64 s12, 0, v20
	s_delay_alu instid0(VALU_DEP_4) | instskip(NEXT) | instid1(VALU_DEP_3)
	s_bcnt1_i32_b32 s9, s9
	s_bcnt1_i32_b32 s10, s10
	v_add_nc_u32_e32 v6, s9, v6
	s_bcnt1_i32_b32 s11, s11
	s_bcnt1_i32_b32 s12, s12
	v_add_nc_u32_e32 v7, s10, v7
	v_add_nc_u32_e32 v8, s11, v8
	;; [unrolled: 1-line block ×3, first 2 shown]
	s_or_b32 s15, vcc_lo, s15
	s_delay_alu instid0(SALU_CYCLE_1)
	s_and_not1_b32 exec_lo, exec_lo, s15
	s_cbranch_execnz .LBB26_63
; %bb.64:                               ;   in Loop: Header=BB26_8 Depth=1
	s_or_b32 exec_lo, exec_lo, s15
.LBB26_65:                              ;   in Loop: Header=BB26_8 Depth=1
	s_delay_alu instid0(SALU_CYCLE_1)
	s_or_b32 exec_lo, exec_lo, s14
.LBB26_66:                              ;   in Loop: Header=BB26_8 Depth=1
	s_lshl_b32 s9, s93, 7
	s_and_saveexec_b32 s10, s1
	s_cbranch_execz .LBB26_68
; %bb.67:                               ;   in Loop: Header=BB26_8 Depth=1
	v_or_b32_e32 v2, s9, v27
	s_delay_alu instid0(VALU_DEP_1)
	v_lshlrev_b32_e32 v2, 2, v2
	ds_store_b128 v2, v[6:9] offset:3072
.LBB26_68:                              ;   in Loop: Header=BB26_8 Depth=1
	s_or_b32 exec_lo, exec_lo, s10
	s_waitcnt vmcnt(0) lgkmcnt(0)
	s_barrier
	buffer_gl0_inv
	s_and_saveexec_b32 s10, s73
	s_cbranch_execz .LBB26_78
; %bb.69:                               ;   in Loop: Header=BB26_8 Depth=1
	v_mov_b32_e32 v2, 0
	s_and_not1_b32 vcc_lo, exec_lo, s75
	s_cbranch_vccnz .LBB26_77
; %bb.70:                               ;   in Loop: Header=BB26_8 Depth=1
	v_mov_b32_e32 v2, 0
	s_and_not1_b32 vcc_lo, exec_lo, s77
	s_mov_b32 s11, 0
	s_cbranch_vccnz .LBB26_74
; %bb.71:                               ;   in Loop: Header=BB26_8 Depth=1
	v_lshl_add_u32 v3, s93, 9, v34
	v_mov_b32_e32 v2, 0
	.p2align	6
.LBB26_72:                              ;   Parent Loop BB26_8 Depth=1
                                        ; =>  This Inner Loop Header: Depth=2
	ds_load_2addr_b32 v[6:7], v3 offset1:4
	ds_load_2addr_b32 v[8:9], v3 offset0:8 offset1:12
	ds_load_2addr_b32 v[18:19], v3 offset0:16 offset1:20
	;; [unrolled: 1-line block ×3, first 2 shown]
	v_add_nc_u32_e32 v3, 0x80, v3
	s_add_i32 s11, s11, 8
	s_delay_alu instid0(SALU_CYCLE_1) | instskip(SKIP_3) | instid1(VALU_DEP_1)
	s_cmp_eq_u32 s78, s11
	s_waitcnt lgkmcnt(3)
	v_add3_u32 v2, v6, v2, v7
	s_waitcnt lgkmcnt(2)
	v_add3_u32 v2, v8, v2, v9
	s_waitcnt lgkmcnt(1)
	s_delay_alu instid0(VALU_DEP_1) | instskip(SKIP_1) | instid1(VALU_DEP_1)
	v_add3_u32 v2, v18, v2, v19
	s_waitcnt lgkmcnt(0)
	v_add3_u32 v2, v20, v2, v21
	s_cbranch_scc0 .LBB26_72
; %bb.73:                               ;   in Loop: Header=BB26_8 Depth=1
	s_mov_b32 s11, s78
.LBB26_74:                              ;   in Loop: Header=BB26_8 Depth=1
	s_and_not1_b32 vcc_lo, exec_lo, s79
	s_cbranch_vccnz .LBB26_77
; %bb.75:                               ;   in Loop: Header=BB26_8 Depth=1
	s_lshl_b32 s12, s93, 9
	s_lshl_b32 s11, s11, 4
	s_delay_alu instid0(SALU_CYCLE_1)
	v_add3_u32 v3, s12, s11, v34
	s_mov_b32 s11, s76
.LBB26_76:                              ;   Parent Loop BB26_8 Depth=1
                                        ; =>  This Inner Loop Header: Depth=2
	ds_load_b32 v6, v3
	v_add_nc_u32_e32 v3, 16, v3
	s_add_i32 s11, s11, -1
	s_delay_alu instid0(SALU_CYCLE_1)
	s_cmp_lg_u32 s11, 0
	s_waitcnt lgkmcnt(0)
	v_add_nc_u32_e32 v2, v6, v2
	s_cbranch_scc1 .LBB26_76
.LBB26_77:                              ;   in Loop: Header=BB26_8 Depth=1
	v_add_lshl_u32 v3, s9, v22, 2
	ds_store_b32 v3, v2 offset:3072
.LBB26_78:                              ;   in Loop: Header=BB26_8 Depth=1
	s_or_b32 exec_lo, exec_lo, s10
	s_lshl_b32 s9, s9, 2
	s_waitcnt lgkmcnt(0)
	v_mov_b32_e32 v2, s9
	s_barrier
	buffer_gl0_inv
	s_and_b32 s22, s89, 0xfe
	s_delay_alu instid0(SALU_CYCLE_1)
	s_lshl_b64 s[10:11], 3, s22
	ds_load_b128 v[6:9], v2 offset:3072
	s_not_b64 s[12:13], s[10:11]
	s_waitcnt lgkmcnt(0)
	v_readfirstlane_b32 s20, v6
	v_readfirstlane_b32 s27, v7
	;; [unrolled: 1-line block ×4, first 2 shown]
	s_delay_alu instid0(VALU_DEP_4) | instskip(SKIP_3) | instid1(SALU_CYCLE_1)
	s_cmp_eq_u32 s20, 1
	s_cselect_b32 s9, -1, 0
	s_cmp_eq_u32 s45, 1
	s_cselect_b32 s14, -1, 0
	s_and_b32 s15, s9, s14
	s_mov_b32 s14, -1
	s_and_b32 vcc_lo, exec_lo, s15
	s_cbranch_vccz .LBB26_90
; %bb.79:                               ;   in Loop: Header=BB26_8 Depth=1
	ds_load_b32 v2, v12 offset:4096
	s_waitcnt lgkmcnt(0)
	s_barrier
	buffer_gl0_inv
	v_readfirstlane_b32 s16, v2
	s_and_saveexec_b32 s9, s2
	s_cbranch_execz .LBB26_81
; %bb.80:                               ;   in Loop: Header=BB26_8 Depth=1
	v_mov_b32_e32 v11, v12
	ds_store_b64 v25, v[11:12]
.LBB26_81:                              ;   in Loop: Header=BB26_8 Depth=1
	s_or_b32 exec_lo, exec_lo, s9
	s_and_b64 s[54:55], s[54:55], s[12:13]
	s_or_b64 s[56:57], s[56:57], s[10:11]
	s_cmp_lt_i32 s16, 1
	s_waitcnt lgkmcnt(0)
	s_barrier
	buffer_gl0_inv
	s_cbranch_scc0 .LBB26_91
; %bb.82:                               ;   in Loop: Header=BB26_8 Depth=1
	s_mov_b32 s9, 0
                                        ; implicit-def: $vgpr4_vgpr5
	s_and_saveexec_b32 s17, s8
	s_cbranch_execz .LBB26_93
; %bb.83:                               ;   in Loop: Header=BB26_8 Depth=1
	v_mov_b32_e32 v6, v10
	v_mov_b32_e32 v8, v0
	s_mov_b32 s23, 0
                                        ; implicit-def: $sgpr19
	s_set_inst_prefetch_distance 0x1
	s_branch .LBB26_85
	.p2align	6
.LBB26_84:                              ;   in Loop: Header=BB26_85 Depth=2
	s_or_b32 exec_lo, exec_lo, s9
	s_waitcnt vmcnt(0) lgkmcnt(0)
	s_barrier
	buffer_gl0_inv
	ds_load_b128 v[2:5], v12 offset:3072
	v_add_nc_u32_e32 v8, s68, v8
	v_add_nc_u32_e32 v6, s71, v6
	s_waitcnt lgkmcnt(0)
	s_barrier
	buffer_gl0_inv
	v_cmp_le_i32_e32 vcc_lo, s83, v8
	v_readfirstlane_b32 s25, v3
	v_readfirstlane_b32 s24, v2
	s_delay_alu instid0(VALU_DEP_1) | instskip(SKIP_1) | instid1(SALU_CYCLE_1)
	s_cmp_lg_u64 s[24:25], 0
	s_cselect_b32 s9, -1, 0
	s_or_b32 s24, vcc_lo, s9
	s_delay_alu instid0(SALU_CYCLE_1) | instskip(NEXT) | instid1(SALU_CYCLE_1)
	s_and_b32 s24, exec_lo, s24
	s_or_b32 s23, s24, s23
	s_and_not1_b32 s19, s19, exec_lo
	s_and_b32 s9, s9, exec_lo
	s_delay_alu instid0(SALU_CYCLE_1)
	s_or_b32 s19, s19, s9
	s_and_not1_b32 exec_lo, exec_lo, s23
	s_cbranch_execz .LBB26_92
.LBB26_85:                              ;   Parent Loop BB26_8 Depth=1
                                        ; =>  This Inner Loop Header: Depth=2
	v_mov_b32_e32 v3, 0
	v_mov_b32_e32 v4, 0
	v_cmp_gt_i32_e32 vcc_lo, s44, v8
	s_and_saveexec_b32 s24, vcc_lo
	s_cbranch_execz .LBB26_87
; %bb.86:                               ;   in Loop: Header=BB26_85 Depth=2
	v_ashrrev_i32_e32 v7, 31, v6
	s_delay_alu instid0(VALU_DEP_1) | instskip(NEXT) | instid1(VALU_DEP_1)
	v_lshlrev_b64 v[2:3], 3, v[6:7]
	v_add_co_u32 v2, s9, s66, v2
	s_delay_alu instid0(VALU_DEP_1)
	v_add_co_ci_u32_e64 v3, s9, s67, v3, s9
	global_load_b64 v[3:4], v[2:3], off
.LBB26_87:                              ;   in Loop: Header=BB26_85 Depth=2
	s_or_b32 exec_lo, exec_lo, s24
	s_and_saveexec_b32 s9, vcc_lo
	s_cbranch_execz .LBB26_84
; %bb.88:                               ;   in Loop: Header=BB26_85 Depth=2
	s_waitcnt vmcnt(0)
	v_xor_b32_e32 v2, 0x80000000, v4
	v_and_b32_e32 v18, s56, v3
	s_delay_alu instid0(VALU_DEP_2) | instskip(NEXT) | instid1(VALU_DEP_1)
	v_and_b32_e32 v19, s57, v2
	v_cmp_eq_u64_e32 vcc_lo, s[54:55], v[18:19]
	s_and_b32 exec_lo, exec_lo, vcc_lo
	s_cbranch_execz .LBB26_84
; %bb.89:                               ;   in Loop: Header=BB26_85 Depth=2
	v_mov_b32_e32 v2, v12
	ds_store_b128 v12, v[1:4] offset:3072
	s_branch .LBB26_84
.LBB26_90:                              ;   in Loop: Header=BB26_8 Depth=1
	s_mov_b32 s9, -1
                                        ; implicit-def: $sgpr17
                                        ; implicit-def: $sgpr23
                                        ; implicit-def: $sgpr19
	s_branch .LBB26_104
.LBB26_91:                              ;   in Loop: Header=BB26_8 Depth=1
	s_mov_b32 s17, -1
	s_mov_b32 s9, 0
                                        ; implicit-def: $sgpr19
                                        ; implicit-def: $vgpr4_vgpr5
	s_mov_b32 s23, s17
	s_cbranch_execnz .LBB26_94
	s_branch .LBB26_104
.LBB26_92:                              ;   in Loop: Header=BB26_8 Depth=1
	s_set_inst_prefetch_distance 0x2
	s_or_b32 exec_lo, exec_lo, s23
	s_delay_alu instid0(SALU_CYCLE_1)
	s_and_b32 s9, s19, exec_lo
.LBB26_93:                              ;   in Loop: Header=BB26_8 Depth=1
	s_or_b32 exec_lo, exec_lo, s17
	s_mov_b32 s19, -1
	s_mov_b32 s17, 0
	s_delay_alu instid0(SALU_CYCLE_1)
	s_mov_b32 s23, s17
	s_branch .LBB26_104
.LBB26_94:                              ;   in Loop: Header=BB26_8 Depth=1
	s_add_i32 s19, s16, s72
                                        ; implicit-def: $vgpr4_vgpr5
	s_delay_alu instid0(SALU_CYCLE_1) | instskip(NEXT) | instid1(SALU_CYCLE_1)
	s_abs_i32 s9, s19
	s_mul_hi_u32 s17, s9, s82
	s_delay_alu instid0(SALU_CYCLE_1) | instskip(NEXT) | instid1(SALU_CYCLE_1)
	s_mul_i32 s17, s17, s68
	s_sub_i32 s9, s9, s17
	s_ashr_i32 s17, s19, 31
	s_sub_i32 s23, s9, s68
	s_cmp_ge_u32 s9, s68
	s_cselect_b32 s9, s23, s9
	s_delay_alu instid0(SALU_CYCLE_1) | instskip(SKIP_2) | instid1(SALU_CYCLE_1)
	s_sub_i32 s23, s9, s68
	s_cmp_ge_u32 s9, s68
	s_cselect_b32 s9, s23, s9
	s_xor_b32 s9, s9, s17
	s_delay_alu instid0(SALU_CYCLE_1)
	s_sub_i32 s9, s17, s9
	s_mov_b32 s17, exec_lo
	s_add_i32 s19, s19, s9
	s_mov_b32 s9, 0
	v_cmpx_gt_i32_e64 s19, v0
	s_cbranch_execz .LBB26_103
; %bb.95:                               ;   in Loop: Header=BB26_8 Depth=1
	v_mov_b32_e32 v6, v24
	v_mov_b32_e32 v7, v0
	s_mov_b32 s23, 0
                                        ; implicit-def: $sgpr9
	s_set_inst_prefetch_distance 0x1
	s_branch .LBB26_97
	.p2align	6
.LBB26_96:                              ;   in Loop: Header=BB26_97 Depth=2
	s_or_b32 exec_lo, exec_lo, s24
	s_waitcnt lgkmcnt(0)
	s_barrier
	buffer_gl0_inv
	ds_load_b128 v[2:5], v12 offset:3072
	v_add_nc_u32_e32 v7, s68, v7
	v_add_nc_u32_e32 v6, s86, v6
	s_waitcnt lgkmcnt(0)
	s_barrier
	buffer_gl0_inv
	v_cmp_le_i32_e32 vcc_lo, s19, v7
	v_readfirstlane_b32 s25, v3
	v_readfirstlane_b32 s24, v2
	s_delay_alu instid0(VALU_DEP_1) | instskip(SKIP_1) | instid1(SALU_CYCLE_1)
	s_cmp_lg_u64 s[24:25], 0
	s_cselect_b32 s24, -1, 0
	s_or_b32 s25, vcc_lo, s24
	s_delay_alu instid0(SALU_CYCLE_1) | instskip(NEXT) | instid1(SALU_CYCLE_1)
	s_and_b32 s25, exec_lo, s25
	s_or_b32 s23, s25, s23
	s_and_not1_b32 s9, s9, exec_lo
	s_and_b32 s24, s24, exec_lo
	s_delay_alu instid0(SALU_CYCLE_1)
	s_or_b32 s9, s9, s24
	s_and_not1_b32 exec_lo, exec_lo, s23
	s_cbranch_execz .LBB26_102
.LBB26_97:                              ;   Parent Loop BB26_8 Depth=1
                                        ; =>  This Inner Loop Header: Depth=2
	v_mov_b32_e32 v3, 0
	v_mov_b32_e32 v4, 0
	v_cmp_gt_i32_e32 vcc_lo, s16, v7
	s_and_saveexec_b32 s24, vcc_lo
	s_cbranch_execz .LBB26_99
; %bb.98:                               ;   in Loop: Header=BB26_97 Depth=2
	ds_load_b64 v[3:4], v6
.LBB26_99:                              ;   in Loop: Header=BB26_97 Depth=2
	s_or_b32 exec_lo, exec_lo, s24
	s_and_saveexec_b32 s24, vcc_lo
	s_cbranch_execz .LBB26_96
; %bb.100:                              ;   in Loop: Header=BB26_97 Depth=2
	s_waitcnt lgkmcnt(0)
	v_xor_b32_e32 v2, 0x80000000, v4
	v_and_b32_e32 v8, s56, v3
	s_delay_alu instid0(VALU_DEP_2) | instskip(NEXT) | instid1(VALU_DEP_1)
	v_and_b32_e32 v9, s57, v2
	v_cmp_eq_u64_e32 vcc_lo, s[54:55], v[8:9]
	s_and_b32 exec_lo, exec_lo, vcc_lo
	s_cbranch_execz .LBB26_96
; %bb.101:                              ;   in Loop: Header=BB26_97 Depth=2
	v_mov_b32_e32 v2, v12
	ds_store_b128 v12, v[1:4] offset:3072
	s_branch .LBB26_96
.LBB26_102:                             ;   in Loop: Header=BB26_8 Depth=1
	s_set_inst_prefetch_distance 0x2
	s_or_b32 exec_lo, exec_lo, s23
	s_delay_alu instid0(SALU_CYCLE_1)
	s_and_b32 s9, s9, exec_lo
.LBB26_103:                             ;   in Loop: Header=BB26_8 Depth=1
	s_or_b32 exec_lo, exec_lo, s17
	s_mov_b32 s23, -1
	s_mov_b32 s17, 0
	s_mov_b32 s19, 0
.LBB26_104:                             ;   in Loop: Header=BB26_8 Depth=1
	s_and_not1_b32 s16, s91, exec_lo
	s_and_b32 s17, s17, exec_lo
	s_and_b32 s19, s19, exec_lo
	s_or_b32 s91, s16, s17
	s_and_not1_b32 s16, s94, exec_lo
	s_and_b32 s17, s23, exec_lo
	s_and_not1_b32 s23, s92, exec_lo
	s_or_b32 s94, s16, s17
	s_or_b32 s92, s23, s19
	s_and_saveexec_b32 s19, s9
	s_cbranch_execz .LBB26_7
; %bb.105:                              ;   in Loop: Header=BB26_8 Depth=1
	s_xor_b32 s9, s15, -1
	s_mov_b32 s23, 0
	s_and_not1_b32 vcc_lo, exec_lo, s9
	s_mov_b32 s28, 1
	s_cbranch_vccnz .LBB26_116
; %bb.106:                              ;   in Loop: Header=BB26_8 Depth=1
	s_cmp_gt_i32 s45, s20
	s_mov_b32 s23, -1
                                        ; implicit-def: $sgpr9
                                        ; implicit-def: $sgpr14_sgpr15
                                        ; implicit-def: $sgpr16_sgpr17
	s_cbranch_scc1 .LBB26_112
; %bb.107:                              ;   in Loop: Header=BB26_8 Depth=1
	ds_load_b32 v2, v12 offset:4096
	s_waitcnt lgkmcnt(0)
	v_cmp_ne_u32_e32 vcc_lo, 0, v2
	s_cbranch_vccnz .LBB26_111
; %bb.108:                              ;   in Loop: Header=BB26_8 Depth=1
	s_and_saveexec_b32 s9, s0
	s_cbranch_execz .LBB26_110
; %bb.109:                              ;   in Loop: Header=BB26_8 Depth=1
	v_mov_b32_e32 v2, s20
	ds_store_b32 v12, v2 offset:4100
.LBB26_110:                             ;   in Loop: Header=BB26_8 Depth=1
	s_or_b32 exec_lo, exec_lo, s9
	s_waitcnt lgkmcnt(0)
	s_barrier
	buffer_gl0_inv
.LBB26_111:                             ;   in Loop: Header=BB26_8 Depth=1
	s_and_b64 s[14:15], s[54:55], s[12:13]
	s_or_b64 s[16:17], s[56:57], s[10:11]
	s_mov_b32 s23, 0
	s_mov_b32 s9, 8
.LBB26_112:                             ;   in Loop: Header=BB26_8 Depth=1
	s_and_not1_b32 vcc_lo, exec_lo, s23
	s_cbranch_vccnz .LBB26_114
; %bb.113:                              ;   in Loop: Header=BB26_8 Depth=1
	s_sub_i32 s45, s45, s20
	s_mov_b32 s23, -1
	s_mov_b32 s9, 0
	s_mov_b64 s[14:15], s[54:55]
	s_mov_b64 s[16:17], s[56:57]
.LBB26_114:                             ;   in Loop: Header=BB26_8 Depth=1
	s_delay_alu instid0(SALU_CYCLE_1)
	s_mov_b64 s[56:57], s[16:17]
	s_mov_b64 s[54:55], s[14:15]
	s_mov_b32 s28, s45
	s_and_b32 vcc_lo, exec_lo, s23
	s_mov_b32 s20, -1
	s_cbranch_vccnz .LBB26_117
.LBB26_115:                             ;   in Loop: Header=BB26_8 Depth=1
	s_mov_b32 s15, -1
                                        ; implicit-def: $sgpr23
                                        ; implicit-def: $sgpr25
                                        ; implicit-def: $sgpr24
	s_delay_alu instid0(SALU_CYCLE_1) | instskip(NEXT) | instid1(SALU_CYCLE_1)
	s_and_saveexec_b32 s10, s15
	s_xor_b32 s10, exec_lo, s10
	s_cbranch_execz .LBB26_6
	s_branch .LBB26_240
.LBB26_116:                             ;   in Loop: Header=BB26_8 Depth=1
	s_mov_b32 s9, 1
	s_and_b32 vcc_lo, exec_lo, s23
	s_mov_b32 s20, -1
	s_cbranch_vccz .LBB26_115
.LBB26_117:                             ;   in Loop: Header=BB26_8 Depth=1
	s_cmp_eq_u32 s27, 1
	s_mov_b32 s16, -1
	s_cselect_b32 s9, -1, 0
	s_cmp_eq_u32 s28, 1
	s_cselect_b32 s14, -1, 0
	s_delay_alu instid0(SALU_CYCLE_1) | instskip(NEXT) | instid1(SALU_CYCLE_1)
	s_and_b32 s14, s9, s14
	s_and_b32 vcc_lo, exec_lo, s14
	s_cbranch_vccz .LBB26_129
; %bb.118:                              ;   in Loop: Header=BB26_8 Depth=1
	ds_load_b32 v2, v12 offset:4096
	s_waitcnt lgkmcnt(0)
	s_barrier
	buffer_gl0_inv
	v_readfirstlane_b32 s15, v2
	s_and_saveexec_b32 s9, s2
	s_cbranch_execz .LBB26_120
; %bb.119:                              ;   in Loop: Header=BB26_8 Depth=1
	v_mov_b32_e32 v11, v12
	ds_store_b64 v25, v[11:12]
.LBB26_120:                             ;   in Loop: Header=BB26_8 Depth=1
	s_or_b32 exec_lo, exec_lo, s9
	s_lshl_b64 s[16:17], 1, s22
	s_and_b64 s[24:25], s[54:55], s[12:13]
	s_or_b64 s[56:57], s[56:57], s[10:11]
	s_or_b64 s[54:55], s[24:25], s[16:17]
	s_cmp_gt_i32 s15, 0
	s_waitcnt lgkmcnt(0)
	s_barrier
	buffer_gl0_inv
	s_cbranch_scc1 .LBB26_130
; %bb.121:                              ;   in Loop: Header=BB26_8 Depth=1
	s_mov_b32 s16, 0
                                        ; implicit-def: $vgpr4_vgpr5
	s_and_saveexec_b32 s17, s8
	s_cbranch_execz .LBB26_132
; %bb.122:                              ;   in Loop: Header=BB26_8 Depth=1
	v_mov_b32_e32 v6, v10
	v_mov_b32_e32 v8, v0
	s_mov_b32 s23, 0
                                        ; implicit-def: $sgpr16
	s_set_inst_prefetch_distance 0x1
	s_branch .LBB26_124
	.p2align	6
.LBB26_123:                             ;   in Loop: Header=BB26_124 Depth=2
	s_or_b32 exec_lo, exec_lo, s9
	s_waitcnt vmcnt(0) lgkmcnt(0)
	s_barrier
	buffer_gl0_inv
	ds_load_b128 v[2:5], v12 offset:3072
	v_add_nc_u32_e32 v8, s68, v8
	v_add_nc_u32_e32 v6, s71, v6
	s_waitcnt lgkmcnt(0)
	s_barrier
	buffer_gl0_inv
	v_cmp_le_i32_e32 vcc_lo, s83, v8
	v_readfirstlane_b32 s25, v3
	v_readfirstlane_b32 s24, v2
	s_delay_alu instid0(VALU_DEP_1) | instskip(SKIP_1) | instid1(SALU_CYCLE_1)
	s_cmp_lg_u64 s[24:25], 0
	s_cselect_b32 s9, -1, 0
	s_or_b32 s24, vcc_lo, s9
	s_delay_alu instid0(SALU_CYCLE_1) | instskip(NEXT) | instid1(SALU_CYCLE_1)
	s_and_b32 s24, exec_lo, s24
	s_or_b32 s23, s24, s23
	s_and_not1_b32 s16, s16, exec_lo
	s_and_b32 s9, s9, exec_lo
	s_delay_alu instid0(SALU_CYCLE_1)
	s_or_b32 s16, s16, s9
	s_and_not1_b32 exec_lo, exec_lo, s23
	s_cbranch_execz .LBB26_131
.LBB26_124:                             ;   Parent Loop BB26_8 Depth=1
                                        ; =>  This Inner Loop Header: Depth=2
	v_mov_b32_e32 v3, 0
	v_mov_b32_e32 v4, 0
	v_cmp_gt_i32_e32 vcc_lo, s44, v8
	s_and_saveexec_b32 s24, vcc_lo
	s_cbranch_execz .LBB26_126
; %bb.125:                              ;   in Loop: Header=BB26_124 Depth=2
	v_ashrrev_i32_e32 v7, 31, v6
	s_delay_alu instid0(VALU_DEP_1) | instskip(NEXT) | instid1(VALU_DEP_1)
	v_lshlrev_b64 v[2:3], 3, v[6:7]
	v_add_co_u32 v2, s9, s66, v2
	s_delay_alu instid0(VALU_DEP_1)
	v_add_co_ci_u32_e64 v3, s9, s67, v3, s9
	global_load_b64 v[3:4], v[2:3], off
.LBB26_126:                             ;   in Loop: Header=BB26_124 Depth=2
	s_or_b32 exec_lo, exec_lo, s24
	s_and_saveexec_b32 s9, vcc_lo
	s_cbranch_execz .LBB26_123
; %bb.127:                              ;   in Loop: Header=BB26_124 Depth=2
	s_waitcnt vmcnt(0)
	v_xor_b32_e32 v2, 0x80000000, v4
	v_and_b32_e32 v18, s56, v3
	s_delay_alu instid0(VALU_DEP_2) | instskip(NEXT) | instid1(VALU_DEP_1)
	v_and_b32_e32 v19, s57, v2
	v_cmp_eq_u64_e32 vcc_lo, s[54:55], v[18:19]
	s_and_b32 exec_lo, exec_lo, vcc_lo
	s_cbranch_execz .LBB26_123
; %bb.128:                              ;   in Loop: Header=BB26_124 Depth=2
	v_mov_b32_e32 v2, v12
	ds_store_b128 v12, v[1:4] offset:3072
	s_branch .LBB26_123
.LBB26_129:                             ;   in Loop: Header=BB26_8 Depth=1
                                        ; implicit-def: $sgpr24
                                        ; implicit-def: $sgpr25
                                        ; implicit-def: $sgpr23
	s_branch .LBB26_143
.LBB26_130:                             ;   in Loop: Header=BB26_8 Depth=1
	s_mov_b32 s24, -1
	s_mov_b32 s16, 0
                                        ; implicit-def: $sgpr23
                                        ; implicit-def: $vgpr4_vgpr5
	s_mov_b32 s25, s24
	s_cbranch_execnz .LBB26_133
	s_branch .LBB26_143
.LBB26_131:                             ;   in Loop: Header=BB26_8 Depth=1
	s_set_inst_prefetch_distance 0x2
	s_or_b32 exec_lo, exec_lo, s23
	s_delay_alu instid0(SALU_CYCLE_1)
	s_and_b32 s16, s16, exec_lo
.LBB26_132:                             ;   in Loop: Header=BB26_8 Depth=1
	s_or_b32 exec_lo, exec_lo, s17
	s_mov_b32 s23, -1
	s_mov_b32 s24, 0
	s_delay_alu instid0(SALU_CYCLE_1)
	s_mov_b32 s25, s24
	s_branch .LBB26_143
.LBB26_133:                             ;   in Loop: Header=BB26_8 Depth=1
	s_add_i32 s17, s15, s72
                                        ; implicit-def: $vgpr4_vgpr5
	s_delay_alu instid0(SALU_CYCLE_1) | instskip(NEXT) | instid1(SALU_CYCLE_1)
	s_abs_i32 s9, s17
	s_mul_hi_u32 s16, s9, s82
	s_delay_alu instid0(SALU_CYCLE_1) | instskip(NEXT) | instid1(SALU_CYCLE_1)
	s_mul_i32 s16, s16, s68
	s_sub_i32 s9, s9, s16
	s_ashr_i32 s16, s17, 31
	s_sub_i32 s23, s9, s68
	s_cmp_ge_u32 s9, s68
	s_cselect_b32 s9, s23, s9
	s_delay_alu instid0(SALU_CYCLE_1) | instskip(SKIP_2) | instid1(SALU_CYCLE_1)
	s_sub_i32 s23, s9, s68
	s_cmp_ge_u32 s9, s68
	s_cselect_b32 s9, s23, s9
	s_xor_b32 s9, s9, s16
	s_delay_alu instid0(SALU_CYCLE_1)
	s_sub_i32 s9, s16, s9
	s_mov_b32 s16, 0
	s_add_i32 s17, s17, s9
	s_mov_b32 s9, exec_lo
	v_cmpx_gt_i32_e64 s17, v0
	s_cbranch_execz .LBB26_142
; %bb.134:                              ;   in Loop: Header=BB26_8 Depth=1
	v_mov_b32_e32 v6, v24
	v_mov_b32_e32 v7, v0
	s_mov_b32 s23, 0
                                        ; implicit-def: $sgpr16
	s_set_inst_prefetch_distance 0x1
	s_branch .LBB26_136
	.p2align	6
.LBB26_135:                             ;   in Loop: Header=BB26_136 Depth=2
	s_or_b32 exec_lo, exec_lo, s24
	s_waitcnt lgkmcnt(0)
	s_barrier
	buffer_gl0_inv
	ds_load_b128 v[2:5], v12 offset:3072
	v_add_nc_u32_e32 v7, s68, v7
	v_add_nc_u32_e32 v6, s86, v6
	s_waitcnt lgkmcnt(0)
	s_barrier
	buffer_gl0_inv
	v_cmp_le_i32_e32 vcc_lo, s17, v7
	v_readfirstlane_b32 s25, v3
	v_readfirstlane_b32 s24, v2
	s_delay_alu instid0(VALU_DEP_1) | instskip(SKIP_1) | instid1(SALU_CYCLE_1)
	s_cmp_lg_u64 s[24:25], 0
	s_cselect_b32 s24, -1, 0
	s_or_b32 s25, vcc_lo, s24
	s_delay_alu instid0(SALU_CYCLE_1) | instskip(NEXT) | instid1(SALU_CYCLE_1)
	s_and_b32 s25, exec_lo, s25
	s_or_b32 s23, s25, s23
	s_and_not1_b32 s16, s16, exec_lo
	s_and_b32 s24, s24, exec_lo
	s_delay_alu instid0(SALU_CYCLE_1)
	s_or_b32 s16, s16, s24
	s_and_not1_b32 exec_lo, exec_lo, s23
	s_cbranch_execz .LBB26_141
.LBB26_136:                             ;   Parent Loop BB26_8 Depth=1
                                        ; =>  This Inner Loop Header: Depth=2
	v_mov_b32_e32 v3, 0
	v_mov_b32_e32 v4, 0
	v_cmp_gt_i32_e32 vcc_lo, s15, v7
	s_and_saveexec_b32 s24, vcc_lo
	s_cbranch_execz .LBB26_138
; %bb.137:                              ;   in Loop: Header=BB26_136 Depth=2
	ds_load_b64 v[3:4], v6
.LBB26_138:                             ;   in Loop: Header=BB26_136 Depth=2
	s_or_b32 exec_lo, exec_lo, s24
	s_and_saveexec_b32 s24, vcc_lo
	s_cbranch_execz .LBB26_135
; %bb.139:                              ;   in Loop: Header=BB26_136 Depth=2
	s_waitcnt lgkmcnt(0)
	v_xor_b32_e32 v2, 0x80000000, v4
	v_and_b32_e32 v8, s56, v3
	s_delay_alu instid0(VALU_DEP_2) | instskip(NEXT) | instid1(VALU_DEP_1)
	v_and_b32_e32 v9, s57, v2
	v_cmp_eq_u64_e32 vcc_lo, s[54:55], v[8:9]
	s_and_b32 exec_lo, exec_lo, vcc_lo
	s_cbranch_execz .LBB26_135
; %bb.140:                              ;   in Loop: Header=BB26_136 Depth=2
	v_mov_b32_e32 v2, v12
	ds_store_b128 v12, v[1:4] offset:3072
	s_branch .LBB26_135
.LBB26_141:                             ;   in Loop: Header=BB26_8 Depth=1
	s_set_inst_prefetch_distance 0x2
	s_or_b32 exec_lo, exec_lo, s23
	s_delay_alu instid0(SALU_CYCLE_1)
	s_and_b32 s16, s16, exec_lo
.LBB26_142:                             ;   in Loop: Header=BB26_8 Depth=1
	s_or_b32 exec_lo, exec_lo, s9
	s_mov_b32 s25, -1
	s_mov_b32 s24, 0
	s_mov_b32 s23, 0
.LBB26_143:                             ;   in Loop: Header=BB26_8 Depth=1
	s_mov_b32 s15, 0
                                        ; implicit-def: $sgpr9
	s_and_saveexec_b32 s26, s16
	s_cbranch_execz .LBB26_239
; %bb.144:                              ;   in Loop: Header=BB26_8 Depth=1
	s_xor_b32 s9, s14, -1
	s_mov_b32 s45, 0
	s_and_not1_b32 vcc_lo, exec_lo, s9
	s_mov_b32 s96, 1
	s_cbranch_vccnz .LBB26_155
; %bb.145:                              ;   in Loop: Header=BB26_8 Depth=1
	s_cmp_gt_i32 s28, s27
	s_mov_b32 s45, -1
                                        ; implicit-def: $sgpr9
                                        ; implicit-def: $sgpr14_sgpr15
                                        ; implicit-def: $sgpr16_sgpr17
	s_cbranch_scc1 .LBB26_151
; %bb.146:                              ;   in Loop: Header=BB26_8 Depth=1
	ds_load_b32 v2, v12 offset:4096
	s_waitcnt lgkmcnt(0)
	v_cmp_ne_u32_e32 vcc_lo, 0, v2
	s_cbranch_vccnz .LBB26_150
; %bb.147:                              ;   in Loop: Header=BB26_8 Depth=1
	s_and_saveexec_b32 s9, s0
	s_cbranch_execz .LBB26_149
; %bb.148:                              ;   in Loop: Header=BB26_8 Depth=1
	v_mov_b32_e32 v2, s27
	ds_store_b32 v12, v2 offset:4100
.LBB26_149:                             ;   in Loop: Header=BB26_8 Depth=1
	s_or_b32 exec_lo, exec_lo, s9
	s_waitcnt lgkmcnt(0)
	s_barrier
	buffer_gl0_inv
.LBB26_150:                             ;   in Loop: Header=BB26_8 Depth=1
	s_lshl_b64 s[14:15], 1, s22
	s_and_b64 s[16:17], s[54:55], s[12:13]
	s_mov_b32 s45, 0
	s_or_b64 s[14:15], s[16:17], s[14:15]
	s_or_b64 s[16:17], s[56:57], s[10:11]
	s_mov_b32 s9, 8
.LBB26_151:                             ;   in Loop: Header=BB26_8 Depth=1
	s_and_not1_b32 vcc_lo, exec_lo, s45
	s_cbranch_vccnz .LBB26_153
; %bb.152:                              ;   in Loop: Header=BB26_8 Depth=1
	s_sub_i32 s28, s28, s27
	s_mov_b32 s45, -1
	s_mov_b32 s9, 0
	s_mov_b64 s[14:15], s[54:55]
	s_mov_b64 s[16:17], s[56:57]
.LBB26_153:                             ;   in Loop: Header=BB26_8 Depth=1
	s_delay_alu instid0(SALU_CYCLE_1)
	s_mov_b64 s[56:57], s[16:17]
	s_mov_b64 s[54:55], s[14:15]
	s_mov_b32 s96, s28
	s_and_not1_b32 vcc_lo, exec_lo, s45
	s_mov_b32 s15, -1
	s_cbranch_vccz .LBB26_156
.LBB26_154:                             ;   in Loop: Header=BB26_8 Depth=1
                                        ; implicit-def: $sgpr28
                                        ; implicit-def: $sgpr45
                                        ; implicit-def: $sgpr27
	s_branch .LBB26_238
.LBB26_155:                             ;   in Loop: Header=BB26_8 Depth=1
	s_mov_b32 s9, 1
	s_and_not1_b32 vcc_lo, exec_lo, s45
	s_mov_b32 s15, -1
	s_cbranch_vccnz .LBB26_154
.LBB26_156:                             ;   in Loop: Header=BB26_8 Depth=1
	s_cmp_eq_u32 s21, 1
	s_mov_b32 s16, -1
	s_cselect_b32 s9, -1, 0
	s_cmp_eq_u32 s96, 1
	s_cselect_b32 s14, -1, 0
	s_delay_alu instid0(SALU_CYCLE_1) | instskip(NEXT) | instid1(SALU_CYCLE_1)
	s_and_b32 s14, s9, s14
	s_and_b32 vcc_lo, exec_lo, s14
	s_cbranch_vccz .LBB26_168
; %bb.157:                              ;   in Loop: Header=BB26_8 Depth=1
	ds_load_b32 v2, v12 offset:4096
	s_waitcnt lgkmcnt(0)
	s_barrier
	buffer_gl0_inv
	v_readfirstlane_b32 s15, v2
	s_and_saveexec_b32 s9, s2
	s_cbranch_execz .LBB26_159
; %bb.158:                              ;   in Loop: Header=BB26_8 Depth=1
	v_mov_b32_e32 v11, v12
	ds_store_b64 v25, v[11:12]
.LBB26_159:                             ;   in Loop: Header=BB26_8 Depth=1
	s_or_b32 exec_lo, exec_lo, s9
	s_lshl_b64 s[16:17], 2, s22
	s_and_b64 s[54:55], s[54:55], s[12:13]
	s_or_b64 s[56:57], s[56:57], s[10:11]
	s_or_b64 s[54:55], s[54:55], s[16:17]
	s_cmp_gt_i32 s15, 0
	s_waitcnt lgkmcnt(0)
	s_barrier
	buffer_gl0_inv
	s_cbranch_scc1 .LBB26_169
; %bb.160:                              ;   in Loop: Header=BB26_8 Depth=1
	s_mov_b32 s16, 0
                                        ; implicit-def: $vgpr4_vgpr5
	s_and_saveexec_b32 s17, s8
	s_cbranch_execz .LBB26_171
; %bb.161:                              ;   in Loop: Header=BB26_8 Depth=1
	v_mov_b32_e32 v6, v10
	v_mov_b32_e32 v8, v0
	s_mov_b32 s27, 0
                                        ; implicit-def: $sgpr16
	s_set_inst_prefetch_distance 0x1
	s_branch .LBB26_163
	.p2align	6
.LBB26_162:                             ;   in Loop: Header=BB26_163 Depth=2
	s_or_b32 exec_lo, exec_lo, s9
	s_waitcnt vmcnt(0) lgkmcnt(0)
	s_barrier
	buffer_gl0_inv
	ds_load_b128 v[2:5], v12 offset:3072
	v_add_nc_u32_e32 v8, s68, v8
	v_add_nc_u32_e32 v6, s71, v6
	s_waitcnt lgkmcnt(0)
	s_barrier
	buffer_gl0_inv
	v_cmp_le_i32_e32 vcc_lo, s83, v8
	v_readfirstlane_b32 s99, v3
	v_readfirstlane_b32 s98, v2
	s_delay_alu instid0(VALU_DEP_1) | instskip(SKIP_1) | instid1(SALU_CYCLE_1)
	s_cmp_lg_u64 s[98:99], 0
	s_cselect_b32 s9, -1, 0
	s_or_b32 s28, vcc_lo, s9
	s_delay_alu instid0(SALU_CYCLE_1) | instskip(NEXT) | instid1(SALU_CYCLE_1)
	s_and_b32 s28, exec_lo, s28
	s_or_b32 s27, s28, s27
	s_and_not1_b32 s16, s16, exec_lo
	s_and_b32 s9, s9, exec_lo
	s_delay_alu instid0(SALU_CYCLE_1)
	s_or_b32 s16, s16, s9
	s_and_not1_b32 exec_lo, exec_lo, s27
	s_cbranch_execz .LBB26_170
.LBB26_163:                             ;   Parent Loop BB26_8 Depth=1
                                        ; =>  This Inner Loop Header: Depth=2
	v_mov_b32_e32 v3, 0
	v_mov_b32_e32 v4, 0
	v_cmp_gt_i32_e32 vcc_lo, s44, v8
	s_and_saveexec_b32 s28, vcc_lo
	s_cbranch_execz .LBB26_165
; %bb.164:                              ;   in Loop: Header=BB26_163 Depth=2
	v_ashrrev_i32_e32 v7, 31, v6
	s_delay_alu instid0(VALU_DEP_1) | instskip(NEXT) | instid1(VALU_DEP_1)
	v_lshlrev_b64 v[2:3], 3, v[6:7]
	v_add_co_u32 v2, s9, s66, v2
	s_delay_alu instid0(VALU_DEP_1)
	v_add_co_ci_u32_e64 v3, s9, s67, v3, s9
	global_load_b64 v[3:4], v[2:3], off
.LBB26_165:                             ;   in Loop: Header=BB26_163 Depth=2
	s_or_b32 exec_lo, exec_lo, s28
	s_and_saveexec_b32 s9, vcc_lo
	s_cbranch_execz .LBB26_162
; %bb.166:                              ;   in Loop: Header=BB26_163 Depth=2
	s_waitcnt vmcnt(0)
	v_xor_b32_e32 v2, 0x80000000, v4
	v_and_b32_e32 v18, s56, v3
	s_delay_alu instid0(VALU_DEP_2) | instskip(NEXT) | instid1(VALU_DEP_1)
	v_and_b32_e32 v19, s57, v2
	v_cmp_eq_u64_e32 vcc_lo, s[54:55], v[18:19]
	s_and_b32 exec_lo, exec_lo, vcc_lo
	s_cbranch_execz .LBB26_162
; %bb.167:                              ;   in Loop: Header=BB26_163 Depth=2
	v_mov_b32_e32 v2, v12
	ds_store_b128 v12, v[1:4] offset:3072
	s_branch .LBB26_162
.LBB26_168:                             ;   in Loop: Header=BB26_8 Depth=1
                                        ; implicit-def: $sgpr27
                                        ; implicit-def: $sgpr45
                                        ; implicit-def: $sgpr28
	s_branch .LBB26_182
.LBB26_169:                             ;   in Loop: Header=BB26_8 Depth=1
	s_mov_b32 s27, -1
	s_mov_b32 s16, 0
                                        ; implicit-def: $sgpr28
                                        ; implicit-def: $vgpr4_vgpr5
	s_mov_b32 s45, s27
	s_cbranch_execnz .LBB26_172
	s_branch .LBB26_182
.LBB26_170:                             ;   in Loop: Header=BB26_8 Depth=1
	s_set_inst_prefetch_distance 0x2
	s_or_b32 exec_lo, exec_lo, s27
	s_delay_alu instid0(SALU_CYCLE_1)
	s_and_b32 s16, s16, exec_lo
.LBB26_171:                             ;   in Loop: Header=BB26_8 Depth=1
	s_or_b32 exec_lo, exec_lo, s17
	s_mov_b32 s28, -1
	s_mov_b32 s27, 0
	s_delay_alu instid0(SALU_CYCLE_1)
	s_mov_b32 s45, s27
	s_branch .LBB26_182
.LBB26_172:                             ;   in Loop: Header=BB26_8 Depth=1
	s_add_i32 s17, s15, s72
                                        ; implicit-def: $vgpr4_vgpr5
	s_delay_alu instid0(SALU_CYCLE_1) | instskip(NEXT) | instid1(SALU_CYCLE_1)
	s_abs_i32 s9, s17
	s_mul_hi_u32 s16, s9, s82
	s_delay_alu instid0(SALU_CYCLE_1) | instskip(NEXT) | instid1(SALU_CYCLE_1)
	s_mul_i32 s16, s16, s68
	s_sub_i32 s9, s9, s16
	s_ashr_i32 s16, s17, 31
	s_sub_i32 s27, s9, s68
	s_cmp_ge_u32 s9, s68
	s_cselect_b32 s9, s27, s9
	s_delay_alu instid0(SALU_CYCLE_1) | instskip(SKIP_2) | instid1(SALU_CYCLE_1)
	s_sub_i32 s27, s9, s68
	s_cmp_ge_u32 s9, s68
	s_cselect_b32 s9, s27, s9
	s_xor_b32 s9, s9, s16
	s_delay_alu instid0(SALU_CYCLE_1)
	s_sub_i32 s9, s16, s9
	s_mov_b32 s16, 0
	s_add_i32 s17, s17, s9
	s_mov_b32 s9, exec_lo
	v_cmpx_gt_i32_e64 s17, v0
	s_cbranch_execz .LBB26_181
; %bb.173:                              ;   in Loop: Header=BB26_8 Depth=1
	v_mov_b32_e32 v6, v24
	v_mov_b32_e32 v7, v0
	s_mov_b32 s27, 0
                                        ; implicit-def: $sgpr16
	s_set_inst_prefetch_distance 0x1
	s_branch .LBB26_175
	.p2align	6
.LBB26_174:                             ;   in Loop: Header=BB26_175 Depth=2
	s_or_b32 exec_lo, exec_lo, s28
	s_waitcnt lgkmcnt(0)
	s_barrier
	buffer_gl0_inv
	ds_load_b128 v[2:5], v12 offset:3072
	v_add_nc_u32_e32 v7, s68, v7
	v_add_nc_u32_e32 v6, s86, v6
	s_waitcnt lgkmcnt(0)
	s_barrier
	buffer_gl0_inv
	v_cmp_le_i32_e32 vcc_lo, s17, v7
	v_readfirstlane_b32 s99, v3
	v_readfirstlane_b32 s98, v2
	s_delay_alu instid0(VALU_DEP_1) | instskip(SKIP_1) | instid1(SALU_CYCLE_1)
	s_cmp_lg_u64 s[98:99], 0
	s_cselect_b32 s28, -1, 0
	s_or_b32 s45, vcc_lo, s28
	s_delay_alu instid0(SALU_CYCLE_1) | instskip(NEXT) | instid1(SALU_CYCLE_1)
	s_and_b32 s45, exec_lo, s45
	s_or_b32 s27, s45, s27
	s_and_not1_b32 s16, s16, exec_lo
	s_and_b32 s28, s28, exec_lo
	s_delay_alu instid0(SALU_CYCLE_1)
	s_or_b32 s16, s16, s28
	s_and_not1_b32 exec_lo, exec_lo, s27
	s_cbranch_execz .LBB26_180
.LBB26_175:                             ;   Parent Loop BB26_8 Depth=1
                                        ; =>  This Inner Loop Header: Depth=2
	v_mov_b32_e32 v3, 0
	v_mov_b32_e32 v4, 0
	v_cmp_gt_i32_e32 vcc_lo, s15, v7
	s_and_saveexec_b32 s28, vcc_lo
	s_cbranch_execz .LBB26_177
; %bb.176:                              ;   in Loop: Header=BB26_175 Depth=2
	ds_load_b64 v[3:4], v6
.LBB26_177:                             ;   in Loop: Header=BB26_175 Depth=2
	s_or_b32 exec_lo, exec_lo, s28
	s_and_saveexec_b32 s28, vcc_lo
	s_cbranch_execz .LBB26_174
; %bb.178:                              ;   in Loop: Header=BB26_175 Depth=2
	s_waitcnt lgkmcnt(0)
	v_xor_b32_e32 v2, 0x80000000, v4
	v_and_b32_e32 v8, s56, v3
	s_delay_alu instid0(VALU_DEP_2) | instskip(NEXT) | instid1(VALU_DEP_1)
	v_and_b32_e32 v9, s57, v2
	v_cmp_eq_u64_e32 vcc_lo, s[54:55], v[8:9]
	s_and_b32 exec_lo, exec_lo, vcc_lo
	s_cbranch_execz .LBB26_174
; %bb.179:                              ;   in Loop: Header=BB26_175 Depth=2
	v_mov_b32_e32 v2, v12
	ds_store_b128 v12, v[1:4] offset:3072
	s_branch .LBB26_174
.LBB26_180:                             ;   in Loop: Header=BB26_8 Depth=1
	s_set_inst_prefetch_distance 0x2
	s_or_b32 exec_lo, exec_lo, s27
	s_delay_alu instid0(SALU_CYCLE_1)
	s_and_b32 s16, s16, exec_lo
.LBB26_181:                             ;   in Loop: Header=BB26_8 Depth=1
	s_or_b32 exec_lo, exec_lo, s9
	s_mov_b32 s45, -1
	s_mov_b32 s27, 0
	s_mov_b32 s28, 0
.LBB26_182:                             ;   in Loop: Header=BB26_8 Depth=1
	s_mov_b32 s15, 0
                                        ; implicit-def: $sgpr9
	s_and_saveexec_b32 s95, s16
	s_cbranch_execz .LBB26_237
; %bb.183:                              ;   in Loop: Header=BB26_8 Depth=1
	s_xor_b32 s9, s14, -1
	s_mov_b32 s97, 0
	s_and_not1_b32 vcc_lo, exec_lo, s9
	s_mov_b32 s14, 1
	s_cbranch_vccnz .LBB26_194
; %bb.184:                              ;   in Loop: Header=BB26_8 Depth=1
	s_cmp_gt_i32 s96, s21
	s_mov_b32 s97, -1
                                        ; implicit-def: $sgpr9
                                        ; implicit-def: $sgpr14_sgpr15
                                        ; implicit-def: $sgpr16_sgpr17
	s_cbranch_scc1 .LBB26_190
; %bb.185:                              ;   in Loop: Header=BB26_8 Depth=1
	ds_load_b32 v2, v12 offset:4096
	s_waitcnt lgkmcnt(0)
	v_cmp_ne_u32_e32 vcc_lo, 0, v2
	s_cbranch_vccnz .LBB26_189
; %bb.186:                              ;   in Loop: Header=BB26_8 Depth=1
	s_and_saveexec_b32 s9, s0
	s_cbranch_execz .LBB26_188
; %bb.187:                              ;   in Loop: Header=BB26_8 Depth=1
	v_mov_b32_e32 v2, s21
	ds_store_b32 v12, v2 offset:4100
.LBB26_188:                             ;   in Loop: Header=BB26_8 Depth=1
	s_or_b32 exec_lo, exec_lo, s9
	s_waitcnt lgkmcnt(0)
	s_barrier
	buffer_gl0_inv
.LBB26_189:                             ;   in Loop: Header=BB26_8 Depth=1
	s_lshl_b64 s[14:15], 2, s22
	s_and_b64 s[12:13], s[54:55], s[12:13]
	s_or_b64 s[16:17], s[56:57], s[10:11]
	s_or_b64 s[14:15], s[12:13], s[14:15]
	s_mov_b32 s97, 0
	s_mov_b32 s9, 8
.LBB26_190:                             ;   in Loop: Header=BB26_8 Depth=1
	s_and_not1_b32 vcc_lo, exec_lo, s97
	s_cbranch_vccnz .LBB26_192
; %bb.191:                              ;   in Loop: Header=BB26_8 Depth=1
	s_sub_i32 s96, s96, s21
	s_mov_b32 s97, -1
	s_mov_b32 s9, 0
	s_mov_b64 s[14:15], s[54:55]
	s_mov_b64 s[16:17], s[56:57]
.LBB26_192:                             ;   in Loop: Header=BB26_8 Depth=1
	s_delay_alu instid0(SALU_CYCLE_1)
	s_mov_b64 s[56:57], s[16:17]
	s_mov_b64 s[54:55], s[14:15]
	s_mov_b32 s14, s96
	s_and_not1_b32 vcc_lo, exec_lo, s97
	s_mov_b32 s13, -1
	s_cbranch_vccz .LBB26_195
.LBB26_193:                             ;   in Loop: Header=BB26_8 Depth=1
                                        ; implicit-def: $sgpr15
                                        ; implicit-def: $sgpr17
                                        ; implicit-def: $sgpr16
	s_branch .LBB26_236
.LBB26_194:                             ;   in Loop: Header=BB26_8 Depth=1
	s_mov_b32 s9, 1
	s_and_not1_b32 vcc_lo, exec_lo, s97
	s_mov_b32 s13, -1
	s_cbranch_vccnz .LBB26_193
.LBB26_195:                             ;   in Loop: Header=BB26_8 Depth=1
	s_cmp_eq_u32 s18, 1
	s_mov_b32 s21, -1
	s_cselect_b32 s9, -1, 0
	s_cmp_eq_u32 s14, 1
	s_cselect_b32 s12, -1, 0
	s_delay_alu instid0(SALU_CYCLE_1) | instskip(NEXT) | instid1(SALU_CYCLE_1)
	s_and_b32 s12, s9, s12
	s_and_b32 vcc_lo, exec_lo, s12
	s_cbranch_vccz .LBB26_207
; %bb.196:                              ;   in Loop: Header=BB26_8 Depth=1
	ds_load_b32 v2, v12 offset:4096
	s_waitcnt lgkmcnt(0)
	s_barrier
	buffer_gl0_inv
	v_readfirstlane_b32 s13, v2
	s_and_saveexec_b32 s9, s2
	s_cbranch_execz .LBB26_198
; %bb.197:                              ;   in Loop: Header=BB26_8 Depth=1
	v_mov_b32_e32 v11, v12
	ds_store_b64 v25, v[11:12]
.LBB26_198:                             ;   in Loop: Header=BB26_8 Depth=1
	s_or_b32 exec_lo, exec_lo, s9
	s_or_b64 s[54:55], s[54:55], s[10:11]
	s_or_b64 s[56:57], s[56:57], s[10:11]
	s_cmp_gt_i32 s13, 0
	s_waitcnt lgkmcnt(0)
	s_barrier
	buffer_gl0_inv
	s_cbranch_scc1 .LBB26_208
; %bb.199:                              ;   in Loop: Header=BB26_8 Depth=1
	s_mov_b32 s21, 0
                                        ; implicit-def: $vgpr4_vgpr5
	s_and_saveexec_b32 s15, s8
	s_cbranch_execz .LBB26_210
; %bb.200:                              ;   in Loop: Header=BB26_8 Depth=1
	v_mov_b32_e32 v6, v10
	v_mov_b32_e32 v8, v0
	s_mov_b32 s17, 0
                                        ; implicit-def: $sgpr16
	s_set_inst_prefetch_distance 0x1
	s_branch .LBB26_202
	.p2align	6
.LBB26_201:                             ;   in Loop: Header=BB26_202 Depth=2
	s_or_b32 exec_lo, exec_lo, s9
	s_waitcnt vmcnt(0) lgkmcnt(0)
	s_barrier
	buffer_gl0_inv
	ds_load_b128 v[2:5], v12 offset:3072
	v_add_nc_u32_e32 v8, s68, v8
	v_add_nc_u32_e32 v6, s71, v6
	s_waitcnt lgkmcnt(0)
	s_barrier
	buffer_gl0_inv
	v_cmp_le_i32_e32 vcc_lo, s83, v8
	v_readfirstlane_b32 s97, v3
	v_readfirstlane_b32 s96, v2
	s_delay_alu instid0(VALU_DEP_1) | instskip(SKIP_1) | instid1(SALU_CYCLE_1)
	s_cmp_lg_u64 s[96:97], 0
	s_cselect_b32 s9, -1, 0
	s_or_b32 s21, vcc_lo, s9
	s_delay_alu instid0(SALU_CYCLE_1) | instskip(NEXT) | instid1(SALU_CYCLE_1)
	s_and_b32 s21, exec_lo, s21
	s_or_b32 s17, s21, s17
	s_and_not1_b32 s16, s16, exec_lo
	s_and_b32 s9, s9, exec_lo
	s_delay_alu instid0(SALU_CYCLE_1)
	s_or_b32 s16, s16, s9
	s_and_not1_b32 exec_lo, exec_lo, s17
	s_cbranch_execz .LBB26_209
.LBB26_202:                             ;   Parent Loop BB26_8 Depth=1
                                        ; =>  This Inner Loop Header: Depth=2
	v_mov_b32_e32 v3, 0
	v_mov_b32_e32 v4, 0
	v_cmp_gt_i32_e32 vcc_lo, s44, v8
	s_and_saveexec_b32 s21, vcc_lo
	s_cbranch_execz .LBB26_204
; %bb.203:                              ;   in Loop: Header=BB26_202 Depth=2
	v_ashrrev_i32_e32 v7, 31, v6
	s_delay_alu instid0(VALU_DEP_1) | instskip(NEXT) | instid1(VALU_DEP_1)
	v_lshlrev_b64 v[2:3], 3, v[6:7]
	v_add_co_u32 v2, s9, s66, v2
	s_delay_alu instid0(VALU_DEP_1)
	v_add_co_ci_u32_e64 v3, s9, s67, v3, s9
	global_load_b64 v[3:4], v[2:3], off
.LBB26_204:                             ;   in Loop: Header=BB26_202 Depth=2
	s_or_b32 exec_lo, exec_lo, s21
	s_and_saveexec_b32 s9, vcc_lo
	s_cbranch_execz .LBB26_201
; %bb.205:                              ;   in Loop: Header=BB26_202 Depth=2
	s_waitcnt vmcnt(0)
	v_xor_b32_e32 v2, 0x80000000, v4
	v_and_b32_e32 v18, s56, v3
	s_delay_alu instid0(VALU_DEP_2) | instskip(NEXT) | instid1(VALU_DEP_1)
	v_and_b32_e32 v19, s57, v2
	v_cmp_eq_u64_e32 vcc_lo, s[54:55], v[18:19]
	s_and_b32 exec_lo, exec_lo, vcc_lo
	s_cbranch_execz .LBB26_201
; %bb.206:                              ;   in Loop: Header=BB26_202 Depth=2
	v_mov_b32_e32 v2, v12
	ds_store_b128 v12, v[1:4] offset:3072
	s_branch .LBB26_201
.LBB26_207:                             ;   in Loop: Header=BB26_8 Depth=1
                                        ; implicit-def: $sgpr15
                                        ; implicit-def: $sgpr17
                                        ; implicit-def: $sgpr16
	s_branch .LBB26_221
.LBB26_208:                             ;   in Loop: Header=BB26_8 Depth=1
	s_mov_b32 s15, -1
	s_mov_b32 s21, 0
                                        ; implicit-def: $sgpr16
                                        ; implicit-def: $vgpr4_vgpr5
	s_mov_b32 s17, s15
	s_cbranch_execnz .LBB26_211
	s_branch .LBB26_221
.LBB26_209:                             ;   in Loop: Header=BB26_8 Depth=1
	s_set_inst_prefetch_distance 0x2
	s_or_b32 exec_lo, exec_lo, s17
	s_delay_alu instid0(SALU_CYCLE_1)
	s_and_b32 s21, s16, exec_lo
.LBB26_210:                             ;   in Loop: Header=BB26_8 Depth=1
	s_or_b32 exec_lo, exec_lo, s15
	s_mov_b32 s16, -1
	s_mov_b32 s15, 0
	s_delay_alu instid0(SALU_CYCLE_1)
	s_mov_b32 s17, s15
	s_branch .LBB26_221
.LBB26_211:                             ;   in Loop: Header=BB26_8 Depth=1
	s_add_i32 s15, s13, s72
	s_mov_b32 s21, 0
	s_abs_i32 s9, s15
                                        ; implicit-def: $vgpr4_vgpr5
	s_delay_alu instid0(SALU_CYCLE_1) | instskip(NEXT) | instid1(SALU_CYCLE_1)
	s_mul_hi_u32 s16, s9, s82
	s_mul_i32 s16, s16, s68
	s_delay_alu instid0(SALU_CYCLE_1) | instskip(SKIP_4) | instid1(SALU_CYCLE_1)
	s_sub_i32 s9, s9, s16
	s_ashr_i32 s16, s15, 31
	s_sub_i32 s17, s9, s68
	s_cmp_ge_u32 s9, s68
	s_cselect_b32 s9, s17, s9
	s_sub_i32 s17, s9, s68
	s_cmp_ge_u32 s9, s68
	s_cselect_b32 s9, s17, s9
	s_delay_alu instid0(SALU_CYCLE_1) | instskip(NEXT) | instid1(SALU_CYCLE_1)
	s_xor_b32 s9, s9, s16
	s_sub_i32 s9, s16, s9
	s_delay_alu instid0(SALU_CYCLE_1)
	s_add_i32 s15, s15, s9
	s_mov_b32 s9, exec_lo
	v_cmpx_gt_i32_e64 s15, v0
	s_cbranch_execz .LBB26_220
; %bb.212:                              ;   in Loop: Header=BB26_8 Depth=1
	v_mov_b32_e32 v6, v24
	v_mov_b32_e32 v7, v0
	s_mov_b32 s17, 0
                                        ; implicit-def: $sgpr16
	s_set_inst_prefetch_distance 0x1
	s_branch .LBB26_214
	.p2align	6
.LBB26_213:                             ;   in Loop: Header=BB26_214 Depth=2
	s_or_b32 exec_lo, exec_lo, s21
	s_waitcnt lgkmcnt(0)
	s_barrier
	buffer_gl0_inv
	ds_load_b128 v[2:5], v12 offset:3072
	v_add_nc_u32_e32 v7, s68, v7
	v_add_nc_u32_e32 v6, s86, v6
	s_waitcnt lgkmcnt(0)
	s_barrier
	buffer_gl0_inv
	v_cmp_le_i32_e32 vcc_lo, s15, v7
	v_readfirstlane_b32 s97, v3
	v_readfirstlane_b32 s96, v2
	s_delay_alu instid0(VALU_DEP_1) | instskip(SKIP_1) | instid1(SALU_CYCLE_1)
	s_cmp_lg_u64 s[96:97], 0
	s_cselect_b32 s21, -1, 0
	s_or_b32 s22, vcc_lo, s21
	s_delay_alu instid0(SALU_CYCLE_1) | instskip(NEXT) | instid1(SALU_CYCLE_1)
	s_and_b32 s22, exec_lo, s22
	s_or_b32 s17, s22, s17
	s_and_not1_b32 s16, s16, exec_lo
	s_and_b32 s21, s21, exec_lo
	s_delay_alu instid0(SALU_CYCLE_1)
	s_or_b32 s16, s16, s21
	s_and_not1_b32 exec_lo, exec_lo, s17
	s_cbranch_execz .LBB26_219
.LBB26_214:                             ;   Parent Loop BB26_8 Depth=1
                                        ; =>  This Inner Loop Header: Depth=2
	v_mov_b32_e32 v3, 0
	v_mov_b32_e32 v4, 0
	v_cmp_gt_i32_e32 vcc_lo, s13, v7
	s_and_saveexec_b32 s21, vcc_lo
	s_cbranch_execz .LBB26_216
; %bb.215:                              ;   in Loop: Header=BB26_214 Depth=2
	ds_load_b64 v[3:4], v6
.LBB26_216:                             ;   in Loop: Header=BB26_214 Depth=2
	s_or_b32 exec_lo, exec_lo, s21
	s_and_saveexec_b32 s21, vcc_lo
	s_cbranch_execz .LBB26_213
; %bb.217:                              ;   in Loop: Header=BB26_214 Depth=2
	s_waitcnt lgkmcnt(0)
	v_xor_b32_e32 v2, 0x80000000, v4
	v_and_b32_e32 v8, s56, v3
	s_delay_alu instid0(VALU_DEP_2) | instskip(NEXT) | instid1(VALU_DEP_1)
	v_and_b32_e32 v9, s57, v2
	v_cmp_eq_u64_e32 vcc_lo, s[54:55], v[8:9]
	s_and_b32 exec_lo, exec_lo, vcc_lo
	s_cbranch_execz .LBB26_213
; %bb.218:                              ;   in Loop: Header=BB26_214 Depth=2
	v_mov_b32_e32 v2, v12
	ds_store_b128 v12, v[1:4] offset:3072
	s_branch .LBB26_213
.LBB26_219:                             ;   in Loop: Header=BB26_8 Depth=1
	s_set_inst_prefetch_distance 0x2
	s_or_b32 exec_lo, exec_lo, s17
	s_delay_alu instid0(SALU_CYCLE_1)
	s_and_b32 s21, s16, exec_lo
.LBB26_220:                             ;   in Loop: Header=BB26_8 Depth=1
	s_or_b32 exec_lo, exec_lo, s9
	s_mov_b32 s17, -1
	s_mov_b32 s15, 0
	s_mov_b32 s16, 0
.LBB26_221:                             ;   in Loop: Header=BB26_8 Depth=1
	s_mov_b32 s13, 0
                                        ; implicit-def: $sgpr9
	s_and_saveexec_b32 s22, s21
	s_cbranch_execz .LBB26_235
; %bb.222:                              ;   in Loop: Header=BB26_8 Depth=1
	s_xor_b32 s9, s12, -1
	s_delay_alu instid0(SALU_CYCLE_1)
	s_and_not1_b32 vcc_lo, exec_lo, s9
	s_mov_b32 s9, 1
	s_cbranch_vccnz .LBB26_229
; %bb.223:                              ;   in Loop: Header=BB26_8 Depth=1
	s_cmp_gt_i32 s14, s18
	s_cbranch_scc1 .LBB26_230
; %bb.224:                              ;   in Loop: Header=BB26_8 Depth=1
	ds_load_b32 v2, v12 offset:4096
	s_waitcnt lgkmcnt(0)
	v_cmp_ne_u32_e32 vcc_lo, 0, v2
	s_cbranch_vccnz .LBB26_228
; %bb.225:                              ;   in Loop: Header=BB26_8 Depth=1
	s_and_saveexec_b32 s9, s0
	s_cbranch_execz .LBB26_227
; %bb.226:                              ;   in Loop: Header=BB26_8 Depth=1
	v_mov_b32_e32 v2, s18
	ds_store_b32 v12, v2 offset:4100
.LBB26_227:                             ;   in Loop: Header=BB26_8 Depth=1
	s_or_b32 exec_lo, exec_lo, s9
	s_waitcnt lgkmcnt(0)
	s_barrier
	buffer_gl0_inv
.LBB26_228:                             ;   in Loop: Header=BB26_8 Depth=1
	s_or_b64 s[12:13], s[54:55], s[10:11]
	s_or_b64 s[10:11], s[56:57], s[10:11]
	s_mov_b32 s21, 0
	s_mov_b32 s9, 8
	s_branch .LBB26_231
.LBB26_229:                             ;   in Loop: Header=BB26_8 Depth=1
	s_mov_b32 s14, 1
	s_branch .LBB26_234
.LBB26_230:                             ;   in Loop: Header=BB26_8 Depth=1
	s_mov_b32 s21, -1
                                        ; implicit-def: $sgpr9
                                        ; implicit-def: $sgpr12_sgpr13
                                        ; implicit-def: $sgpr10_sgpr11
.LBB26_231:                             ;   in Loop: Header=BB26_8 Depth=1
	s_delay_alu instid0(SALU_CYCLE_1)
	s_and_not1_b32 vcc_lo, exec_lo, s21
	s_cbranch_vccnz .LBB26_233
; %bb.232:                              ;   in Loop: Header=BB26_8 Depth=1
	s_sub_i32 s14, s14, s18
	s_mov_b32 s9, 8
	s_mov_b64 s[12:13], s[54:55]
	s_mov_b64 s[10:11], s[56:57]
.LBB26_233:                             ;   in Loop: Header=BB26_8 Depth=1
	s_mov_b64 s[54:55], s[12:13]
	s_mov_b64 s[56:57], s[10:11]
.LBB26_234:                             ;   in Loop: Header=BB26_8 Depth=1
	s_mov_b32 s13, exec_lo
.LBB26_235:                             ;   in Loop: Header=BB26_8 Depth=1
	s_or_b32 exec_lo, exec_lo, s22
.LBB26_236:                             ;   in Loop: Header=BB26_8 Depth=1
	s_delay_alu instid0(SALU_CYCLE_1)
	s_and_not1_b32 s10, s27, exec_lo
	s_and_b32 s11, s15, exec_lo
	s_and_not1_b32 s12, s28, exec_lo
	s_or_b32 s27, s10, s11
	s_and_not1_b32 s10, s45, exec_lo
	s_and_b32 s11, s17, exec_lo
	s_and_b32 s15, s16, exec_lo
	s_or_b32 s45, s10, s11
	s_or_b32 s28, s12, s15
	s_and_b32 s15, s13, exec_lo
	s_mov_b32 s96, s14
.LBB26_237:                             ;   in Loop: Header=BB26_8 Depth=1
	s_or_b32 exec_lo, exec_lo, s95
.LBB26_238:                             ;   in Loop: Header=BB26_8 Depth=1
	s_delay_alu instid0(SALU_CYCLE_1)
	s_and_not1_b32 s10, s24, exec_lo
	s_and_b32 s11, s27, exec_lo
	s_and_not1_b32 s12, s23, exec_lo
	s_or_b32 s24, s10, s11
	s_and_not1_b32 s10, s25, exec_lo
	s_and_b32 s11, s45, exec_lo
	s_and_b32 s13, s28, exec_lo
	s_or_b32 s25, s10, s11
	s_or_b32 s23, s12, s13
	s_and_b32 s15, s15, exec_lo
	s_mov_b32 s28, s96
.LBB26_239:                             ;   in Loop: Header=BB26_8 Depth=1
	s_or_b32 exec_lo, exec_lo, s26
	s_and_saveexec_b32 s10, s15
	s_delay_alu instid0(SALU_CYCLE_1)
	s_xor_b32 s10, exec_lo, s10
	s_cbranch_execz .LBB26_6
.LBB26_240:                             ;   in Loop: Header=BB26_8 Depth=1
	s_and_b32 s9, s9, -9
	s_delay_alu instid0(SALU_CYCLE_1)
	s_cmp_eq_u32 s9, 0
	s_cbranch_scc1 .LBB26_4
; %bb.241:                              ;   in Loop: Header=BB26_8 Depth=1
	s_mov_b32 s9, -1
	s_mov_b32 s11, -1
                                        ; implicit-def: $sgpr56_sgpr57
                                        ; implicit-def: $sgpr28
                                        ; implicit-def: $sgpr89
                                        ; implicit-def: $sgpr93
	s_branch .LBB26_5
.LBB26_242:
	s_or_b32 exec_lo, exec_lo, s69
	s_xor_b32 s4, s90, -1
	s_xor_b32 s1, s87, -1
	;; [unrolled: 1-line block ×3, first 2 shown]
	s_mov_b32 s2, 0
	s_and_saveexec_b32 s5, s1
	s_delay_alu instid0(SALU_CYCLE_1)
	s_xor_b32 s1, exec_lo, s5
	s_cbranch_execz .LBB26_263
; %bb.243:
	s_and_saveexec_b32 s2, s4
	s_delay_alu instid0(SALU_CYCLE_1)
	s_xor_b32 s2, exec_lo, s2
	s_cbranch_execz .LBB26_261
; %bb.244:
	s_and_saveexec_b32 s4, s3
	s_delay_alu instid0(SALU_CYCLE_1)
	s_xor_b32 s3, exec_lo, s4
; %bb.245:
	v_xor_b32_e32 v3, 0x80000000, v3
	s_delay_alu instid0(VALU_DEP_1)
	v_dual_mov_b32 v5, v3 :: v_dual_mov_b32 v4, v2
; %bb.246:
	s_or_b32 exec_lo, exec_lo, s3
	s_and_saveexec_b32 s3, s0
	s_cbranch_execz .LBB26_248
; %bb.247:
	v_dual_mov_b32 v1, 0 :: v_dual_mov_b32 v2, s44
	ds_store_b32 v1, v2 offset:4108
.LBB26_248:
	s_or_b32 exec_lo, exec_lo, s3
	v_mov_b32_e32 v1, 0
	s_waitcnt lgkmcnt(0)
	s_barrier
	buffer_gl0_inv
	s_mov_b32 s3, exec_lo
	ds_load_b32 v1, v1 offset:4108
	s_waitcnt lgkmcnt(0)
	v_min_i32_e32 v1, s44, v1
	s_delay_alu instid0(VALU_DEP_1)
	v_cmpx_lt_i32_e64 v0, v1
	s_cbranch_execz .LBB26_258
; %bb.249:
	s_mov_b32 s4, 0
                                        ; implicit-def: $sgpr5
                                        ; implicit-def: $sgpr7
                                        ; implicit-def: $sgpr6
	s_set_inst_prefetch_distance 0x1
	s_branch .LBB26_251
	.p2align	6
.LBB26_250:                             ;   in Loop: Header=BB26_251 Depth=1
	s_or_b32 exec_lo, exec_lo, s8
	s_delay_alu instid0(SALU_CYCLE_1) | instskip(NEXT) | instid1(SALU_CYCLE_1)
	s_and_b32 s8, exec_lo, s7
	s_or_b32 s4, s8, s4
	s_and_not1_b32 s5, s5, exec_lo
	s_and_b32 s8, s6, exec_lo
	s_delay_alu instid0(SALU_CYCLE_1)
	s_or_b32 s5, s5, s8
	s_and_not1_b32 exec_lo, exec_lo, s4
	s_cbranch_execz .LBB26_253
.LBB26_251:                             ; =>This Inner Loop Header: Depth=1
	v_ashrrev_i32_e32 v11, 31, v10
	s_or_b32 s6, s6, exec_lo
	s_or_b32 s7, s7, exec_lo
	s_delay_alu instid0(VALU_DEP_1) | instskip(NEXT) | instid1(VALU_DEP_1)
	v_lshlrev_b64 v[2:3], 3, v[10:11]
	v_add_co_u32 v2, vcc_lo, s66, v2
	s_delay_alu instid0(VALU_DEP_2)
	v_add_co_ci_u32_e32 v3, vcc_lo, s67, v3, vcc_lo
	global_load_b64 v[2:3], v[2:3], off
	s_waitcnt vmcnt(0)
	v_cmp_ne_u64_e32 vcc_lo, v[2:3], v[4:5]
	v_mov_b32_e32 v2, v0
                                        ; implicit-def: $vgpr0
	s_and_saveexec_b32 s8, vcc_lo
	s_cbranch_execz .LBB26_250
; %bb.252:                              ;   in Loop: Header=BB26_251 Depth=1
	s_delay_alu instid0(VALU_DEP_1) | instskip(SKIP_3) | instid1(VALU_DEP_2)
	v_add_nc_u32_e32 v0, s68, v2
	s_and_not1_b32 s7, s7, exec_lo
	v_add_nc_u32_e32 v10, s71, v10
	s_and_not1_b32 s6, s6, exec_lo
	v_cmp_ge_i32_e32 vcc_lo, v0, v1
	s_and_b32 s9, vcc_lo, exec_lo
	s_delay_alu instid0(SALU_CYCLE_1)
	s_or_b32 s7, s7, s9
	s_branch .LBB26_250
.LBB26_253:
	s_set_inst_prefetch_distance 0x2
	s_or_b32 exec_lo, exec_lo, s4
	s_and_saveexec_b32 s4, s5
	s_delay_alu instid0(SALU_CYCLE_1)
	s_xor_b32 s4, exec_lo, s4
	s_cbranch_execz .LBB26_258
; %bb.254:
	s_mov_b32 s5, exec_lo
	s_brev_b32 s4, -2
.LBB26_255:                             ; =>This Inner Loop Header: Depth=1
	s_ctz_i32_b32 s6, s5
	s_delay_alu instid0(SALU_CYCLE_1) | instskip(SKIP_1) | instid1(SALU_CYCLE_1)
	v_readlane_b32 s7, v2, s6
	s_lshl_b32 s6, 1, s6
	s_and_not1_b32 s5, s5, s6
	s_delay_alu instid0(VALU_DEP_1)
	s_min_i32 s4, s4, s7
	s_cmp_lg_u32 s5, 0
	s_cbranch_scc1 .LBB26_255
; %bb.256:
	v_mbcnt_lo_u32_b32 v0, exec_lo, 0
	s_mov_b32 s5, exec_lo
	s_delay_alu instid0(VALU_DEP_1)
	v_cmpx_eq_u32_e32 0, v0
	s_xor_b32 s5, exec_lo, s5
	s_cbranch_execz .LBB26_258
; %bb.257:
	v_dual_mov_b32 v0, 0 :: v_dual_mov_b32 v1, s4
	ds_min_i32 v0, v1 offset:4108
.LBB26_258:
	s_or_b32 exec_lo, exec_lo, s3
	s_waitcnt lgkmcnt(0)
	s_barrier
	buffer_gl0_inv
	s_and_saveexec_b32 s3, s0
	s_cbranch_execz .LBB26_260
; %bb.259:
	s_mul_i32 s4, s63, s58
	s_mul_i32 s0, s46, s31
	s_sub_i32 s4, s59, s4
	s_sub_i32 s0, s29, s0
	s_xor_b32 s5, s64, s65
	s_add_i32 s6, s63, 1
	s_sub_i32 s7, s4, s58
	s_cmp_ge_u32 s4, s58
	s_mul_i32 s0, s0, s42
	s_cselect_b32 s6, s6, s63
	s_cselect_b32 s4, s7, s4
	s_add_i32 s7, s6, 1
	s_cmp_ge_u32 s4, s58
	v_mov_b32_e32 v2, 0
	s_cselect_b32 s4, s7, s6
	s_mul_i32 s7, s43, s33
	s_xor_b32 s4, s4, s5
	s_mul_i32 s6, s39, s35
	s_sub_i32 s4, s4, s5
	s_sub_i32 s6, s29, s6
	s_mul_i32 s5, s4, s30
	s_mul_i32 s4, s4, s40
	s_sub_i32 s5, s46, s5
	s_xor_b32 s8, s61, s62
	s_mul_i32 s5, s5, s41
	ds_load_b32 v0, v2 offset:4108
	s_add_i32 s0, s5, s0
	s_sub_i32 s5, s60, s7
	s_add_i32 s4, s0, s4
	s_add_i32 s0, s43, 1
	s_sub_i32 s7, s5, s33
	s_cmp_ge_u32 s5, s33
	s_mul_i32 s6, s6, s38
	s_cselect_b32 s0, s0, s43
	s_cselect_b32 s5, s7, s5
	s_add_i32 s7, s0, 1
	s_cmp_ge_u32 s5, s33
	s_cselect_b32 s0, s7, s0
	s_delay_alu instid0(SALU_CYCLE_1) | instskip(NEXT) | instid1(SALU_CYCLE_1)
	s_xor_b32 s0, s0, s8
	s_sub_i32 s0, s0, s8
	s_delay_alu instid0(SALU_CYCLE_1)
	s_mul_i32 s5, s0, s34
	s_mul_i32 s0, s0, s36
	s_sub_i32 s7, s39, s5
	s_ashr_i32 s5, s4, 31
	s_mul_i32 s7, s7, s37
	s_lshl_b64 s[4:5], s[4:5], 3
	s_add_i32 s6, s7, s6
	s_waitcnt lgkmcnt(0)
	v_ashrrev_i32_e32 v1, 31, v0
	s_add_i32 s6, s6, s0
	s_add_u32 s4, s50, s4
	s_addc_u32 s5, s51, s5
	s_ashr_i32 s7, s6, 31
	s_delay_alu instid0(SALU_CYCLE_1) | instskip(NEXT) | instid1(SALU_CYCLE_1)
	s_lshl_b64 s[6:7], s[6:7], 3
	s_add_u32 s6, s48, s6
	s_addc_u32 s7, s49, s7
	s_clause 0x1
	global_store_b64 v2, v[0:1], s[6:7]
	global_store_b64 v2, v[4:5], s[4:5]
.LBB26_260:
	s_or_b32 exec_lo, exec_lo, s3
.LBB26_261:
	s_or_saveexec_b32 s0, s2
	s_mov_b32 s2, 0
	s_xor_b32 exec_lo, exec_lo, s0
	s_cbranch_execnz .LBB26_269
.LBB26_262:
	s_or_b32 exec_lo, exec_lo, s0
	s_delay_alu instid0(SALU_CYCLE_1)
	s_and_b32 s2, s2, exec_lo
.LBB26_263:
	s_and_not1_saveexec_b32 s0, s1
	s_cbranch_execnz .LBB26_267
; %bb.264:
	s_or_b32 exec_lo, exec_lo, s0
	s_and_saveexec_b32 s0, s2
.LBB26_265:
	; divergent unreachable
.LBB26_266:
	s_nop 0
	s_sendmsg sendmsg(MSG_DEALLOC_VGPRS)
	s_endpgm
.LBB26_267:
	s_cbranch_execnz .LBB26_271
; %bb.268:
	s_or_b32 s2, s2, exec_lo
	s_or_b32 exec_lo, exec_lo, s0
	s_and_saveexec_b32 s0, s2
	s_cbranch_execnz .LBB26_265
	s_branch .LBB26_266
.LBB26_269:
	s_cbranch_execnz .LBB26_273
; %bb.270:
	s_mov_b32 s2, exec_lo
	s_branch .LBB26_262
.LBB26_271:
	s_trap 2
	s_sendmsg_rtn_b32 s0, sendmsg(MSG_RTN_GET_DOORBELL)
	s_mov_b32 ttmp2, m0
	s_waitcnt lgkmcnt(0)
	s_and_b32 s0, s0, 0x3ff
	s_delay_alu instid0(SALU_CYCLE_1) | instskip(NEXT) | instid1(SALU_CYCLE_1)
	s_bitset1_b32 s0, 10
	s_mov_b32 m0, s0
	s_sendmsg sendmsg(MSG_INTERRUPT)
	s_mov_b32 m0, ttmp2
.LBB26_272:                             ; =>This Inner Loop Header: Depth=1
	s_sethalt 5
	s_branch .LBB26_272
.LBB26_273:
	s_trap 2
	s_sendmsg_rtn_b32 s0, sendmsg(MSG_RTN_GET_DOORBELL)
	s_mov_b32 ttmp2, m0
	s_waitcnt lgkmcnt(0)
	s_and_b32 s0, s0, 0x3ff
	s_delay_alu instid0(SALU_CYCLE_1) | instskip(NEXT) | instid1(SALU_CYCLE_1)
	s_bitset1_b32 s0, 10
	s_mov_b32 m0, s0
	s_sendmsg sendmsg(MSG_INTERRUPT)
	s_mov_b32 m0, ttmp2
.LBB26_274:                             ; =>This Inner Loop Header: Depth=1
	s_sethalt 5
	s_branch .LBB26_274
	.section	.rodata,"a",@progbits
	.p2align	6, 0x0
	.amdhsa_kernel _ZN2at6native12_GLOBAL__N_114gatherKthValueIliLi3EEEvNS_4cuda6detail10TensorInfoIKT_T0_EES8_S8_S8_S8_NS5_IS6_S8_EENS5_IlS8_EE
		.amdhsa_group_segment_fixed_size 4112
		.amdhsa_private_segment_fixed_size 0
		.amdhsa_kernarg_size 920
		.amdhsa_user_sgpr_count 13
		.amdhsa_user_sgpr_dispatch_ptr 0
		.amdhsa_user_sgpr_queue_ptr 0
		.amdhsa_user_sgpr_kernarg_segment_ptr 1
		.amdhsa_user_sgpr_dispatch_id 0
		.amdhsa_user_sgpr_private_segment_size 0
		.amdhsa_wavefront_size32 1
		.amdhsa_uses_dynamic_stack 0
		.amdhsa_enable_private_segment 0
		.amdhsa_system_sgpr_workgroup_id_x 1
		.amdhsa_system_sgpr_workgroup_id_y 1
		.amdhsa_system_sgpr_workgroup_id_z 1
		.amdhsa_system_sgpr_workgroup_info 0
		.amdhsa_system_vgpr_workitem_id 0
		.amdhsa_next_free_vgpr 49
		.amdhsa_next_free_sgpr 104
		.amdhsa_reserve_vcc 1
		.amdhsa_float_round_mode_32 0
		.amdhsa_float_round_mode_16_64 0
		.amdhsa_float_denorm_mode_32 3
		.amdhsa_float_denorm_mode_16_64 3
		.amdhsa_dx10_clamp 1
		.amdhsa_ieee_mode 1
		.amdhsa_fp16_overflow 0
		.amdhsa_workgroup_processor_mode 1
		.amdhsa_memory_ordered 1
		.amdhsa_forward_progress 0
		.amdhsa_shared_vgpr_count 0
		.amdhsa_exception_fp_ieee_invalid_op 0
		.amdhsa_exception_fp_denorm_src 0
		.amdhsa_exception_fp_ieee_div_zero 0
		.amdhsa_exception_fp_ieee_overflow 0
		.amdhsa_exception_fp_ieee_underflow 0
		.amdhsa_exception_fp_ieee_inexact 0
		.amdhsa_exception_int_div_zero 0
	.end_amdhsa_kernel
	.section	.text._ZN2at6native12_GLOBAL__N_114gatherKthValueIliLi3EEEvNS_4cuda6detail10TensorInfoIKT_T0_EES8_S8_S8_S8_NS5_IS6_S8_EENS5_IlS8_EE,"axG",@progbits,_ZN2at6native12_GLOBAL__N_114gatherKthValueIliLi3EEEvNS_4cuda6detail10TensorInfoIKT_T0_EES8_S8_S8_S8_NS5_IS6_S8_EENS5_IlS8_EE,comdat
.Lfunc_end26:
	.size	_ZN2at6native12_GLOBAL__N_114gatherKthValueIliLi3EEEvNS_4cuda6detail10TensorInfoIKT_T0_EES8_S8_S8_S8_NS5_IS6_S8_EENS5_IlS8_EE, .Lfunc_end26-_ZN2at6native12_GLOBAL__N_114gatherKthValueIliLi3EEEvNS_4cuda6detail10TensorInfoIKT_T0_EES8_S8_S8_S8_NS5_IS6_S8_EENS5_IlS8_EE
                                        ; -- End function
	.section	.AMDGPU.csdata,"",@progbits
; Kernel info:
; codeLenInByte = 10804
; NumSgprs: 106
; NumVgprs: 49
; ScratchSize: 0
; MemoryBound: 0
; FloatMode: 240
; IeeeMode: 1
; LDSByteSize: 4112 bytes/workgroup (compile time only)
; SGPRBlocks: 13
; VGPRBlocks: 6
; NumSGPRsForWavesPerEU: 106
; NumVGPRsForWavesPerEU: 49
; Occupancy: 16
; WaveLimiterHint : 1
; COMPUTE_PGM_RSRC2:SCRATCH_EN: 0
; COMPUTE_PGM_RSRC2:USER_SGPR: 13
; COMPUTE_PGM_RSRC2:TRAP_HANDLER: 0
; COMPUTE_PGM_RSRC2:TGID_X_EN: 1
; COMPUTE_PGM_RSRC2:TGID_Y_EN: 1
; COMPUTE_PGM_RSRC2:TGID_Z_EN: 1
; COMPUTE_PGM_RSRC2:TIDIG_COMP_CNT: 0
	.section	.text._ZN2at6native12_GLOBAL__N_114gatherKthValueIliLin1EEEvNS_4cuda6detail10TensorInfoIKT_T0_EES8_S8_S8_S8_NS5_IS6_S8_EENS5_IlS8_EE,"axG",@progbits,_ZN2at6native12_GLOBAL__N_114gatherKthValueIliLin1EEEvNS_4cuda6detail10TensorInfoIKT_T0_EES8_S8_S8_S8_NS5_IS6_S8_EENS5_IlS8_EE,comdat
	.globl	_ZN2at6native12_GLOBAL__N_114gatherKthValueIliLin1EEEvNS_4cuda6detail10TensorInfoIKT_T0_EES8_S8_S8_S8_NS5_IS6_S8_EENS5_IlS8_EE ; -- Begin function _ZN2at6native12_GLOBAL__N_114gatherKthValueIliLin1EEEvNS_4cuda6detail10TensorInfoIKT_T0_EES8_S8_S8_S8_NS5_IS6_S8_EENS5_IlS8_EE
	.p2align	8
	.type	_ZN2at6native12_GLOBAL__N_114gatherKthValueIliLin1EEEvNS_4cuda6detail10TensorInfoIKT_T0_EES8_S8_S8_S8_NS5_IS6_S8_EENS5_IlS8_EE,@function
_ZN2at6native12_GLOBAL__N_114gatherKthValueIliLin1EEEvNS_4cuda6detail10TensorInfoIKT_T0_EES8_S8_S8_S8_NS5_IS6_S8_EENS5_IlS8_EE: ; @_ZN2at6native12_GLOBAL__N_114gatherKthValueIliLin1EEEvNS_4cuda6detail10TensorInfoIKT_T0_EES8_S8_S8_S8_NS5_IS6_S8_EENS5_IlS8_EE
; %bb.0:
	s_clause 0x1
	s_load_b64 s[6:7], s[0:1], 0x298
	s_load_b128 s[36:39], s[0:1], 0xd8
	s_add_u32 s4, s0, 0x298
	s_addc_u32 s5, s1, 0
	s_waitcnt lgkmcnt(0)
	s_mul_i32 s2, s7, s15
	s_delay_alu instid0(SALU_CYCLE_1) | instskip(NEXT) | instid1(SALU_CYCLE_1)
	s_add_i32 s2, s2, s14
	s_mul_i32 s2, s2, s6
	s_delay_alu instid0(SALU_CYCLE_1) | instskip(NEXT) | instid1(SALU_CYCLE_1)
	s_add_i32 s33, s2, s13
	s_cmp_ge_i32 s33, s38
	s_cbranch_scc1 .LBB27_275
; %bb.1:
	s_load_b32 s8, s[0:1], 0xd0
	s_mov_b32 s3, 0
	s_mov_b32 s7, s33
	s_waitcnt lgkmcnt(0)
	s_cmp_lt_i32 s8, 2
	s_cbranch_scc1 .LBB27_4
; %bb.2:
	s_add_i32 s2, s8, -1
	s_delay_alu instid0(SALU_CYCLE_1)
	s_lshl_b64 s[10:11], s[2:3], 2
	s_add_i32 s2, s8, 1
	s_add_u32 s7, s10, s0
	s_addc_u32 s9, s11, s1
	s_add_u32 s8, s7, 8
	s_addc_u32 s9, s9, 0
	s_mov_b32 s7, s33
	s_set_inst_prefetch_distance 0x1
	.p2align	6
.LBB27_3:                               ; =>This Inner Loop Header: Depth=1
	s_clause 0x1
	s_load_b32 s10, s[8:9], 0x0
	s_load_b32 s11, s[8:9], 0x64
	s_mov_b32 s16, s7
	s_waitcnt lgkmcnt(0)
	s_abs_i32 s12, s10
	s_delay_alu instid0(SALU_CYCLE_1)
	v_cvt_f32_u32_e32 v1, s12
	s_sub_i32 s15, 0, s12
	s_waitcnt_depctr 0xfff
	v_rcp_iflag_f32_e32 v1, v1
	s_waitcnt_depctr 0xfff
	v_mul_f32_e32 v1, 0x4f7ffffe, v1
	s_delay_alu instid0(VALU_DEP_1) | instskip(NEXT) | instid1(VALU_DEP_1)
	v_cvt_u32_f32_e32 v1, v1
	v_readfirstlane_b32 s14, v1
	s_delay_alu instid0(VALU_DEP_1) | instskip(NEXT) | instid1(SALU_CYCLE_1)
	s_mul_i32 s15, s15, s14
	s_mul_hi_u32 s7, s14, s15
	s_abs_i32 s15, s16
	s_add_i32 s14, s14, s7
	s_delay_alu instid0(SALU_CYCLE_1)
	s_mul_hi_u32 s7, s15, s14
	s_xor_b32 s14, s16, s10
	s_mul_i32 s17, s7, s12
	s_ashr_i32 s14, s14, 31
	s_sub_i32 s15, s15, s17
	s_add_i32 s17, s7, 1
	s_sub_i32 s18, s15, s12
	s_cmp_ge_u32 s15, s12
	s_cselect_b32 s7, s17, s7
	s_cselect_b32 s15, s18, s15
	s_add_i32 s17, s7, 1
	s_cmp_ge_u32 s15, s12
	s_cselect_b32 s7, s17, s7
	s_add_i32 s2, s2, -1
	s_xor_b32 s7, s7, s14
	s_delay_alu instid0(SALU_CYCLE_1) | instskip(NEXT) | instid1(SALU_CYCLE_1)
	s_sub_i32 s7, s7, s14
	s_mul_i32 s10, s7, s10
	s_delay_alu instid0(SALU_CYCLE_1) | instskip(NEXT) | instid1(SALU_CYCLE_1)
	s_sub_i32 s10, s16, s10
	s_mul_i32 s10, s11, s10
	s_delay_alu instid0(SALU_CYCLE_1)
	s_add_i32 s3, s10, s3
	s_add_u32 s8, s8, -4
	s_addc_u32 s9, s9, -1
	s_cmp_gt_u32 s2, 2
	s_cbranch_scc1 .LBB27_3
.LBB27_4:
	s_set_inst_prefetch_distance 0x2
	s_load_b32 s2, s[0:1], 0x1b8
	s_add_u32 s8, s0, 0xe8
	s_addc_u32 s9, s1, 0
	s_mov_b32 s29, 0
	s_mov_b32 s38, s33
	s_waitcnt lgkmcnt(0)
	s_cmp_lt_i32 s2, 2
	s_cbranch_scc1 .LBB27_7
; %bb.5:
	s_add_i32 s28, s2, -1
	s_add_i32 s2, s2, 1
	s_lshl_b64 s[10:11], s[28:29], 2
	s_mov_b32 s38, s33
	s_add_u32 s10, s10, s8
	s_addc_u32 s11, s11, s9
	s_add_u32 s10, s10, 8
	s_addc_u32 s11, s11, 0
	s_set_inst_prefetch_distance 0x1
	.p2align	6
.LBB27_6:                               ; =>This Inner Loop Header: Depth=1
	s_clause 0x1
	s_load_b32 s12, s[10:11], 0x0
	s_load_b32 s14, s[10:11], 0x64
	s_abs_i32 s19, s38
	s_mov_b32 s18, s38
	s_waitcnt lgkmcnt(0)
	s_abs_i32 s15, s12
	s_delay_alu instid0(SALU_CYCLE_1)
	v_cvt_f32_u32_e32 v1, s15
	s_sub_i32 s17, 0, s15
	s_waitcnt_depctr 0xfff
	v_rcp_iflag_f32_e32 v1, v1
	s_waitcnt_depctr 0xfff
	v_mul_f32_e32 v1, 0x4f7ffffe, v1
	s_delay_alu instid0(VALU_DEP_1) | instskip(NEXT) | instid1(VALU_DEP_1)
	v_cvt_u32_f32_e32 v1, v1
	v_readfirstlane_b32 s16, v1
	s_delay_alu instid0(VALU_DEP_1) | instskip(NEXT) | instid1(SALU_CYCLE_1)
	s_mul_i32 s17, s17, s16
	s_mul_hi_u32 s17, s16, s17
	s_delay_alu instid0(SALU_CYCLE_1) | instskip(SKIP_4) | instid1(SALU_CYCLE_1)
	s_add_i32 s16, s16, s17
	s_xor_b32 s17, s38, s12
	s_mul_hi_u32 s16, s19, s16
	s_ashr_i32 s17, s17, 31
	s_mul_i32 s20, s16, s15
	s_sub_i32 s19, s19, s20
	s_add_i32 s20, s16, 1
	s_sub_i32 s21, s19, s15
	s_cmp_ge_u32 s19, s15
	s_cselect_b32 s16, s20, s16
	s_cselect_b32 s19, s21, s19
	s_add_i32 s20, s16, 1
	s_cmp_ge_u32 s19, s15
	s_cselect_b32 s15, s20, s16
	s_add_i32 s2, s2, -1
	s_xor_b32 s15, s15, s17
	s_delay_alu instid0(SALU_CYCLE_1) | instskip(NEXT) | instid1(SALU_CYCLE_1)
	s_sub_i32 s38, s15, s17
	s_mul_i32 s12, s38, s12
	s_delay_alu instid0(SALU_CYCLE_1) | instskip(NEXT) | instid1(SALU_CYCLE_1)
	s_sub_i32 s12, s18, s12
	s_mul_i32 s12, s14, s12
	s_delay_alu instid0(SALU_CYCLE_1)
	s_add_i32 s29, s12, s29
	s_add_u32 s10, s10, -4
	s_addc_u32 s11, s11, -1
	s_cmp_gt_u32 s2, 2
	s_cbranch_scc1 .LBB27_6
.LBB27_7:
	s_set_inst_prefetch_distance 0x2
	s_clause 0x1
	s_load_b32 s12, s[0:1], 0x6c
	s_load_b32 s2, s[0:1], 0x290
	s_add_u32 s10, s0, 0x1c0
	s_addc_u32 s11, s1, 0
	s_mov_b32 s31, 0
	s_waitcnt lgkmcnt(0)
	s_cmp_lt_i32 s2, 2
	s_cbranch_scc1 .LBB27_10
; %bb.8:
	s_add_i32 s30, s2, -1
	s_add_i32 s2, s2, 1
	s_lshl_b64 s[14:15], s[30:31], 2
	s_delay_alu instid0(SALU_CYCLE_1)
	s_add_u32 s10, s14, s10
	s_addc_u32 s11, s15, s11
	s_add_u32 s10, s10, 8
	s_addc_u32 s11, s11, 0
	s_set_inst_prefetch_distance 0x1
	.p2align	6
.LBB27_9:                               ; =>This Inner Loop Header: Depth=1
	s_clause 0x1
	s_load_b32 s14, s[10:11], 0x0
	s_load_b32 s15, s[10:11], 0x64
	s_abs_i32 s20, s33
	s_mov_b32 s19, s33
	s_waitcnt lgkmcnt(0)
	s_abs_i32 s16, s14
	s_delay_alu instid0(SALU_CYCLE_1)
	v_cvt_f32_u32_e32 v1, s16
	s_sub_i32 s18, 0, s16
	s_waitcnt_depctr 0xfff
	v_rcp_iflag_f32_e32 v1, v1
	s_waitcnt_depctr 0xfff
	v_mul_f32_e32 v1, 0x4f7ffffe, v1
	s_delay_alu instid0(VALU_DEP_1) | instskip(NEXT) | instid1(VALU_DEP_1)
	v_cvt_u32_f32_e32 v1, v1
	v_readfirstlane_b32 s17, v1
	s_delay_alu instid0(VALU_DEP_1) | instskip(NEXT) | instid1(SALU_CYCLE_1)
	s_mul_i32 s18, s18, s17
	s_mul_hi_u32 s18, s17, s18
	s_delay_alu instid0(SALU_CYCLE_1) | instskip(SKIP_4) | instid1(SALU_CYCLE_1)
	s_add_i32 s17, s17, s18
	s_xor_b32 s18, s33, s14
	s_mul_hi_u32 s17, s20, s17
	s_ashr_i32 s18, s18, 31
	s_mul_i32 s21, s17, s16
	s_sub_i32 s20, s20, s21
	s_add_i32 s21, s17, 1
	s_sub_i32 s22, s20, s16
	s_cmp_ge_u32 s20, s16
	s_cselect_b32 s17, s21, s17
	s_cselect_b32 s20, s22, s20
	s_add_i32 s21, s17, 1
	s_cmp_ge_u32 s20, s16
	s_cselect_b32 s16, s21, s17
	s_add_i32 s2, s2, -1
	s_xor_b32 s16, s16, s18
	s_delay_alu instid0(SALU_CYCLE_1) | instskip(NEXT) | instid1(SALU_CYCLE_1)
	s_sub_i32 s33, s16, s18
	s_mul_i32 s14, s33, s14
	s_delay_alu instid0(SALU_CYCLE_1) | instskip(NEXT) | instid1(SALU_CYCLE_1)
	s_sub_i32 s14, s19, s14
	s_mul_i32 s14, s15, s14
	s_delay_alu instid0(SALU_CYCLE_1)
	s_add_i32 s31, s14, s31
	s_add_u32 s10, s10, -4
	s_addc_u32 s11, s11, -1
	s_cmp_gt_u32 s2, 2
	s_cbranch_scc1 .LBB27_9
.LBB27_10:
	s_set_inst_prefetch_distance 0x2
	s_clause 0x3
	s_load_b32 s30, s[8:9], 0x6c
	s_load_b64 s[8:9], s[0:1], 0x0
	s_load_b64 s[40:41], s[0:1], 0xe8
	s_load_b64 s[34:35], s[0:1], 0x1c0
	v_cmp_eq_u32_e64 s2, 0, v0
	s_mov_b32 s52, 0
	s_delay_alu instid0(VALU_DEP_1)
	s_and_saveexec_b32 s10, s2
	s_cbranch_execz .LBB27_12
; %bb.11:
	v_dual_mov_b32 v1, 0 :: v_dual_mov_b32 v2, s36
	s_delay_alu instid0(VALU_DEP_1)
	v_mov_b32_e32 v3, v1
	ds_store_b96 v1, v[1:3] offset:4096
.LBB27_12:
	s_or_b32 exec_lo, exec_lo, s10
	s_waitcnt lgkmcnt(0)
	s_barrier
	buffer_gl0_inv
	s_load_b32 s14, s[4:5], 0xc
	s_load_b32 s48, s[0:1], 0x22c
	s_mul_i32 s0, s12, s7
	v_mbcnt_lo_u32_b32 v22, -1, 0
	s_add_i32 s0, s0, s3
	v_cmp_gt_u32_e32 vcc_lo, 32, v0
	s_ashr_i32 s1, s0, 31
	v_dual_mov_b32 v12, 0 :: v_dual_lshlrev_b32 v23, 2, v0
	s_lshl_b64 s[10:11], s[0:1], 3
	v_cmp_gt_i32_e64 s1, 4, v22
	s_add_u32 s49, s8, s10
	s_addc_u32 s50, s9, s11
	v_mul_lo_u32 v10, v0, s39
	v_lshrrev_b32_e32 v3, 3, v0
	s_and_b32 s54, vcc_lo, s1
	v_mov_b32_e32 v11, v12
	s_mov_b32 s10, s39
	v_cmp_gt_u32_e64 s0, 2, v0
	v_and_b32_e32 v27, 0x7c, v3
	s_waitcnt lgkmcnt(0)
	s_and_b32 s51, s14, 0xffff
	s_bfe_u32 s3, s14, 0xb0005
	s_lshl_b32 s53, s51, 2
	s_add_i32 s56, s51, -1
	v_cvt_f32_u32_e32 v1, s53
	s_add_i32 s66, s56, s36
	s_cmpk_gt_i32 s36, 0x180
	v_cvt_f32_u32_e32 v2, s51
	s_cselect_b32 s57, -1, 0
	v_rcp_iflag_f32_e32 v1, v1
	s_cmp_gt_u32 s51, 31
	v_lshlrev_b32_e32 v24, 3, v0
	s_cselect_b32 s58, -1, 0
	s_cmp_lt_u32 s13, s6
	v_rcp_iflag_f32_e32 v2, v2
	s_cselect_b32 s6, 12, 18
	v_lshlrev_b64 v[4:5], 3, v[10:11]
	s_add_u32 s42, s4, s6
	s_addc_u32 s43, s5, 0
	s_waitcnt_depctr 0xfff
	v_mul_f32_e32 v1, 0x4f7ffffe, v1
	s_add_i32 s4, s3, -1
	s_bfe_u32 s59, s51, 0x30005
	s_cmp_gt_u32 s4, 6
	v_add_co_u32 v13, vcc_lo, s49, v4
	v_cvt_u32_f32_e32 v1, v1
	s_cselect_b32 s60, -1, 0
	s_and_b32 s61, s3, 0x7f8
	s_cmp_lg_u32 s59, 0
	v_add_co_ci_u32_e32 v14, vcc_lo, s50, v5, vcc_lo
	v_readfirstlane_b32 s4, v1
	s_cselect_b32 s62, -1, 0
	s_sub_i32 s3, 0, s53
	v_mad_u64_u32 v[17:18], null, s39, v23, s[10:11]
	s_delay_alu instid0(VALU_DEP_2)
	s_mul_i32 s5, s3, s4
	v_dual_mov_b32 v4, 0 :: v_dual_add_nc_u32 v25, 0xc00, v24
	s_mul_hi_u32 s5, s4, s5
	v_cmp_gt_u32_e64 s1, s36, v0
	s_add_i32 s63, s4, s5
	v_cmp_gt_i32_e64 s3, s36, v0
	s_mul_hi_u32 s5, s36, s63
	v_cmp_eq_u32_e64 s4, 0, v22
	s_mul_i32 s5, s5, s53
	v_lshlrev_b32_e32 v31, 2, v10
	s_sub_i32 s5, s36, s5
	v_lshlrev_b32_e32 v33, 5, v0
	s_sub_i32 s6, s5, s53
	s_cmp_ge_u32 s5, s53
	v_lshl_or_b32 v34, v22, 2, 0xc00
	s_cselect_b32 s5, s6, s5
	v_mov_b32_e32 v5, 0
	s_sub_i32 s7, s5, s53
	s_cmp_ge_u32 s5, s53
	s_mul_i32 s55, s39, s51
	s_cselect_b32 s9, s7, s5
	s_sub_i32 s5, 0, s51
	s_sub_i32 s64, s36, s9
	s_delay_alu instid0(SALU_CYCLE_1) | instskip(SKIP_3) | instid1(VALU_DEP_1)
	v_dual_mul_f32 v1, 0x4f7ffffe, v2 :: v_dual_add_nc_u32 v26, s64, v0
	s_abs_i32 s7, s66
	s_mov_b32 s72, 62
	s_mov_b64 s[44:45], 0
	v_cvt_u32_f32_e32 v1, v1
	s_mov_b32 s76, 0
	s_mov_b64 s[46:47], 0
                                        ; implicit-def: $sgpr70
                                        ; implicit-def: $sgpr73
                                        ; implicit-def: $sgpr71
                                        ; implicit-def: $sgpr75
                                        ; implicit-def: $sgpr77
                                        ; implicit-def: $sgpr74
	s_delay_alu instid0(VALU_DEP_1) | instskip(SKIP_2) | instid1(VALU_DEP_3)
	v_readfirstlane_b32 s6, v1
	v_lshlrev_b64 v[1:2], v22, -1
	v_mul_lo_u32 v2, v26, s39
	s_mul_i32 s5, s5, s6
	s_delay_alu instid0(SALU_CYCLE_1) | instskip(NEXT) | instid1(VALU_DEP_2)
	s_mul_hi_u32 s5, s6, s5
	v_not_b32_e32 v28, v1
	s_add_i32 s65, s6, s5
	s_delay_alu instid0(VALU_DEP_2) | instskip(SKIP_1) | instid1(SALU_CYCLE_1)
	v_ashrrev_i32_e32 v3, 31, v2
	s_mul_hi_u32 s5, s7, s65
	s_mul_i32 s5, s5, s51
	s_delay_alu instid0(VALU_DEP_1)
	v_lshlrev_b64 v[1:2], 3, v[2:3]
	s_sub_i32 s5, s7, s5
	s_ashr_i32 s7, s66, 31
	s_sub_i32 s6, s5, s51
	s_cmp_ge_u32 s5, s51
	v_or_b32_e32 v3, 3, v23
	s_cselect_b32 s5, s6, s5
	v_add_co_u32 v15, vcc_lo, s49, v1
	v_add3_u32 v1, s51, s36, v0
	s_sub_i32 s6, s5, s51
	s_cmp_ge_u32 s5, s51
	v_add_co_ci_u32_e32 v16, vcc_lo, s50, v2, vcc_lo
	s_cselect_b32 s6, s6, s5
	v_or_b32_e32 v2, 2, v23
	v_subrev_nc_u32_e32 v1, s9, v1
	s_xor_b32 s8, s6, s7
	v_mul_lo_u32 v30, s39, v3
	s_sub_i32 s7, s7, s8
	v_mul_lo_u32 v29, s39, v2
	v_mul_lo_u32 v32, s39, v1
	s_add_i32 s66, s66, s7
	v_cmp_gt_i32_e64 s5, s64, v23
	v_cmp_gt_u32_e64 s6, s36, v26
	v_cmp_gt_i32_e64 s7, s36, v26
	v_cmp_gt_i32_e64 s8, s66, v0
	v_mov_b32_e32 v1, 1
	s_lshl_b32 s67, s55, 2
	s_lshl_b32 s68, s51, 5
	;; [unrolled: 1-line block ×3, first 2 shown]
	s_branch .LBB27_17
.LBB27_13:                              ;   in Loop: Header=BB27_17 Depth=1
	s_xor_b32 s76, s76, 1
	s_add_i32 s12, s72, -2
	s_cmp_eq_u32 s72, 0
	s_mov_b32 s9, 0
	s_cselect_b32 s11, -1, 0
	s_mov_b32 s72, s12
.LBB27_14:                              ;   in Loop: Header=BB27_17 Depth=1
	s_and_not1_b32 s12, s24, exec_lo
	s_and_b32 s9, s9, exec_lo
	s_and_not1_b32 s25, s25, exec_lo
	s_or_b32 s24, s12, s9
	s_and_not1_b32 s23, s23, exec_lo
	s_or_not1_b32 s20, s11, exec_lo
	s_mov_b32 s37, s28
.LBB27_15:                              ;   in Loop: Header=BB27_17 Depth=1
	s_or_b32 exec_lo, exec_lo, s10
	s_delay_alu instid0(SALU_CYCLE_1)
	s_and_not1_b32 s9, s74, exec_lo
	s_and_b32 s10, s24, exec_lo
	s_and_not1_b32 s11, s75, exec_lo
	s_or_b32 s74, s9, s10
	s_and_not1_b32 s9, s77, exec_lo
	s_and_b32 s10, s25, exec_lo
	s_and_b32 s12, s23, exec_lo
	s_or_b32 s77, s9, s10
	s_or_b32 s75, s11, s12
	s_or_not1_b32 s14, s20, exec_lo
.LBB27_16:                              ;   in Loop: Header=BB27_17 Depth=1
	s_or_b32 exec_lo, exec_lo, s19
	s_delay_alu instid0(SALU_CYCLE_1)
	s_and_b32 s9, exec_lo, s14
	v_dual_mov_b32 v2, s44 :: v_dual_mov_b32 v3, s45
	s_or_b32 s52, s9, s52
	s_and_not1_b32 s9, s71, exec_lo
	s_and_b32 s10, s74, exec_lo
	s_and_not1_b32 s11, s70, exec_lo
	s_or_b32 s71, s9, s10
	s_and_not1_b32 s9, s73, exec_lo
	s_and_b32 s10, s77, exec_lo
	s_and_b32 s12, s75, exec_lo
	s_or_b32 s73, s9, s10
	s_or_b32 s70, s11, s12
	s_and_not1_b32 exec_lo, exec_lo, s52
	s_cbranch_execz .LBB27_251
.LBB27_17:                              ; =>This Loop Header: Depth=1
                                        ;     Child Loop BB27_25 Depth 2
                                        ;     Child Loop BB27_44 Depth 2
                                        ;     Child Loop BB27_68 Depth 2
                                        ;     Child Loop BB27_72 Depth 2
                                        ;     Child Loop BB27_54 Depth 2
                                        ;     Child Loop BB27_61 Depth 2
                                        ;     Child Loop BB27_81 Depth 2
                                        ;     Child Loop BB27_85 Depth 2
                                        ;     Child Loop BB27_106 Depth 2
                                        ;     Child Loop BB27_94 Depth 2
                                        ;     Child Loop BB27_145 Depth 2
                                        ;     Child Loop BB27_133 Depth 2
                                        ;     Child Loop BB27_184 Depth 2
                                        ;     Child Loop BB27_172 Depth 2
                                        ;     Child Loop BB27_223 Depth 2
                                        ;     Child Loop BB27_211 Depth 2
	ds_load_b64 v[2:3], v12 offset:4096
	s_waitcnt lgkmcnt(0)
	v_readfirstlane_b32 s78, v2
	s_delay_alu instid0(VALU_DEP_1)
	s_cmp_gt_i32 s78, 0
	s_cbranch_scc1 .LBB27_51
; %bb.18:                               ;   in Loop: Header=BB27_17 Depth=1
	s_and_b32 vcc_lo, exec_lo, s57
	s_cbranch_vccz .LBB27_33
; %bb.19:                               ;   in Loop: Header=BB27_17 Depth=1
	v_cmp_gt_i32_e32 vcc_lo, 0x181, v3
	s_mov_b32 s10, 0
	s_mov_b32 s9, 0
	s_cbranch_vccz .LBB27_38
; %bb.20:                               ;   in Loop: Header=BB27_17 Depth=1
	v_mov_b32_e32 v2, 0
	v_mov_b32_e32 v3, 0
	s_and_saveexec_b32 s9, s1
	s_cbranch_execz .LBB27_22
; %bb.21:                               ;   in Loop: Header=BB27_17 Depth=1
	global_load_b64 v[2:3], v[13:14], off
.LBB27_22:                              ;   in Loop: Header=BB27_17 Depth=1
	s_or_b32 exec_lo, exec_lo, s9
	s_and_saveexec_b32 s11, s1
	s_cbranch_execz .LBB27_34
; %bb.23:                               ;   in Loop: Header=BB27_17 Depth=1
	global_load_u16 v8, v12, s[42:43]
	v_mov_b32_e32 v18, v0
	s_mov_b32 s12, 0
	s_waitcnt vmcnt(0)
	v_add_nc_u32_e32 v6, v0, v8
	v_mul_lo_u32 v9, s39, v8
	s_delay_alu instid0(VALU_DEP_2)
	v_mul_lo_u32 v11, s39, v6
	s_branch .LBB27_25
.LBB27_24:                              ;   in Loop: Header=BB27_25 Depth=2
	s_or_b32 exec_lo, exec_lo, s9
	v_cmp_le_i32_e32 vcc_lo, s36, v18
	s_waitcnt vmcnt(0)
	v_dual_mov_b32 v2, v6 :: v_dual_add_nc_u32 v11, v11, v9
	v_mov_b32_e32 v3, v7
	s_or_b32 s12, vcc_lo, s12
	s_delay_alu instid0(SALU_CYCLE_1)
	s_and_not1_b32 exec_lo, exec_lo, s12
	s_cbranch_execz .LBB27_34
.LBB27_25:                              ;   Parent Loop BB27_17 Depth=1
                                        ; =>  This Inner Loop Header: Depth=2
	v_mov_b32_e32 v6, 0
	v_dual_mov_b32 v7, 0 :: v_dual_add_nc_u32 v18, v18, v8
	s_mov_b32 s9, exec_lo
	s_delay_alu instid0(VALU_DEP_1)
	v_cmpx_gt_u32_e64 s36, v18
	s_cbranch_execz .LBB27_27
; %bb.26:                               ;   in Loop: Header=BB27_25 Depth=2
	s_delay_alu instid0(VALU_DEP_4) | instskip(NEXT) | instid1(VALU_DEP_1)
	v_lshlrev_b64 v[6:7], 3, v[11:12]
	v_add_co_u32 v6, vcc_lo, s49, v6
	s_delay_alu instid0(VALU_DEP_2)
	v_add_co_ci_u32_e32 v7, vcc_lo, s50, v7, vcc_lo
	global_load_b64 v[6:7], v[6:7], off
.LBB27_27:                              ;   in Loop: Header=BB27_25 Depth=2
	s_or_b32 exec_lo, exec_lo, s9
	s_waitcnt lgkmcnt(0)
	v_xor_b32_e32 v19, 0x80000000, v3
	s_delay_alu instid0(VALU_DEP_1) | instskip(SKIP_1) | instid1(VALU_DEP_1)
	v_and_b32_e32 v20, s47, v19
	v_and_b32_e32 v19, s46, v2
	v_cmp_eq_u64_e32 vcc_lo, s[44:45], v[19:20]
	v_mov_b32_e32 v19, 0
	s_cmp_lg_u32 vcc_lo, 0
	s_cselect_b32 s9, -1, 0
	s_delay_alu instid0(SALU_CYCLE_1) | instskip(NEXT) | instid1(SALU_CYCLE_1)
	s_and_b32 s9, s4, s9
	s_and_saveexec_b32 s13, s9
	s_cbranch_execz .LBB27_31
; %bb.28:                               ;   in Loop: Header=BB27_25 Depth=2
	s_mov_b32 s16, exec_lo
	s_bcnt1_i32_b32 s14, vcc_lo
	v_mbcnt_lo_u32_b32 v19, s16, 0
	s_mov_b32 s15, exec_lo
                                        ; implicit-def: $vgpr20
	s_delay_alu instid0(VALU_DEP_1)
	v_cmpx_eq_u32_e32 0, v19
	s_cbranch_execz .LBB27_30
; %bb.29:                               ;   in Loop: Header=BB27_25 Depth=2
	s_bcnt1_i32_b32 s9, s16
	s_delay_alu instid0(SALU_CYCLE_1) | instskip(NEXT) | instid1(SALU_CYCLE_1)
	s_mul_i32 s9, s14, s9
	v_mov_b32_e32 v20, s9
	ds_add_rtn_u32 v20, v12, v20 offset:4104
.LBB27_30:                              ;   in Loop: Header=BB27_25 Depth=2
	s_or_b32 exec_lo, exec_lo, s15
	s_waitcnt lgkmcnt(0)
	v_readfirstlane_b32 s9, v20
	s_delay_alu instid0(VALU_DEP_1)
	v_mad_u32_u24 v19, s14, v19, s9
.LBB27_31:                              ;   in Loop: Header=BB27_25 Depth=2
	s_or_b32 exec_lo, exec_lo, s13
	ds_bpermute_b32 v19, v12, v19
	s_and_saveexec_b32 s9, vcc_lo
	s_cbranch_execz .LBB27_24
; %bb.32:                               ;   in Loop: Header=BB27_25 Depth=2
	v_and_b32_e32 v20, vcc_lo, v28
	s_delay_alu instid0(VALU_DEP_1) | instskip(NEXT) | instid1(VALU_DEP_1)
	v_bcnt_u32_b32 v20, v20, 0
	v_lshlrev_b32_e32 v20, 3, v20
	s_waitcnt lgkmcnt(0)
	s_delay_alu instid0(VALU_DEP_1)
	v_lshl_add_u32 v19, v19, 3, v20
	ds_store_b64 v19, v[2:3]
	s_branch .LBB27_24
.LBB27_33:                              ;   in Loop: Header=BB27_17 Depth=1
	s_mov_b32 s10, -1
	s_mov_b32 s9, 0
	s_branch .LBB27_37
.LBB27_34:                              ;   in Loop: Header=BB27_17 Depth=1
	s_or_b32 exec_lo, exec_lo, s11
	s_waitcnt vmcnt(0) lgkmcnt(0)
	s_barrier
	buffer_gl0_inv
	s_and_saveexec_b32 s9, s2
	s_cbranch_execz .LBB27_36
; %bb.35:                               ;   in Loop: Header=BB27_17 Depth=1
	ds_load_b32 v2, v12 offset:4104
	s_waitcnt lgkmcnt(0)
	ds_store_b32 v12, v2 offset:4096
.LBB27_36:                              ;   in Loop: Header=BB27_17 Depth=1
	s_or_b32 exec_lo, exec_lo, s9
	s_waitcnt lgkmcnt(0)
	s_mov_b32 s9, -1
	s_barrier
.LBB27_37:                              ;   in Loop: Header=BB27_17 Depth=1
                                        ; implicit-def: $sgpr78
.LBB27_38:                              ;   in Loop: Header=BB27_17 Depth=1
	s_and_b32 vcc_lo, exec_lo, s10
	s_cbranch_vccz .LBB27_49
; %bb.39:                               ;   in Loop: Header=BB27_17 Depth=1
	v_mov_b32_e32 v2, 0
	v_mov_b32_e32 v3, 0
	s_and_saveexec_b32 s9, s1
	s_cbranch_execz .LBB27_41
; %bb.40:                               ;   in Loop: Header=BB27_17 Depth=1
	global_load_b64 v[2:3], v[13:14], off
.LBB27_41:                              ;   in Loop: Header=BB27_17 Depth=1
	s_or_b32 exec_lo, exec_lo, s9
	s_and_saveexec_b32 s9, s3
	s_cbranch_execz .LBB27_46
; %bb.42:                               ;   in Loop: Header=BB27_17 Depth=1
	global_load_u16 v8, v12, s[42:43]
	v_mov_b32_e32 v20, v0
	s_mov_b32 s10, 0
	v_mov_b32_e32 v19, v24
	s_waitcnt vmcnt(0)
	v_add_nc_u32_e32 v6, v0, v8
	v_mul_lo_u32 v9, s39, v8
	v_lshlrev_b32_e32 v18, 3, v8
	s_delay_alu instid0(VALU_DEP_3)
	v_mul_lo_u32 v11, s39, v6
	s_set_inst_prefetch_distance 0x1
	s_branch .LBB27_44
	.p2align	6
.LBB27_43:                              ;   in Loop: Header=BB27_44 Depth=2
	s_or_b32 exec_lo, exec_lo, s11
	v_cmp_le_i32_e32 vcc_lo, s36, v20
	ds_store_b64 v19, v[2:3]
	s_waitcnt vmcnt(0)
	v_dual_mov_b32 v2, v6 :: v_dual_add_nc_u32 v19, v19, v18
	v_add_nc_u32_e32 v11, v11, v9
	v_mov_b32_e32 v3, v7
	s_or_b32 s10, vcc_lo, s10
	s_delay_alu instid0(SALU_CYCLE_1)
	s_and_not1_b32 exec_lo, exec_lo, s10
	s_cbranch_execz .LBB27_46
.LBB27_44:                              ;   Parent Loop BB27_17 Depth=1
                                        ; =>  This Inner Loop Header: Depth=2
	v_mov_b32_e32 v6, 0
	v_dual_mov_b32 v7, 0 :: v_dual_add_nc_u32 v20, v20, v8
	s_mov_b32 s11, exec_lo
	s_delay_alu instid0(VALU_DEP_1)
	v_cmpx_gt_u32_e64 s36, v20
	s_cbranch_execz .LBB27_43
; %bb.45:                               ;   in Loop: Header=BB27_44 Depth=2
	v_lshlrev_b64 v[6:7], 3, v[11:12]
	s_delay_alu instid0(VALU_DEP_1) | instskip(NEXT) | instid1(VALU_DEP_2)
	v_add_co_u32 v6, vcc_lo, s49, v6
	v_add_co_ci_u32_e32 v7, vcc_lo, s50, v7, vcc_lo
	global_load_b64 v[6:7], v[6:7], off
	s_branch .LBB27_43
.LBB27_46:                              ;   in Loop: Header=BB27_17 Depth=1
	s_set_inst_prefetch_distance 0x2
	s_or_b32 exec_lo, exec_lo, s9
	s_waitcnt vmcnt(0) lgkmcnt(0)
	s_barrier
	buffer_gl0_inv
	s_and_saveexec_b32 s9, s2
	s_cbranch_execz .LBB27_48
; %bb.47:                               ;   in Loop: Header=BB27_17 Depth=1
	v_mov_b32_e32 v2, s36
	ds_store_b32 v12, v2 offset:4096
.LBB27_48:                              ;   in Loop: Header=BB27_17 Depth=1
	s_or_b32 exec_lo, exec_lo, s9
	s_mov_b32 s9, -1
	s_waitcnt lgkmcnt(0)
	s_barrier
                                        ; implicit-def: $sgpr78
.LBB27_49:                              ;   in Loop: Header=BB27_17 Depth=1
	s_and_b32 vcc_lo, exec_lo, s9
	s_cbranch_vccz .LBB27_51
; %bb.50:                               ;   in Loop: Header=BB27_17 Depth=1
	buffer_gl0_inv
	ds_load_b32 v2, v12 offset:4096
	s_waitcnt lgkmcnt(0)
	v_readfirstlane_b32 s78, v2
.LBB27_51:                              ;   in Loop: Header=BB27_17 Depth=1
	s_delay_alu instid0(VALU_DEP_1)
	s_cmp_lt_i32 s78, 1
	s_cbranch_scc0 .LBB27_63
; %bb.52:                               ;   in Loop: Header=BB27_17 Depth=1
	v_dual_mov_b32 v6, 0 :: v_dual_mov_b32 v7, 0
	v_dual_mov_b32 v8, 0 :: v_dual_mov_b32 v9, 0
	s_mov_b32 s80, 0
	s_and_saveexec_b32 s79, s5
	s_cbranch_execz .LBB27_56
; %bb.53:                               ;   in Loop: Header=BB27_17 Depth=1
	v_mov_b32_e32 v2, v23
	s_and_b32 s81, s72, 0xfe
	s_mov_b32 s82, 0
	s_mov_b32 s83, 0
	;; [unrolled: 1-line block ×5, first 2 shown]
.LBB27_54:                              ;   Parent Loop BB27_17 Depth=1
                                        ; =>  This Inner Loop Header: Depth=2
	v_add_nc_u32_e32 v6, s82, v31
	v_add_nc_u32_e32 v8, s82, v17
	;; [unrolled: 1-line block ×5, first 2 shown]
	v_ashrrev_i32_e32 v7, 31, v6
	v_ashrrev_i32_e32 v9, 31, v8
	;; [unrolled: 1-line block ×4, first 2 shown]
	s_add_i32 s82, s82, s67
	v_lshlrev_b64 v[6:7], 3, v[6:7]
	v_lshlrev_b64 v[8:9], 3, v[8:9]
	;; [unrolled: 1-line block ×4, first 2 shown]
	s_delay_alu instid0(VALU_DEP_4)
	v_add_co_u32 v6, vcc_lo, s49, v6
	v_add_co_ci_u32_e32 v7, vcc_lo, s50, v7, vcc_lo
	v_add_co_u32 v8, vcc_lo, s49, v8
	v_add_co_ci_u32_e32 v9, vcc_lo, s50, v9, vcc_lo
	;; [unrolled: 2-line block ×4, first 2 shown]
	s_clause 0x3
	global_load_b64 v[6:7], v[6:7], off
	global_load_b64 v[8:9], v[8:9], off
	;; [unrolled: 1-line block ×4, first 2 shown]
	v_mov_b32_e32 v36, v12
	v_mov_b32_e32 v38, v12
	;; [unrolled: 1-line block ×3, first 2 shown]
	v_cmp_le_i32_e32 vcc_lo, s64, v2
	s_waitcnt vmcnt(3)
	v_xor_b32_e32 v7, 0x80000000, v7
	s_waitcnt vmcnt(2)
	v_xor_b32_e32 v9, 0x80000000, v9
	s_waitcnt vmcnt(1)
	v_and_b32_e32 v45, s46, v18
	v_xor_b32_e32 v19, 0x80000000, v19
	v_and_b32_e32 v41, s46, v6
	v_and_b32_e32 v42, s47, v7
	v_lshrrev_b64 v[6:7], s81, v[6:7]
	s_waitcnt vmcnt(0)
	v_xor_b32_e32 v21, 0x80000000, v21
	v_and_b32_e32 v43, s46, v8
	v_lshrrev_b64 v[7:8], s81, v[8:9]
	v_and_b32_e32 v44, s47, v9
	v_lshrrev_b64 v[8:9], s81, v[18:19]
	;; [unrolled: 2-line block ×3, first 2 shown]
	v_and_b32_e32 v11, 3, v6
	v_and_b32_e32 v35, 3, v7
	v_cmp_eq_u64_e64 s9, s[44:45], v[41:42]
	v_and_b32_e32 v37, 3, v8
	v_and_b32_e32 v47, s46, v20
	v_cmp_eq_u64_e64 s13, 0, v[11:12]
	v_and_b32_e32 v48, s47, v21
	v_and_b32_e32 v39, 3, v18
	v_cmp_eq_u64_e64 s10, s[44:45], v[43:44]
	v_cmp_eq_u64_e64 s14, 0, v[35:36]
	v_cmp_eq_u64_e64 s11, s[44:45], v[45:46]
	v_cmp_eq_u64_e64 s15, 0, v[37:38]
	v_cmp_eq_u64_e64 s12, s[44:45], v[47:48]
	v_cmp_eq_u64_e64 s16, 0, v[39:40]
	s_and_b32 s13, s9, s13
	v_cmp_eq_u64_e64 s17, 1, v[11:12]
	v_cndmask_b32_e64 v3, 0, 1, s13
	s_and_b32 s13, s10, s14
	v_cmp_eq_u64_e64 s18, 1, v[35:36]
	v_cndmask_b32_e64 v6, 0, 1, s13
	;; [unrolled: 3-line block ×4, first 2 shown]
	s_and_b32 s13, s9, s17
	v_cmp_eq_u64_e64 s21, 2, v[11:12]
	v_cmp_eq_u64_e64 s25, 3, v[11:12]
	v_cndmask_b32_e64 v9, 0, 1, s13
	s_and_b32 s13, s10, s18
	v_cmp_eq_u64_e64 s22, 2, v[35:36]
	v_cmp_eq_u64_e64 s26, 3, v[35:36]
	v_cndmask_b32_e64 v11, 0, 1, s13
	;; [unrolled: 4-line block ×4, first 2 shown]
	s_and_b32 s13, s9, s21
	s_and_b32 s9, s9, s25
	v_cndmask_b32_e64 v20, 0, 1, s13
	s_and_b32 s13, s10, s22
	v_cndmask_b32_e64 v37, 0, 1, s9
	;; [unrolled: 2-line block ×7, first 2 shown]
	v_cndmask_b32_e64 v40, 0, 1, s9
	v_cmp_ne_u32_e64 s9, 0, v3
	v_cmp_ne_u32_e64 s13, 0, v9
	;; [unrolled: 1-line block ×12, first 2 shown]
	s_bcnt1_i32_b32 s9, s9
	s_bcnt1_i32_b32 s13, s13
	;; [unrolled: 1-line block ×4, first 2 shown]
	v_cmp_ne_u32_e64 s12, 0, v8
	v_cmp_ne_u32_e64 s16, 0, v19
	;; [unrolled: 1-line block ×4, first 2 shown]
	s_bcnt1_i32_b32 s10, s10
	s_bcnt1_i32_b32 s14, s14
	s_bcnt1_i32_b32 s18, s18
	s_bcnt1_i32_b32 s22, s22
	s_add_i32 s9, s9, s86
	s_add_i32 s13, s13, s85
	s_add_i32 s17, s17, s84
	s_add_i32 s21, s21, s83
	s_bcnt1_i32_b32 s11, s11
	s_bcnt1_i32_b32 s15, s15
	s_bcnt1_i32_b32 s19, s19
	s_bcnt1_i32_b32 s23, s23
	s_add_i32 s9, s9, s10
	s_add_i32 s10, s13, s14
	s_add_i32 s13, s17, s18
	s_add_i32 s14, s21, s22
	;; [unrolled: 8-line block ×3, first 2 shown]
	s_add_i32 s86, s9, s12
	s_add_i32 s85, s10, s16
	v_mov_b32_e32 v6, s86
	s_add_i32 s84, s11, s20
	s_add_i32 s83, s13, s24
	v_dual_mov_b32 v7, s85 :: v_dual_mov_b32 v8, s84
	v_mov_b32_e32 v9, s83
	s_or_b32 s80, vcc_lo, s80
	s_delay_alu instid0(SALU_CYCLE_1)
	s_and_not1_b32 exec_lo, exec_lo, s80
	s_cbranch_execnz .LBB27_54
; %bb.55:                               ;   in Loop: Header=BB27_17 Depth=1
	s_or_b32 exec_lo, exec_lo, s80
.LBB27_56:                              ;   in Loop: Header=BB27_17 Depth=1
	s_delay_alu instid0(SALU_CYCLE_1)
	s_or_b32 exec_lo, exec_lo, s79
	v_mov_b32_e32 v18, 0
	v_mov_b32_e32 v19, 0
	s_and_saveexec_b32 s9, s6
	s_cbranch_execz .LBB27_58
; %bb.57:                               ;   in Loop: Header=BB27_17 Depth=1
	global_load_b64 v[18:19], v[15:16], off
.LBB27_58:                              ;   in Loop: Header=BB27_17 Depth=1
	s_or_b32 exec_lo, exec_lo, s9
	s_and_saveexec_b32 s13, s7
	s_cbranch_execz .LBB27_65
; %bb.59:                               ;   in Loop: Header=BB27_17 Depth=1
	v_dual_mov_b32 v2, v32 :: v_dual_mov_b32 v35, v26
	s_and_b32 s15, s72, 0xfe
	s_mov_b32 s14, 0
	s_branch .LBB27_61
.LBB27_60:                              ;   in Loop: Header=BB27_61 Depth=2
	s_or_b32 exec_lo, exec_lo, s9
	s_waitcnt vmcnt(0)
	v_xor_b32_e32 v19, 0x80000000, v19
	v_add_nc_u32_e32 v2, s55, v2
	s_delay_alu instid0(VALU_DEP_2) | instskip(SKIP_2) | instid1(VALU_DEP_3)
	v_lshrrev_b64 v[36:37], s15, v[18:19]
	v_and_b32_e32 v18, s46, v18
	v_and_b32_e32 v19, s47, v19
	;; [unrolled: 1-line block ×3, first 2 shown]
	s_delay_alu instid0(VALU_DEP_2) | instskip(NEXT) | instid1(VALU_DEP_2)
	v_cmp_eq_u64_e32 vcc_lo, s[44:45], v[18:19]
	v_cmp_eq_u64_e64 s9, 0, v[11:12]
	v_cmp_eq_u64_e64 s10, 1, v[11:12]
	;; [unrolled: 1-line block ×4, first 2 shown]
	s_delay_alu instid0(VALU_DEP_4) | instskip(NEXT) | instid1(SALU_CYCLE_1)
	s_and_b32 s9, vcc_lo, s9
	v_cndmask_b32_e64 v3, 0, 1, s9
	s_delay_alu instid0(VALU_DEP_4) | instskip(NEXT) | instid1(SALU_CYCLE_1)
	s_and_b32 s9, vcc_lo, s10
	v_cndmask_b32_e64 v11, 0, 1, s9
	s_and_b32 s9, vcc_lo, s11
	s_delay_alu instid0(SALU_CYCLE_1)
	v_cndmask_b32_e64 v18, 0, 1, s9
	s_and_b32 s9, vcc_lo, s12
	v_cmp_ne_u32_e32 vcc_lo, 0, v3
	v_cndmask_b32_e64 v19, 0, 1, s9
	v_cmp_ne_u32_e64 s9, 0, v11
	v_cmp_ne_u32_e64 s10, 0, v18
	v_cmp_le_i32_e64 s12, s36, v35
	s_bcnt1_i32_b32 s16, vcc_lo
	v_cmp_ne_u32_e64 s11, 0, v19
	v_mov_b32_e32 v18, v20
	s_bcnt1_i32_b32 s9, s9
	s_bcnt1_i32_b32 s10, s10
	v_add_nc_u32_e32 v6, s16, v6
	s_bcnt1_i32_b32 s11, s11
	v_add_nc_u32_e32 v7, s9, v7
	v_add_nc_u32_e32 v8, s10, v8
	;; [unrolled: 1-line block ×3, first 2 shown]
	v_mov_b32_e32 v19, v21
	s_or_b32 s14, s12, s14
	s_delay_alu instid0(SALU_CYCLE_1)
	s_and_not1_b32 exec_lo, exec_lo, s14
	s_cbranch_execz .LBB27_64
.LBB27_61:                              ;   Parent Loop BB27_17 Depth=1
                                        ; =>  This Inner Loop Header: Depth=2
	s_delay_alu instid0(VALU_DEP_1) | instskip(SKIP_2) | instid1(VALU_DEP_2)
	v_dual_mov_b32 v20, 0 :: v_dual_add_nc_u32 v35, s51, v35
	v_mov_b32_e32 v21, 0
	s_mov_b32 s9, exec_lo
	v_cmpx_gt_u32_e64 s36, v35
	s_cbranch_execz .LBB27_60
; %bb.62:                               ;   in Loop: Header=BB27_61 Depth=2
	v_ashrrev_i32_e32 v3, 31, v2
	s_delay_alu instid0(VALU_DEP_1) | instskip(NEXT) | instid1(VALU_DEP_1)
	v_lshlrev_b64 v[20:21], 3, v[2:3]
	v_add_co_u32 v20, vcc_lo, s49, v20
	s_delay_alu instid0(VALU_DEP_2)
	v_add_co_ci_u32_e32 v21, vcc_lo, s50, v21, vcc_lo
	global_load_b64 v[20:21], v[20:21], off
	s_branch .LBB27_60
.LBB27_63:                              ;   in Loop: Header=BB27_17 Depth=1
                                        ; implicit-def: $vgpr9
	s_cbranch_execnz .LBB27_66
	s_branch .LBB27_75
.LBB27_64:                              ;   in Loop: Header=BB27_17 Depth=1
	s_or_b32 exec_lo, exec_lo, s14
.LBB27_65:                              ;   in Loop: Header=BB27_17 Depth=1
	s_delay_alu instid0(SALU_CYCLE_1)
	s_or_b32 exec_lo, exec_lo, s13
	s_branch .LBB27_75
.LBB27_66:                              ;   in Loop: Header=BB27_17 Depth=1
	s_mul_hi_u32 s9, s78, s63
	v_dual_mov_b32 v6, 0 :: v_dual_mov_b32 v7, 0
	s_mul_i32 s9, s9, s53
	v_dual_mov_b32 v8, 0 :: v_dual_mov_b32 v9, 0
	s_sub_i32 s9, s78, s9
	s_mov_b32 s81, 0
	s_sub_i32 s10, s9, s53
	s_cmp_ge_u32 s9, s53
	s_mov_b32 s80, exec_lo
	s_cselect_b32 s9, s10, s9
	s_delay_alu instid0(SALU_CYCLE_1) | instskip(SKIP_2) | instid1(SALU_CYCLE_1)
	s_sub_i32 s10, s9, s53
	s_cmp_ge_u32 s9, s53
	s_cselect_b32 s9, s10, s9
	s_sub_i32 s79, s78, s9
	s_delay_alu instid0(SALU_CYCLE_1)
	v_cmpx_gt_u32_e64 s79, v23
	s_cbranch_execz .LBB27_70
; %bb.67:                               ;   in Loop: Header=BB27_17 Depth=1
	v_dual_mov_b32 v2, v33 :: v_dual_mov_b32 v3, v23
	s_and_b32 s82, s72, 0xfe
	s_mov_b32 s83, 0
	s_mov_b32 s84, 0
	;; [unrolled: 1-line block ×4, first 2 shown]
.LBB27_68:                              ;   Parent Loop BB27_17 Depth=1
                                        ; =>  This Inner Loop Header: Depth=2
	ds_load_b128 v[6:9], v2
	s_waitcnt vmcnt(0)
	ds_load_b128 v[18:21], v2 offset:16
	v_mov_b32_e32 v38, v12
	v_dual_mov_b32 v40, v12 :: v_dual_add_nc_u32 v3, s53, v3
	v_mov_b32_e32 v36, v12
	s_delay_alu instid0(VALU_DEP_2)
	v_cmp_le_i32_e32 vcc_lo, s79, v3
	s_waitcnt lgkmcnt(1)
	v_xor_b32_e32 v7, 0x80000000, v7
	v_xor_b32_e32 v9, 0x80000000, v9
	s_waitcnt lgkmcnt(0)
	v_xor_b32_e32 v19, 0x80000000, v19
	v_and_b32_e32 v41, s46, v6
	v_xor_b32_e32 v21, 0x80000000, v21
	v_and_b32_e32 v42, s47, v7
	v_lshrrev_b64 v[6:7], s82, v[6:7]
	v_and_b32_e32 v43, s46, v8
	v_lshrrev_b64 v[7:8], s82, v[8:9]
	;; [unrolled: 2-line block ×3, first 2 shown]
	v_and_b32_e32 v45, s46, v18
	v_and_b32_e32 v46, s47, v19
	v_lshrrev_b64 v[18:19], s82, v[20:21]
	v_and_b32_e32 v11, 3, v6
	v_and_b32_e32 v35, 3, v7
	;; [unrolled: 1-line block ×3, first 2 shown]
	v_cmp_eq_u64_e64 s9, s[44:45], v[41:42]
	v_and_b32_e32 v47, s46, v20
	v_cmp_eq_u64_e64 s13, 0, v[11:12]
	v_and_b32_e32 v48, s47, v21
	v_and_b32_e32 v39, 3, v18
	v_cmp_eq_u64_e64 s10, s[44:45], v[43:44]
	v_cmp_eq_u64_e64 s14, 0, v[35:36]
	;; [unrolled: 1-line block ×6, first 2 shown]
	s_and_b32 s13, s9, s13
	v_cmp_eq_u64_e64 s17, 1, v[11:12]
	v_cndmask_b32_e64 v6, 0, 1, s13
	s_and_b32 s13, s10, s14
	v_cmp_eq_u64_e64 s18, 1, v[35:36]
	v_cndmask_b32_e64 v7, 0, 1, s13
	;; [unrolled: 3-line block ×4, first 2 shown]
	s_and_b32 s13, s9, s17
	v_cmp_eq_u64_e64 s21, 2, v[11:12]
	v_cmp_eq_u64_e64 s25, 3, v[11:12]
	v_cndmask_b32_e64 v11, 0, 1, s13
	s_and_b32 s13, s10, s18
	v_cmp_eq_u64_e64 s22, 2, v[35:36]
	v_cmp_eq_u64_e64 s26, 3, v[35:36]
	v_cndmask_b32_e64 v18, 0, 1, s13
	;; [unrolled: 4-line block ×4, first 2 shown]
	s_and_b32 s13, s9, s21
	s_and_b32 s9, s9, s25
	v_cndmask_b32_e64 v21, 0, 1, s13
	s_and_b32 s13, s10, s22
	v_cndmask_b32_e64 v38, 0, 1, s9
	;; [unrolled: 2-line block ×7, first 2 shown]
	v_cndmask_b32_e64 v41, 0, 1, s9
	v_cmp_ne_u32_e64 s9, 0, v6
	v_cmp_ne_u32_e64 s13, 0, v11
	;; [unrolled: 1-line block ×12, first 2 shown]
	s_bcnt1_i32_b32 s9, s9
	s_bcnt1_i32_b32 s13, s13
	s_bcnt1_i32_b32 s17, s17
	s_bcnt1_i32_b32 s21, s21
	v_cmp_ne_u32_e64 s12, 0, v9
	v_cmp_ne_u32_e64 s16, 0, v20
	;; [unrolled: 1-line block ×4, first 2 shown]
	s_bcnt1_i32_b32 s10, s10
	s_bcnt1_i32_b32 s14, s14
	s_bcnt1_i32_b32 s18, s18
	s_bcnt1_i32_b32 s22, s22
	s_add_i32 s9, s9, s86
	s_add_i32 s13, s13, s85
	s_add_i32 s17, s17, s84
	s_add_i32 s21, s21, s83
	s_bcnt1_i32_b32 s11, s11
	s_bcnt1_i32_b32 s15, s15
	s_bcnt1_i32_b32 s19, s19
	s_bcnt1_i32_b32 s23, s23
	s_add_i32 s9, s9, s10
	s_add_i32 s10, s13, s14
	s_add_i32 s13, s17, s18
	s_add_i32 s14, s21, s22
	;; [unrolled: 8-line block ×3, first 2 shown]
	s_add_i32 s86, s9, s12
	s_add_i32 s85, s10, s16
	;; [unrolled: 1-line block ×4, first 2 shown]
	v_mov_b32_e32 v8, s84
	v_dual_mov_b32 v7, s85 :: v_dual_add_nc_u32 v2, s68, v2
	v_dual_mov_b32 v6, s86 :: v_dual_mov_b32 v9, s83
	s_or_b32 s81, vcc_lo, s81
	s_delay_alu instid0(SALU_CYCLE_1)
	s_and_not1_b32 exec_lo, exec_lo, s81
	s_cbranch_execnz .LBB27_68
; %bb.69:                               ;   in Loop: Header=BB27_17 Depth=1
	s_or_b32 exec_lo, exec_lo, s81
.LBB27_70:                              ;   in Loop: Header=BB27_17 Depth=1
	s_delay_alu instid0(SALU_CYCLE_1) | instskip(SKIP_2) | instid1(VALU_DEP_1)
	s_or_b32 exec_lo, exec_lo, s80
	v_add_nc_u32_e32 v2, s79, v0
	s_mov_b32 s14, exec_lo
	v_cmpx_gt_i32_e64 s78, v2
	s_cbranch_execz .LBB27_74
; %bb.71:                               ;   in Loop: Header=BB27_17 Depth=1
	v_lshlrev_b32_e32 v3, 3, v2
	s_and_b32 s16, s72, 0xfe
	s_mov_b32 s15, 0
.LBB27_72:                              ;   Parent Loop BB27_17 Depth=1
                                        ; =>  This Inner Loop Header: Depth=2
	s_waitcnt vmcnt(0)
	ds_load_b64 v[18:19], v3
	v_add_nc_u32_e32 v2, s51, v2
	v_add_nc_u32_e32 v3, s69, v3
	s_delay_alu instid0(VALU_DEP_2) | instskip(SKIP_3) | instid1(VALU_DEP_2)
	v_cmp_le_i32_e32 vcc_lo, s78, v2
	s_waitcnt lgkmcnt(0)
	v_xor_b32_e32 v19, 0x80000000, v19
	v_and_b32_e32 v20, s46, v18
	v_and_b32_e32 v21, s47, v19
	v_lshrrev_b64 v[18:19], s16, v[18:19]
	s_delay_alu instid0(VALU_DEP_2) | instskip(NEXT) | instid1(VALU_DEP_2)
	v_cmp_eq_u64_e64 s9, s[44:45], v[20:21]
	v_and_b32_e32 v11, 3, v18
	s_delay_alu instid0(VALU_DEP_1) | instskip(SKIP_3) | instid1(VALU_DEP_4)
	v_cmp_eq_u64_e64 s10, 0, v[11:12]
	v_cmp_eq_u64_e64 s11, 1, v[11:12]
	;; [unrolled: 1-line block ×4, first 2 shown]
	s_and_b32 s10, s9, s10
	s_delay_alu instid0(SALU_CYCLE_1) | instskip(NEXT) | instid1(VALU_DEP_4)
	v_cndmask_b32_e64 v11, 0, 1, s10
	s_and_b32 s10, s9, s11
	s_delay_alu instid0(SALU_CYCLE_1)
	v_cndmask_b32_e64 v18, 0, 1, s10
	s_and_b32 s10, s9, s12
	s_and_b32 s9, s9, s13
	v_cndmask_b32_e64 v19, 0, 1, s10
	v_cndmask_b32_e64 v20, 0, 1, s9
	v_cmp_ne_u32_e64 s9, 0, v11
	v_cmp_ne_u32_e64 s10, 0, v18
	s_delay_alu instid0(VALU_DEP_4) | instskip(NEXT) | instid1(VALU_DEP_4)
	v_cmp_ne_u32_e64 s11, 0, v19
	v_cmp_ne_u32_e64 s12, 0, v20
	s_delay_alu instid0(VALU_DEP_4) | instskip(NEXT) | instid1(VALU_DEP_3)
	s_bcnt1_i32_b32 s9, s9
	s_bcnt1_i32_b32 s10, s10
	v_add_nc_u32_e32 v6, s9, v6
	s_bcnt1_i32_b32 s11, s11
	s_bcnt1_i32_b32 s12, s12
	v_add_nc_u32_e32 v7, s10, v7
	v_add_nc_u32_e32 v8, s11, v8
	;; [unrolled: 1-line block ×3, first 2 shown]
	s_or_b32 s15, vcc_lo, s15
	s_delay_alu instid0(SALU_CYCLE_1)
	s_and_not1_b32 exec_lo, exec_lo, s15
	s_cbranch_execnz .LBB27_72
; %bb.73:                               ;   in Loop: Header=BB27_17 Depth=1
	s_or_b32 exec_lo, exec_lo, s15
.LBB27_74:                              ;   in Loop: Header=BB27_17 Depth=1
	s_delay_alu instid0(SALU_CYCLE_1)
	s_or_b32 exec_lo, exec_lo, s14
.LBB27_75:                              ;   in Loop: Header=BB27_17 Depth=1
	s_lshl_b32 s9, s76, 7
	s_and_saveexec_b32 s10, s4
	s_cbranch_execz .LBB27_77
; %bb.76:                               ;   in Loop: Header=BB27_17 Depth=1
	v_or_b32_e32 v2, s9, v27
	s_delay_alu instid0(VALU_DEP_1)
	v_lshlrev_b32_e32 v2, 2, v2
	ds_store_b128 v2, v[6:9] offset:3072
.LBB27_77:                              ;   in Loop: Header=BB27_17 Depth=1
	s_or_b32 exec_lo, exec_lo, s10
	s_waitcnt vmcnt(0) lgkmcnt(0)
	s_barrier
	buffer_gl0_inv
	s_and_saveexec_b32 s10, s54
	s_cbranch_execz .LBB27_87
; %bb.78:                               ;   in Loop: Header=BB27_17 Depth=1
	v_mov_b32_e32 v2, 0
	s_and_not1_b32 vcc_lo, exec_lo, s58
	s_cbranch_vccnz .LBB27_86
; %bb.79:                               ;   in Loop: Header=BB27_17 Depth=1
	v_mov_b32_e32 v2, 0
	s_and_not1_b32 vcc_lo, exec_lo, s60
	s_mov_b32 s11, 0
	s_cbranch_vccnz .LBB27_83
; %bb.80:                               ;   in Loop: Header=BB27_17 Depth=1
	v_lshl_add_u32 v3, s76, 9, v34
	v_mov_b32_e32 v2, 0
	.p2align	6
.LBB27_81:                              ;   Parent Loop BB27_17 Depth=1
                                        ; =>  This Inner Loop Header: Depth=2
	ds_load_2addr_b32 v[6:7], v3 offset1:4
	ds_load_2addr_b32 v[8:9], v3 offset0:8 offset1:12
	ds_load_2addr_b32 v[18:19], v3 offset0:16 offset1:20
	;; [unrolled: 1-line block ×3, first 2 shown]
	v_add_nc_u32_e32 v3, 0x80, v3
	s_add_i32 s11, s11, 8
	s_delay_alu instid0(SALU_CYCLE_1) | instskip(SKIP_3) | instid1(VALU_DEP_1)
	s_cmp_eq_u32 s61, s11
	s_waitcnt lgkmcnt(3)
	v_add3_u32 v2, v6, v2, v7
	s_waitcnt lgkmcnt(2)
	v_add3_u32 v2, v8, v2, v9
	s_waitcnt lgkmcnt(1)
	s_delay_alu instid0(VALU_DEP_1) | instskip(SKIP_1) | instid1(VALU_DEP_1)
	v_add3_u32 v2, v18, v2, v19
	s_waitcnt lgkmcnt(0)
	v_add3_u32 v2, v20, v2, v21
	s_cbranch_scc0 .LBB27_81
; %bb.82:                               ;   in Loop: Header=BB27_17 Depth=1
	s_mov_b32 s11, s61
.LBB27_83:                              ;   in Loop: Header=BB27_17 Depth=1
	s_and_not1_b32 vcc_lo, exec_lo, s62
	s_cbranch_vccnz .LBB27_86
; %bb.84:                               ;   in Loop: Header=BB27_17 Depth=1
	s_lshl_b32 s12, s76, 9
	s_lshl_b32 s11, s11, 4
	s_delay_alu instid0(SALU_CYCLE_1)
	v_add3_u32 v3, s12, s11, v34
	s_mov_b32 s11, s59
.LBB27_85:                              ;   Parent Loop BB27_17 Depth=1
                                        ; =>  This Inner Loop Header: Depth=2
	ds_load_b32 v6, v3
	v_add_nc_u32_e32 v3, 16, v3
	s_add_i32 s11, s11, -1
	s_delay_alu instid0(SALU_CYCLE_1)
	s_cmp_lg_u32 s11, 0
	s_waitcnt lgkmcnt(0)
	v_add_nc_u32_e32 v2, v6, v2
	s_cbranch_scc1 .LBB27_85
.LBB27_86:                              ;   in Loop: Header=BB27_17 Depth=1
	v_add_lshl_u32 v3, s9, v22, 2
	ds_store_b32 v3, v2 offset:3072
.LBB27_87:                              ;   in Loop: Header=BB27_17 Depth=1
	s_or_b32 exec_lo, exec_lo, s10
	s_lshl_b32 s9, s9, 2
	s_waitcnt lgkmcnt(0)
	v_mov_b32_e32 v2, s9
	s_barrier
	buffer_gl0_inv
	s_and_b32 s22, s72, 0xfe
	s_delay_alu instid0(SALU_CYCLE_1)
	s_lshl_b64 s[10:11], 3, s22
	ds_load_b128 v[6:9], v2 offset:3072
	s_not_b64 s[12:13], s[10:11]
	s_waitcnt lgkmcnt(0)
	v_readfirstlane_b32 s20, v6
	v_readfirstlane_b32 s27, v7
	;; [unrolled: 1-line block ×4, first 2 shown]
	s_delay_alu instid0(VALU_DEP_4) | instskip(SKIP_3) | instid1(SALU_CYCLE_1)
	s_cmp_eq_u32 s20, 1
	s_cselect_b32 s9, -1, 0
	s_cmp_eq_u32 s37, 1
	s_cselect_b32 s14, -1, 0
	s_and_b32 s15, s9, s14
	s_mov_b32 s14, -1
	s_and_b32 vcc_lo, exec_lo, s15
	s_cbranch_vccz .LBB27_99
; %bb.88:                               ;   in Loop: Header=BB27_17 Depth=1
	ds_load_b32 v2, v12 offset:4096
	s_waitcnt lgkmcnt(0)
	s_barrier
	buffer_gl0_inv
	v_readfirstlane_b32 s16, v2
	s_and_saveexec_b32 s9, s0
	s_cbranch_execz .LBB27_90
; %bb.89:                               ;   in Loop: Header=BB27_17 Depth=1
	v_mov_b32_e32 v11, v12
	ds_store_b64 v25, v[11:12]
.LBB27_90:                              ;   in Loop: Header=BB27_17 Depth=1
	s_or_b32 exec_lo, exec_lo, s9
	s_and_b64 s[44:45], s[44:45], s[12:13]
	s_or_b64 s[46:47], s[46:47], s[10:11]
	s_cmp_lt_i32 s16, 1
	s_waitcnt lgkmcnt(0)
	s_barrier
	buffer_gl0_inv
	s_cbranch_scc0 .LBB27_100
; %bb.91:                               ;   in Loop: Header=BB27_17 Depth=1
	s_mov_b32 s9, 0
                                        ; implicit-def: $vgpr4_vgpr5
	s_and_saveexec_b32 s17, s8
	s_cbranch_execz .LBB27_102
; %bb.92:                               ;   in Loop: Header=BB27_17 Depth=1
	v_mov_b32_e32 v6, v10
	v_mov_b32_e32 v8, v0
	s_mov_b32 s23, 0
                                        ; implicit-def: $sgpr19
	s_set_inst_prefetch_distance 0x1
	s_branch .LBB27_94
	.p2align	6
.LBB27_93:                              ;   in Loop: Header=BB27_94 Depth=2
	s_or_b32 exec_lo, exec_lo, s9
	s_waitcnt vmcnt(0) lgkmcnt(0)
	s_barrier
	buffer_gl0_inv
	ds_load_b128 v[2:5], v12 offset:3072
	v_add_nc_u32_e32 v8, s51, v8
	v_add_nc_u32_e32 v6, s55, v6
	s_waitcnt lgkmcnt(0)
	s_barrier
	buffer_gl0_inv
	v_cmp_le_i32_e32 vcc_lo, s66, v8
	v_readfirstlane_b32 s25, v3
	v_readfirstlane_b32 s24, v2
	s_delay_alu instid0(VALU_DEP_1) | instskip(SKIP_1) | instid1(SALU_CYCLE_1)
	s_cmp_lg_u64 s[24:25], 0
	s_cselect_b32 s9, -1, 0
	s_or_b32 s24, vcc_lo, s9
	s_delay_alu instid0(SALU_CYCLE_1) | instskip(NEXT) | instid1(SALU_CYCLE_1)
	s_and_b32 s24, exec_lo, s24
	s_or_b32 s23, s24, s23
	s_and_not1_b32 s19, s19, exec_lo
	s_and_b32 s9, s9, exec_lo
	s_delay_alu instid0(SALU_CYCLE_1)
	s_or_b32 s19, s19, s9
	s_and_not1_b32 exec_lo, exec_lo, s23
	s_cbranch_execz .LBB27_101
.LBB27_94:                              ;   Parent Loop BB27_17 Depth=1
                                        ; =>  This Inner Loop Header: Depth=2
	v_mov_b32_e32 v3, 0
	v_mov_b32_e32 v4, 0
	v_cmp_gt_i32_e32 vcc_lo, s36, v8
	s_and_saveexec_b32 s24, vcc_lo
	s_cbranch_execz .LBB27_96
; %bb.95:                               ;   in Loop: Header=BB27_94 Depth=2
	v_ashrrev_i32_e32 v7, 31, v6
	s_delay_alu instid0(VALU_DEP_1) | instskip(NEXT) | instid1(VALU_DEP_1)
	v_lshlrev_b64 v[2:3], 3, v[6:7]
	v_add_co_u32 v2, s9, s49, v2
	s_delay_alu instid0(VALU_DEP_1)
	v_add_co_ci_u32_e64 v3, s9, s50, v3, s9
	global_load_b64 v[3:4], v[2:3], off
.LBB27_96:                              ;   in Loop: Header=BB27_94 Depth=2
	s_or_b32 exec_lo, exec_lo, s24
	s_and_saveexec_b32 s9, vcc_lo
	s_cbranch_execz .LBB27_93
; %bb.97:                               ;   in Loop: Header=BB27_94 Depth=2
	s_waitcnt vmcnt(0)
	v_xor_b32_e32 v2, 0x80000000, v4
	v_and_b32_e32 v18, s46, v3
	s_delay_alu instid0(VALU_DEP_2) | instskip(NEXT) | instid1(VALU_DEP_1)
	v_and_b32_e32 v19, s47, v2
	v_cmp_eq_u64_e32 vcc_lo, s[44:45], v[18:19]
	s_and_b32 exec_lo, exec_lo, vcc_lo
	s_cbranch_execz .LBB27_93
; %bb.98:                               ;   in Loop: Header=BB27_94 Depth=2
	v_mov_b32_e32 v2, v12
	ds_store_b128 v12, v[1:4] offset:3072
	s_branch .LBB27_93
.LBB27_99:                              ;   in Loop: Header=BB27_17 Depth=1
	s_mov_b32 s9, -1
                                        ; implicit-def: $sgpr17
                                        ; implicit-def: $sgpr23
                                        ; implicit-def: $sgpr19
	s_branch .LBB27_113
.LBB27_100:                             ;   in Loop: Header=BB27_17 Depth=1
	s_mov_b32 s17, -1
	s_mov_b32 s9, 0
                                        ; implicit-def: $sgpr19
                                        ; implicit-def: $vgpr4_vgpr5
	s_mov_b32 s23, s17
	s_cbranch_execnz .LBB27_103
	s_branch .LBB27_113
.LBB27_101:                             ;   in Loop: Header=BB27_17 Depth=1
	s_set_inst_prefetch_distance 0x2
	s_or_b32 exec_lo, exec_lo, s23
	s_delay_alu instid0(SALU_CYCLE_1)
	s_and_b32 s9, s19, exec_lo
.LBB27_102:                             ;   in Loop: Header=BB27_17 Depth=1
	s_or_b32 exec_lo, exec_lo, s17
	s_mov_b32 s19, -1
	s_mov_b32 s17, 0
	s_delay_alu instid0(SALU_CYCLE_1)
	s_mov_b32 s23, s17
	s_branch .LBB27_113
.LBB27_103:                             ;   in Loop: Header=BB27_17 Depth=1
	s_add_i32 s19, s16, s56
                                        ; implicit-def: $vgpr4_vgpr5
	s_delay_alu instid0(SALU_CYCLE_1) | instskip(NEXT) | instid1(SALU_CYCLE_1)
	s_abs_i32 s9, s19
	s_mul_hi_u32 s17, s9, s65
	s_delay_alu instid0(SALU_CYCLE_1) | instskip(NEXT) | instid1(SALU_CYCLE_1)
	s_mul_i32 s17, s17, s51
	s_sub_i32 s9, s9, s17
	s_ashr_i32 s17, s19, 31
	s_sub_i32 s23, s9, s51
	s_cmp_ge_u32 s9, s51
	s_cselect_b32 s9, s23, s9
	s_delay_alu instid0(SALU_CYCLE_1) | instskip(SKIP_2) | instid1(SALU_CYCLE_1)
	s_sub_i32 s23, s9, s51
	s_cmp_ge_u32 s9, s51
	s_cselect_b32 s9, s23, s9
	s_xor_b32 s9, s9, s17
	s_delay_alu instid0(SALU_CYCLE_1)
	s_sub_i32 s9, s17, s9
	s_mov_b32 s17, exec_lo
	s_add_i32 s19, s19, s9
	s_mov_b32 s9, 0
	v_cmpx_gt_i32_e64 s19, v0
	s_cbranch_execz .LBB27_112
; %bb.104:                              ;   in Loop: Header=BB27_17 Depth=1
	v_mov_b32_e32 v6, v24
	v_mov_b32_e32 v7, v0
	s_mov_b32 s23, 0
                                        ; implicit-def: $sgpr9
	s_set_inst_prefetch_distance 0x1
	s_branch .LBB27_106
	.p2align	6
.LBB27_105:                             ;   in Loop: Header=BB27_106 Depth=2
	s_or_b32 exec_lo, exec_lo, s24
	s_waitcnt lgkmcnt(0)
	s_barrier
	buffer_gl0_inv
	ds_load_b128 v[2:5], v12 offset:3072
	v_add_nc_u32_e32 v7, s51, v7
	v_add_nc_u32_e32 v6, s69, v6
	s_waitcnt lgkmcnt(0)
	s_barrier
	buffer_gl0_inv
	v_cmp_le_i32_e32 vcc_lo, s19, v7
	v_readfirstlane_b32 s25, v3
	v_readfirstlane_b32 s24, v2
	s_delay_alu instid0(VALU_DEP_1) | instskip(SKIP_1) | instid1(SALU_CYCLE_1)
	s_cmp_lg_u64 s[24:25], 0
	s_cselect_b32 s24, -1, 0
	s_or_b32 s25, vcc_lo, s24
	s_delay_alu instid0(SALU_CYCLE_1) | instskip(NEXT) | instid1(SALU_CYCLE_1)
	s_and_b32 s25, exec_lo, s25
	s_or_b32 s23, s25, s23
	s_and_not1_b32 s9, s9, exec_lo
	s_and_b32 s24, s24, exec_lo
	s_delay_alu instid0(SALU_CYCLE_1)
	s_or_b32 s9, s9, s24
	s_and_not1_b32 exec_lo, exec_lo, s23
	s_cbranch_execz .LBB27_111
.LBB27_106:                             ;   Parent Loop BB27_17 Depth=1
                                        ; =>  This Inner Loop Header: Depth=2
	v_mov_b32_e32 v3, 0
	v_mov_b32_e32 v4, 0
	v_cmp_gt_i32_e32 vcc_lo, s16, v7
	s_and_saveexec_b32 s24, vcc_lo
	s_cbranch_execz .LBB27_108
; %bb.107:                              ;   in Loop: Header=BB27_106 Depth=2
	ds_load_b64 v[3:4], v6
.LBB27_108:                             ;   in Loop: Header=BB27_106 Depth=2
	s_or_b32 exec_lo, exec_lo, s24
	s_and_saveexec_b32 s24, vcc_lo
	s_cbranch_execz .LBB27_105
; %bb.109:                              ;   in Loop: Header=BB27_106 Depth=2
	s_waitcnt lgkmcnt(0)
	v_xor_b32_e32 v2, 0x80000000, v4
	v_and_b32_e32 v8, s46, v3
	s_delay_alu instid0(VALU_DEP_2) | instskip(NEXT) | instid1(VALU_DEP_1)
	v_and_b32_e32 v9, s47, v2
	v_cmp_eq_u64_e32 vcc_lo, s[44:45], v[8:9]
	s_and_b32 exec_lo, exec_lo, vcc_lo
	s_cbranch_execz .LBB27_105
; %bb.110:                              ;   in Loop: Header=BB27_106 Depth=2
	v_mov_b32_e32 v2, v12
	ds_store_b128 v12, v[1:4] offset:3072
	s_branch .LBB27_105
.LBB27_111:                             ;   in Loop: Header=BB27_17 Depth=1
	s_set_inst_prefetch_distance 0x2
	s_or_b32 exec_lo, exec_lo, s23
	s_delay_alu instid0(SALU_CYCLE_1)
	s_and_b32 s9, s9, exec_lo
.LBB27_112:                             ;   in Loop: Header=BB27_17 Depth=1
	s_or_b32 exec_lo, exec_lo, s17
	s_mov_b32 s23, -1
	s_mov_b32 s17, 0
	s_mov_b32 s19, 0
.LBB27_113:                             ;   in Loop: Header=BB27_17 Depth=1
	s_and_not1_b32 s16, s74, exec_lo
	s_and_b32 s17, s17, exec_lo
	s_and_b32 s19, s19, exec_lo
	s_or_b32 s74, s16, s17
	s_and_not1_b32 s16, s77, exec_lo
	s_and_b32 s17, s23, exec_lo
	s_and_not1_b32 s23, s75, exec_lo
	s_or_b32 s77, s16, s17
	s_or_b32 s75, s23, s19
	s_and_saveexec_b32 s19, s9
	s_cbranch_execz .LBB27_16
; %bb.114:                              ;   in Loop: Header=BB27_17 Depth=1
	s_xor_b32 s9, s15, -1
	s_mov_b32 s23, 0
	s_and_not1_b32 vcc_lo, exec_lo, s9
	s_mov_b32 s28, 1
	s_cbranch_vccnz .LBB27_125
; %bb.115:                              ;   in Loop: Header=BB27_17 Depth=1
	s_cmp_gt_i32 s37, s20
	s_mov_b32 s23, -1
                                        ; implicit-def: $sgpr9
                                        ; implicit-def: $sgpr14_sgpr15
                                        ; implicit-def: $sgpr16_sgpr17
	s_cbranch_scc1 .LBB27_121
; %bb.116:                              ;   in Loop: Header=BB27_17 Depth=1
	ds_load_b32 v2, v12 offset:4096
	s_waitcnt lgkmcnt(0)
	v_cmp_ne_u32_e32 vcc_lo, 0, v2
	s_cbranch_vccnz .LBB27_120
; %bb.117:                              ;   in Loop: Header=BB27_17 Depth=1
	s_and_saveexec_b32 s9, s2
	s_cbranch_execz .LBB27_119
; %bb.118:                              ;   in Loop: Header=BB27_17 Depth=1
	v_mov_b32_e32 v2, s20
	ds_store_b32 v12, v2 offset:4100
.LBB27_119:                             ;   in Loop: Header=BB27_17 Depth=1
	s_or_b32 exec_lo, exec_lo, s9
	s_waitcnt lgkmcnt(0)
	s_barrier
	buffer_gl0_inv
.LBB27_120:                             ;   in Loop: Header=BB27_17 Depth=1
	s_and_b64 s[14:15], s[44:45], s[12:13]
	s_or_b64 s[16:17], s[46:47], s[10:11]
	s_mov_b32 s23, 0
	s_mov_b32 s9, 8
.LBB27_121:                             ;   in Loop: Header=BB27_17 Depth=1
	s_and_not1_b32 vcc_lo, exec_lo, s23
	s_cbranch_vccnz .LBB27_123
; %bb.122:                              ;   in Loop: Header=BB27_17 Depth=1
	s_sub_i32 s37, s37, s20
	s_mov_b32 s23, -1
	s_mov_b32 s9, 0
	s_mov_b64 s[14:15], s[44:45]
	s_mov_b64 s[16:17], s[46:47]
.LBB27_123:                             ;   in Loop: Header=BB27_17 Depth=1
	s_delay_alu instid0(SALU_CYCLE_1)
	s_mov_b64 s[46:47], s[16:17]
	s_mov_b64 s[44:45], s[14:15]
	s_mov_b32 s28, s37
	s_and_b32 vcc_lo, exec_lo, s23
	s_mov_b32 s20, -1
	s_cbranch_vccnz .LBB27_126
.LBB27_124:                             ;   in Loop: Header=BB27_17 Depth=1
	s_mov_b32 s15, -1
                                        ; implicit-def: $sgpr23
                                        ; implicit-def: $sgpr25
                                        ; implicit-def: $sgpr24
	s_delay_alu instid0(SALU_CYCLE_1) | instskip(NEXT) | instid1(SALU_CYCLE_1)
	s_and_saveexec_b32 s10, s15
	s_xor_b32 s10, exec_lo, s10
	s_cbranch_execz .LBB27_15
	s_branch .LBB27_249
.LBB27_125:                             ;   in Loop: Header=BB27_17 Depth=1
	s_mov_b32 s9, 1
	s_and_b32 vcc_lo, exec_lo, s23
	s_mov_b32 s20, -1
	s_cbranch_vccz .LBB27_124
.LBB27_126:                             ;   in Loop: Header=BB27_17 Depth=1
	s_cmp_eq_u32 s27, 1
	s_mov_b32 s16, -1
	s_cselect_b32 s9, -1, 0
	s_cmp_eq_u32 s28, 1
	s_cselect_b32 s14, -1, 0
	s_delay_alu instid0(SALU_CYCLE_1) | instskip(NEXT) | instid1(SALU_CYCLE_1)
	s_and_b32 s14, s9, s14
	s_and_b32 vcc_lo, exec_lo, s14
	s_cbranch_vccz .LBB27_138
; %bb.127:                              ;   in Loop: Header=BB27_17 Depth=1
	ds_load_b32 v2, v12 offset:4096
	s_waitcnt lgkmcnt(0)
	s_barrier
	buffer_gl0_inv
	v_readfirstlane_b32 s15, v2
	s_and_saveexec_b32 s9, s0
	s_cbranch_execz .LBB27_129
; %bb.128:                              ;   in Loop: Header=BB27_17 Depth=1
	v_mov_b32_e32 v11, v12
	ds_store_b64 v25, v[11:12]
.LBB27_129:                             ;   in Loop: Header=BB27_17 Depth=1
	s_or_b32 exec_lo, exec_lo, s9
	s_lshl_b64 s[16:17], 1, s22
	s_and_b64 s[24:25], s[44:45], s[12:13]
	s_or_b64 s[46:47], s[46:47], s[10:11]
	s_or_b64 s[44:45], s[24:25], s[16:17]
	s_cmp_gt_i32 s15, 0
	s_waitcnt lgkmcnt(0)
	s_barrier
	buffer_gl0_inv
	s_cbranch_scc1 .LBB27_139
; %bb.130:                              ;   in Loop: Header=BB27_17 Depth=1
	s_mov_b32 s16, 0
                                        ; implicit-def: $vgpr4_vgpr5
	s_and_saveexec_b32 s17, s8
	s_cbranch_execz .LBB27_141
; %bb.131:                              ;   in Loop: Header=BB27_17 Depth=1
	v_mov_b32_e32 v6, v10
	v_mov_b32_e32 v8, v0
	s_mov_b32 s23, 0
                                        ; implicit-def: $sgpr16
	s_set_inst_prefetch_distance 0x1
	s_branch .LBB27_133
	.p2align	6
.LBB27_132:                             ;   in Loop: Header=BB27_133 Depth=2
	s_or_b32 exec_lo, exec_lo, s9
	s_waitcnt vmcnt(0) lgkmcnt(0)
	s_barrier
	buffer_gl0_inv
	ds_load_b128 v[2:5], v12 offset:3072
	v_add_nc_u32_e32 v8, s51, v8
	v_add_nc_u32_e32 v6, s55, v6
	s_waitcnt lgkmcnt(0)
	s_barrier
	buffer_gl0_inv
	v_cmp_le_i32_e32 vcc_lo, s66, v8
	v_readfirstlane_b32 s25, v3
	v_readfirstlane_b32 s24, v2
	s_delay_alu instid0(VALU_DEP_1) | instskip(SKIP_1) | instid1(SALU_CYCLE_1)
	s_cmp_lg_u64 s[24:25], 0
	s_cselect_b32 s9, -1, 0
	s_or_b32 s24, vcc_lo, s9
	s_delay_alu instid0(SALU_CYCLE_1) | instskip(NEXT) | instid1(SALU_CYCLE_1)
	s_and_b32 s24, exec_lo, s24
	s_or_b32 s23, s24, s23
	s_and_not1_b32 s16, s16, exec_lo
	s_and_b32 s9, s9, exec_lo
	s_delay_alu instid0(SALU_CYCLE_1)
	s_or_b32 s16, s16, s9
	s_and_not1_b32 exec_lo, exec_lo, s23
	s_cbranch_execz .LBB27_140
.LBB27_133:                             ;   Parent Loop BB27_17 Depth=1
                                        ; =>  This Inner Loop Header: Depth=2
	v_mov_b32_e32 v3, 0
	v_mov_b32_e32 v4, 0
	v_cmp_gt_i32_e32 vcc_lo, s36, v8
	s_and_saveexec_b32 s24, vcc_lo
	s_cbranch_execz .LBB27_135
; %bb.134:                              ;   in Loop: Header=BB27_133 Depth=2
	v_ashrrev_i32_e32 v7, 31, v6
	s_delay_alu instid0(VALU_DEP_1) | instskip(NEXT) | instid1(VALU_DEP_1)
	v_lshlrev_b64 v[2:3], 3, v[6:7]
	v_add_co_u32 v2, s9, s49, v2
	s_delay_alu instid0(VALU_DEP_1)
	v_add_co_ci_u32_e64 v3, s9, s50, v3, s9
	global_load_b64 v[3:4], v[2:3], off
.LBB27_135:                             ;   in Loop: Header=BB27_133 Depth=2
	s_or_b32 exec_lo, exec_lo, s24
	s_and_saveexec_b32 s9, vcc_lo
	s_cbranch_execz .LBB27_132
; %bb.136:                              ;   in Loop: Header=BB27_133 Depth=2
	s_waitcnt vmcnt(0)
	v_xor_b32_e32 v2, 0x80000000, v4
	v_and_b32_e32 v18, s46, v3
	s_delay_alu instid0(VALU_DEP_2) | instskip(NEXT) | instid1(VALU_DEP_1)
	v_and_b32_e32 v19, s47, v2
	v_cmp_eq_u64_e32 vcc_lo, s[44:45], v[18:19]
	s_and_b32 exec_lo, exec_lo, vcc_lo
	s_cbranch_execz .LBB27_132
; %bb.137:                              ;   in Loop: Header=BB27_133 Depth=2
	v_mov_b32_e32 v2, v12
	ds_store_b128 v12, v[1:4] offset:3072
	s_branch .LBB27_132
.LBB27_138:                             ;   in Loop: Header=BB27_17 Depth=1
                                        ; implicit-def: $sgpr24
                                        ; implicit-def: $sgpr25
                                        ; implicit-def: $sgpr23
	s_branch .LBB27_152
.LBB27_139:                             ;   in Loop: Header=BB27_17 Depth=1
	s_mov_b32 s24, -1
	s_mov_b32 s16, 0
                                        ; implicit-def: $sgpr23
                                        ; implicit-def: $vgpr4_vgpr5
	s_mov_b32 s25, s24
	s_cbranch_execnz .LBB27_142
	s_branch .LBB27_152
.LBB27_140:                             ;   in Loop: Header=BB27_17 Depth=1
	s_set_inst_prefetch_distance 0x2
	s_or_b32 exec_lo, exec_lo, s23
	s_delay_alu instid0(SALU_CYCLE_1)
	s_and_b32 s16, s16, exec_lo
.LBB27_141:                             ;   in Loop: Header=BB27_17 Depth=1
	s_or_b32 exec_lo, exec_lo, s17
	s_mov_b32 s23, -1
	s_mov_b32 s24, 0
	s_delay_alu instid0(SALU_CYCLE_1)
	s_mov_b32 s25, s24
	s_branch .LBB27_152
.LBB27_142:                             ;   in Loop: Header=BB27_17 Depth=1
	s_add_i32 s17, s15, s56
                                        ; implicit-def: $vgpr4_vgpr5
	s_delay_alu instid0(SALU_CYCLE_1) | instskip(NEXT) | instid1(SALU_CYCLE_1)
	s_abs_i32 s9, s17
	s_mul_hi_u32 s16, s9, s65
	s_delay_alu instid0(SALU_CYCLE_1) | instskip(NEXT) | instid1(SALU_CYCLE_1)
	s_mul_i32 s16, s16, s51
	s_sub_i32 s9, s9, s16
	s_ashr_i32 s16, s17, 31
	s_sub_i32 s23, s9, s51
	s_cmp_ge_u32 s9, s51
	s_cselect_b32 s9, s23, s9
	s_delay_alu instid0(SALU_CYCLE_1) | instskip(SKIP_2) | instid1(SALU_CYCLE_1)
	s_sub_i32 s23, s9, s51
	s_cmp_ge_u32 s9, s51
	s_cselect_b32 s9, s23, s9
	s_xor_b32 s9, s9, s16
	s_delay_alu instid0(SALU_CYCLE_1)
	s_sub_i32 s9, s16, s9
	s_mov_b32 s16, 0
	s_add_i32 s17, s17, s9
	s_mov_b32 s9, exec_lo
	v_cmpx_gt_i32_e64 s17, v0
	s_cbranch_execz .LBB27_151
; %bb.143:                              ;   in Loop: Header=BB27_17 Depth=1
	v_mov_b32_e32 v6, v24
	v_mov_b32_e32 v7, v0
	s_mov_b32 s23, 0
                                        ; implicit-def: $sgpr16
	s_set_inst_prefetch_distance 0x1
	s_branch .LBB27_145
	.p2align	6
.LBB27_144:                             ;   in Loop: Header=BB27_145 Depth=2
	s_or_b32 exec_lo, exec_lo, s24
	s_waitcnt lgkmcnt(0)
	s_barrier
	buffer_gl0_inv
	ds_load_b128 v[2:5], v12 offset:3072
	v_add_nc_u32_e32 v7, s51, v7
	v_add_nc_u32_e32 v6, s69, v6
	s_waitcnt lgkmcnt(0)
	s_barrier
	buffer_gl0_inv
	v_cmp_le_i32_e32 vcc_lo, s17, v7
	v_readfirstlane_b32 s25, v3
	v_readfirstlane_b32 s24, v2
	s_delay_alu instid0(VALU_DEP_1) | instskip(SKIP_1) | instid1(SALU_CYCLE_1)
	s_cmp_lg_u64 s[24:25], 0
	s_cselect_b32 s24, -1, 0
	s_or_b32 s25, vcc_lo, s24
	s_delay_alu instid0(SALU_CYCLE_1) | instskip(NEXT) | instid1(SALU_CYCLE_1)
	s_and_b32 s25, exec_lo, s25
	s_or_b32 s23, s25, s23
	s_and_not1_b32 s16, s16, exec_lo
	s_and_b32 s24, s24, exec_lo
	s_delay_alu instid0(SALU_CYCLE_1)
	s_or_b32 s16, s16, s24
	s_and_not1_b32 exec_lo, exec_lo, s23
	s_cbranch_execz .LBB27_150
.LBB27_145:                             ;   Parent Loop BB27_17 Depth=1
                                        ; =>  This Inner Loop Header: Depth=2
	v_mov_b32_e32 v3, 0
	v_mov_b32_e32 v4, 0
	v_cmp_gt_i32_e32 vcc_lo, s15, v7
	s_and_saveexec_b32 s24, vcc_lo
	s_cbranch_execz .LBB27_147
; %bb.146:                              ;   in Loop: Header=BB27_145 Depth=2
	ds_load_b64 v[3:4], v6
.LBB27_147:                             ;   in Loop: Header=BB27_145 Depth=2
	s_or_b32 exec_lo, exec_lo, s24
	s_and_saveexec_b32 s24, vcc_lo
	s_cbranch_execz .LBB27_144
; %bb.148:                              ;   in Loop: Header=BB27_145 Depth=2
	s_waitcnt lgkmcnt(0)
	v_xor_b32_e32 v2, 0x80000000, v4
	v_and_b32_e32 v8, s46, v3
	s_delay_alu instid0(VALU_DEP_2) | instskip(NEXT) | instid1(VALU_DEP_1)
	v_and_b32_e32 v9, s47, v2
	v_cmp_eq_u64_e32 vcc_lo, s[44:45], v[8:9]
	s_and_b32 exec_lo, exec_lo, vcc_lo
	s_cbranch_execz .LBB27_144
; %bb.149:                              ;   in Loop: Header=BB27_145 Depth=2
	v_mov_b32_e32 v2, v12
	ds_store_b128 v12, v[1:4] offset:3072
	s_branch .LBB27_144
.LBB27_150:                             ;   in Loop: Header=BB27_17 Depth=1
	s_set_inst_prefetch_distance 0x2
	s_or_b32 exec_lo, exec_lo, s23
	s_delay_alu instid0(SALU_CYCLE_1)
	s_and_b32 s16, s16, exec_lo
.LBB27_151:                             ;   in Loop: Header=BB27_17 Depth=1
	s_or_b32 exec_lo, exec_lo, s9
	s_mov_b32 s25, -1
	s_mov_b32 s24, 0
	s_mov_b32 s23, 0
.LBB27_152:                             ;   in Loop: Header=BB27_17 Depth=1
	s_mov_b32 s15, 0
                                        ; implicit-def: $sgpr9
	s_and_saveexec_b32 s26, s16
	s_cbranch_execz .LBB27_248
; %bb.153:                              ;   in Loop: Header=BB27_17 Depth=1
	s_xor_b32 s9, s14, -1
	s_mov_b32 s37, 0
	s_and_not1_b32 vcc_lo, exec_lo, s9
	s_mov_b32 s79, 1
	s_cbranch_vccnz .LBB27_164
; %bb.154:                              ;   in Loop: Header=BB27_17 Depth=1
	s_cmp_gt_i32 s28, s27
	s_mov_b32 s37, -1
                                        ; implicit-def: $sgpr9
                                        ; implicit-def: $sgpr14_sgpr15
                                        ; implicit-def: $sgpr16_sgpr17
	s_cbranch_scc1 .LBB27_160
; %bb.155:                              ;   in Loop: Header=BB27_17 Depth=1
	ds_load_b32 v2, v12 offset:4096
	s_waitcnt lgkmcnt(0)
	v_cmp_ne_u32_e32 vcc_lo, 0, v2
	s_cbranch_vccnz .LBB27_159
; %bb.156:                              ;   in Loop: Header=BB27_17 Depth=1
	s_and_saveexec_b32 s9, s2
	s_cbranch_execz .LBB27_158
; %bb.157:                              ;   in Loop: Header=BB27_17 Depth=1
	v_mov_b32_e32 v2, s27
	ds_store_b32 v12, v2 offset:4100
.LBB27_158:                             ;   in Loop: Header=BB27_17 Depth=1
	s_or_b32 exec_lo, exec_lo, s9
	s_waitcnt lgkmcnt(0)
	s_barrier
	buffer_gl0_inv
.LBB27_159:                             ;   in Loop: Header=BB27_17 Depth=1
	s_lshl_b64 s[14:15], 1, s22
	s_and_b64 s[16:17], s[44:45], s[12:13]
	s_mov_b32 s37, 0
	s_or_b64 s[14:15], s[16:17], s[14:15]
	s_or_b64 s[16:17], s[46:47], s[10:11]
	s_mov_b32 s9, 8
.LBB27_160:                             ;   in Loop: Header=BB27_17 Depth=1
	s_and_not1_b32 vcc_lo, exec_lo, s37
	s_cbranch_vccnz .LBB27_162
; %bb.161:                              ;   in Loop: Header=BB27_17 Depth=1
	s_sub_i32 s28, s28, s27
	s_mov_b32 s37, -1
	s_mov_b32 s9, 0
	s_mov_b64 s[14:15], s[44:45]
	s_mov_b64 s[16:17], s[46:47]
.LBB27_162:                             ;   in Loop: Header=BB27_17 Depth=1
	s_delay_alu instid0(SALU_CYCLE_1)
	s_mov_b64 s[46:47], s[16:17]
	s_mov_b64 s[44:45], s[14:15]
	s_mov_b32 s79, s28
	s_and_not1_b32 vcc_lo, exec_lo, s37
	s_mov_b32 s15, -1
	s_cbranch_vccz .LBB27_165
.LBB27_163:                             ;   in Loop: Header=BB27_17 Depth=1
                                        ; implicit-def: $sgpr28
                                        ; implicit-def: $sgpr37
                                        ; implicit-def: $sgpr27
	s_branch .LBB27_247
.LBB27_164:                             ;   in Loop: Header=BB27_17 Depth=1
	s_mov_b32 s9, 1
	s_and_not1_b32 vcc_lo, exec_lo, s37
	s_mov_b32 s15, -1
	s_cbranch_vccnz .LBB27_163
.LBB27_165:                             ;   in Loop: Header=BB27_17 Depth=1
	s_cmp_eq_u32 s21, 1
	s_mov_b32 s16, -1
	s_cselect_b32 s9, -1, 0
	s_cmp_eq_u32 s79, 1
	s_cselect_b32 s14, -1, 0
	s_delay_alu instid0(SALU_CYCLE_1) | instskip(NEXT) | instid1(SALU_CYCLE_1)
	s_and_b32 s14, s9, s14
	s_and_b32 vcc_lo, exec_lo, s14
	s_cbranch_vccz .LBB27_177
; %bb.166:                              ;   in Loop: Header=BB27_17 Depth=1
	ds_load_b32 v2, v12 offset:4096
	s_waitcnt lgkmcnt(0)
	s_barrier
	buffer_gl0_inv
	v_readfirstlane_b32 s15, v2
	s_and_saveexec_b32 s9, s0
	s_cbranch_execz .LBB27_168
; %bb.167:                              ;   in Loop: Header=BB27_17 Depth=1
	v_mov_b32_e32 v11, v12
	ds_store_b64 v25, v[11:12]
.LBB27_168:                             ;   in Loop: Header=BB27_17 Depth=1
	s_or_b32 exec_lo, exec_lo, s9
	s_lshl_b64 s[16:17], 2, s22
	s_and_b64 s[44:45], s[44:45], s[12:13]
	s_or_b64 s[46:47], s[46:47], s[10:11]
	s_or_b64 s[44:45], s[44:45], s[16:17]
	s_cmp_gt_i32 s15, 0
	s_waitcnt lgkmcnt(0)
	s_barrier
	buffer_gl0_inv
	s_cbranch_scc1 .LBB27_178
; %bb.169:                              ;   in Loop: Header=BB27_17 Depth=1
	s_mov_b32 s16, 0
                                        ; implicit-def: $vgpr4_vgpr5
	s_and_saveexec_b32 s17, s8
	s_cbranch_execz .LBB27_180
; %bb.170:                              ;   in Loop: Header=BB27_17 Depth=1
	v_mov_b32_e32 v6, v10
	v_mov_b32_e32 v8, v0
	s_mov_b32 s27, 0
                                        ; implicit-def: $sgpr16
	s_set_inst_prefetch_distance 0x1
	s_branch .LBB27_172
	.p2align	6
.LBB27_171:                             ;   in Loop: Header=BB27_172 Depth=2
	s_or_b32 exec_lo, exec_lo, s9
	s_waitcnt vmcnt(0) lgkmcnt(0)
	s_barrier
	buffer_gl0_inv
	ds_load_b128 v[2:5], v12 offset:3072
	v_add_nc_u32_e32 v8, s51, v8
	v_add_nc_u32_e32 v6, s55, v6
	s_waitcnt lgkmcnt(0)
	s_barrier
	buffer_gl0_inv
	v_cmp_le_i32_e32 vcc_lo, s66, v8
	v_readfirstlane_b32 s81, v3
	v_readfirstlane_b32 s80, v2
	s_delay_alu instid0(VALU_DEP_1) | instskip(SKIP_1) | instid1(SALU_CYCLE_1)
	s_cmp_lg_u64 s[80:81], 0
	s_cselect_b32 s9, -1, 0
	s_or_b32 s28, vcc_lo, s9
	s_delay_alu instid0(SALU_CYCLE_1) | instskip(NEXT) | instid1(SALU_CYCLE_1)
	s_and_b32 s28, exec_lo, s28
	s_or_b32 s27, s28, s27
	s_and_not1_b32 s16, s16, exec_lo
	s_and_b32 s9, s9, exec_lo
	s_delay_alu instid0(SALU_CYCLE_1)
	s_or_b32 s16, s16, s9
	s_and_not1_b32 exec_lo, exec_lo, s27
	s_cbranch_execz .LBB27_179
.LBB27_172:                             ;   Parent Loop BB27_17 Depth=1
                                        ; =>  This Inner Loop Header: Depth=2
	v_mov_b32_e32 v3, 0
	v_mov_b32_e32 v4, 0
	v_cmp_gt_i32_e32 vcc_lo, s36, v8
	s_and_saveexec_b32 s28, vcc_lo
	s_cbranch_execz .LBB27_174
; %bb.173:                              ;   in Loop: Header=BB27_172 Depth=2
	v_ashrrev_i32_e32 v7, 31, v6
	s_delay_alu instid0(VALU_DEP_1) | instskip(NEXT) | instid1(VALU_DEP_1)
	v_lshlrev_b64 v[2:3], 3, v[6:7]
	v_add_co_u32 v2, s9, s49, v2
	s_delay_alu instid0(VALU_DEP_1)
	v_add_co_ci_u32_e64 v3, s9, s50, v3, s9
	global_load_b64 v[3:4], v[2:3], off
.LBB27_174:                             ;   in Loop: Header=BB27_172 Depth=2
	s_or_b32 exec_lo, exec_lo, s28
	s_and_saveexec_b32 s9, vcc_lo
	s_cbranch_execz .LBB27_171
; %bb.175:                              ;   in Loop: Header=BB27_172 Depth=2
	s_waitcnt vmcnt(0)
	v_xor_b32_e32 v2, 0x80000000, v4
	v_and_b32_e32 v18, s46, v3
	s_delay_alu instid0(VALU_DEP_2) | instskip(NEXT) | instid1(VALU_DEP_1)
	v_and_b32_e32 v19, s47, v2
	v_cmp_eq_u64_e32 vcc_lo, s[44:45], v[18:19]
	s_and_b32 exec_lo, exec_lo, vcc_lo
	s_cbranch_execz .LBB27_171
; %bb.176:                              ;   in Loop: Header=BB27_172 Depth=2
	v_mov_b32_e32 v2, v12
	ds_store_b128 v12, v[1:4] offset:3072
	s_branch .LBB27_171
.LBB27_177:                             ;   in Loop: Header=BB27_17 Depth=1
                                        ; implicit-def: $sgpr27
                                        ; implicit-def: $sgpr37
                                        ; implicit-def: $sgpr28
	s_branch .LBB27_191
.LBB27_178:                             ;   in Loop: Header=BB27_17 Depth=1
	s_mov_b32 s27, -1
	s_mov_b32 s16, 0
                                        ; implicit-def: $sgpr28
                                        ; implicit-def: $vgpr4_vgpr5
	s_mov_b32 s37, s27
	s_cbranch_execnz .LBB27_181
	s_branch .LBB27_191
.LBB27_179:                             ;   in Loop: Header=BB27_17 Depth=1
	s_set_inst_prefetch_distance 0x2
	s_or_b32 exec_lo, exec_lo, s27
	s_delay_alu instid0(SALU_CYCLE_1)
	s_and_b32 s16, s16, exec_lo
.LBB27_180:                             ;   in Loop: Header=BB27_17 Depth=1
	s_or_b32 exec_lo, exec_lo, s17
	s_mov_b32 s28, -1
	s_mov_b32 s27, 0
	s_delay_alu instid0(SALU_CYCLE_1)
	s_mov_b32 s37, s27
	s_branch .LBB27_191
.LBB27_181:                             ;   in Loop: Header=BB27_17 Depth=1
	s_add_i32 s17, s15, s56
                                        ; implicit-def: $vgpr4_vgpr5
	s_delay_alu instid0(SALU_CYCLE_1) | instskip(NEXT) | instid1(SALU_CYCLE_1)
	s_abs_i32 s9, s17
	s_mul_hi_u32 s16, s9, s65
	s_delay_alu instid0(SALU_CYCLE_1) | instskip(NEXT) | instid1(SALU_CYCLE_1)
	s_mul_i32 s16, s16, s51
	s_sub_i32 s9, s9, s16
	s_ashr_i32 s16, s17, 31
	s_sub_i32 s27, s9, s51
	s_cmp_ge_u32 s9, s51
	s_cselect_b32 s9, s27, s9
	s_delay_alu instid0(SALU_CYCLE_1) | instskip(SKIP_2) | instid1(SALU_CYCLE_1)
	s_sub_i32 s27, s9, s51
	s_cmp_ge_u32 s9, s51
	s_cselect_b32 s9, s27, s9
	s_xor_b32 s9, s9, s16
	s_delay_alu instid0(SALU_CYCLE_1)
	s_sub_i32 s9, s16, s9
	s_mov_b32 s16, 0
	s_add_i32 s17, s17, s9
	s_mov_b32 s9, exec_lo
	v_cmpx_gt_i32_e64 s17, v0
	s_cbranch_execz .LBB27_190
; %bb.182:                              ;   in Loop: Header=BB27_17 Depth=1
	v_mov_b32_e32 v6, v24
	v_mov_b32_e32 v7, v0
	s_mov_b32 s27, 0
                                        ; implicit-def: $sgpr16
	s_set_inst_prefetch_distance 0x1
	s_branch .LBB27_184
	.p2align	6
.LBB27_183:                             ;   in Loop: Header=BB27_184 Depth=2
	s_or_b32 exec_lo, exec_lo, s28
	s_waitcnt lgkmcnt(0)
	s_barrier
	buffer_gl0_inv
	ds_load_b128 v[2:5], v12 offset:3072
	v_add_nc_u32_e32 v7, s51, v7
	v_add_nc_u32_e32 v6, s69, v6
	s_waitcnt lgkmcnt(0)
	s_barrier
	buffer_gl0_inv
	v_cmp_le_i32_e32 vcc_lo, s17, v7
	v_readfirstlane_b32 s81, v3
	v_readfirstlane_b32 s80, v2
	s_delay_alu instid0(VALU_DEP_1) | instskip(SKIP_1) | instid1(SALU_CYCLE_1)
	s_cmp_lg_u64 s[80:81], 0
	s_cselect_b32 s28, -1, 0
	s_or_b32 s37, vcc_lo, s28
	s_delay_alu instid0(SALU_CYCLE_1) | instskip(NEXT) | instid1(SALU_CYCLE_1)
	s_and_b32 s37, exec_lo, s37
	s_or_b32 s27, s37, s27
	s_and_not1_b32 s16, s16, exec_lo
	s_and_b32 s28, s28, exec_lo
	s_delay_alu instid0(SALU_CYCLE_1)
	s_or_b32 s16, s16, s28
	s_and_not1_b32 exec_lo, exec_lo, s27
	s_cbranch_execz .LBB27_189
.LBB27_184:                             ;   Parent Loop BB27_17 Depth=1
                                        ; =>  This Inner Loop Header: Depth=2
	v_mov_b32_e32 v3, 0
	v_mov_b32_e32 v4, 0
	v_cmp_gt_i32_e32 vcc_lo, s15, v7
	s_and_saveexec_b32 s28, vcc_lo
	s_cbranch_execz .LBB27_186
; %bb.185:                              ;   in Loop: Header=BB27_184 Depth=2
	ds_load_b64 v[3:4], v6
.LBB27_186:                             ;   in Loop: Header=BB27_184 Depth=2
	s_or_b32 exec_lo, exec_lo, s28
	s_and_saveexec_b32 s28, vcc_lo
	s_cbranch_execz .LBB27_183
; %bb.187:                              ;   in Loop: Header=BB27_184 Depth=2
	s_waitcnt lgkmcnt(0)
	v_xor_b32_e32 v2, 0x80000000, v4
	v_and_b32_e32 v8, s46, v3
	s_delay_alu instid0(VALU_DEP_2) | instskip(NEXT) | instid1(VALU_DEP_1)
	v_and_b32_e32 v9, s47, v2
	v_cmp_eq_u64_e32 vcc_lo, s[44:45], v[8:9]
	s_and_b32 exec_lo, exec_lo, vcc_lo
	s_cbranch_execz .LBB27_183
; %bb.188:                              ;   in Loop: Header=BB27_184 Depth=2
	v_mov_b32_e32 v2, v12
	ds_store_b128 v12, v[1:4] offset:3072
	s_branch .LBB27_183
.LBB27_189:                             ;   in Loop: Header=BB27_17 Depth=1
	s_set_inst_prefetch_distance 0x2
	s_or_b32 exec_lo, exec_lo, s27
	s_delay_alu instid0(SALU_CYCLE_1)
	s_and_b32 s16, s16, exec_lo
.LBB27_190:                             ;   in Loop: Header=BB27_17 Depth=1
	s_or_b32 exec_lo, exec_lo, s9
	s_mov_b32 s37, -1
	s_mov_b32 s27, 0
	s_mov_b32 s28, 0
.LBB27_191:                             ;   in Loop: Header=BB27_17 Depth=1
	s_mov_b32 s15, 0
                                        ; implicit-def: $sgpr9
	s_and_saveexec_b32 s78, s16
	s_cbranch_execz .LBB27_246
; %bb.192:                              ;   in Loop: Header=BB27_17 Depth=1
	s_xor_b32 s9, s14, -1
	s_mov_b32 s80, 0
	s_and_not1_b32 vcc_lo, exec_lo, s9
	s_mov_b32 s14, 1
	s_cbranch_vccnz .LBB27_203
; %bb.193:                              ;   in Loop: Header=BB27_17 Depth=1
	s_cmp_gt_i32 s79, s21
	s_mov_b32 s80, -1
                                        ; implicit-def: $sgpr9
                                        ; implicit-def: $sgpr14_sgpr15
                                        ; implicit-def: $sgpr16_sgpr17
	s_cbranch_scc1 .LBB27_199
; %bb.194:                              ;   in Loop: Header=BB27_17 Depth=1
	ds_load_b32 v2, v12 offset:4096
	s_waitcnt lgkmcnt(0)
	v_cmp_ne_u32_e32 vcc_lo, 0, v2
	s_cbranch_vccnz .LBB27_198
; %bb.195:                              ;   in Loop: Header=BB27_17 Depth=1
	s_and_saveexec_b32 s9, s2
	s_cbranch_execz .LBB27_197
; %bb.196:                              ;   in Loop: Header=BB27_17 Depth=1
	v_mov_b32_e32 v2, s21
	ds_store_b32 v12, v2 offset:4100
.LBB27_197:                             ;   in Loop: Header=BB27_17 Depth=1
	s_or_b32 exec_lo, exec_lo, s9
	s_waitcnt lgkmcnt(0)
	s_barrier
	buffer_gl0_inv
.LBB27_198:                             ;   in Loop: Header=BB27_17 Depth=1
	s_lshl_b64 s[14:15], 2, s22
	s_and_b64 s[12:13], s[44:45], s[12:13]
	s_or_b64 s[16:17], s[46:47], s[10:11]
	s_or_b64 s[14:15], s[12:13], s[14:15]
	s_mov_b32 s80, 0
	s_mov_b32 s9, 8
.LBB27_199:                             ;   in Loop: Header=BB27_17 Depth=1
	s_and_not1_b32 vcc_lo, exec_lo, s80
	s_cbranch_vccnz .LBB27_201
; %bb.200:                              ;   in Loop: Header=BB27_17 Depth=1
	s_sub_i32 s79, s79, s21
	s_mov_b32 s80, -1
	s_mov_b32 s9, 0
	s_mov_b64 s[14:15], s[44:45]
	s_mov_b64 s[16:17], s[46:47]
.LBB27_201:                             ;   in Loop: Header=BB27_17 Depth=1
	s_delay_alu instid0(SALU_CYCLE_1)
	s_mov_b64 s[46:47], s[16:17]
	s_mov_b64 s[44:45], s[14:15]
	s_mov_b32 s14, s79
	s_and_not1_b32 vcc_lo, exec_lo, s80
	s_mov_b32 s13, -1
	s_cbranch_vccz .LBB27_204
.LBB27_202:                             ;   in Loop: Header=BB27_17 Depth=1
                                        ; implicit-def: $sgpr15
                                        ; implicit-def: $sgpr17
                                        ; implicit-def: $sgpr16
	s_branch .LBB27_245
.LBB27_203:                             ;   in Loop: Header=BB27_17 Depth=1
	s_mov_b32 s9, 1
	s_and_not1_b32 vcc_lo, exec_lo, s80
	s_mov_b32 s13, -1
	s_cbranch_vccnz .LBB27_202
.LBB27_204:                             ;   in Loop: Header=BB27_17 Depth=1
	s_cmp_eq_u32 s18, 1
	s_mov_b32 s21, -1
	s_cselect_b32 s9, -1, 0
	s_cmp_eq_u32 s14, 1
	s_cselect_b32 s12, -1, 0
	s_delay_alu instid0(SALU_CYCLE_1) | instskip(NEXT) | instid1(SALU_CYCLE_1)
	s_and_b32 s12, s9, s12
	s_and_b32 vcc_lo, exec_lo, s12
	s_cbranch_vccz .LBB27_216
; %bb.205:                              ;   in Loop: Header=BB27_17 Depth=1
	ds_load_b32 v2, v12 offset:4096
	s_waitcnt lgkmcnt(0)
	s_barrier
	buffer_gl0_inv
	v_readfirstlane_b32 s13, v2
	s_and_saveexec_b32 s9, s0
	s_cbranch_execz .LBB27_207
; %bb.206:                              ;   in Loop: Header=BB27_17 Depth=1
	v_mov_b32_e32 v11, v12
	ds_store_b64 v25, v[11:12]
.LBB27_207:                             ;   in Loop: Header=BB27_17 Depth=1
	s_or_b32 exec_lo, exec_lo, s9
	s_or_b64 s[44:45], s[44:45], s[10:11]
	s_or_b64 s[46:47], s[46:47], s[10:11]
	s_cmp_gt_i32 s13, 0
	s_waitcnt lgkmcnt(0)
	s_barrier
	buffer_gl0_inv
	s_cbranch_scc1 .LBB27_217
; %bb.208:                              ;   in Loop: Header=BB27_17 Depth=1
	s_mov_b32 s21, 0
                                        ; implicit-def: $vgpr4_vgpr5
	s_and_saveexec_b32 s15, s8
	s_cbranch_execz .LBB27_219
; %bb.209:                              ;   in Loop: Header=BB27_17 Depth=1
	v_mov_b32_e32 v6, v10
	v_mov_b32_e32 v8, v0
	s_mov_b32 s17, 0
                                        ; implicit-def: $sgpr16
	s_set_inst_prefetch_distance 0x1
	s_branch .LBB27_211
	.p2align	6
.LBB27_210:                             ;   in Loop: Header=BB27_211 Depth=2
	s_or_b32 exec_lo, exec_lo, s9
	s_waitcnt vmcnt(0) lgkmcnt(0)
	s_barrier
	buffer_gl0_inv
	ds_load_b128 v[2:5], v12 offset:3072
	v_add_nc_u32_e32 v8, s51, v8
	v_add_nc_u32_e32 v6, s55, v6
	s_waitcnt lgkmcnt(0)
	s_barrier
	buffer_gl0_inv
	v_cmp_le_i32_e32 vcc_lo, s66, v8
	v_readfirstlane_b32 s81, v3
	v_readfirstlane_b32 s80, v2
	s_delay_alu instid0(VALU_DEP_1) | instskip(SKIP_1) | instid1(SALU_CYCLE_1)
	s_cmp_lg_u64 s[80:81], 0
	s_cselect_b32 s9, -1, 0
	s_or_b32 s21, vcc_lo, s9
	s_delay_alu instid0(SALU_CYCLE_1) | instskip(NEXT) | instid1(SALU_CYCLE_1)
	s_and_b32 s21, exec_lo, s21
	s_or_b32 s17, s21, s17
	s_and_not1_b32 s16, s16, exec_lo
	s_and_b32 s9, s9, exec_lo
	s_delay_alu instid0(SALU_CYCLE_1)
	s_or_b32 s16, s16, s9
	s_and_not1_b32 exec_lo, exec_lo, s17
	s_cbranch_execz .LBB27_218
.LBB27_211:                             ;   Parent Loop BB27_17 Depth=1
                                        ; =>  This Inner Loop Header: Depth=2
	v_mov_b32_e32 v3, 0
	v_mov_b32_e32 v4, 0
	v_cmp_gt_i32_e32 vcc_lo, s36, v8
	s_and_saveexec_b32 s21, vcc_lo
	s_cbranch_execz .LBB27_213
; %bb.212:                              ;   in Loop: Header=BB27_211 Depth=2
	v_ashrrev_i32_e32 v7, 31, v6
	s_delay_alu instid0(VALU_DEP_1) | instskip(NEXT) | instid1(VALU_DEP_1)
	v_lshlrev_b64 v[2:3], 3, v[6:7]
	v_add_co_u32 v2, s9, s49, v2
	s_delay_alu instid0(VALU_DEP_1)
	v_add_co_ci_u32_e64 v3, s9, s50, v3, s9
	global_load_b64 v[3:4], v[2:3], off
.LBB27_213:                             ;   in Loop: Header=BB27_211 Depth=2
	s_or_b32 exec_lo, exec_lo, s21
	s_and_saveexec_b32 s9, vcc_lo
	s_cbranch_execz .LBB27_210
; %bb.214:                              ;   in Loop: Header=BB27_211 Depth=2
	s_waitcnt vmcnt(0)
	v_xor_b32_e32 v2, 0x80000000, v4
	v_and_b32_e32 v18, s46, v3
	s_delay_alu instid0(VALU_DEP_2) | instskip(NEXT) | instid1(VALU_DEP_1)
	v_and_b32_e32 v19, s47, v2
	v_cmp_eq_u64_e32 vcc_lo, s[44:45], v[18:19]
	s_and_b32 exec_lo, exec_lo, vcc_lo
	s_cbranch_execz .LBB27_210
; %bb.215:                              ;   in Loop: Header=BB27_211 Depth=2
	v_mov_b32_e32 v2, v12
	ds_store_b128 v12, v[1:4] offset:3072
	s_branch .LBB27_210
.LBB27_216:                             ;   in Loop: Header=BB27_17 Depth=1
                                        ; implicit-def: $sgpr15
                                        ; implicit-def: $sgpr17
                                        ; implicit-def: $sgpr16
	s_branch .LBB27_230
.LBB27_217:                             ;   in Loop: Header=BB27_17 Depth=1
	s_mov_b32 s15, -1
	s_mov_b32 s21, 0
                                        ; implicit-def: $sgpr16
                                        ; implicit-def: $vgpr4_vgpr5
	s_mov_b32 s17, s15
	s_cbranch_execnz .LBB27_220
	s_branch .LBB27_230
.LBB27_218:                             ;   in Loop: Header=BB27_17 Depth=1
	s_set_inst_prefetch_distance 0x2
	s_or_b32 exec_lo, exec_lo, s17
	s_delay_alu instid0(SALU_CYCLE_1)
	s_and_b32 s21, s16, exec_lo
.LBB27_219:                             ;   in Loop: Header=BB27_17 Depth=1
	s_or_b32 exec_lo, exec_lo, s15
	s_mov_b32 s16, -1
	s_mov_b32 s15, 0
	s_delay_alu instid0(SALU_CYCLE_1)
	s_mov_b32 s17, s15
	s_branch .LBB27_230
.LBB27_220:                             ;   in Loop: Header=BB27_17 Depth=1
	s_add_i32 s15, s13, s56
	s_mov_b32 s21, 0
	s_abs_i32 s9, s15
                                        ; implicit-def: $vgpr4_vgpr5
	s_delay_alu instid0(SALU_CYCLE_1) | instskip(NEXT) | instid1(SALU_CYCLE_1)
	s_mul_hi_u32 s16, s9, s65
	s_mul_i32 s16, s16, s51
	s_delay_alu instid0(SALU_CYCLE_1) | instskip(SKIP_4) | instid1(SALU_CYCLE_1)
	s_sub_i32 s9, s9, s16
	s_ashr_i32 s16, s15, 31
	s_sub_i32 s17, s9, s51
	s_cmp_ge_u32 s9, s51
	s_cselect_b32 s9, s17, s9
	s_sub_i32 s17, s9, s51
	s_cmp_ge_u32 s9, s51
	s_cselect_b32 s9, s17, s9
	s_delay_alu instid0(SALU_CYCLE_1) | instskip(NEXT) | instid1(SALU_CYCLE_1)
	s_xor_b32 s9, s9, s16
	s_sub_i32 s9, s16, s9
	s_delay_alu instid0(SALU_CYCLE_1)
	s_add_i32 s15, s15, s9
	s_mov_b32 s9, exec_lo
	v_cmpx_gt_i32_e64 s15, v0
	s_cbranch_execz .LBB27_229
; %bb.221:                              ;   in Loop: Header=BB27_17 Depth=1
	v_mov_b32_e32 v6, v24
	v_mov_b32_e32 v7, v0
	s_mov_b32 s17, 0
                                        ; implicit-def: $sgpr16
	s_set_inst_prefetch_distance 0x1
	s_branch .LBB27_223
	.p2align	6
.LBB27_222:                             ;   in Loop: Header=BB27_223 Depth=2
	s_or_b32 exec_lo, exec_lo, s21
	s_waitcnt lgkmcnt(0)
	s_barrier
	buffer_gl0_inv
	ds_load_b128 v[2:5], v12 offset:3072
	v_add_nc_u32_e32 v7, s51, v7
	v_add_nc_u32_e32 v6, s69, v6
	s_waitcnt lgkmcnt(0)
	s_barrier
	buffer_gl0_inv
	v_cmp_le_i32_e32 vcc_lo, s15, v7
	v_readfirstlane_b32 s81, v3
	v_readfirstlane_b32 s80, v2
	s_delay_alu instid0(VALU_DEP_1) | instskip(SKIP_1) | instid1(SALU_CYCLE_1)
	s_cmp_lg_u64 s[80:81], 0
	s_cselect_b32 s21, -1, 0
	s_or_b32 s22, vcc_lo, s21
	s_delay_alu instid0(SALU_CYCLE_1) | instskip(NEXT) | instid1(SALU_CYCLE_1)
	s_and_b32 s22, exec_lo, s22
	s_or_b32 s17, s22, s17
	s_and_not1_b32 s16, s16, exec_lo
	s_and_b32 s21, s21, exec_lo
	s_delay_alu instid0(SALU_CYCLE_1)
	s_or_b32 s16, s16, s21
	s_and_not1_b32 exec_lo, exec_lo, s17
	s_cbranch_execz .LBB27_228
.LBB27_223:                             ;   Parent Loop BB27_17 Depth=1
                                        ; =>  This Inner Loop Header: Depth=2
	v_mov_b32_e32 v3, 0
	v_mov_b32_e32 v4, 0
	v_cmp_gt_i32_e32 vcc_lo, s13, v7
	s_and_saveexec_b32 s21, vcc_lo
	s_cbranch_execz .LBB27_225
; %bb.224:                              ;   in Loop: Header=BB27_223 Depth=2
	ds_load_b64 v[3:4], v6
.LBB27_225:                             ;   in Loop: Header=BB27_223 Depth=2
	s_or_b32 exec_lo, exec_lo, s21
	s_and_saveexec_b32 s21, vcc_lo
	s_cbranch_execz .LBB27_222
; %bb.226:                              ;   in Loop: Header=BB27_223 Depth=2
	s_waitcnt lgkmcnt(0)
	v_xor_b32_e32 v2, 0x80000000, v4
	v_and_b32_e32 v8, s46, v3
	s_delay_alu instid0(VALU_DEP_2) | instskip(NEXT) | instid1(VALU_DEP_1)
	v_and_b32_e32 v9, s47, v2
	v_cmp_eq_u64_e32 vcc_lo, s[44:45], v[8:9]
	s_and_b32 exec_lo, exec_lo, vcc_lo
	s_cbranch_execz .LBB27_222
; %bb.227:                              ;   in Loop: Header=BB27_223 Depth=2
	v_mov_b32_e32 v2, v12
	ds_store_b128 v12, v[1:4] offset:3072
	s_branch .LBB27_222
.LBB27_228:                             ;   in Loop: Header=BB27_17 Depth=1
	s_set_inst_prefetch_distance 0x2
	s_or_b32 exec_lo, exec_lo, s17
	s_delay_alu instid0(SALU_CYCLE_1)
	s_and_b32 s21, s16, exec_lo
.LBB27_229:                             ;   in Loop: Header=BB27_17 Depth=1
	s_or_b32 exec_lo, exec_lo, s9
	s_mov_b32 s17, -1
	s_mov_b32 s15, 0
	s_mov_b32 s16, 0
.LBB27_230:                             ;   in Loop: Header=BB27_17 Depth=1
	s_mov_b32 s13, 0
                                        ; implicit-def: $sgpr9
	s_and_saveexec_b32 s22, s21
	s_cbranch_execz .LBB27_244
; %bb.231:                              ;   in Loop: Header=BB27_17 Depth=1
	s_xor_b32 s9, s12, -1
	s_delay_alu instid0(SALU_CYCLE_1)
	s_and_not1_b32 vcc_lo, exec_lo, s9
	s_mov_b32 s9, 1
	s_cbranch_vccnz .LBB27_238
; %bb.232:                              ;   in Loop: Header=BB27_17 Depth=1
	s_cmp_gt_i32 s14, s18
	s_cbranch_scc1 .LBB27_239
; %bb.233:                              ;   in Loop: Header=BB27_17 Depth=1
	ds_load_b32 v2, v12 offset:4096
	s_waitcnt lgkmcnt(0)
	v_cmp_ne_u32_e32 vcc_lo, 0, v2
	s_cbranch_vccnz .LBB27_237
; %bb.234:                              ;   in Loop: Header=BB27_17 Depth=1
	s_and_saveexec_b32 s9, s2
	s_cbranch_execz .LBB27_236
; %bb.235:                              ;   in Loop: Header=BB27_17 Depth=1
	v_mov_b32_e32 v2, s18
	ds_store_b32 v12, v2 offset:4100
.LBB27_236:                             ;   in Loop: Header=BB27_17 Depth=1
	s_or_b32 exec_lo, exec_lo, s9
	s_waitcnt lgkmcnt(0)
	s_barrier
	buffer_gl0_inv
.LBB27_237:                             ;   in Loop: Header=BB27_17 Depth=1
	s_or_b64 s[12:13], s[44:45], s[10:11]
	s_or_b64 s[10:11], s[46:47], s[10:11]
	s_mov_b32 s21, 0
	s_mov_b32 s9, 8
	s_branch .LBB27_240
.LBB27_238:                             ;   in Loop: Header=BB27_17 Depth=1
	s_mov_b32 s14, 1
	s_branch .LBB27_243
.LBB27_239:                             ;   in Loop: Header=BB27_17 Depth=1
	s_mov_b32 s21, -1
                                        ; implicit-def: $sgpr9
                                        ; implicit-def: $sgpr12_sgpr13
                                        ; implicit-def: $sgpr10_sgpr11
.LBB27_240:                             ;   in Loop: Header=BB27_17 Depth=1
	s_delay_alu instid0(SALU_CYCLE_1)
	s_and_not1_b32 vcc_lo, exec_lo, s21
	s_cbranch_vccnz .LBB27_242
; %bb.241:                              ;   in Loop: Header=BB27_17 Depth=1
	s_sub_i32 s14, s14, s18
	s_mov_b32 s9, 8
	s_mov_b64 s[12:13], s[44:45]
	s_mov_b64 s[10:11], s[46:47]
.LBB27_242:                             ;   in Loop: Header=BB27_17 Depth=1
	s_mov_b64 s[44:45], s[12:13]
	s_mov_b64 s[46:47], s[10:11]
.LBB27_243:                             ;   in Loop: Header=BB27_17 Depth=1
	s_mov_b32 s13, exec_lo
.LBB27_244:                             ;   in Loop: Header=BB27_17 Depth=1
	s_or_b32 exec_lo, exec_lo, s22
.LBB27_245:                             ;   in Loop: Header=BB27_17 Depth=1
	s_delay_alu instid0(SALU_CYCLE_1)
	s_and_not1_b32 s10, s27, exec_lo
	s_and_b32 s11, s15, exec_lo
	s_and_not1_b32 s12, s28, exec_lo
	s_or_b32 s27, s10, s11
	s_and_not1_b32 s10, s37, exec_lo
	s_and_b32 s11, s17, exec_lo
	s_and_b32 s15, s16, exec_lo
	s_or_b32 s37, s10, s11
	s_or_b32 s28, s12, s15
	s_and_b32 s15, s13, exec_lo
	s_mov_b32 s79, s14
.LBB27_246:                             ;   in Loop: Header=BB27_17 Depth=1
	s_or_b32 exec_lo, exec_lo, s78
.LBB27_247:                             ;   in Loop: Header=BB27_17 Depth=1
	s_delay_alu instid0(SALU_CYCLE_1)
	s_and_not1_b32 s10, s24, exec_lo
	s_and_b32 s11, s27, exec_lo
	s_and_not1_b32 s12, s23, exec_lo
	s_or_b32 s24, s10, s11
	s_and_not1_b32 s10, s25, exec_lo
	s_and_b32 s11, s37, exec_lo
	s_and_b32 s13, s28, exec_lo
	s_or_b32 s25, s10, s11
	s_or_b32 s23, s12, s13
	s_and_b32 s15, s15, exec_lo
	s_mov_b32 s28, s79
.LBB27_248:                             ;   in Loop: Header=BB27_17 Depth=1
	s_or_b32 exec_lo, exec_lo, s26
	s_and_saveexec_b32 s10, s15
	s_delay_alu instid0(SALU_CYCLE_1)
	s_xor_b32 s10, exec_lo, s10
	s_cbranch_execz .LBB27_15
.LBB27_249:                             ;   in Loop: Header=BB27_17 Depth=1
	s_and_b32 s9, s9, -9
	s_delay_alu instid0(SALU_CYCLE_1)
	s_cmp_eq_u32 s9, 0
	s_cbranch_scc1 .LBB27_13
; %bb.250:                              ;   in Loop: Header=BB27_17 Depth=1
	s_mov_b32 s9, -1
	s_mov_b32 s11, -1
                                        ; implicit-def: $sgpr46_sgpr47
                                        ; implicit-def: $sgpr28
                                        ; implicit-def: $sgpr72
                                        ; implicit-def: $sgpr76
	s_branch .LBB27_14
.LBB27_251:
	s_or_b32 exec_lo, exec_lo, s52
	s_xor_b32 s4, s73, -1
	s_xor_b32 s0, s70, -1
	;; [unrolled: 1-line block ×3, first 2 shown]
	s_mov_b32 s1, 0
	s_and_saveexec_b32 s5, s0
	s_delay_alu instid0(SALU_CYCLE_1)
	s_xor_b32 s0, exec_lo, s5
	s_cbranch_execz .LBB27_272
; %bb.252:
	s_and_saveexec_b32 s1, s4
	s_delay_alu instid0(SALU_CYCLE_1)
	s_xor_b32 s1, exec_lo, s1
	s_cbranch_execz .LBB27_270
; %bb.253:
	s_and_saveexec_b32 s4, s3
	s_delay_alu instid0(SALU_CYCLE_1)
	s_xor_b32 s3, exec_lo, s4
; %bb.254:
	v_xor_b32_e32 v3, 0x80000000, v3
	s_delay_alu instid0(VALU_DEP_1)
	v_dual_mov_b32 v5, v3 :: v_dual_mov_b32 v4, v2
; %bb.255:
	s_or_b32 exec_lo, exec_lo, s3
	s_and_saveexec_b32 s3, s2
	s_cbranch_execz .LBB27_257
; %bb.256:
	v_dual_mov_b32 v1, 0 :: v_dual_mov_b32 v2, s36
	ds_store_b32 v1, v2 offset:4108
.LBB27_257:
	s_or_b32 exec_lo, exec_lo, s3
	v_mov_b32_e32 v1, 0
	s_waitcnt lgkmcnt(0)
	s_barrier
	buffer_gl0_inv
	s_mov_b32 s3, exec_lo
	ds_load_b32 v1, v1 offset:4108
	s_waitcnt lgkmcnt(0)
	v_min_i32_e32 v1, s36, v1
	s_delay_alu instid0(VALU_DEP_1)
	v_cmpx_lt_i32_e64 v0, v1
	s_cbranch_execz .LBB27_267
; %bb.258:
	s_mov_b32 s4, 0
                                        ; implicit-def: $sgpr5
                                        ; implicit-def: $sgpr7
                                        ; implicit-def: $sgpr6
	s_set_inst_prefetch_distance 0x1
	s_branch .LBB27_260
	.p2align	6
.LBB27_259:                             ;   in Loop: Header=BB27_260 Depth=1
	s_or_b32 exec_lo, exec_lo, s8
	s_delay_alu instid0(SALU_CYCLE_1) | instskip(NEXT) | instid1(SALU_CYCLE_1)
	s_and_b32 s8, exec_lo, s7
	s_or_b32 s4, s8, s4
	s_and_not1_b32 s5, s5, exec_lo
	s_and_b32 s8, s6, exec_lo
	s_delay_alu instid0(SALU_CYCLE_1)
	s_or_b32 s5, s5, s8
	s_and_not1_b32 exec_lo, exec_lo, s4
	s_cbranch_execz .LBB27_262
.LBB27_260:                             ; =>This Inner Loop Header: Depth=1
	v_ashrrev_i32_e32 v11, 31, v10
	s_or_b32 s6, s6, exec_lo
	s_or_b32 s7, s7, exec_lo
	s_delay_alu instid0(VALU_DEP_1) | instskip(NEXT) | instid1(VALU_DEP_1)
	v_lshlrev_b64 v[2:3], 3, v[10:11]
	v_add_co_u32 v2, vcc_lo, s49, v2
	s_delay_alu instid0(VALU_DEP_2)
	v_add_co_ci_u32_e32 v3, vcc_lo, s50, v3, vcc_lo
	global_load_b64 v[2:3], v[2:3], off
	s_waitcnt vmcnt(0)
	v_cmp_ne_u64_e32 vcc_lo, v[2:3], v[4:5]
	v_mov_b32_e32 v2, v0
                                        ; implicit-def: $vgpr0
	s_and_saveexec_b32 s8, vcc_lo
	s_cbranch_execz .LBB27_259
; %bb.261:                              ;   in Loop: Header=BB27_260 Depth=1
	s_delay_alu instid0(VALU_DEP_1) | instskip(SKIP_3) | instid1(VALU_DEP_2)
	v_add_nc_u32_e32 v0, s51, v2
	s_and_not1_b32 s7, s7, exec_lo
	v_add_nc_u32_e32 v10, s55, v10
	s_and_not1_b32 s6, s6, exec_lo
	v_cmp_ge_i32_e32 vcc_lo, v0, v1
	s_and_b32 s9, vcc_lo, exec_lo
	s_delay_alu instid0(SALU_CYCLE_1)
	s_or_b32 s7, s7, s9
	s_branch .LBB27_259
.LBB27_262:
	s_set_inst_prefetch_distance 0x2
	s_or_b32 exec_lo, exec_lo, s4
	s_and_saveexec_b32 s4, s5
	s_delay_alu instid0(SALU_CYCLE_1)
	s_xor_b32 s4, exec_lo, s4
	s_cbranch_execz .LBB27_267
; %bb.263:
	s_mov_b32 s5, exec_lo
	s_brev_b32 s4, -2
.LBB27_264:                             ; =>This Inner Loop Header: Depth=1
	s_ctz_i32_b32 s6, s5
	s_delay_alu instid0(SALU_CYCLE_1) | instskip(SKIP_1) | instid1(SALU_CYCLE_1)
	v_readlane_b32 s7, v2, s6
	s_lshl_b32 s6, 1, s6
	s_and_not1_b32 s5, s5, s6
	s_delay_alu instid0(VALU_DEP_1)
	s_min_i32 s4, s4, s7
	s_cmp_lg_u32 s5, 0
	s_cbranch_scc1 .LBB27_264
; %bb.265:
	v_mbcnt_lo_u32_b32 v0, exec_lo, 0
	s_mov_b32 s5, exec_lo
	s_delay_alu instid0(VALU_DEP_1)
	v_cmpx_eq_u32_e32 0, v0
	s_xor_b32 s5, exec_lo, s5
	s_cbranch_execz .LBB27_267
; %bb.266:
	v_dual_mov_b32 v0, 0 :: v_dual_mov_b32 v1, s4
	ds_min_i32 v0, v1 offset:4108
.LBB27_267:
	s_or_b32 exec_lo, exec_lo, s3
	s_waitcnt lgkmcnt(0)
	s_barrier
	buffer_gl0_inv
	s_and_saveexec_b32 s3, s2
	s_cbranch_execz .LBB27_269
; %bb.268:
	v_mov_b32_e32 v2, 0
	s_mul_i32 s2, s30, s38
	s_delay_alu instid0(SALU_CYCLE_1)
	s_add_i32 s4, s2, s29
	s_mul_i32 s2, s48, s33
	ds_load_b32 v0, v2 offset:4108
	s_ashr_i32 s5, s4, 31
	s_add_i32 s6, s2, s31
	s_lshl_b64 s[4:5], s[4:5], 3
	s_delay_alu instid0(SALU_CYCLE_1) | instskip(SKIP_2) | instid1(SALU_CYCLE_1)
	s_add_u32 s4, s40, s4
	s_addc_u32 s5, s41, s5
	s_ashr_i32 s7, s6, 31
	s_lshl_b64 s[6:7], s[6:7], 3
	s_delay_alu instid0(SALU_CYCLE_1)
	s_add_u32 s6, s34, s6
	s_addc_u32 s7, s35, s7
	s_waitcnt lgkmcnt(0)
	v_ashrrev_i32_e32 v1, 31, v0
	s_clause 0x1
	global_store_b64 v2, v[0:1], s[6:7]
	global_store_b64 v2, v[4:5], s[4:5]
.LBB27_269:
	s_or_b32 exec_lo, exec_lo, s3
.LBB27_270:
	s_or_saveexec_b32 s1, s1
	s_mov_b32 s2, 0
	s_xor_b32 exec_lo, exec_lo, s1
	s_cbranch_execnz .LBB27_278
.LBB27_271:
	s_or_b32 exec_lo, exec_lo, s1
	s_delay_alu instid0(SALU_CYCLE_1)
	s_and_b32 s1, s2, exec_lo
.LBB27_272:
	s_and_not1_saveexec_b32 s0, s0
	s_cbranch_execnz .LBB27_276
; %bb.273:
	s_or_b32 exec_lo, exec_lo, s0
	s_and_saveexec_b32 s0, s1
.LBB27_274:
	; divergent unreachable
.LBB27_275:
	s_nop 0
	s_sendmsg sendmsg(MSG_DEALLOC_VGPRS)
	s_endpgm
.LBB27_276:
	s_cbranch_execnz .LBB27_280
; %bb.277:
	s_or_b32 s1, s1, exec_lo
	s_or_b32 exec_lo, exec_lo, s0
	s_and_saveexec_b32 s0, s1
	s_cbranch_execnz .LBB27_274
	s_branch .LBB27_275
.LBB27_278:
	s_cbranch_execnz .LBB27_282
; %bb.279:
	s_mov_b32 s2, exec_lo
	s_branch .LBB27_271
.LBB27_280:
	s_trap 2
	s_sendmsg_rtn_b32 s0, sendmsg(MSG_RTN_GET_DOORBELL)
	s_mov_b32 ttmp2, m0
	s_waitcnt lgkmcnt(0)
	s_and_b32 s0, s0, 0x3ff
	s_delay_alu instid0(SALU_CYCLE_1) | instskip(NEXT) | instid1(SALU_CYCLE_1)
	s_bitset1_b32 s0, 10
	s_mov_b32 m0, s0
	s_sendmsg sendmsg(MSG_INTERRUPT)
	s_mov_b32 m0, ttmp2
.LBB27_281:                             ; =>This Inner Loop Header: Depth=1
	s_sethalt 5
	s_branch .LBB27_281
.LBB27_282:
	s_trap 2
	s_sendmsg_rtn_b32 s0, sendmsg(MSG_RTN_GET_DOORBELL)
	s_mov_b32 ttmp2, m0
	s_waitcnt lgkmcnt(0)
	s_and_b32 s0, s0, 0x3ff
	s_delay_alu instid0(SALU_CYCLE_1) | instskip(NEXT) | instid1(SALU_CYCLE_1)
	s_bitset1_b32 s0, 10
	s_mov_b32 m0, s0
	s_sendmsg sendmsg(MSG_INTERRUPT)
	s_mov_b32 m0, ttmp2
.LBB27_283:                             ; =>This Inner Loop Header: Depth=1
	s_sethalt 5
	s_branch .LBB27_283
	.section	.rodata,"a",@progbits
	.p2align	6, 0x0
	.amdhsa_kernel _ZN2at6native12_GLOBAL__N_114gatherKthValueIliLin1EEEvNS_4cuda6detail10TensorInfoIKT_T0_EES8_S8_S8_S8_NS5_IS6_S8_EENS5_IlS8_EE
		.amdhsa_group_segment_fixed_size 4112
		.amdhsa_private_segment_fixed_size 0
		.amdhsa_kernarg_size 920
		.amdhsa_user_sgpr_count 13
		.amdhsa_user_sgpr_dispatch_ptr 0
		.amdhsa_user_sgpr_queue_ptr 0
		.amdhsa_user_sgpr_kernarg_segment_ptr 1
		.amdhsa_user_sgpr_dispatch_id 0
		.amdhsa_user_sgpr_private_segment_size 0
		.amdhsa_wavefront_size32 1
		.amdhsa_uses_dynamic_stack 0
		.amdhsa_enable_private_segment 0
		.amdhsa_system_sgpr_workgroup_id_x 1
		.amdhsa_system_sgpr_workgroup_id_y 1
		.amdhsa_system_sgpr_workgroup_id_z 1
		.amdhsa_system_sgpr_workgroup_info 0
		.amdhsa_system_vgpr_workitem_id 0
		.amdhsa_next_free_vgpr 49
		.amdhsa_next_free_sgpr 87
		.amdhsa_reserve_vcc 1
		.amdhsa_float_round_mode_32 0
		.amdhsa_float_round_mode_16_64 0
		.amdhsa_float_denorm_mode_32 3
		.amdhsa_float_denorm_mode_16_64 3
		.amdhsa_dx10_clamp 1
		.amdhsa_ieee_mode 1
		.amdhsa_fp16_overflow 0
		.amdhsa_workgroup_processor_mode 1
		.amdhsa_memory_ordered 1
		.amdhsa_forward_progress 0
		.amdhsa_shared_vgpr_count 0
		.amdhsa_exception_fp_ieee_invalid_op 0
		.amdhsa_exception_fp_denorm_src 0
		.amdhsa_exception_fp_ieee_div_zero 0
		.amdhsa_exception_fp_ieee_overflow 0
		.amdhsa_exception_fp_ieee_underflow 0
		.amdhsa_exception_fp_ieee_inexact 0
		.amdhsa_exception_int_div_zero 0
	.end_amdhsa_kernel
	.section	.text._ZN2at6native12_GLOBAL__N_114gatherKthValueIliLin1EEEvNS_4cuda6detail10TensorInfoIKT_T0_EES8_S8_S8_S8_NS5_IS6_S8_EENS5_IlS8_EE,"axG",@progbits,_ZN2at6native12_GLOBAL__N_114gatherKthValueIliLin1EEEvNS_4cuda6detail10TensorInfoIKT_T0_EES8_S8_S8_S8_NS5_IS6_S8_EENS5_IlS8_EE,comdat
.Lfunc_end27:
	.size	_ZN2at6native12_GLOBAL__N_114gatherKthValueIliLin1EEEvNS_4cuda6detail10TensorInfoIKT_T0_EES8_S8_S8_S8_NS5_IS6_S8_EENS5_IlS8_EE, .Lfunc_end27-_ZN2at6native12_GLOBAL__N_114gatherKthValueIliLin1EEEvNS_4cuda6detail10TensorInfoIKT_T0_EES8_S8_S8_S8_NS5_IS6_S8_EENS5_IlS8_EE
                                        ; -- End function
	.section	.AMDGPU.csdata,"",@progbits
; Kernel info:
; codeLenInByte = 10792
; NumSgprs: 89
; NumVgprs: 49
; ScratchSize: 0
; MemoryBound: 0
; FloatMode: 240
; IeeeMode: 1
; LDSByteSize: 4112 bytes/workgroup (compile time only)
; SGPRBlocks: 11
; VGPRBlocks: 6
; NumSGPRsForWavesPerEU: 89
; NumVGPRsForWavesPerEU: 49
; Occupancy: 16
; WaveLimiterHint : 1
; COMPUTE_PGM_RSRC2:SCRATCH_EN: 0
; COMPUTE_PGM_RSRC2:USER_SGPR: 13
; COMPUTE_PGM_RSRC2:TRAP_HANDLER: 0
; COMPUTE_PGM_RSRC2:TGID_X_EN: 1
; COMPUTE_PGM_RSRC2:TGID_Y_EN: 1
; COMPUTE_PGM_RSRC2:TGID_Z_EN: 1
; COMPUTE_PGM_RSRC2:TIDIG_COMP_CNT: 0
	.section	.text._ZN2at6native12_GLOBAL__N_114gatherKthValueIllLi1EEEvNS_4cuda6detail10TensorInfoIKT_T0_EES8_S8_S8_S8_NS5_IS6_S8_EENS5_IlS8_EE,"axG",@progbits,_ZN2at6native12_GLOBAL__N_114gatherKthValueIllLi1EEEvNS_4cuda6detail10TensorInfoIKT_T0_EES8_S8_S8_S8_NS5_IS6_S8_EENS5_IlS8_EE,comdat
	.globl	_ZN2at6native12_GLOBAL__N_114gatherKthValueIllLi1EEEvNS_4cuda6detail10TensorInfoIKT_T0_EES8_S8_S8_S8_NS5_IS6_S8_EENS5_IlS8_EE ; -- Begin function _ZN2at6native12_GLOBAL__N_114gatherKthValueIllLi1EEEvNS_4cuda6detail10TensorInfoIKT_T0_EES8_S8_S8_S8_NS5_IS6_S8_EENS5_IlS8_EE
	.p2align	8
	.type	_ZN2at6native12_GLOBAL__N_114gatherKthValueIllLi1EEEvNS_4cuda6detail10TensorInfoIKT_T0_EES8_S8_S8_S8_NS5_IS6_S8_EENS5_IlS8_EE,@function
_ZN2at6native12_GLOBAL__N_114gatherKthValueIllLi1EEEvNS_4cuda6detail10TensorInfoIKT_T0_EES8_S8_S8_S8_NS5_IS6_S8_EENS5_IlS8_EE: ; @_ZN2at6native12_GLOBAL__N_114gatherKthValueIllLi1EEEvNS_4cuda6detail10TensorInfoIKT_T0_EES8_S8_S8_S8_NS5_IS6_S8_EENS5_IlS8_EE
; %bb.0:
	s_clause 0x1
	s_load_b64 s[8:9], s[0:1], 0x500
	s_load_b256 s[36:43], s[0:1], 0x1a0
	s_add_u32 s6, s0, 0x500
	s_addc_u32 s7, s1, 0
	s_mov_b32 s27, 0
	s_waitcnt lgkmcnt(0)
	s_mul_i32 s2, s9, s15
	s_delay_alu instid0(SALU_CYCLE_1) | instskip(NEXT) | instid1(SALU_CYCLE_1)
	s_add_i32 s2, s2, s14
	s_mul_i32 s2, s2, s8
	s_delay_alu instid0(SALU_CYCLE_1) | instskip(NEXT) | instid1(SALU_CYCLE_1)
	s_add_i32 s26, s2, s13
	v_cmp_ge_i64_e64 s2, s[26:27], s[40:41]
	s_delay_alu instid0(VALU_DEP_1)
	s_and_b32 vcc_lo, exec_lo, s2
	s_cbranch_vccnz .LBB28_303
; %bb.1:
	s_clause 0x5
	s_load_b64 s[34:35], s[0:1], 0x430
	s_load_b64 s[28:29], s[0:1], 0x360
	;; [unrolled: 1-line block ×6, first 2 shown]
	v_cmp_eq_u32_e64 s0, 0, v0
	s_delay_alu instid0(VALU_DEP_1)
	s_and_saveexec_b32 s1, s0
	s_cbranch_execz .LBB28_3
; %bb.2:
	v_dual_mov_b32 v1, 0 :: v_dual_mov_b32 v4, s37
	s_delay_alu instid0(VALU_DEP_1)
	v_dual_mov_b32 v3, s36 :: v_dual_mov_b32 v2, v1
	ds_store_b32 v1, v1 offset:5136
	ds_store_b128 v1, v[1:4] offset:5120
.LBB28_3:
	s_or_b32 exec_lo, exec_lo, s1
	v_mad_u64_u32 v[2:3], null, v0, s42, 0
	v_lshlrev_b32_e32 v38, 5, v0
	v_mbcnt_lo_u32_b32 v34, -1, 0
	s_waitcnt lgkmcnt(0)
	s_mul_i32 s1, s5, s26
	s_mul_hi_u32 s5, s4, s26
	s_mul_i32 s4, s4, s26
	v_or_b32_e32 v10, 16, v38
	v_dual_mov_b32 v1, v3 :: v_dual_mov_b32 v18, 0
	s_add_i32 s5, s5, s1
	v_cmp_gt_u32_e32 vcc_lo, 32, v0
	v_cmp_gt_i32_e64 s1, 4, v34
	s_delay_alu instid0(VALU_DEP_3) | instskip(SKIP_2) | instid1(SALU_CYCLE_1)
	v_mad_u64_u32 v[3:4], null, v0, s43, v[1:2]
	v_mad_u64_u32 v[23:24], null, s42, v10, 0
	s_lshl_b64 s[4:5], s[4:5], 3
	s_add_u32 s46, s2, s4
	s_addc_u32 s47, s3, s5
	s_delay_alu instid0(VALU_DEP_2)
	v_lshlrev_b64 v[4:5], 3, v[2:3]
	s_barrier
	buffer_gl0_inv
	s_load_b32 s5, s[6:7], 0xc
	s_and_b32 s33, vcc_lo, s1
	v_lshrrev_b32_e32 v6, 3, v0
	v_add_co_u32 v15, vcc_lo, s46, v4
	v_add_co_ci_u32_e32 v16, vcc_lo, s47, v5, vcc_lo
	v_lshlrev_b64 v[4:5], v34, -1
	v_mov_b32_e32 v5, v24
	v_or_b32_e32 v9, 24, v38
	v_or_b32_e32 v11, 8, v38
	v_dual_mov_b32 v20, v18 :: v_dual_lshlrev_b32 v35, 3, v0
	v_not_b32_e32 v39, v4
	s_delay_alu instid0(VALU_DEP_4)
	v_mad_u64_u32 v[21:22], null, s42, v9, 0
	v_lshlrev_b32_e32 v19, 2, v0
	v_mad_u64_u32 v[25:26], null, s42, v11, 0
	v_and_b32_e32 v37, 0x7c, v6
	s_waitcnt lgkmcnt(0)
	s_and_b32 s27, s5, 0xffff
	s_bfe_u32 s9, s5, 0xb0005
	s_delay_alu instid0(VALU_DEP_4)
	v_mov_b32_e32 v4, v22
	s_add_u32 s73, s27, -1
	s_addc_u32 s74, 0, -1
	v_mov_b32_e32 v6, v26
	s_add_u32 s75, s73, s36
	v_mad_u64_u32 v[7:8], null, s43, v9, v[4:5]
	s_addc_u32 s25, s74, s37
	s_cmp_lt_u32 s13, s8
	v_mad_u64_u32 v[8:9], null, s43, v10, v[5:6]
	s_cselect_b32 s8, 12, 18
	v_dual_mov_b32 v1, v18 :: v_dual_add_nc_u32 v36, 0xc00, v35
	s_delay_alu instid0(VALU_DEP_3)
	v_mad_u64_u32 v[4:5], null, s43, v11, v[6:7]
	s_add_u32 s50, s6, s8
	s_addc_u32 s51, s7, 0
	s_add_i32 s6, s9, -1
	s_bfe_u32 s76, s27, 0x30005
	s_cmp_gt_u32 s6, 6
	v_add_co_u32 v41, s7, s36, v0
	s_cselect_b32 s77, -1, 0
	s_and_b32 s78, s9, 0x7f8
	v_cmp_lt_i64_e64 s72, 0x180, s[36:37]
	v_cmp_gt_u64_e64 s4, s[36:37], v[0:1]
	v_cmp_gt_i64_e64 s1, s[36:37], v[0:1]
	s_cmp_lg_u32 s76, 0
	v_cmp_gt_u16_e64 s79, s5, 31
	v_dual_mov_b32 v22, v7 :: v_dual_mov_b32 v5, 0
	v_lshlrev_b64 v[26:27], 5, v[2:3]
	s_mul_i32 s5, s43, s27
	s_mul_hi_u32 s6, s42, s27
	v_cmp_eq_u32_e64 s2, 0, v34
	v_cmp_gt_u32_e64 s3, 2, v0
	v_mov_b32_e32 v24, v8
	v_mov_b32_e32 v40, v4
	v_add_co_ci_u32_e64 v42, null, s37, 0, s7
	v_lshl_or_b32 v43, v34, 3, 0xc00
	v_mov_b32_e32 v6, 0
	v_mov_b32_e32 v2, 1
	v_cvt_f32_ubyte0_e32 v44, 0
	s_cselect_b32 s80, -1, 0
	s_add_i32 s7, s6, s5
	s_mul_i32 s6, s42, s27
	s_mov_b32 s49, 0
	s_lshl_b64 s[52:53], s[42:43], 3
	s_lshl_b64 s[54:55], s[42:43], 5
	s_lshl_b64 s[44:45], s[6:7], 3
	s_lshl_b32 s81, s27, 3
	s_mov_b32 s85, 62
	s_mov_b64 s[56:57], 0
	s_mov_b32 s82, 0
	s_mov_b32 s87, 0
	s_mov_b64 s[58:59], 0
                                        ; implicit-def: $sgpr83
                                        ; implicit-def: $sgpr86
                                        ; implicit-def: $sgpr84
                                        ; implicit-def: $sgpr89
                                        ; implicit-def: $sgpr90
                                        ; implicit-def: $sgpr88
	s_branch .LBB28_8
.LBB28_4:                               ;   in Loop: Header=BB28_8 Depth=1
	s_xor_b32 s87, s87, 1
	s_add_i32 s8, s85, -2
	s_cmp_eq_u32 s85, 0
	s_mov_b32 s5, 0
	s_cselect_b32 s7, -1, 0
	s_mov_b32 s85, s8
.LBB28_5:                               ;   in Loop: Header=BB28_8 Depth=1
	s_and_not1_b32 s8, s48, exec_lo
	s_and_b32 s5, s5, exec_lo
	s_and_not1_b32 s60, s60, exec_lo
	s_or_b32 s48, s8, s5
	s_and_not1_b32 s21, s21, exec_lo
	s_or_not1_b32 s20, s7, exec_lo
.LBB28_6:                               ;   in Loop: Header=BB28_8 Depth=1
	s_or_b32 exec_lo, exec_lo, s6
	s_delay_alu instid0(SALU_CYCLE_1)
	s_and_not1_b32 s5, s88, exec_lo
	s_and_b32 s6, s48, exec_lo
	s_and_not1_b32 s7, s89, exec_lo
	s_or_b32 s88, s5, s6
	s_and_not1_b32 s5, s90, exec_lo
	s_and_b32 s6, s60, exec_lo
	s_and_b32 s8, s21, exec_lo
	s_or_b32 s90, s5, s6
	s_or_b32 s89, s7, s8
	s_or_not1_b32 s48, s20, exec_lo
.LBB28_7:                               ;   in Loop: Header=BB28_8 Depth=1
	s_or_b32 exec_lo, exec_lo, s22
	s_delay_alu instid0(SALU_CYCLE_1)
	s_and_b32 s5, exec_lo, s48
	v_dual_mov_b32 v3, s56 :: v_dual_mov_b32 v4, s57
	s_or_b32 s82, s5, s82
	s_and_not1_b32 s5, s84, exec_lo
	s_and_b32 s6, s88, exec_lo
	s_and_not1_b32 s7, s83, exec_lo
	s_or_b32 s84, s5, s6
	s_and_not1_b32 s5, s86, exec_lo
	s_and_b32 s6, s90, exec_lo
	s_and_b32 s8, s89, exec_lo
	s_or_b32 s86, s5, s6
	s_or_b32 s83, s7, s8
	s_and_not1_b32 exec_lo, exec_lo, s82
	s_cbranch_execz .LBB28_277
.LBB28_8:                               ; =>This Loop Header: Depth=1
                                        ;     Child Loop BB28_16 Depth 2
                                        ;     Child Loop BB28_35 Depth 2
	;; [unrolled: 1-line block ×16, first 2 shown]
	ds_load_b128 v[7:10], v18 offset:5120
	s_waitcnt lgkmcnt(0)
	v_readfirstlane_b32 s61, v8
	v_readfirstlane_b32 s60, v7
	s_delay_alu instid0(VALU_DEP_1) | instskip(NEXT) | instid1(VALU_DEP_1)
	v_cmp_gt_i64_e64 s5, s[60:61], 0
	s_and_b32 vcc_lo, exec_lo, s5
	s_cbranch_vccnz .LBB28_42
; %bb.9:                                ;   in Loop: Header=BB28_8 Depth=1
	s_and_b32 vcc_lo, exec_lo, s72
	s_cbranch_vccz .LBB28_24
; %bb.10:                               ;   in Loop: Header=BB28_8 Depth=1
	v_cmp_gt_i64_e32 vcc_lo, 0x181, v[9:10]
	s_mov_b32 s7, 0
	s_mov_b32 s5, 0
	s_cbranch_vccz .LBB28_29
; %bb.11:                               ;   in Loop: Header=BB28_8 Depth=1
	v_mov_b32_e32 v3, 0
	v_mov_b32_e32 v4, 0
	s_and_saveexec_b32 s5, s4
	s_cbranch_execz .LBB28_13
; %bb.12:                               ;   in Loop: Header=BB28_8 Depth=1
	global_load_b64 v[3:4], v[15:16], off
.LBB28_13:                              ;   in Loop: Header=BB28_8 Depth=1
	s_or_b32 exec_lo, exec_lo, s5
	s_and_saveexec_b32 s8, s4
	s_cbranch_execz .LBB28_25
; %bb.14:                               ;   in Loop: Header=BB28_8 Depth=1
	global_load_u16 v11, v18, s[50:51]
	s_mov_b32 s11, 0
	s_waitcnt vmcnt(0)
	v_readfirstlane_b32 s5, v11
	s_delay_alu instid0(VALU_DEP_1) | instskip(NEXT) | instid1(SALU_CYCLE_1)
	s_and_b32 s5, 0xffff, s5
	v_add_nc_u32_e32 v12, s5, v0
	s_mul_i32 s6, s53, s5
	s_mul_hi_u32 s9, s52, s5
	s_mul_i32 s10, s52, s5
	s_add_i32 s9, s9, s6
	v_mad_u64_u32 v[7:8], null, s52, v12, s[46:47]
	s_delay_alu instid0(VALU_DEP_1) | instskip(NEXT) | instid1(VALU_DEP_1)
	v_mad_u64_u32 v[9:10], null, s53, v12, v[8:9]
	v_dual_mov_b32 v8, v9 :: v_dual_and_b32 v13, 0xffff, v11
	v_dual_mov_b32 v10, v1 :: v_dual_mov_b32 v9, v0
	s_branch .LBB28_16
.LBB28_15:                              ;   in Loop: Header=BB28_16 Depth=2
	s_or_b32 exec_lo, exec_lo, s6
	v_add_co_u32 v7, vcc_lo, v7, s10
	v_add_co_ci_u32_e32 v8, vcc_lo, s9, v8, vcc_lo
	s_waitcnt vmcnt(0)
	v_dual_mov_b32 v3, v11 :: v_dual_mov_b32 v4, v12
	s_and_not1_b32 exec_lo, exec_lo, s11
	s_cbranch_execz .LBB28_25
.LBB28_16:                              ;   Parent Loop BB28_8 Depth=1
                                        ; =>  This Inner Loop Header: Depth=2
	s_delay_alu instid0(VALU_DEP_1) | instskip(NEXT) | instid1(VALU_DEP_2)
	v_add_co_u32 v9, vcc_lo, v9, v13
	v_add_co_ci_u32_e32 v10, vcc_lo, 0, v10, vcc_lo
	v_mov_b32_e32 v11, 0
	v_mov_b32_e32 v12, 0
	s_mov_b32 s6, exec_lo
	s_delay_alu instid0(VALU_DEP_3)
	v_cmp_le_i64_e32 vcc_lo, s[36:37], v[9:10]
	v_cmpx_gt_i64_e64 s[36:37], v[9:10]
	s_cbranch_execz .LBB28_18
; %bb.17:                               ;   in Loop: Header=BB28_16 Depth=2
	global_load_b64 v[11:12], v[7:8], off
.LBB28_18:                              ;   in Loop: Header=BB28_16 Depth=2
	s_or_b32 exec_lo, exec_lo, s6
	s_waitcnt lgkmcnt(0)
	v_xor_b32_e32 v14, 0x80000000, v4
	v_and_b32_e32 v28, s58, v3
	s_delay_alu instid0(VALU_DEP_2) | instskip(NEXT) | instid1(VALU_DEP_1)
	v_dual_mov_b32 v14, 0 :: v_dual_and_b32 v29, s59, v14
	v_cmp_eq_u64_e64 s5, s[56:57], v[28:29]
	s_delay_alu instid0(VALU_DEP_1) | instskip(SKIP_1) | instid1(SALU_CYCLE_1)
	s_cmp_lg_u32 s5, 0
	s_cselect_b32 s6, -1, 0
	s_and_b32 s6, s2, s6
	s_delay_alu instid0(SALU_CYCLE_1)
	s_and_saveexec_b32 s12, s6
	s_cbranch_execz .LBB28_22
; %bb.19:                               ;   in Loop: Header=BB28_16 Depth=2
	s_mov_b32 s15, exec_lo
	s_bcnt1_i32_b32 s13, s5
	v_mbcnt_lo_u32_b32 v14, s15, 0
	s_mov_b32 s14, exec_lo
                                        ; implicit-def: $vgpr17
	s_delay_alu instid0(VALU_DEP_1)
	v_cmpx_eq_u32_e32 0, v14
	s_cbranch_execz .LBB28_21
; %bb.20:                               ;   in Loop: Header=BB28_16 Depth=2
	s_bcnt1_i32_b32 s6, s15
	s_delay_alu instid0(SALU_CYCLE_1) | instskip(NEXT) | instid1(SALU_CYCLE_1)
	s_mul_i32 s6, s13, s6
	v_mov_b32_e32 v17, s6
	ds_add_rtn_u32 v17, v18, v17 offset:5136
.LBB28_21:                              ;   in Loop: Header=BB28_16 Depth=2
	s_or_b32 exec_lo, exec_lo, s14
	s_waitcnt lgkmcnt(0)
	v_readfirstlane_b32 s6, v17
	s_delay_alu instid0(VALU_DEP_1)
	v_mad_u32_u24 v14, s13, v14, s6
.LBB28_22:                              ;   in Loop: Header=BB28_16 Depth=2
	s_or_b32 exec_lo, exec_lo, s12
	ds_bpermute_b32 v14, v18, v14
	s_and_b32 s6, exec_lo, vcc_lo
	s_delay_alu instid0(SALU_CYCLE_1)
	s_or_b32 s11, s6, s11
	s_and_saveexec_b32 s6, s5
	s_cbranch_execz .LBB28_15
; %bb.23:                               ;   in Loop: Header=BB28_16 Depth=2
	v_and_b32_e32 v17, s5, v39
	s_delay_alu instid0(VALU_DEP_1) | instskip(NEXT) | instid1(VALU_DEP_1)
	v_bcnt_u32_b32 v17, v17, 0
	v_lshlrev_b32_e32 v17, 3, v17
	s_waitcnt lgkmcnt(0)
	s_delay_alu instid0(VALU_DEP_1)
	v_lshl_add_u32 v14, v14, 3, v17
	ds_store_b64 v14, v[3:4]
	s_branch .LBB28_15
.LBB28_24:                              ;   in Loop: Header=BB28_8 Depth=1
	s_mov_b32 s7, -1
	s_mov_b32 s5, 0
	s_branch .LBB28_28
.LBB28_25:                              ;   in Loop: Header=BB28_8 Depth=1
	s_or_b32 exec_lo, exec_lo, s8
	s_waitcnt vmcnt(0) lgkmcnt(0)
	s_barrier
	buffer_gl0_inv
	s_and_saveexec_b32 s5, s0
	s_cbranch_execz .LBB28_27
; %bb.26:                               ;   in Loop: Header=BB28_8 Depth=1
	ds_load_b32 v3, v18 offset:5136
	s_waitcnt lgkmcnt(0)
	v_ashrrev_i32_e32 v4, 31, v3
	ds_store_b64 v18, v[3:4] offset:5120
.LBB28_27:                              ;   in Loop: Header=BB28_8 Depth=1
	s_or_b32 exec_lo, exec_lo, s5
	s_waitcnt lgkmcnt(0)
	s_mov_b32 s5, -1
	s_barrier
.LBB28_28:                              ;   in Loop: Header=BB28_8 Depth=1
                                        ; implicit-def: $sgpr60_sgpr61
.LBB28_29:                              ;   in Loop: Header=BB28_8 Depth=1
	s_and_b32 vcc_lo, exec_lo, s7
	s_cbranch_vccz .LBB28_40
; %bb.30:                               ;   in Loop: Header=BB28_8 Depth=1
	v_mov_b32_e32 v3, 0
	v_mov_b32_e32 v4, 0
	s_and_saveexec_b32 s5, s1
	s_cbranch_execz .LBB28_32
; %bb.31:                               ;   in Loop: Header=BB28_8 Depth=1
	global_load_b64 v[3:4], v[15:16], off
.LBB28_32:                              ;   in Loop: Header=BB28_8 Depth=1
	s_or_b32 exec_lo, exec_lo, s5
	s_and_saveexec_b32 s6, s1
	s_cbranch_execz .LBB28_37
; %bb.33:                               ;   in Loop: Header=BB28_8 Depth=1
	global_load_u16 v11, v18, s[50:51]
	s_mov_b32 s10, 0
	v_mov_b32_e32 v13, v35
	s_waitcnt vmcnt(0)
	v_readfirstlane_b32 s5, v11
	v_and_b32_e32 v14, 0xffff, v11
	s_delay_alu instid0(VALU_DEP_2) | instskip(NEXT) | instid1(SALU_CYCLE_1)
	s_and_b32 s5, 0xffff, s5
	v_add_nc_u32_e32 v12, s5, v0
	s_mul_i32 s8, s53, s5
	s_mul_hi_u32 s9, s52, s5
	s_lshl_b32 s7, s5, 3
	s_add_i32 s8, s9, s8
	v_mad_u64_u32 v[7:8], null, s52, v12, s[46:47]
	s_mul_i32 s9, s52, s5
	s_delay_alu instid0(VALU_DEP_1) | instskip(NEXT) | instid1(VALU_DEP_1)
	v_mad_u64_u32 v[9:10], null, s53, v12, v[8:9]
	v_mov_b32_e32 v8, v9
	v_dual_mov_b32 v10, v1 :: v_dual_mov_b32 v9, v0
	s_set_inst_prefetch_distance 0x1
	s_branch .LBB28_35
	.p2align	6
.LBB28_34:                              ;   in Loop: Header=BB28_35 Depth=2
	s_or_b32 exec_lo, exec_lo, s11
	s_delay_alu instid0(SALU_CYCLE_1)
	s_and_b32 s5, exec_lo, vcc_lo
	v_add_co_u32 v7, vcc_lo, v7, s9
	ds_store_b64 v13, v[3:4]
	s_waitcnt vmcnt(0)
	v_mov_b32_e32 v3, v11
	v_dual_mov_b32 v4, v12 :: v_dual_add_nc_u32 v13, s7, v13
	v_add_co_ci_u32_e32 v8, vcc_lo, s8, v8, vcc_lo
	s_or_b32 s10, s5, s10
	s_delay_alu instid0(SALU_CYCLE_1)
	s_and_not1_b32 exec_lo, exec_lo, s10
	s_cbranch_execz .LBB28_37
.LBB28_35:                              ;   Parent Loop BB28_8 Depth=1
                                        ; =>  This Inner Loop Header: Depth=2
	s_delay_alu instid0(VALU_DEP_1) | instskip(NEXT) | instid1(VALU_DEP_2)
	v_add_co_u32 v9, vcc_lo, v9, v14
	v_add_co_ci_u32_e32 v10, vcc_lo, 0, v10, vcc_lo
	v_mov_b32_e32 v11, 0
	v_mov_b32_e32 v12, 0
	s_mov_b32 s11, exec_lo
	s_delay_alu instid0(VALU_DEP_3)
	v_cmp_le_i64_e32 vcc_lo, s[36:37], v[9:10]
	v_cmpx_gt_i64_e64 s[36:37], v[9:10]
	s_cbranch_execz .LBB28_34
; %bb.36:                               ;   in Loop: Header=BB28_35 Depth=2
	global_load_b64 v[11:12], v[7:8], off
	s_branch .LBB28_34
.LBB28_37:                              ;   in Loop: Header=BB28_8 Depth=1
	s_set_inst_prefetch_distance 0x2
	s_or_b32 exec_lo, exec_lo, s6
	s_waitcnt vmcnt(0) lgkmcnt(0)
	s_barrier
	buffer_gl0_inv
	s_and_saveexec_b32 s5, s0
	s_cbranch_execz .LBB28_39
; %bb.38:                               ;   in Loop: Header=BB28_8 Depth=1
	v_dual_mov_b32 v3, s36 :: v_dual_mov_b32 v4, s37
	ds_store_b64 v18, v[3:4] offset:5120
.LBB28_39:                              ;   in Loop: Header=BB28_8 Depth=1
	s_or_b32 exec_lo, exec_lo, s5
	s_mov_b32 s5, -1
	s_waitcnt lgkmcnt(0)
	s_barrier
                                        ; implicit-def: $sgpr60_sgpr61
.LBB28_40:                              ;   in Loop: Header=BB28_8 Depth=1
	s_and_b32 vcc_lo, exec_lo, s5
	s_cbranch_vccz .LBB28_42
; %bb.41:                               ;   in Loop: Header=BB28_8 Depth=1
	buffer_gl0_inv
	ds_load_b64 v[3:4], v18 offset:5120
	s_waitcnt lgkmcnt(0)
	v_readfirstlane_b32 s60, v3
.LBB28_42:                              ;   in Loop: Header=BB28_8 Depth=1
	s_delay_alu instid0(VALU_DEP_1)
	s_cmp_lt_i32 s60, 1
	s_cbranch_scc0 .LBB28_57
; %bb.43:                               ;   in Loop: Header=BB28_8 Depth=1
	global_load_u16 v3, v18, s[50:51]
	s_mov_b32 s6, s49
	s_mov_b32 s7, s37
	s_waitcnt vmcnt(0)
	v_readfirstlane_b32 s5, v3
	s_delay_alu instid0(VALU_DEP_1) | instskip(NEXT) | instid1(SALU_CYCLE_1)
	s_and_b32 s48, s5, 0xffff
	s_lshl_b32 s61, s48, 2
	s_cmp_lg_u64 s[6:7], 0
	s_cbranch_scc0 .LBB28_77
; %bb.44:                               ;   in Loop: Header=BB28_8 Depth=1
	v_cvt_f32_u32_e32 v3, s61
	s_sub_u32 s7, 0, s61
	s_subb_u32 s8, 0, 0
	s_delay_alu instid0(VALU_DEP_1) | instskip(NEXT) | instid1(VALU_DEP_1)
	v_fmac_f32_e32 v3, 0x4f800000, v44
	v_rcp_f32_e32 v3, v3
	s_waitcnt_depctr 0xfff
	v_mul_f32_e32 v3, 0x5f7ffffc, v3
	s_delay_alu instid0(VALU_DEP_1) | instskip(NEXT) | instid1(VALU_DEP_1)
	v_mul_f32_e32 v4, 0x2f800000, v3
	v_trunc_f32_e32 v4, v4
	s_delay_alu instid0(VALU_DEP_1) | instskip(SKIP_1) | instid1(VALU_DEP_2)
	v_fmac_f32_e32 v3, 0xcf800000, v4
	v_cvt_u32_f32_e32 v4, v4
	v_cvt_u32_f32_e32 v3, v3
	s_delay_alu instid0(VALU_DEP_2) | instskip(NEXT) | instid1(VALU_DEP_2)
	v_readfirstlane_b32 s5, v4
	v_readfirstlane_b32 s6, v3
	s_delay_alu instid0(VALU_DEP_2) | instskip(NEXT) | instid1(VALU_DEP_1)
	s_mul_i32 s9, s7, s5
	s_mul_hi_u32 s11, s7, s6
	s_mul_i32 s10, s8, s6
	s_add_i32 s9, s11, s9
	s_mul_i32 s12, s7, s6
	s_add_i32 s9, s9, s10
	s_mul_hi_u32 s11, s6, s12
	s_mul_hi_u32 s13, s5, s12
	s_mul_i32 s10, s5, s12
	s_mul_hi_u32 s12, s6, s9
	s_mul_i32 s6, s6, s9
	s_mul_hi_u32 s14, s5, s9
	s_add_u32 s6, s11, s6
	s_addc_u32 s11, 0, s12
	s_add_u32 s6, s6, s10
	s_mul_i32 s9, s5, s9
	s_addc_u32 s6, s11, s13
	s_addc_u32 s10, s14, 0
	s_add_u32 s6, s6, s9
	s_addc_u32 s9, 0, s10
	v_add_co_u32 v3, s6, v3, s6
	s_delay_alu instid0(VALU_DEP_1) | instskip(SKIP_1) | instid1(VALU_DEP_1)
	s_cmp_lg_u32 s6, 0
	s_addc_u32 s5, s5, s9
	v_readfirstlane_b32 s6, v3
	s_mul_i32 s9, s7, s5
	s_delay_alu instid0(VALU_DEP_1)
	s_mul_hi_u32 s10, s7, s6
	s_mul_i32 s8, s8, s6
	s_add_i32 s9, s10, s9
	s_mul_i32 s7, s7, s6
	s_add_i32 s9, s9, s8
	s_mul_hi_u32 s10, s5, s7
	s_mul_i32 s11, s5, s7
	s_mul_hi_u32 s7, s6, s7
	s_mul_hi_u32 s12, s6, s9
	s_mul_i32 s6, s6, s9
	s_mul_hi_u32 s8, s5, s9
	s_add_u32 s6, s7, s6
	s_addc_u32 s7, 0, s12
	s_add_u32 s6, s6, s11
	s_mul_i32 s9, s5, s9
	s_addc_u32 s6, s7, s10
	s_addc_u32 s7, s8, 0
	s_add_u32 s6, s6, s9
	s_addc_u32 s7, 0, s7
	v_add_co_u32 v3, s6, v3, s6
	s_delay_alu instid0(VALU_DEP_1) | instskip(SKIP_2) | instid1(VALU_DEP_1)
	s_cmp_lg_u32 s6, 0
	s_addc_u32 s5, s5, s7
	s_ashr_i32 s6, s37, 31
	v_readfirstlane_b32 s10, v3
	s_add_u32 s8, s36, s6
	s_mov_b32 s7, s6
	s_addc_u32 s9, s37, s6
	s_delay_alu instid0(SALU_CYCLE_1) | instskip(NEXT) | instid1(SALU_CYCLE_1)
	s_xor_b64 s[8:9], s[8:9], s[6:7]
	s_mul_i32 s11, s8, s5
	s_mul_hi_u32 s12, s8, s10
	s_mul_hi_u32 s7, s8, s5
	;; [unrolled: 1-line block ×3, first 2 shown]
	s_mul_i32 s10, s9, s10
	s_add_u32 s11, s12, s11
	s_addc_u32 s7, 0, s7
	s_mul_hi_u32 s13, s9, s5
	s_add_u32 s10, s11, s10
	s_mul_i32 s5, s9, s5
	s_addc_u32 s7, s7, s14
	s_addc_u32 s10, s13, 0
	s_add_u32 s5, s7, s5
	s_addc_u32 s7, 0, s10
	s_mul_hi_u32 s10, s61, s5
	s_mul_i32 s5, s61, s5
	s_mul_i32 s7, s61, s7
	v_sub_co_u32 v3, s5, s8, s5
	s_add_i32 s10, s10, s7
	s_cmp_lg_u32 s5, 0
	s_delay_alu instid0(VALU_DEP_1) | instskip(SKIP_2) | instid1(VALU_DEP_1)
	v_sub_co_u32 v4, s5, v3, s61
	s_subb_u32 s7, s9, s10
	s_cmp_lg_u32 s5, 0
	v_cmp_le_u32_e32 vcc_lo, s61, v4
	v_sub_co_u32 v7, s5, v4, s61
	s_subb_u32 s8, s7, 0
	s_cmp_lg_u32 s5, 0
	v_cndmask_b32_e64 v8, 0, -1, vcc_lo
	s_subb_u32 s5, s8, 0
	s_cmp_eq_u32 s8, 0
	v_mov_b32_e32 v10, s5
	s_cselect_b32 vcc_lo, -1, 0
	s_cmp_eq_u32 s7, 0
	v_cndmask_b32_e32 v8, -1, v8, vcc_lo
	v_cmp_le_u32_e32 vcc_lo, s61, v3
	s_cselect_b32 s5, -1, 0
	v_cndmask_b32_e64 v9, 0, -1, vcc_lo
	s_delay_alu instid0(VALU_DEP_3) | instskip(NEXT) | instid1(VALU_DEP_2)
	v_cmp_ne_u32_e32 vcc_lo, 0, v8
	v_cndmask_b32_e64 v8, -1, v9, s5
	v_cndmask_b32_e32 v4, v4, v7, vcc_lo
	v_cndmask_b32_e32 v9, s8, v10, vcc_lo
	s_delay_alu instid0(VALU_DEP_3) | instskip(NEXT) | instid1(VALU_DEP_3)
	v_cmp_ne_u32_e32 vcc_lo, 0, v8
	v_cndmask_b32_e32 v3, v3, v4, vcc_lo
	s_delay_alu instid0(VALU_DEP_3) | instskip(NEXT) | instid1(VALU_DEP_2)
	v_cndmask_b32_e32 v7, s7, v9, vcc_lo
	v_xor_b32_e32 v3, s6, v3
	s_delay_alu instid0(VALU_DEP_2) | instskip(NEXT) | instid1(VALU_DEP_2)
	v_xor_b32_e32 v4, s6, v7
	v_sub_co_u32 v3, vcc_lo, v3, s6
	s_delay_alu instid0(VALU_DEP_2)
	v_subrev_co_ci_u32_e32 v4, vcc_lo, s6, v4, vcc_lo
	s_cbranch_execnz .LBB28_46
.LBB28_45:                              ;   in Loop: Header=BB28_8 Depth=1
	v_cvt_f32_u32_e32 v3, s61
	s_sub_i32 s5, 0, s61
	s_delay_alu instid0(VALU_DEP_1) | instskip(SKIP_2) | instid1(VALU_DEP_1)
	v_rcp_iflag_f32_e32 v3, v3
	s_waitcnt_depctr 0xfff
	v_mul_f32_e32 v3, 0x4f7ffffe, v3
	v_cvt_u32_f32_e32 v3, v3
	s_delay_alu instid0(VALU_DEP_1) | instskip(NEXT) | instid1(VALU_DEP_1)
	v_mul_lo_u32 v4, s5, v3
	v_mul_hi_u32 v4, v3, v4
	s_delay_alu instid0(VALU_DEP_1) | instskip(NEXT) | instid1(VALU_DEP_1)
	v_add_nc_u32_e32 v3, v3, v4
	v_mul_hi_u32 v3, s36, v3
	s_delay_alu instid0(VALU_DEP_1) | instskip(NEXT) | instid1(VALU_DEP_1)
	v_mul_lo_u32 v3, v3, s61
	v_sub_nc_u32_e32 v3, s36, v3
	s_delay_alu instid0(VALU_DEP_1) | instskip(SKIP_1) | instid1(VALU_DEP_2)
	v_subrev_nc_u32_e32 v4, s61, v3
	v_cmp_le_u32_e32 vcc_lo, s61, v3
	v_cndmask_b32_e32 v3, v3, v4, vcc_lo
	s_delay_alu instid0(VALU_DEP_1) | instskip(SKIP_1) | instid1(VALU_DEP_2)
	v_subrev_nc_u32_e32 v4, s61, v3
	v_cmp_le_u32_e32 vcc_lo, s61, v3
	v_cndmask_b32_e32 v17, v3, v4, vcc_lo
	s_delay_alu instid0(VALU_DEP_1)
	v_dual_mov_b32 v3, v17 :: v_dual_mov_b32 v4, v18
.LBB28_46:                              ;   in Loop: Header=BB28_8 Depth=1
	v_mov_b32_e32 v7, 0
	v_mov_b32_e32 v8, 0
	s_delay_alu instid0(VALU_DEP_3) | instskip(NEXT) | instid1(VALU_DEP_4)
	v_sub_co_u32 v28, vcc_lo, s36, v3
	v_sub_co_ci_u32_e32 v29, vcc_lo, s37, v4, vcc_lo
	s_delay_alu instid0(VALU_DEP_3)
	v_dual_mov_b32 v10, v8 :: v_dual_mov_b32 v9, v7
	v_dual_mov_b32 v12, v8 :: v_dual_mov_b32 v11, v7
	;; [unrolled: 1-line block ×3, first 2 shown]
	s_mov_b64 s[62:63], 0
	s_mov_b32 s91, exec_lo
	v_cmpx_gt_i64_e64 v[28:29], v[19:20]
	s_cbranch_execz .LBB28_50
; %bb.47:                               ;   in Loop: Header=BB28_8 Depth=1
	v_dual_mov_b32 v31, v20 :: v_dual_mov_b32 v30, v19
	s_mul_i32 s5, s55, s48
	s_mul_hi_u32 s6, s54, s48
	s_and_b32 s92, s85, 0xfe
	s_add_i32 s93, s6, s5
	s_mul_i32 s94, s54, s48
	s_mov_b32 s95, 0
	s_mov_b64 s[64:65], s[46:47]
	s_mov_b64 s[66:67], 0
	s_mov_b64 s[68:69], 0
	s_mov_b64 s[70:71], 0
.LBB28_48:                              ;   Parent Loop BB28_8 Depth=1
                                        ; =>  This Inner Loop Header: Depth=2
	v_add_co_u32 v7, vcc_lo, s64, v26
	v_add_co_ci_u32_e32 v8, vcc_lo, s65, v27, vcc_lo
	v_add_co_u32 v9, vcc_lo, s64, v25
	v_add_co_ci_u32_e32 v10, vcc_lo, s65, v40, vcc_lo
	;; [unrolled: 2-line block ×4, first 2 shown]
	s_clause 0x3
	global_load_b64 v[7:8], v[7:8], off
	global_load_b64 v[9:10], v[9:10], off
	;; [unrolled: 1-line block ×4, first 2 shown]
	v_mov_b32_e32 v46, v18
	v_mov_b32_e32 v48, v18
	v_add_co_u32 v30, vcc_lo, v30, s61
	v_add_co_ci_u32_e32 v31, vcc_lo, 0, v31, vcc_lo
	s_delay_alu instid0(VALU_DEP_1)
	v_cmp_ge_i64_e32 vcc_lo, v[30:31], v[28:29]
	s_waitcnt vmcnt(3)
	v_xor_b32_e32 v8, 0x80000000, v8
	s_waitcnt vmcnt(2)
	v_and_b32_e32 v51, s58, v9
	v_xor_b32_e32 v10, 0x80000000, v10
	s_waitcnt vmcnt(1)
	v_xor_b32_e32 v12, 0x80000000, v12
	v_dual_mov_b32 v33, v18 :: v_dual_and_b32 v50, s59, v8
	v_and_b32_e32 v49, s58, v7
	v_lshrrev_b64 v[7:8], s92, v[7:8]
	s_waitcnt vmcnt(0)
	v_xor_b32_e32 v14, 0x80000000, v14
	v_lshrrev_b64 v[8:9], s92, v[9:10]
	v_and_b32_e32 v52, s59, v10
	v_lshrrev_b64 v[9:10], s92, v[11:12]
	v_and_b32_e32 v53, s58, v11
	;; [unrolled: 2-line block ×3, first 2 shown]
	v_and_b32_e32 v32, 3, v8
	v_and_b32_e32 v54, s59, v12
	;; [unrolled: 1-line block ×3, first 2 shown]
	v_cmp_eq_u64_e64 s5, s[56:57], v[49:50]
	v_cmp_eq_u64_e64 s9, 0, v[17:18]
	v_and_b32_e32 v55, s58, v13
	v_and_b32_e32 v56, s59, v14
	;; [unrolled: 1-line block ×3, first 2 shown]
	v_cmp_eq_u64_e64 s6, s[56:57], v[51:52]
	v_cmp_eq_u64_e64 s10, 0, v[32:33]
	;; [unrolled: 1-line block ×6, first 2 shown]
	s_and_b32 s9, s5, s9
	v_cmp_eq_u64_e64 s13, 1, v[17:18]
	v_cndmask_b32_e64 v7, 0, 1, s9
	s_and_b32 s9, s6, s10
	v_cmp_eq_u64_e64 s14, 1, v[32:33]
	v_cndmask_b32_e64 v8, 0, 1, s9
	;; [unrolled: 3-line block ×3, first 2 shown]
	s_and_b32 s9, s8, s12
	v_cmp_ne_u32_e64 s10, 0, v8
	v_cndmask_b32_e64 v10, 0, 1, s9
	v_cmp_ne_u32_e64 s9, 0, v7
	v_cmp_ne_u32_e64 s11, 0, v9
	v_cmp_eq_u64_e64 s16, 1, v[47:48]
	s_bcnt1_i32_b32 s10, s10
	v_cmp_ne_u32_e64 s12, 0, v10
	s_bcnt1_i32_b32 s9, s9
	s_bcnt1_i32_b32 s11, s11
	s_add_i32 s9, s10, s9
	v_cmp_eq_u64_e64 s17, 2, v[17:18]
	s_bcnt1_i32_b32 s12, s12
	s_add_i32 s9, s9, s11
	v_cmp_eq_u64_e64 s18, 2, v[32:33]
	s_add_i32 s9, s9, s12
	v_cmp_eq_u64_e64 s19, 2, v[45:46]
	s_add_u32 s70, s70, s9
	s_addc_u32 s71, s71, 0
	s_and_b32 s9, s5, s13
	v_cmp_eq_u64_e64 s20, 2, v[47:48]
	v_cndmask_b32_e64 v9, 0, 1, s9
	s_and_b32 s9, s6, s14
	v_cmp_eq_u64_e64 s21, 3, v[17:18]
	v_cndmask_b32_e64 v10, 0, 1, s9
	;; [unrolled: 3-line block ×3, first 2 shown]
	s_and_b32 s9, s8, s16
	v_cmp_ne_u32_e64 s10, 0, v10
	v_cndmask_b32_e64 v12, 0, 1, s9
	v_cmp_ne_u32_e64 s9, 0, v9
	v_cmp_ne_u32_e64 s11, 0, v11
	v_cmp_eq_u64_e64 s23, 3, v[45:46]
	s_bcnt1_i32_b32 s10, s10
	v_cmp_ne_u32_e64 s12, 0, v12
	s_bcnt1_i32_b32 s9, s9
	s_bcnt1_i32_b32 s11, s11
	s_add_i32 s9, s10, s9
	v_cmp_eq_u64_e64 s24, 3, v[47:48]
	s_bcnt1_i32_b32 s12, s12
	s_add_i32 s9, s9, s11
	v_mov_b32_e32 v7, s70
	s_add_i32 s9, s9, s12
	v_mov_b32_e32 v8, s71
	s_add_u32 s68, s68, s9
	s_addc_u32 s69, s69, 0
	s_and_b32 s9, s5, s17
	s_delay_alu instid0(SALU_CYCLE_1) | instskip(SKIP_1) | instid1(SALU_CYCLE_1)
	v_cndmask_b32_e64 v9, 0, 1, s9
	s_and_b32 s9, s6, s18
	v_cndmask_b32_e64 v10, 0, 1, s9
	s_and_b32 s9, s7, s19
	s_delay_alu instid0(SALU_CYCLE_1) | instskip(SKIP_1) | instid1(VALU_DEP_2)
	v_cndmask_b32_e64 v11, 0, 1, s9
	s_and_b32 s9, s8, s20
	v_cmp_ne_u32_e64 s10, 0, v10
	v_cndmask_b32_e64 v12, 0, 1, s9
	v_cmp_ne_u32_e64 s9, 0, v9
	v_cmp_ne_u32_e64 s11, 0, v11
	s_delay_alu instid0(VALU_DEP_4) | instskip(NEXT) | instid1(VALU_DEP_3)
	s_bcnt1_i32_b32 s10, s10
	v_cmp_ne_u32_e64 s12, 0, v12
	s_delay_alu instid0(VALU_DEP_3) | instskip(NEXT) | instid1(VALU_DEP_2)
	s_bcnt1_i32_b32 s9, s9
	s_bcnt1_i32_b32 s11, s11
	s_add_i32 s9, s10, s9
	s_delay_alu instid0(VALU_DEP_1) | instskip(SKIP_1) | instid1(SALU_CYCLE_1)
	s_bcnt1_i32_b32 s12, s12
	s_add_i32 s9, s9, s11
	s_add_i32 s9, s9, s12
	s_delay_alu instid0(SALU_CYCLE_1) | instskip(SKIP_2) | instid1(SALU_CYCLE_1)
	s_add_u32 s66, s66, s9
	s_addc_u32 s67, s67, 0
	s_and_b32 s5, s5, s21
	v_cndmask_b32_e64 v9, 0, 1, s5
	s_and_b32 s5, s6, s22
	s_delay_alu instid0(SALU_CYCLE_1) | instskip(SKIP_1) | instid1(SALU_CYCLE_1)
	v_cndmask_b32_e64 v10, 0, 1, s5
	s_and_b32 s5, s7, s23
	v_cndmask_b32_e64 v11, 0, 1, s5
	s_and_b32 s5, s8, s24
	s_delay_alu instid0(VALU_DEP_2)
	v_cmp_ne_u32_e64 s6, 0, v10
	v_cndmask_b32_e64 v12, 0, 1, s5
	v_cmp_ne_u32_e64 s5, 0, v9
	v_cmp_ne_u32_e64 s7, 0, v11
	v_mov_b32_e32 v9, s68
	s_bcnt1_i32_b32 s6, s6
	v_cmp_ne_u32_e64 s8, 0, v12
	v_mov_b32_e32 v11, s66
	s_bcnt1_i32_b32 s5, s5
	s_bcnt1_i32_b32 s7, s7
	s_add_i32 s5, s6, s5
	s_bcnt1_i32_b32 s6, s8
	s_add_i32 s5, s5, s7
	v_mov_b32_e32 v10, s69
	s_add_i32 s5, s5, s6
	v_mov_b32_e32 v12, s67
	s_add_u32 s62, s62, s5
	s_addc_u32 s63, s63, 0
	s_delay_alu instid0(SALU_CYCLE_1) | instskip(SKIP_3) | instid1(SALU_CYCLE_1)
	v_dual_mov_b32 v13, s62 :: v_dual_mov_b32 v14, s63
	s_add_u32 s64, s64, s94
	s_addc_u32 s65, s65, s93
	s_or_b32 s95, vcc_lo, s95
	s_and_not1_b32 exec_lo, exec_lo, s95
	s_cbranch_execnz .LBB28_48
; %bb.49:                               ;   in Loop: Header=BB28_8 Depth=1
	s_or_b32 exec_lo, exec_lo, s95
.LBB28_50:                              ;   in Loop: Header=BB28_8 Depth=1
	s_delay_alu instid0(SALU_CYCLE_1) | instskip(SKIP_4) | instid1(VALU_DEP_3)
	s_or_b32 exec_lo, exec_lo, s91
	v_add_co_u32 v28, vcc_lo, v28, v0
	v_add_co_ci_u32_e32 v29, vcc_lo, 0, v29, vcc_lo
	v_mov_b32_e32 v30, 0
	v_mov_b32_e32 v31, 0
	v_cmp_gt_i64_e32 vcc_lo, s[36:37], v[28:29]
	s_and_saveexec_b32 s6, vcc_lo
	s_cbranch_execz .LBB28_52
; %bb.51:                               ;   in Loop: Header=BB28_8 Depth=1
	v_mul_lo_u32 v17, v29, s42
	v_mul_lo_u32 v32, v28, s43
	v_mad_u64_u32 v[30:31], null, v28, s42, 0
	s_delay_alu instid0(VALU_DEP_1) | instskip(NEXT) | instid1(VALU_DEP_1)
	v_add3_u32 v31, v31, v32, v17
	v_lshlrev_b64 v[30:31], 3, v[30:31]
	s_delay_alu instid0(VALU_DEP_1) | instskip(NEXT) | instid1(VALU_DEP_1)
	v_add_co_u32 v30, s5, s46, v30
	v_add_co_ci_u32_e64 v31, s5, s47, v31, s5
	global_load_b64 v[30:31], v[30:31], off
.LBB28_52:                              ;   in Loop: Header=BB28_8 Depth=1
	s_or_b32 exec_lo, exec_lo, s6
	s_and_saveexec_b32 s9, vcc_lo
	s_cbranch_execz .LBB28_59
; %bb.53:                               ;   in Loop: Header=BB28_8 Depth=1
	v_add_co_u32 v17, vcc_lo, v41, s48
	v_add_co_ci_u32_e32 v32, vcc_lo, 0, v42, vcc_lo
	s_mul_i32 s5, s53, s48
	s_delay_alu instid0(VALU_DEP_2) | instskip(NEXT) | instid1(VALU_DEP_2)
	v_sub_co_u32 v17, vcc_lo, v17, v3
	v_sub_co_ci_u32_e32 v3, vcc_lo, v32, v4, vcc_lo
	s_mul_hi_u32 s6, s52, s48
	s_delay_alu instid0(VALU_DEP_2) | instskip(SKIP_1) | instid1(VALU_DEP_2)
	v_mul_lo_u32 v33, s53, v17
	s_and_b32 s10, s85, 0xfe
	v_mul_lo_u32 v32, s52, v3
	v_mad_u64_u32 v[3:4], null, s52, v17, s[46:47]
	s_add_i32 s11, s6, s5
	s_mul_i32 s12, s52, s48
	s_mov_b32 s13, 0
	s_delay_alu instid0(VALU_DEP_1)
	v_add3_u32 v4, v33, v4, v32
	s_branch .LBB28_55
.LBB28_54:                              ;   in Loop: Header=BB28_55 Depth=2
	s_or_b32 exec_lo, exec_lo, s6
	s_waitcnt vmcnt(0)
	v_xor_b32_e32 v31, 0x80000000, v31
	s_and_b32 s7, exec_lo, vcc_lo
	s_delay_alu instid0(SALU_CYCLE_1) | instskip(NEXT) | instid1(VALU_DEP_1)
	s_or_b32 s13, s7, s13
	v_lshrrev_b64 v[45:46], s10, v[30:31]
	v_and_b32_e32 v30, s58, v30
	v_and_b32_e32 v31, s59, v31
	s_delay_alu instid0(VALU_DEP_3) | instskip(NEXT) | instid1(VALU_DEP_2)
	v_and_b32_e32 v17, 3, v45
	v_cmp_eq_u64_e64 s5, s[56:57], v[30:31]
	s_delay_alu instid0(VALU_DEP_2) | instskip(SKIP_3) | instid1(VALU_DEP_4)
	v_cmp_eq_u64_e64 s6, 0, v[17:18]
	v_cmp_eq_u64_e32 vcc_lo, 1, v[17:18]
	v_cmp_eq_u64_e64 s7, 2, v[17:18]
	v_cmp_eq_u64_e64 s8, 3, v[17:18]
	s_and_b32 s6, s5, s6
	s_delay_alu instid0(SALU_CYCLE_1) | instskip(SKIP_1) | instid1(SALU_CYCLE_1)
	v_cndmask_b32_e64 v17, 0, 1, s6
	s_and_b32 s6, s5, vcc_lo
	v_cndmask_b32_e64 v30, 0, 1, s6
	s_and_b32 s6, s5, s7
	s_delay_alu instid0(VALU_DEP_2) | instskip(SKIP_2) | instid1(SALU_CYCLE_1)
	v_cmp_ne_u32_e32 vcc_lo, 0, v17
	v_cndmask_b32_e64 v31, 0, 1, s6
	s_and_b32 s5, s5, s8
	v_cndmask_b32_e64 v45, 0, 1, s5
	v_cmp_ne_u32_e64 s5, 0, v30
	s_bcnt1_i32_b32 s8, vcc_lo
	v_cmp_ne_u32_e64 s6, 0, v31
	v_mov_b32_e32 v30, v32
	v_add_co_u32 v7, vcc_lo, v7, s8
	s_bcnt1_i32_b32 s5, s5
	v_cmp_ne_u32_e64 s7, 0, v45
	v_add_co_ci_u32_e32 v8, vcc_lo, 0, v8, vcc_lo
	v_add_co_u32 v9, vcc_lo, v9, s5
	s_bcnt1_i32_b32 s6, s6
	v_add_co_ci_u32_e32 v10, vcc_lo, 0, v10, vcc_lo
	v_add_co_u32 v11, vcc_lo, v11, s6
	s_bcnt1_i32_b32 s5, s7
	v_add_co_ci_u32_e32 v12, vcc_lo, 0, v12, vcc_lo
	v_add_co_u32 v13, vcc_lo, v13, s5
	v_add_co_ci_u32_e32 v14, vcc_lo, 0, v14, vcc_lo
	v_add_co_u32 v3, vcc_lo, v3, s12
	v_add_co_ci_u32_e32 v4, vcc_lo, s11, v4, vcc_lo
	v_mov_b32_e32 v31, v33
	s_and_not1_b32 exec_lo, exec_lo, s13
	s_cbranch_execz .LBB28_58
.LBB28_55:                              ;   Parent Loop BB28_8 Depth=1
                                        ; =>  This Inner Loop Header: Depth=2
	v_add_co_u32 v28, vcc_lo, v28, s48
	v_add_co_ci_u32_e32 v29, vcc_lo, 0, v29, vcc_lo
	v_mov_b32_e32 v32, 0
	v_mov_b32_e32 v33, 0
	s_mov_b32 s6, exec_lo
	s_delay_alu instid0(VALU_DEP_3)
	v_cmp_le_i64_e32 vcc_lo, s[36:37], v[28:29]
	v_cmpx_gt_i64_e64 s[36:37], v[28:29]
	s_cbranch_execz .LBB28_54
; %bb.56:                               ;   in Loop: Header=BB28_55 Depth=2
	global_load_b64 v[32:33], v[3:4], off
	s_branch .LBB28_54
.LBB28_57:                              ;   in Loop: Header=BB28_8 Depth=1
                                        ; implicit-def: $vgpr13_vgpr14
                                        ; implicit-def: $vgpr9_vgpr10
	s_cbranch_execnz .LBB28_60
	s_branch .LBB28_69
.LBB28_58:                              ;   in Loop: Header=BB28_8 Depth=1
	s_or_b32 exec_lo, exec_lo, s13
.LBB28_59:                              ;   in Loop: Header=BB28_8 Depth=1
	s_delay_alu instid0(SALU_CYCLE_1)
	s_or_b32 exec_lo, exec_lo, s9
	s_branch .LBB28_69
.LBB28_60:                              ;   in Loop: Header=BB28_8 Depth=1
	global_load_u16 v3, v18, s[50:51]
	s_mov_b64 s[62:63], 0
	s_mov_b32 s70, exec_lo
	v_mov_b32_e32 v7, 0
	v_mov_b32_e32 v8, 0
	s_delay_alu instid0(VALU_DEP_1) | instskip(NEXT) | instid1(VALU_DEP_3)
	v_mov_b32_e32 v14, v8
	v_dual_mov_b32 v10, v8 :: v_dual_mov_b32 v9, v7
	v_dual_mov_b32 v12, v8 :: v_dual_mov_b32 v11, v7
	v_mov_b32_e32 v13, v7
	s_waitcnt vmcnt(0)
	v_readfirstlane_b32 s5, v3
	v_and_b32_e32 v28, 0xffff, v3
	s_delay_alu instid0(VALU_DEP_2) | instskip(NEXT) | instid1(SALU_CYCLE_1)
	s_and_b32 s5, 0xffff, s5
	s_lshl_b32 s61, s5, 2
	s_delay_alu instid0(SALU_CYCLE_1) | instskip(SKIP_1) | instid1(VALU_DEP_1)
	v_cvt_f32_u32_e32 v4, s61
	s_sub_i32 s6, 0, s61
	v_rcp_iflag_f32_e32 v4, v4
	s_waitcnt_depctr 0xfff
	v_mul_f32_e32 v4, 0x4f7ffffe, v4
	s_delay_alu instid0(VALU_DEP_1) | instskip(NEXT) | instid1(VALU_DEP_1)
	v_cvt_u32_f32_e32 v4, v4
	v_readfirstlane_b32 s5, v4
	s_delay_alu instid0(VALU_DEP_1) | instskip(NEXT) | instid1(SALU_CYCLE_1)
	s_mul_i32 s6, s6, s5
	s_mul_hi_u32 s6, s5, s6
	s_delay_alu instid0(SALU_CYCLE_1) | instskip(NEXT) | instid1(SALU_CYCLE_1)
	s_add_i32 s5, s5, s6
	s_mul_hi_u32 s5, s60, s5
	s_delay_alu instid0(SALU_CYCLE_1) | instskip(NEXT) | instid1(SALU_CYCLE_1)
	s_mul_i32 s5, s5, s61
	s_sub_i32 s5, s60, s5
	s_delay_alu instid0(SALU_CYCLE_1) | instskip(SKIP_2) | instid1(SALU_CYCLE_1)
	s_sub_i32 s6, s5, s61
	s_cmp_ge_u32 s5, s61
	s_cselect_b32 s5, s6, s5
	s_sub_i32 s6, s5, s61
	s_cmp_ge_u32 s5, s61
	s_cselect_b32 s5, s6, s5
	s_delay_alu instid0(SALU_CYCLE_1) | instskip(NEXT) | instid1(SALU_CYCLE_1)
	s_sub_i32 s48, s60, s5
	v_cmpx_gt_u32_e64 s48, v19
	s_cbranch_execz .LBB28_64
; %bb.61:                               ;   in Loop: Header=BB28_8 Depth=1
	v_dual_mov_b32 v30, v38 :: v_dual_lshlrev_b32 v29, 5, v28
	v_dual_mov_b32 v3, v19 :: v_dual_mov_b32 v4, v20
	s_and_b32 s71, s85, 0xfe
	s_mov_b32 s91, 0
	s_mov_b64 s[64:65], 0
	s_mov_b64 s[66:67], 0
	;; [unrolled: 1-line block ×3, first 2 shown]
.LBB28_62:                              ;   Parent Loop BB28_8 Depth=1
                                        ; =>  This Inner Loop Header: Depth=2
	ds_load_b128 v[7:10], v30
	ds_load_b128 v[11:14], v30 offset:16
	v_mov_b32_e32 v32, v18
	v_mov_b32_e32 v46, v18
	;; [unrolled: 1-line block ×3, first 2 shown]
	v_add_co_u32 v3, vcc_lo, v3, s61
	v_add_co_ci_u32_e32 v4, vcc_lo, 0, v4, vcc_lo
	s_delay_alu instid0(VALU_DEP_1)
	v_cmp_le_u64_e32 vcc_lo, s[48:49], v[3:4]
	s_waitcnt lgkmcnt(1)
	v_xor_b32_e32 v8, 0x80000000, v8
	s_waitcnt lgkmcnt(0)
	v_and_b32_e32 v53, s58, v11
	v_xor_b32_e32 v10, 0x80000000, v10
	v_xor_b32_e32 v12, 0x80000000, v12
	v_and_b32_e32 v49, s58, v7
	v_and_b32_e32 v50, s59, v8
	v_lshrrev_b64 v[7:8], s71, v[7:8]
	v_xor_b32_e32 v14, 0x80000000, v14
	v_and_b32_e32 v51, s58, v9
	v_lshrrev_b64 v[8:9], s71, v[9:10]
	v_and_b32_e32 v52, s59, v10
	v_lshrrev_b64 v[9:10], s71, v[11:12]
	v_lshrrev_b64 v[10:11], s71, v[13:14]
	v_and_b32_e32 v17, 3, v7
	v_and_b32_e32 v54, s59, v12
	;; [unrolled: 1-line block ×3, first 2 shown]
	v_cmp_eq_u64_e64 s5, s[56:57], v[49:50]
	v_and_b32_e32 v45, 3, v9
	v_cmp_eq_u64_e64 s9, 0, v[17:18]
	v_and_b32_e32 v55, s58, v13
	v_and_b32_e32 v56, s59, v14
	;; [unrolled: 1-line block ×3, first 2 shown]
	v_cmp_eq_u64_e64 s6, s[56:57], v[51:52]
	v_cmp_eq_u64_e64 s10, 0, v[31:32]
	;; [unrolled: 1-line block ×6, first 2 shown]
	s_and_b32 s9, s5, s9
	v_cmp_eq_u64_e64 s13, 1, v[17:18]
	v_cndmask_b32_e64 v7, 0, 1, s9
	s_and_b32 s9, s6, s10
	v_cmp_eq_u64_e64 s14, 1, v[31:32]
	v_cndmask_b32_e64 v8, 0, 1, s9
	;; [unrolled: 3-line block ×3, first 2 shown]
	s_and_b32 s9, s8, s12
	v_cmp_ne_u32_e64 s10, 0, v8
	v_cndmask_b32_e64 v10, 0, 1, s9
	v_cmp_ne_u32_e64 s9, 0, v7
	v_cmp_ne_u32_e64 s11, 0, v9
	v_cmp_eq_u64_e64 s16, 1, v[47:48]
	s_bcnt1_i32_b32 s10, s10
	v_cmp_ne_u32_e64 s12, 0, v10
	s_bcnt1_i32_b32 s9, s9
	s_bcnt1_i32_b32 s11, s11
	s_add_i32 s9, s10, s9
	v_cmp_eq_u64_e64 s17, 2, v[17:18]
	s_bcnt1_i32_b32 s12, s12
	s_add_i32 s9, s9, s11
	v_cmp_eq_u64_e64 s18, 2, v[31:32]
	s_add_i32 s9, s9, s12
	v_cmp_eq_u64_e64 s19, 2, v[45:46]
	s_add_u32 s68, s68, s9
	s_addc_u32 s69, s69, 0
	s_and_b32 s9, s5, s13
	v_cmp_eq_u64_e64 s20, 2, v[47:48]
	v_cndmask_b32_e64 v7, 0, 1, s9
	s_and_b32 s9, s6, s14
	v_cmp_eq_u64_e64 s21, 3, v[17:18]
	v_cndmask_b32_e64 v8, 0, 1, s9
	;; [unrolled: 3-line block ×3, first 2 shown]
	s_and_b32 s9, s8, s16
	v_cmp_ne_u32_e64 s10, 0, v8
	v_cndmask_b32_e64 v10, 0, 1, s9
	v_cmp_ne_u32_e64 s9, 0, v7
	v_cmp_ne_u32_e64 s11, 0, v9
	v_cmp_eq_u64_e64 s24, 3, v[47:48]
	s_bcnt1_i32_b32 s10, s10
	v_cmp_ne_u32_e64 s12, 0, v10
	s_bcnt1_i32_b32 s9, s9
	s_bcnt1_i32_b32 s11, s11
	s_add_i32 s9, s10, s9
	v_add_nc_u32_e32 v30, v30, v29
	s_bcnt1_i32_b32 s12, s12
	s_add_i32 s9, s9, s11
	s_delay_alu instid0(SALU_CYCLE_1) | instskip(NEXT) | instid1(SALU_CYCLE_1)
	s_add_i32 s9, s9, s12
	s_add_u32 s66, s66, s9
	s_addc_u32 s67, s67, 0
	s_and_b32 s9, s5, s17
	s_delay_alu instid0(SALU_CYCLE_1) | instskip(SKIP_1) | instid1(SALU_CYCLE_1)
	v_cndmask_b32_e64 v7, 0, 1, s9
	s_and_b32 s9, s6, s18
	v_cndmask_b32_e64 v8, 0, 1, s9
	s_and_b32 s9, s7, s19
	s_delay_alu instid0(SALU_CYCLE_1) | instskip(SKIP_1) | instid1(VALU_DEP_2)
	v_cndmask_b32_e64 v9, 0, 1, s9
	s_and_b32 s9, s8, s20
	v_cmp_ne_u32_e64 s10, 0, v8
	v_cndmask_b32_e64 v10, 0, 1, s9
	v_cmp_ne_u32_e64 s9, 0, v7
	v_cmp_ne_u32_e64 s11, 0, v9
	s_delay_alu instid0(VALU_DEP_4) | instskip(NEXT) | instid1(VALU_DEP_3)
	s_bcnt1_i32_b32 s10, s10
	v_cmp_ne_u32_e64 s12, 0, v10
	s_delay_alu instid0(VALU_DEP_3) | instskip(NEXT) | instid1(VALU_DEP_2)
	s_bcnt1_i32_b32 s9, s9
	s_bcnt1_i32_b32 s11, s11
	s_add_i32 s9, s10, s9
	s_delay_alu instid0(VALU_DEP_1) | instskip(SKIP_1) | instid1(SALU_CYCLE_1)
	s_bcnt1_i32_b32 s12, s12
	s_add_i32 s9, s9, s11
	s_add_i32 s9, s9, s12
	s_delay_alu instid0(SALU_CYCLE_1) | instskip(SKIP_1) | instid1(SALU_CYCLE_1)
	s_add_u32 s64, s64, s9
	s_addc_u32 s65, s65, 0
	v_dual_mov_b32 v11, s64 :: v_dual_mov_b32 v12, s65
	v_cmp_eq_u64_e64 s22, 3, v[31:32]
	s_and_b32 s5, s5, s21
	s_delay_alu instid0(SALU_CYCLE_1) | instskip(NEXT) | instid1(VALU_DEP_2)
	v_cndmask_b32_e64 v7, 0, 1, s5
	s_and_b32 s5, s6, s22
	s_delay_alu instid0(SALU_CYCLE_1) | instskip(SKIP_1) | instid1(SALU_CYCLE_1)
	v_cndmask_b32_e64 v8, 0, 1, s5
	s_and_b32 s5, s7, s23
	v_cndmask_b32_e64 v9, 0, 1, s5
	s_and_b32 s5, s8, s24
	s_delay_alu instid0(VALU_DEP_2)
	v_cmp_ne_u32_e64 s6, 0, v8
	v_cndmask_b32_e64 v10, 0, 1, s5
	v_cmp_ne_u32_e64 s5, 0, v7
	v_mov_b32_e32 v7, s68
	v_cmp_ne_u32_e64 s7, 0, v9
	s_bcnt1_i32_b32 s6, s6
	v_cmp_ne_u32_e64 s8, 0, v10
	s_bcnt1_i32_b32 s5, s5
	v_mov_b32_e32 v9, s66
	s_bcnt1_i32_b32 s7, s7
	s_add_i32 s5, s6, s5
	s_bcnt1_i32_b32 s6, s8
	s_add_i32 s5, s5, s7
	v_mov_b32_e32 v8, s69
	s_add_i32 s5, s5, s6
	v_mov_b32_e32 v10, s67
	s_add_u32 s62, s62, s5
	s_addc_u32 s63, s63, 0
	s_delay_alu instid0(SALU_CYCLE_1) | instskip(SKIP_1) | instid1(SALU_CYCLE_1)
	v_dual_mov_b32 v13, s62 :: v_dual_mov_b32 v14, s63
	s_or_b32 s91, vcc_lo, s91
	s_and_not1_b32 exec_lo, exec_lo, s91
	s_cbranch_execnz .LBB28_62
; %bb.63:                               ;   in Loop: Header=BB28_8 Depth=1
	s_or_b32 exec_lo, exec_lo, s91
.LBB28_64:                              ;   in Loop: Header=BB28_8 Depth=1
	s_delay_alu instid0(SALU_CYCLE_1) | instskip(SKIP_2) | instid1(VALU_DEP_1)
	s_or_b32 exec_lo, exec_lo, s70
	v_add_nc_u32_e32 v17, s48, v0
	s_mov_b32 s12, exec_lo
	v_cmpx_gt_u32_e64 s60, v17
	s_cbranch_execz .LBB28_68
; %bb.65:                               ;   in Loop: Header=BB28_8 Depth=1
	v_dual_mov_b32 v3, v17 :: v_dual_lshlrev_b32 v30, 3, v28
	v_dual_mov_b32 v4, v18 :: v_dual_lshlrev_b32 v29, 3, v17
	s_mov_b32 s11, 0
	s_and_b32 s10, s60, 0x7fffffff
	s_and_b32 s14, s85, 0xfe
	s_mov_b32 s13, s11
.LBB28_66:                              ;   Parent Loop BB28_8 Depth=1
                                        ; =>  This Inner Loop Header: Depth=2
	ds_load_b64 v[31:32], v29
	v_add_co_u32 v3, vcc_lo, v3, v28
	v_add_co_ci_u32_e32 v4, vcc_lo, 0, v4, vcc_lo
	v_add_nc_u32_e32 v29, v29, v30
	s_delay_alu instid0(VALU_DEP_2) | instskip(SKIP_3) | instid1(VALU_DEP_2)
	v_cmp_le_u64_e32 vcc_lo, s[10:11], v[3:4]
	s_waitcnt lgkmcnt(0)
	v_xor_b32_e32 v32, 0x80000000, v32
	v_and_b32_e32 v45, s58, v31
	v_and_b32_e32 v46, s59, v32
	v_lshrrev_b64 v[31:32], s14, v[31:32]
	s_delay_alu instid0(VALU_DEP_2) | instskip(NEXT) | instid1(VALU_DEP_2)
	v_cmp_eq_u64_e64 s5, s[56:57], v[45:46]
	v_and_b32_e32 v17, 3, v31
	s_delay_alu instid0(VALU_DEP_1) | instskip(SKIP_3) | instid1(VALU_DEP_4)
	v_cmp_eq_u64_e64 s6, 0, v[17:18]
	v_cmp_eq_u64_e64 s7, 1, v[17:18]
	;; [unrolled: 1-line block ×4, first 2 shown]
	s_and_b32 s6, s5, s6
	s_delay_alu instid0(SALU_CYCLE_1) | instskip(NEXT) | instid1(VALU_DEP_4)
	v_cndmask_b32_e64 v17, 0, 1, s6
	s_and_b32 s6, s5, s7
	s_delay_alu instid0(SALU_CYCLE_1)
	v_cndmask_b32_e64 v31, 0, 1, s6
	s_and_b32 s6, s5, s8
	s_and_b32 s5, s5, s9
	v_cndmask_b32_e64 v32, 0, 1, s6
	v_cndmask_b32_e64 v33, 0, 1, s5
	v_cmp_ne_u32_e64 s5, 0, v17
	v_cmp_ne_u32_e64 s6, 0, v31
	s_delay_alu instid0(VALU_DEP_4) | instskip(NEXT) | instid1(VALU_DEP_4)
	v_cmp_ne_u32_e64 s7, 0, v32
	v_cmp_ne_u32_e64 s8, 0, v33
	s_delay_alu instid0(VALU_DEP_4) | instskip(NEXT) | instid1(VALU_DEP_3)
	s_bcnt1_i32_b32 s5, s5
	s_bcnt1_i32_b32 s6, s6
	v_add_co_u32 v7, s5, v7, s5
	s_delay_alu instid0(VALU_DEP_1)
	v_add_co_ci_u32_e64 v8, s5, 0, v8, s5
	v_add_co_u32 v9, s5, v9, s6
	s_bcnt1_i32_b32 s7, s7
	v_add_co_ci_u32_e64 v10, s5, 0, v10, s5
	v_add_co_u32 v11, s5, v11, s7
	s_bcnt1_i32_b32 s8, s8
	v_add_co_ci_u32_e64 v12, s5, 0, v12, s5
	v_add_co_u32 v13, s5, v13, s8
	s_delay_alu instid0(VALU_DEP_1) | instskip(SKIP_1) | instid1(SALU_CYCLE_1)
	v_add_co_ci_u32_e64 v14, s5, 0, v14, s5
	s_or_b32 s13, vcc_lo, s13
	s_and_not1_b32 exec_lo, exec_lo, s13
	s_cbranch_execnz .LBB28_66
; %bb.67:                               ;   in Loop: Header=BB28_8 Depth=1
	s_or_b32 exec_lo, exec_lo, s13
.LBB28_68:                              ;   in Loop: Header=BB28_8 Depth=1
	s_delay_alu instid0(SALU_CYCLE_1)
	s_or_b32 exec_lo, exec_lo, s12
.LBB28_69:                              ;   in Loop: Header=BB28_8 Depth=1
	s_lshl_b32 s5, s87, 7
	s_and_saveexec_b32 s6, s2
	s_cbranch_execz .LBB28_71
; %bb.70:                               ;   in Loop: Header=BB28_8 Depth=1
	v_or_b32_e32 v3, s5, v37
	s_delay_alu instid0(VALU_DEP_1)
	v_lshlrev_b32_e32 v3, 3, v3
	ds_store_b128 v3, v[7:10] offset:3072
	ds_store_b128 v3, v[11:14] offset:3088
.LBB28_71:                              ;   in Loop: Header=BB28_8 Depth=1
	s_or_b32 exec_lo, exec_lo, s6
	s_waitcnt vmcnt(0) lgkmcnt(0)
	s_barrier
	buffer_gl0_inv
	s_and_saveexec_b32 s6, s33
	s_cbranch_execz .LBB28_82
; %bb.72:                               ;   in Loop: Header=BB28_8 Depth=1
	v_mov_b32_e32 v3, 0
	v_mov_b32_e32 v4, 0
	s_and_not1_b32 vcc_lo, exec_lo, s79
	s_cbranch_vccnz .LBB28_81
; %bb.73:                               ;   in Loop: Header=BB28_8 Depth=1
	v_mov_b32_e32 v3, 0
	v_mov_b32_e32 v4, 0
	s_and_not1_b32 vcc_lo, exec_lo, s77
	s_cbranch_vccnz .LBB28_78
; %bb.74:                               ;   in Loop: Header=BB28_8 Depth=1
	v_lshl_add_u32 v7, s87, 10, v43
	s_mov_b32 s7, 0
	s_set_inst_prefetch_distance 0x1
	.p2align	6
.LBB28_75:                              ;   Parent Loop BB28_8 Depth=1
                                        ; =>  This Inner Loop Header: Depth=2
	ds_load_2addr_b64 v[8:11], v7 offset1:4
	ds_load_2addr_b64 v[28:31], v7 offset0:8 offset1:12
	ds_load_2addr_b64 v[45:48], v7 offset0:16 offset1:20
	s_add_i32 s7, s7, 8
	s_delay_alu instid0(SALU_CYCLE_1) | instskip(SKIP_3) | instid1(VALU_DEP_2)
	s_cmp_eq_u32 s78, s7
	s_waitcnt lgkmcnt(2)
	v_add_co_u32 v3, vcc_lo, v8, v3
	v_add_co_ci_u32_e32 v4, vcc_lo, v9, v4, vcc_lo
	v_add_co_u32 v3, vcc_lo, v10, v3
	s_delay_alu instid0(VALU_DEP_2)
	v_add_co_ci_u32_e32 v4, vcc_lo, v11, v4, vcc_lo
	ds_load_2addr_b64 v[8:11], v7 offset0:24 offset1:28
	s_waitcnt lgkmcnt(2)
	v_add_co_u32 v3, vcc_lo, v28, v3
	v_add_co_ci_u32_e32 v4, vcc_lo, v29, v4, vcc_lo
	v_add_nc_u32_e32 v7, 0x100, v7
	s_delay_alu instid0(VALU_DEP_3) | instskip(NEXT) | instid1(VALU_DEP_3)
	v_add_co_u32 v3, vcc_lo, v30, v3
	v_add_co_ci_u32_e32 v4, vcc_lo, v31, v4, vcc_lo
	s_waitcnt lgkmcnt(1)
	s_delay_alu instid0(VALU_DEP_2) | instskip(NEXT) | instid1(VALU_DEP_2)
	v_add_co_u32 v3, vcc_lo, v45, v3
	v_add_co_ci_u32_e32 v4, vcc_lo, v46, v4, vcc_lo
	s_delay_alu instid0(VALU_DEP_2) | instskip(NEXT) | instid1(VALU_DEP_2)
	v_add_co_u32 v3, vcc_lo, v47, v3
	v_add_co_ci_u32_e32 v4, vcc_lo, v48, v4, vcc_lo
	s_waitcnt lgkmcnt(0)
	s_delay_alu instid0(VALU_DEP_2) | instskip(NEXT) | instid1(VALU_DEP_2)
	v_add_co_u32 v3, vcc_lo, v8, v3
	v_add_co_ci_u32_e32 v4, vcc_lo, v9, v4, vcc_lo
	s_delay_alu instid0(VALU_DEP_2) | instskip(NEXT) | instid1(VALU_DEP_2)
	v_add_co_u32 v3, vcc_lo, v10, v3
	v_add_co_ci_u32_e32 v4, vcc_lo, v11, v4, vcc_lo
	s_cbranch_scc0 .LBB28_75
; %bb.76:                               ;   in Loop: Header=BB28_8 Depth=1
	s_set_inst_prefetch_distance 0x2
	s_mov_b32 s7, s78
	s_and_not1_b32 vcc_lo, exec_lo, s80
	s_cbranch_vccz .LBB28_79
	s_branch .LBB28_81
.LBB28_77:                              ;   in Loop: Header=BB28_8 Depth=1
                                        ; implicit-def: $vgpr3_vgpr4
	s_branch .LBB28_45
.LBB28_78:                              ;   in Loop: Header=BB28_8 Depth=1
	s_mov_b32 s7, 0
	s_and_not1_b32 vcc_lo, exec_lo, s80
	s_cbranch_vccnz .LBB28_81
.LBB28_79:                              ;   in Loop: Header=BB28_8 Depth=1
	s_lshl_b32 s8, s87, 10
	s_lshl_b32 s7, s7, 5
	s_delay_alu instid0(SALU_CYCLE_1)
	v_add3_u32 v7, s8, s7, v43
	s_mov_b32 s7, s76
.LBB28_80:                              ;   Parent Loop BB28_8 Depth=1
                                        ; =>  This Inner Loop Header: Depth=2
	ds_load_b64 v[8:9], v7
	v_add_nc_u32_e32 v7, 32, v7
	s_add_i32 s7, s7, -1
	s_delay_alu instid0(SALU_CYCLE_1)
	s_cmp_lg_u32 s7, 0
	s_waitcnt lgkmcnt(0)
	v_add_co_u32 v3, vcc_lo, v8, v3
	v_add_co_ci_u32_e32 v4, vcc_lo, v9, v4, vcc_lo
	s_cbranch_scc1 .LBB28_80
.LBB28_81:                              ;   in Loop: Header=BB28_8 Depth=1
	v_add_lshl_u32 v7, s5, v34, 3
	ds_store_b64 v7, v[3:4] offset:3072
.LBB28_82:                              ;   in Loop: Header=BB28_8 Depth=1
	s_or_b32 exec_lo, exec_lo, s6
	s_lshl_b32 s5, s5, 3
	s_waitcnt lgkmcnt(0)
	v_mov_b32_e32 v3, s5
	s_barrier
	buffer_gl0_inv
	s_and_b32 s23, s85, 0xfe
	s_mov_b32 s48, -1
	ds_load_b128 v[7:10], v3 offset:3072
	ds_load_b128 v[11:14], v3 offset:3088
	s_lshl_b64 s[8:9], 3, s23
	s_delay_alu instid0(SALU_CYCLE_1)
	s_not_b64 s[12:13], s[8:9]
	s_waitcnt lgkmcnt(1)
	v_readfirstlane_b32 s17, v8
	v_readfirstlane_b32 s16, v7
	;; [unrolled: 1-line block ×4, first 2 shown]
	s_waitcnt lgkmcnt(0)
	v_readfirstlane_b32 s10, v11
	v_readfirstlane_b32 s11, v12
	s_cmp_eq_u64 s[16:17], 1
	v_readfirstlane_b32 s6, v13
	s_cselect_b32 s5, -1, 0
	s_cmp_eq_u64 s[38:39], 1
	s_cselect_b32 s7, -1, 0
	s_delay_alu instid0(SALU_CYCLE_1)
	s_and_b32 s60, s5, s7
	v_readfirstlane_b32 s7, v14
	s_and_b32 vcc_lo, exec_lo, s60
	s_cbranch_vccz .LBB28_97
; %bb.83:                               ;   in Loop: Header=BB28_8 Depth=1
	ds_load_b64 v[3:4], v18 offset:5120
	s_waitcnt lgkmcnt(0)
	s_barrier
	buffer_gl0_inv
	v_readfirstlane_b32 s18, v3
	v_readfirstlane_b32 s19, v4
	s_and_saveexec_b32 s5, s3
	s_cbranch_execz .LBB28_85
; %bb.84:                               ;   in Loop: Header=BB28_8 Depth=1
	v_mov_b32_e32 v17, v18
	ds_store_b64 v36, v[17:18]
.LBB28_85:                              ;   in Loop: Header=BB28_8 Depth=1
	s_or_b32 exec_lo, exec_lo, s5
	s_delay_alu instid0(VALU_DEP_1)
	v_cmp_lt_i64_e64 s5, s[18:19], 1
	s_and_b64 s[56:57], s[56:57], s[12:13]
	s_or_b64 s[58:59], s[58:59], s[8:9]
	s_waitcnt lgkmcnt(0)
	s_barrier
	buffer_gl0_inv
	s_and_b32 vcc_lo, exec_lo, s5
	s_cbranch_vccz .LBB28_98
; %bb.86:                               ;   in Loop: Header=BB28_8 Depth=1
	s_mov_b32 s24, s49
	s_delay_alu instid0(SALU_CYCLE_1)
	s_cmp_lg_u64 s[24:25], 0
	s_cbranch_scc0 .LBB28_143
; %bb.87:                               ;   in Loop: Header=BB28_8 Depth=1
	v_cvt_f32_u32_e32 v3, s27
	s_sub_u32 s21, 0, s27
	s_subb_u32 s22, 0, 0
	s_delay_alu instid0(VALU_DEP_1) | instskip(NEXT) | instid1(VALU_DEP_1)
	v_fmac_f32_e32 v3, 0x4f800000, v44
	v_rcp_f32_e32 v3, v3
	s_waitcnt_depctr 0xfff
	v_mul_f32_e32 v3, 0x5f7ffffc, v3
	s_delay_alu instid0(VALU_DEP_1) | instskip(NEXT) | instid1(VALU_DEP_1)
	v_mul_f32_e32 v4, 0x2f800000, v3
	v_trunc_f32_e32 v4, v4
	s_delay_alu instid0(VALU_DEP_1) | instskip(SKIP_1) | instid1(VALU_DEP_2)
	v_fmac_f32_e32 v3, 0xcf800000, v4
	v_cvt_u32_f32_e32 v4, v4
	v_cvt_u32_f32_e32 v3, v3
	s_delay_alu instid0(VALU_DEP_2) | instskip(NEXT) | instid1(VALU_DEP_2)
	v_readfirstlane_b32 s5, v4
	v_readfirstlane_b32 s20, v3
	s_delay_alu instid0(VALU_DEP_2) | instskip(NEXT) | instid1(VALU_DEP_1)
	s_mul_i32 s24, s21, s5
	s_mul_hi_u32 s62, s21, s20
	s_mul_i32 s61, s22, s20
	s_add_i32 s24, s62, s24
	s_mul_i32 s63, s21, s20
	s_add_i32 s24, s24, s61
	s_mul_hi_u32 s62, s20, s63
	s_mul_hi_u32 s64, s5, s63
	s_mul_i32 s61, s5, s63
	s_mul_hi_u32 s63, s20, s24
	s_mul_i32 s20, s20, s24
	s_mul_hi_u32 s65, s5, s24
	s_add_u32 s20, s62, s20
	s_addc_u32 s62, 0, s63
	s_add_u32 s20, s20, s61
	s_mul_i32 s24, s5, s24
	s_addc_u32 s20, s62, s64
	s_addc_u32 s61, s65, 0
	s_add_u32 s20, s20, s24
	s_addc_u32 s24, 0, s61
	v_add_co_u32 v3, s20, v3, s20
	s_delay_alu instid0(VALU_DEP_1) | instskip(SKIP_1) | instid1(VALU_DEP_1)
	s_cmp_lg_u32 s20, 0
	s_addc_u32 s5, s5, s24
	v_readfirstlane_b32 s20, v3
	s_mul_i32 s24, s21, s5
	s_delay_alu instid0(VALU_DEP_1)
	s_mul_hi_u32 s61, s21, s20
	s_mul_i32 s22, s22, s20
	s_add_i32 s24, s61, s24
	s_mul_i32 s21, s21, s20
	s_add_i32 s24, s24, s22
	s_mul_hi_u32 s61, s5, s21
	s_mul_i32 s62, s5, s21
	s_mul_hi_u32 s21, s20, s21
	s_mul_hi_u32 s63, s20, s24
	s_mul_i32 s20, s20, s24
	s_mul_hi_u32 s22, s5, s24
	s_add_u32 s20, s21, s20
	s_addc_u32 s21, 0, s63
	s_add_u32 s20, s20, s62
	s_mul_i32 s24, s5, s24
	s_addc_u32 s20, s21, s61
	s_addc_u32 s21, s22, 0
	s_add_u32 s20, s20, s24
	s_addc_u32 s21, 0, s21
	v_add_co_u32 v3, s20, v3, s20
	s_delay_alu instid0(VALU_DEP_1) | instskip(SKIP_2) | instid1(VALU_DEP_1)
	s_cmp_lg_u32 s20, 0
	s_addc_u32 s5, s5, s21
	s_ashr_i32 s20, s25, 31
	v_readfirstlane_b32 s22, v3
	s_add_u32 s62, s75, s20
	s_mov_b32 s21, s20
	s_addc_u32 s63, s25, s20
	s_delay_alu instid0(SALU_CYCLE_1) | instskip(NEXT) | instid1(SALU_CYCLE_1)
	s_xor_b64 s[62:63], s[62:63], s[20:21]
	s_mul_i32 s24, s62, s5
	s_mul_hi_u32 s61, s62, s22
	s_mul_hi_u32 s21, s62, s5
	;; [unrolled: 1-line block ×3, first 2 shown]
	s_mul_i32 s22, s63, s22
	s_add_u32 s24, s61, s24
	s_addc_u32 s21, 0, s21
	s_mul_hi_u32 s64, s63, s5
	s_add_u32 s22, s24, s22
	s_mul_i32 s5, s63, s5
	s_addc_u32 s21, s21, s65
	s_addc_u32 s22, s64, 0
	s_add_u32 s5, s21, s5
	s_addc_u32 s21, 0, s22
	s_mul_hi_u32 s22, s27, s5
	s_mul_i32 s5, s27, s5
	s_mul_i32 s21, s27, s21
	v_sub_co_u32 v3, s5, s62, s5
	s_add_i32 s22, s22, s21
	s_cmp_lg_u32 s5, 0
	s_delay_alu instid0(VALU_DEP_1) | instskip(SKIP_2) | instid1(VALU_DEP_1)
	v_sub_co_u32 v4, s5, v3, s27
	s_subb_u32 s21, s63, s22
	s_cmp_lg_u32 s5, 0
	v_cmp_le_u32_e32 vcc_lo, s27, v4
	v_sub_co_u32 v5, s5, v4, s27
	s_subb_u32 s22, s21, 0
	s_cmp_lg_u32 s5, 0
	v_cndmask_b32_e64 v6, 0, -1, vcc_lo
	s_subb_u32 s5, s22, 0
	s_cmp_eq_u32 s22, 0
	v_mov_b32_e32 v8, s5
	s_cselect_b32 vcc_lo, -1, 0
	s_cmp_eq_u32 s21, 0
	v_cndmask_b32_e32 v6, -1, v6, vcc_lo
	v_cmp_le_u32_e32 vcc_lo, s27, v3
	s_cselect_b32 s5, -1, 0
	v_cndmask_b32_e64 v7, 0, -1, vcc_lo
	s_delay_alu instid0(VALU_DEP_3) | instskip(NEXT) | instid1(VALU_DEP_2)
	v_cmp_ne_u32_e32 vcc_lo, 0, v6
	v_cndmask_b32_e64 v6, -1, v7, s5
	v_cndmask_b32_e32 v4, v4, v5, vcc_lo
	v_cndmask_b32_e32 v7, s22, v8, vcc_lo
	s_delay_alu instid0(VALU_DEP_3) | instskip(NEXT) | instid1(VALU_DEP_3)
	v_cmp_ne_u32_e32 vcc_lo, 0, v6
	v_cndmask_b32_e32 v3, v3, v4, vcc_lo
	s_delay_alu instid0(VALU_DEP_3) | instskip(NEXT) | instid1(VALU_DEP_2)
	v_cndmask_b32_e32 v5, s21, v7, vcc_lo
	v_xor_b32_e32 v3, s20, v3
	s_delay_alu instid0(VALU_DEP_2) | instskip(NEXT) | instid1(VALU_DEP_2)
	v_xor_b32_e32 v4, s20, v5
	v_sub_co_u32 v3, vcc_lo, v3, s20
	s_delay_alu instid0(VALU_DEP_2)
	v_subrev_co_ci_u32_e32 v4, vcc_lo, s20, v4, vcc_lo
	s_cbranch_execnz .LBB28_89
.LBB28_88:                              ;   in Loop: Header=BB28_8 Depth=1
	v_cvt_f32_u32_e32 v3, s27
	s_sub_i32 s5, 0, s27
	s_delay_alu instid0(VALU_DEP_1) | instskip(SKIP_2) | instid1(VALU_DEP_1)
	v_rcp_iflag_f32_e32 v3, v3
	s_waitcnt_depctr 0xfff
	v_mul_f32_e32 v3, 0x4f7ffffe, v3
	v_cvt_u32_f32_e32 v3, v3
	s_delay_alu instid0(VALU_DEP_1) | instskip(NEXT) | instid1(VALU_DEP_1)
	v_mul_lo_u32 v4, s5, v3
	v_mul_hi_u32 v4, v3, v4
	s_delay_alu instid0(VALU_DEP_1) | instskip(NEXT) | instid1(VALU_DEP_1)
	v_add_nc_u32_e32 v3, v3, v4
	v_mul_hi_u32 v3, s75, v3
	s_delay_alu instid0(VALU_DEP_1) | instskip(NEXT) | instid1(VALU_DEP_1)
	v_mul_lo_u32 v3, v3, s27
	v_sub_nc_u32_e32 v3, s75, v3
	s_delay_alu instid0(VALU_DEP_1) | instskip(SKIP_1) | instid1(VALU_DEP_2)
	v_subrev_nc_u32_e32 v4, s27, v3
	v_cmp_le_u32_e32 vcc_lo, s27, v3
	v_cndmask_b32_e32 v3, v3, v4, vcc_lo
	s_delay_alu instid0(VALU_DEP_1) | instskip(SKIP_1) | instid1(VALU_DEP_2)
	v_subrev_nc_u32_e32 v4, s27, v3
	v_cmp_le_u32_e32 vcc_lo, s27, v3
	v_cndmask_b32_e32 v17, v3, v4, vcc_lo
	s_delay_alu instid0(VALU_DEP_1)
	v_dual_mov_b32 v3, v17 :: v_dual_mov_b32 v4, v18
.LBB28_89:                              ;   in Loop: Header=BB28_8 Depth=1
	s_delay_alu instid0(VALU_DEP_1) | instskip(NEXT) | instid1(VALU_DEP_2)
	v_sub_co_u32 v7, vcc_lo, s75, v3
	v_sub_co_ci_u32_e32 v8, vcc_lo, s25, v4, vcc_lo
	s_mov_b32 s5, 0
	s_mov_b32 s20, exec_lo
                                        ; implicit-def: $vgpr5_vgpr6
	s_delay_alu instid0(VALU_DEP_1)
	v_cmpx_gt_i64_e64 v[7:8], v[0:1]
	s_cbranch_execz .LBB28_100
; %bb.90:                               ;   in Loop: Header=BB28_8 Depth=1
	v_dual_mov_b32 v9, v15 :: v_dual_mov_b32 v10, v16
	v_dual_mov_b32 v12, v1 :: v_dual_mov_b32 v11, v0
	s_mov_b32 s21, 0
                                        ; implicit-def: $sgpr5
	s_set_inst_prefetch_distance 0x1
	s_branch .LBB28_92
	.p2align	6
.LBB28_91:                              ;   in Loop: Header=BB28_92 Depth=2
	s_or_b32 exec_lo, exec_lo, s22
	s_waitcnt vmcnt(0) lgkmcnt(0)
	s_barrier
	buffer_gl0_inv
	ds_load_b128 v[3:6], v18 offset:3072
	v_add_co_u32 v11, vcc_lo, v11, s27
	v_add_co_ci_u32_e32 v12, vcc_lo, 0, v12, vcc_lo
	s_waitcnt lgkmcnt(0)
	s_barrier
	buffer_gl0_inv
	v_cmp_ge_i64_e32 vcc_lo, v[11:12], v[7:8]
	v_readfirstlane_b32 s63, v4
	v_readfirstlane_b32 s62, v3
	s_delay_alu instid0(VALU_DEP_1) | instskip(SKIP_1) | instid1(SALU_CYCLE_1)
	s_cmp_lg_u64 s[62:63], 0
	s_cselect_b32 s22, -1, 0
	s_or_b32 s24, s22, vcc_lo
	v_add_co_u32 v9, vcc_lo, v9, s44
	s_and_b32 s24, exec_lo, s24
	v_add_co_ci_u32_e32 v10, vcc_lo, s45, v10, vcc_lo
	s_or_b32 s21, s24, s21
	s_and_not1_b32 s5, s5, exec_lo
	s_and_b32 s22, s22, exec_lo
	s_delay_alu instid0(SALU_CYCLE_1)
	s_or_b32 s5, s5, s22
	s_and_not1_b32 exec_lo, exec_lo, s21
	s_cbranch_execz .LBB28_99
.LBB28_92:                              ;   Parent Loop BB28_8 Depth=1
                                        ; =>  This Inner Loop Header: Depth=2
	s_delay_alu instid0(VALU_DEP_1)
	v_cmp_gt_i64_e32 vcc_lo, s[36:37], v[11:12]
	v_mov_b32_e32 v4, 0
	v_mov_b32_e32 v5, 0
	s_and_saveexec_b32 s22, vcc_lo
	s_cbranch_execz .LBB28_94
; %bb.93:                               ;   in Loop: Header=BB28_92 Depth=2
	global_load_b64 v[4:5], v[9:10], off
.LBB28_94:                              ;   in Loop: Header=BB28_92 Depth=2
	s_or_b32 exec_lo, exec_lo, s22
	s_and_saveexec_b32 s22, vcc_lo
	s_cbranch_execz .LBB28_91
; %bb.95:                               ;   in Loop: Header=BB28_92 Depth=2
	s_waitcnt vmcnt(0)
	v_xor_b32_e32 v3, 0x80000000, v5
	v_and_b32_e32 v13, s58, v4
	s_delay_alu instid0(VALU_DEP_2) | instskip(NEXT) | instid1(VALU_DEP_1)
	v_and_b32_e32 v14, s59, v3
	v_cmp_eq_u64_e32 vcc_lo, s[56:57], v[13:14]
	s_and_b32 exec_lo, exec_lo, vcc_lo
	s_cbranch_execz .LBB28_91
; %bb.96:                               ;   in Loop: Header=BB28_92 Depth=2
	v_mov_b32_e32 v3, v18
	ds_store_b128 v18, v[2:5] offset:3072
	s_branch .LBB28_91
.LBB28_97:                              ;   in Loop: Header=BB28_8 Depth=1
	s_mov_b32 s5, -1
                                        ; implicit-def: $sgpr20
                                        ; implicit-def: $sgpr22
                                        ; implicit-def: $sgpr21
	s_branch .LBB28_114
.LBB28_98:                              ;   in Loop: Header=BB28_8 Depth=1
	s_mov_b32 s20, -1
	s_mov_b32 s5, 0
                                        ; implicit-def: $sgpr21
                                        ; implicit-def: $vgpr5_vgpr6
	s_mov_b32 s22, s20
	s_cbranch_execnz .LBB28_101
	s_branch .LBB28_114
.LBB28_99:                              ;   in Loop: Header=BB28_8 Depth=1
	s_set_inst_prefetch_distance 0x2
	s_or_b32 exec_lo, exec_lo, s21
	s_delay_alu instid0(SALU_CYCLE_1)
	s_and_b32 s5, s5, exec_lo
.LBB28_100:                             ;   in Loop: Header=BB28_8 Depth=1
	s_or_b32 exec_lo, exec_lo, s20
	s_mov_b32 s21, -1
	s_mov_b32 s20, 0
	s_delay_alu instid0(SALU_CYCLE_1)
	s_mov_b32 s22, s20
	s_branch .LBB28_114
.LBB28_101:                             ;   in Loop: Header=BB28_8 Depth=1
	s_add_u32 s22, s73, s18
	s_addc_u32 s21, s74, s19
	s_mov_b32 s20, s49
	s_delay_alu instid0(SALU_CYCLE_1)
	s_cmp_lg_u64 s[20:21], 0
	s_cbranch_scc0 .LBB28_144
; %bb.102:                              ;   in Loop: Header=BB28_8 Depth=1
	v_cvt_f32_u32_e32 v3, s27
	s_sub_u32 s24, 0, s27
	s_subb_u32 s61, 0, 0
	s_delay_alu instid0(VALU_DEP_1) | instskip(NEXT) | instid1(VALU_DEP_1)
	v_fmac_f32_e32 v3, 0x4f800000, v44
	v_rcp_f32_e32 v3, v3
	s_waitcnt_depctr 0xfff
	v_mul_f32_e32 v3, 0x5f7ffffc, v3
	s_delay_alu instid0(VALU_DEP_1) | instskip(NEXT) | instid1(VALU_DEP_1)
	v_mul_f32_e32 v4, 0x2f800000, v3
	v_trunc_f32_e32 v4, v4
	s_delay_alu instid0(VALU_DEP_1) | instskip(SKIP_1) | instid1(VALU_DEP_2)
	v_fmac_f32_e32 v3, 0xcf800000, v4
	v_cvt_u32_f32_e32 v4, v4
	v_cvt_u32_f32_e32 v3, v3
	s_delay_alu instid0(VALU_DEP_2) | instskip(NEXT) | instid1(VALU_DEP_2)
	v_readfirstlane_b32 s5, v4
	v_readfirstlane_b32 s20, v3
	s_delay_alu instid0(VALU_DEP_2) | instskip(NEXT) | instid1(VALU_DEP_1)
	s_mul_i32 s62, s24, s5
	s_mul_hi_u32 s64, s24, s20
	s_mul_i32 s63, s61, s20
	s_add_i32 s62, s64, s62
	s_mul_i32 s65, s24, s20
	s_add_i32 s62, s62, s63
	s_mul_hi_u32 s64, s20, s65
	s_mul_hi_u32 s66, s5, s65
	s_mul_i32 s63, s5, s65
	s_mul_hi_u32 s65, s20, s62
	s_mul_i32 s20, s20, s62
	s_mul_hi_u32 s67, s5, s62
	s_add_u32 s20, s64, s20
	s_addc_u32 s64, 0, s65
	s_add_u32 s20, s20, s63
	s_mul_i32 s62, s5, s62
	s_addc_u32 s20, s64, s66
	s_addc_u32 s63, s67, 0
	s_add_u32 s20, s20, s62
	s_addc_u32 s62, 0, s63
	v_add_co_u32 v3, s20, v3, s20
	s_delay_alu instid0(VALU_DEP_1) | instskip(SKIP_1) | instid1(VALU_DEP_1)
	s_cmp_lg_u32 s20, 0
	s_addc_u32 s5, s5, s62
	v_readfirstlane_b32 s20, v3
	s_mul_i32 s62, s24, s5
	s_delay_alu instid0(VALU_DEP_1)
	s_mul_hi_u32 s63, s24, s20
	s_mul_i32 s61, s61, s20
	s_add_i32 s62, s63, s62
	s_mul_i32 s24, s24, s20
	s_add_i32 s62, s62, s61
	s_mul_hi_u32 s63, s5, s24
	s_mul_i32 s64, s5, s24
	s_mul_hi_u32 s24, s20, s24
	s_mul_hi_u32 s65, s20, s62
	s_mul_i32 s20, s20, s62
	s_mul_hi_u32 s61, s5, s62
	s_add_u32 s20, s24, s20
	s_addc_u32 s24, 0, s65
	s_add_u32 s20, s20, s64
	s_mul_i32 s62, s5, s62
	s_addc_u32 s20, s24, s63
	s_addc_u32 s24, s61, 0
	s_add_u32 s20, s20, s62
	s_addc_u32 s24, 0, s24
	v_add_co_u32 v3, s20, v3, s20
	s_delay_alu instid0(VALU_DEP_1) | instskip(SKIP_2) | instid1(VALU_DEP_1)
	s_cmp_lg_u32 s20, 0
	s_addc_u32 s5, s5, s24
	s_ashr_i32 s62, s21, 31
	v_readfirstlane_b32 s20, v3
	s_add_u32 s64, s22, s62
	s_mov_b32 s63, s62
	s_addc_u32 s65, s21, s62
	s_delay_alu instid0(SALU_CYCLE_1) | instskip(NEXT) | instid1(SALU_CYCLE_1)
	s_xor_b64 s[64:65], s[64:65], s[62:63]
	s_mul_i32 s61, s64, s5
	s_mul_hi_u32 s63, s64, s20
	s_mul_hi_u32 s24, s64, s5
	;; [unrolled: 1-line block ×3, first 2 shown]
	s_mul_i32 s20, s65, s20
	s_add_u32 s61, s63, s61
	s_addc_u32 s24, 0, s24
	s_mul_hi_u32 s66, s65, s5
	s_add_u32 s20, s61, s20
	s_mul_i32 s5, s65, s5
	s_addc_u32 s20, s24, s67
	s_addc_u32 s24, s66, 0
	s_add_u32 s5, s20, s5
	s_addc_u32 s20, 0, s24
	s_mul_hi_u32 s24, s27, s5
	s_mul_i32 s5, s27, s5
	s_mul_i32 s20, s27, s20
	v_sub_co_u32 v3, s5, s64, s5
	s_add_i32 s24, s24, s20
	s_cmp_lg_u32 s5, 0
	s_delay_alu instid0(VALU_DEP_1) | instskip(SKIP_2) | instid1(VALU_DEP_1)
	v_sub_co_u32 v4, s5, v3, s27
	s_subb_u32 s20, s65, s24
	s_cmp_lg_u32 s5, 0
	v_cmp_le_u32_e32 vcc_lo, s27, v4
	v_sub_co_u32 v5, s5, v4, s27
	s_subb_u32 s24, s20, 0
	s_cmp_lg_u32 s5, 0
	v_cndmask_b32_e64 v6, 0, -1, vcc_lo
	s_subb_u32 s5, s24, 0
	s_cmp_eq_u32 s24, 0
	v_mov_b32_e32 v8, s5
	s_cselect_b32 vcc_lo, -1, 0
	s_cmp_eq_u32 s20, 0
	v_cndmask_b32_e32 v6, -1, v6, vcc_lo
	v_cmp_le_u32_e32 vcc_lo, s27, v3
	s_cselect_b32 s5, -1, 0
	v_cndmask_b32_e64 v7, 0, -1, vcc_lo
	s_delay_alu instid0(VALU_DEP_3) | instskip(NEXT) | instid1(VALU_DEP_2)
	v_cmp_ne_u32_e32 vcc_lo, 0, v6
	v_cndmask_b32_e64 v6, -1, v7, s5
	v_cndmask_b32_e32 v4, v4, v5, vcc_lo
	v_cndmask_b32_e32 v7, s24, v8, vcc_lo
	s_delay_alu instid0(VALU_DEP_3) | instskip(NEXT) | instid1(VALU_DEP_3)
	v_cmp_ne_u32_e32 vcc_lo, 0, v6
	v_cndmask_b32_e32 v3, v3, v4, vcc_lo
	s_delay_alu instid0(VALU_DEP_3) | instskip(NEXT) | instid1(VALU_DEP_2)
	v_cndmask_b32_e32 v5, s20, v7, vcc_lo
	v_xor_b32_e32 v3, s62, v3
	s_delay_alu instid0(VALU_DEP_2) | instskip(NEXT) | instid1(VALU_DEP_2)
	v_xor_b32_e32 v4, s62, v5
	v_sub_co_u32 v3, vcc_lo, v3, s62
	s_delay_alu instid0(VALU_DEP_2)
	v_subrev_co_ci_u32_e32 v4, vcc_lo, s62, v4, vcc_lo
	s_cbranch_execnz .LBB28_104
.LBB28_103:                             ;   in Loop: Header=BB28_8 Depth=1
	v_cvt_f32_u32_e32 v3, s27
	s_sub_i32 s5, 0, s27
	s_delay_alu instid0(VALU_DEP_1) | instskip(SKIP_2) | instid1(VALU_DEP_1)
	v_rcp_iflag_f32_e32 v3, v3
	s_waitcnt_depctr 0xfff
	v_mul_f32_e32 v3, 0x4f7ffffe, v3
	v_cvt_u32_f32_e32 v3, v3
	s_delay_alu instid0(VALU_DEP_1) | instskip(NEXT) | instid1(VALU_DEP_1)
	v_mul_lo_u32 v4, s5, v3
	v_mul_hi_u32 v4, v3, v4
	s_delay_alu instid0(VALU_DEP_1) | instskip(NEXT) | instid1(VALU_DEP_1)
	v_add_nc_u32_e32 v3, v3, v4
	v_mul_hi_u32 v3, s22, v3
	s_delay_alu instid0(VALU_DEP_1) | instskip(NEXT) | instid1(VALU_DEP_1)
	v_mul_lo_u32 v3, v3, s27
	v_sub_nc_u32_e32 v3, s22, v3
	s_delay_alu instid0(VALU_DEP_1) | instskip(SKIP_1) | instid1(VALU_DEP_2)
	v_subrev_nc_u32_e32 v4, s27, v3
	v_cmp_le_u32_e32 vcc_lo, s27, v3
	v_cndmask_b32_e32 v3, v3, v4, vcc_lo
	s_delay_alu instid0(VALU_DEP_1) | instskip(SKIP_1) | instid1(VALU_DEP_2)
	v_subrev_nc_u32_e32 v4, s27, v3
	v_cmp_le_u32_e32 vcc_lo, s27, v3
	v_cndmask_b32_e32 v17, v3, v4, vcc_lo
	s_delay_alu instid0(VALU_DEP_1)
	v_dual_mov_b32 v3, v17 :: v_dual_mov_b32 v4, v18
.LBB28_104:                             ;   in Loop: Header=BB28_8 Depth=1
	s_delay_alu instid0(VALU_DEP_1) | instskip(NEXT) | instid1(VALU_DEP_2)
	v_sub_co_u32 v7, vcc_lo, s22, v3
	v_sub_co_ci_u32_e32 v8, vcc_lo, s21, v4, vcc_lo
	s_mov_b32 s5, 0
	s_mov_b32 s20, exec_lo
                                        ; implicit-def: $vgpr5_vgpr6
	s_delay_alu instid0(VALU_DEP_1)
	v_cmpx_gt_i64_e64 v[7:8], v[0:1]
	s_cbranch_execz .LBB28_113
; %bb.105:                              ;   in Loop: Header=BB28_8 Depth=1
	v_dual_mov_b32 v11, v35 :: v_dual_mov_b32 v10, v1
	v_mov_b32_e32 v9, v0
	s_mov_b32 s21, 0
                                        ; implicit-def: $sgpr5
	s_set_inst_prefetch_distance 0x1
	s_branch .LBB28_107
	.p2align	6
.LBB28_106:                             ;   in Loop: Header=BB28_107 Depth=2
	s_or_b32 exec_lo, exec_lo, s22
	s_waitcnt lgkmcnt(0)
	s_barrier
	buffer_gl0_inv
	ds_load_b128 v[3:6], v18 offset:3072
	v_add_co_u32 v9, vcc_lo, v9, s27
	v_add_co_ci_u32_e32 v10, vcc_lo, 0, v10, vcc_lo
	v_add_nc_u32_e32 v11, s81, v11
	s_waitcnt lgkmcnt(0)
	s_barrier
	s_delay_alu instid0(VALU_DEP_2) | instskip(SKIP_3) | instid1(VALU_DEP_1)
	v_cmp_ge_i64_e32 vcc_lo, v[9:10], v[7:8]
	buffer_gl0_inv
	v_readfirstlane_b32 s63, v4
	v_readfirstlane_b32 s62, v3
	s_cmp_lg_u64 s[62:63], 0
	s_cselect_b32 s22, -1, 0
	s_delay_alu instid0(SALU_CYCLE_1) | instskip(NEXT) | instid1(SALU_CYCLE_1)
	s_or_b32 s24, s22, vcc_lo
	s_and_b32 s24, exec_lo, s24
	s_delay_alu instid0(SALU_CYCLE_1) | instskip(SKIP_2) | instid1(SALU_CYCLE_1)
	s_or_b32 s21, s24, s21
	s_and_not1_b32 s5, s5, exec_lo
	s_and_b32 s22, s22, exec_lo
	s_or_b32 s5, s5, s22
	s_and_not1_b32 exec_lo, exec_lo, s21
	s_cbranch_execz .LBB28_112
.LBB28_107:                             ;   Parent Loop BB28_8 Depth=1
                                        ; =>  This Inner Loop Header: Depth=2
	s_delay_alu instid0(VALU_DEP_1)
	v_cmp_gt_i64_e32 vcc_lo, s[18:19], v[9:10]
	v_mov_b32_e32 v4, 0
	v_mov_b32_e32 v5, 0
	s_and_saveexec_b32 s22, vcc_lo
	s_cbranch_execz .LBB28_109
; %bb.108:                              ;   in Loop: Header=BB28_107 Depth=2
	ds_load_b64 v[4:5], v11
.LBB28_109:                             ;   in Loop: Header=BB28_107 Depth=2
	s_or_b32 exec_lo, exec_lo, s22
	s_and_saveexec_b32 s22, vcc_lo
	s_cbranch_execz .LBB28_106
; %bb.110:                              ;   in Loop: Header=BB28_107 Depth=2
	s_waitcnt lgkmcnt(0)
	v_xor_b32_e32 v3, 0x80000000, v5
	v_and_b32_e32 v12, s58, v4
	s_delay_alu instid0(VALU_DEP_2) | instskip(NEXT) | instid1(VALU_DEP_1)
	v_and_b32_e32 v13, s59, v3
	v_cmp_eq_u64_e32 vcc_lo, s[56:57], v[12:13]
	s_and_b32 exec_lo, exec_lo, vcc_lo
	s_cbranch_execz .LBB28_106
; %bb.111:                              ;   in Loop: Header=BB28_107 Depth=2
	v_mov_b32_e32 v3, v18
	ds_store_b128 v18, v[2:5] offset:3072
	s_branch .LBB28_106
.LBB28_112:                             ;   in Loop: Header=BB28_8 Depth=1
	s_set_inst_prefetch_distance 0x2
	s_or_b32 exec_lo, exec_lo, s21
	s_delay_alu instid0(SALU_CYCLE_1)
	s_and_b32 s5, s5, exec_lo
.LBB28_113:                             ;   in Loop: Header=BB28_8 Depth=1
	s_or_b32 exec_lo, exec_lo, s20
	s_mov_b32 s22, -1
	s_mov_b32 s20, 0
	s_mov_b32 s21, 0
.LBB28_114:                             ;   in Loop: Header=BB28_8 Depth=1
	s_and_not1_b32 s18, s88, exec_lo
	s_and_b32 s19, s20, exec_lo
	s_and_not1_b32 s20, s89, exec_lo
	s_or_b32 s88, s18, s19
	s_and_not1_b32 s18, s90, exec_lo
	s_and_b32 s19, s22, exec_lo
	s_and_b32 s21, s21, exec_lo
	s_or_b32 s90, s18, s19
	s_or_b32 s89, s20, s21
	s_and_saveexec_b32 s22, s5
	s_cbranch_execz .LBB28_7
; %bb.115:                              ;   in Loop: Header=BB28_8 Depth=1
	s_xor_b32 s5, s60, -1
	s_delay_alu instid0(SALU_CYCLE_1)
	s_and_not1_b32 vcc_lo, exec_lo, s5
	s_mov_b32 s5, 1
	s_cbranch_vccnz .LBB28_126
; %bb.116:                              ;   in Loop: Header=BB28_8 Depth=1
	v_cmp_gt_i64_e64 s5, s[38:39], s[16:17]
	s_mov_b32 s24, -1
                                        ; implicit-def: $sgpr18_sgpr19
                                        ; implicit-def: $sgpr20_sgpr21
	s_delay_alu instid0(VALU_DEP_1)
	s_and_b32 vcc_lo, exec_lo, s5
                                        ; implicit-def: $sgpr5
	s_cbranch_vccnz .LBB28_122
; %bb.117:                              ;   in Loop: Header=BB28_8 Depth=1
	ds_load_b64 v[3:4], v18 offset:5120
	s_waitcnt lgkmcnt(0)
	v_cmp_ne_u64_e32 vcc_lo, 0, v[3:4]
	s_cbranch_vccnz .LBB28_121
; %bb.118:                              ;   in Loop: Header=BB28_8 Depth=1
	s_and_saveexec_b32 s5, s0
	s_cbranch_execz .LBB28_120
; %bb.119:                              ;   in Loop: Header=BB28_8 Depth=1
	v_dual_mov_b32 v3, s16 :: v_dual_mov_b32 v4, s17
	ds_store_b64 v18, v[3:4] offset:5128
.LBB28_120:                             ;   in Loop: Header=BB28_8 Depth=1
	s_or_b32 exec_lo, exec_lo, s5
	s_waitcnt lgkmcnt(0)
	s_barrier
	buffer_gl0_inv
.LBB28_121:                             ;   in Loop: Header=BB28_8 Depth=1
	s_and_b64 s[18:19], s[56:57], s[12:13]
	s_or_b64 s[20:21], s[58:59], s[8:9]
	s_mov_b32 s24, 0
	s_mov_b32 s5, 8
.LBB28_122:                             ;   in Loop: Header=BB28_8 Depth=1
	s_and_not1_b32 vcc_lo, exec_lo, s24
	s_cbranch_vccnz .LBB28_124
; %bb.123:                              ;   in Loop: Header=BB28_8 Depth=1
	s_sub_u32 s38, s38, s16
	s_subb_u32 s39, s39, s17
	s_mov_b32 s24, -1
	s_mov_b32 s5, 0
	s_mov_b64 s[18:19], s[56:57]
	s_mov_b64 s[20:21], s[58:59]
.LBB28_124:                             ;   in Loop: Header=BB28_8 Depth=1
	s_delay_alu instid0(SALU_CYCLE_1)
	s_mov_b64 s[58:59], s[20:21]
	s_mov_b64 s[56:57], s[18:19]
	s_and_b32 vcc_lo, exec_lo, s24
	s_mov_b32 s20, -1
	s_cbranch_vccnz .LBB28_127
.LBB28_125:                             ;   in Loop: Header=BB28_8 Depth=1
	s_mov_b32 s16, -1
                                        ; implicit-def: $sgpr21
                                        ; implicit-def: $sgpr60
                                        ; implicit-def: $sgpr48
	s_delay_alu instid0(SALU_CYCLE_1) | instskip(NEXT) | instid1(SALU_CYCLE_1)
	s_and_saveexec_b32 s6, s16
	s_xor_b32 s6, exec_lo, s6
	s_cbranch_execz .LBB28_6
	s_branch .LBB28_273
.LBB28_126:                             ;   in Loop: Header=BB28_8 Depth=1
	s_mov_b64 s[38:39], 1
	s_mov_b32 s20, -1
	s_branch .LBB28_125
.LBB28_127:                             ;   in Loop: Header=BB28_8 Depth=1
	s_cmp_eq_u64 s[14:15], 1
	s_mov_b32 s18, -1
	s_cselect_b32 s5, -1, 0
	s_cmp_eq_u64 s[38:39], 1
	s_cselect_b32 s16, -1, 0
	s_delay_alu instid0(SALU_CYCLE_1) | instskip(NEXT) | instid1(SALU_CYCLE_1)
	s_and_b32 s62, s5, s16
	s_and_b32 vcc_lo, exec_lo, s62
	s_cbranch_vccz .LBB28_142
; %bb.128:                              ;   in Loop: Header=BB28_8 Depth=1
	ds_load_b64 v[3:4], v18 offset:5120
	s_waitcnt lgkmcnt(0)
	s_barrier
	buffer_gl0_inv
	v_readfirstlane_b32 s16, v3
	v_readfirstlane_b32 s17, v4
	s_and_saveexec_b32 s5, s3
	s_cbranch_execz .LBB28_130
; %bb.129:                              ;   in Loop: Header=BB28_8 Depth=1
	v_mov_b32_e32 v17, v18
	ds_store_b64 v36, v[17:18]
.LBB28_130:                             ;   in Loop: Header=BB28_8 Depth=1
	s_or_b32 exec_lo, exec_lo, s5
	s_delay_alu instid0(VALU_DEP_1)
	v_cmp_gt_i64_e64 s5, s[16:17], 0
	s_lshl_b64 s[18:19], 1, s23
	s_and_b64 s[56:57], s[56:57], s[12:13]
	s_or_b64 s[58:59], s[58:59], s[8:9]
	s_or_b64 s[56:57], s[56:57], s[18:19]
	s_waitcnt lgkmcnt(0)
	s_and_b32 vcc_lo, exec_lo, s5
	s_barrier
	buffer_gl0_inv
	s_cbranch_vccnz .LBB28_145
; %bb.131:                              ;   in Loop: Header=BB28_8 Depth=1
	s_mov_b32 s24, s49
	s_delay_alu instid0(SALU_CYCLE_1)
	s_cmp_lg_u64 s[24:25], 0
	s_cbranch_scc0 .LBB28_190
; %bb.132:                              ;   in Loop: Header=BB28_8 Depth=1
	v_cvt_f32_u32_e32 v3, s27
	s_sub_u32 s19, 0, s27
	s_subb_u32 s21, 0, 0
	s_delay_alu instid0(VALU_DEP_1) | instskip(NEXT) | instid1(VALU_DEP_1)
	v_fmac_f32_e32 v3, 0x4f800000, v44
	v_rcp_f32_e32 v3, v3
	s_waitcnt_depctr 0xfff
	v_mul_f32_e32 v3, 0x5f7ffffc, v3
	s_delay_alu instid0(VALU_DEP_1) | instskip(NEXT) | instid1(VALU_DEP_1)
	v_mul_f32_e32 v4, 0x2f800000, v3
	v_trunc_f32_e32 v4, v4
	s_delay_alu instid0(VALU_DEP_1) | instskip(SKIP_1) | instid1(VALU_DEP_2)
	v_fmac_f32_e32 v3, 0xcf800000, v4
	v_cvt_u32_f32_e32 v4, v4
	v_cvt_u32_f32_e32 v3, v3
	s_delay_alu instid0(VALU_DEP_2) | instskip(NEXT) | instid1(VALU_DEP_2)
	v_readfirstlane_b32 s5, v4
	v_readfirstlane_b32 s18, v3
	s_delay_alu instid0(VALU_DEP_2) | instskip(NEXT) | instid1(VALU_DEP_1)
	s_mul_i32 s24, s19, s5
	s_mul_hi_u32 s60, s19, s18
	s_mul_i32 s48, s21, s18
	s_add_i32 s24, s60, s24
	s_mul_i32 s61, s19, s18
	s_add_i32 s24, s24, s48
	s_mul_hi_u32 s60, s18, s61
	s_mul_hi_u32 s63, s5, s61
	s_mul_i32 s48, s5, s61
	s_mul_hi_u32 s61, s18, s24
	s_mul_i32 s18, s18, s24
	s_mul_hi_u32 s64, s5, s24
	s_add_u32 s18, s60, s18
	s_addc_u32 s60, 0, s61
	s_add_u32 s18, s18, s48
	s_mul_i32 s24, s5, s24
	s_addc_u32 s18, s60, s63
	s_addc_u32 s48, s64, 0
	s_add_u32 s18, s18, s24
	s_addc_u32 s24, 0, s48
	v_add_co_u32 v3, s18, v3, s18
	s_delay_alu instid0(VALU_DEP_1) | instskip(SKIP_1) | instid1(VALU_DEP_1)
	s_cmp_lg_u32 s18, 0
	s_addc_u32 s5, s5, s24
	v_readfirstlane_b32 s18, v3
	s_mul_i32 s24, s19, s5
	s_delay_alu instid0(VALU_DEP_1)
	s_mul_hi_u32 s48, s19, s18
	s_mul_i32 s21, s21, s18
	s_add_i32 s24, s48, s24
	s_mul_i32 s19, s19, s18
	s_add_i32 s24, s24, s21
	s_mul_hi_u32 s48, s5, s19
	s_mul_i32 s60, s5, s19
	s_mul_hi_u32 s19, s18, s19
	s_mul_hi_u32 s61, s18, s24
	s_mul_i32 s18, s18, s24
	s_mul_hi_u32 s21, s5, s24
	s_add_u32 s18, s19, s18
	s_addc_u32 s19, 0, s61
	s_add_u32 s18, s18, s60
	s_mul_i32 s24, s5, s24
	s_addc_u32 s18, s19, s48
	s_addc_u32 s19, s21, 0
	s_add_u32 s18, s18, s24
	s_addc_u32 s19, 0, s19
	v_add_co_u32 v3, s18, v3, s18
	s_delay_alu instid0(VALU_DEP_1) | instskip(SKIP_2) | instid1(VALU_DEP_1)
	s_cmp_lg_u32 s18, 0
	s_addc_u32 s5, s5, s19
	s_ashr_i32 s18, s25, 31
	v_readfirstlane_b32 s21, v3
	s_add_u32 s60, s75, s18
	s_mov_b32 s19, s18
	s_addc_u32 s61, s25, s18
	s_delay_alu instid0(SALU_CYCLE_1) | instskip(NEXT) | instid1(SALU_CYCLE_1)
	s_xor_b64 s[60:61], s[60:61], s[18:19]
	s_mul_i32 s24, s60, s5
	s_mul_hi_u32 s48, s60, s21
	s_mul_hi_u32 s19, s60, s5
	;; [unrolled: 1-line block ×3, first 2 shown]
	s_mul_i32 s21, s61, s21
	s_add_u32 s24, s48, s24
	s_addc_u32 s19, 0, s19
	s_mul_hi_u32 s63, s61, s5
	s_add_u32 s21, s24, s21
	s_mul_i32 s5, s61, s5
	s_addc_u32 s19, s19, s64
	s_addc_u32 s21, s63, 0
	s_add_u32 s5, s19, s5
	s_addc_u32 s19, 0, s21
	s_mul_hi_u32 s21, s27, s5
	s_mul_i32 s5, s27, s5
	s_mul_i32 s19, s27, s19
	v_sub_co_u32 v3, s5, s60, s5
	s_add_i32 s21, s21, s19
	s_cmp_lg_u32 s5, 0
	s_delay_alu instid0(VALU_DEP_1) | instskip(SKIP_2) | instid1(VALU_DEP_1)
	v_sub_co_u32 v4, s5, v3, s27
	s_subb_u32 s19, s61, s21
	s_cmp_lg_u32 s5, 0
	v_cmp_le_u32_e32 vcc_lo, s27, v4
	v_sub_co_u32 v5, s5, v4, s27
	s_subb_u32 s21, s19, 0
	s_cmp_lg_u32 s5, 0
	v_cndmask_b32_e64 v6, 0, -1, vcc_lo
	s_subb_u32 s5, s21, 0
	s_cmp_eq_u32 s21, 0
	v_mov_b32_e32 v8, s5
	s_cselect_b32 vcc_lo, -1, 0
	s_cmp_eq_u32 s19, 0
	v_cndmask_b32_e32 v6, -1, v6, vcc_lo
	v_cmp_le_u32_e32 vcc_lo, s27, v3
	s_cselect_b32 s5, -1, 0
	v_cndmask_b32_e64 v7, 0, -1, vcc_lo
	s_delay_alu instid0(VALU_DEP_3) | instskip(NEXT) | instid1(VALU_DEP_2)
	v_cmp_ne_u32_e32 vcc_lo, 0, v6
	v_cndmask_b32_e64 v6, -1, v7, s5
	v_cndmask_b32_e32 v4, v4, v5, vcc_lo
	v_cndmask_b32_e32 v7, s21, v8, vcc_lo
	s_delay_alu instid0(VALU_DEP_3) | instskip(NEXT) | instid1(VALU_DEP_3)
	v_cmp_ne_u32_e32 vcc_lo, 0, v6
	v_cndmask_b32_e32 v3, v3, v4, vcc_lo
	s_delay_alu instid0(VALU_DEP_3) | instskip(NEXT) | instid1(VALU_DEP_2)
	v_cndmask_b32_e32 v5, s19, v7, vcc_lo
	v_xor_b32_e32 v3, s18, v3
	s_delay_alu instid0(VALU_DEP_2) | instskip(NEXT) | instid1(VALU_DEP_2)
	v_xor_b32_e32 v4, s18, v5
	v_sub_co_u32 v3, vcc_lo, v3, s18
	s_delay_alu instid0(VALU_DEP_2)
	v_subrev_co_ci_u32_e32 v4, vcc_lo, s18, v4, vcc_lo
	s_cbranch_execnz .LBB28_134
.LBB28_133:                             ;   in Loop: Header=BB28_8 Depth=1
	v_cvt_f32_u32_e32 v3, s27
	s_sub_i32 s5, 0, s27
	s_delay_alu instid0(VALU_DEP_1) | instskip(SKIP_2) | instid1(VALU_DEP_1)
	v_rcp_iflag_f32_e32 v3, v3
	s_waitcnt_depctr 0xfff
	v_mul_f32_e32 v3, 0x4f7ffffe, v3
	v_cvt_u32_f32_e32 v3, v3
	s_delay_alu instid0(VALU_DEP_1) | instskip(NEXT) | instid1(VALU_DEP_1)
	v_mul_lo_u32 v4, s5, v3
	v_mul_hi_u32 v4, v3, v4
	s_delay_alu instid0(VALU_DEP_1) | instskip(NEXT) | instid1(VALU_DEP_1)
	v_add_nc_u32_e32 v3, v3, v4
	v_mul_hi_u32 v3, s75, v3
	s_delay_alu instid0(VALU_DEP_1) | instskip(NEXT) | instid1(VALU_DEP_1)
	v_mul_lo_u32 v3, v3, s27
	v_sub_nc_u32_e32 v3, s75, v3
	s_delay_alu instid0(VALU_DEP_1) | instskip(SKIP_1) | instid1(VALU_DEP_2)
	v_subrev_nc_u32_e32 v4, s27, v3
	v_cmp_le_u32_e32 vcc_lo, s27, v3
	v_cndmask_b32_e32 v3, v3, v4, vcc_lo
	s_delay_alu instid0(VALU_DEP_1) | instskip(SKIP_1) | instid1(VALU_DEP_2)
	v_subrev_nc_u32_e32 v4, s27, v3
	v_cmp_le_u32_e32 vcc_lo, s27, v3
	v_cndmask_b32_e32 v17, v3, v4, vcc_lo
	s_delay_alu instid0(VALU_DEP_1)
	v_dual_mov_b32 v3, v17 :: v_dual_mov_b32 v4, v18
.LBB28_134:                             ;   in Loop: Header=BB28_8 Depth=1
	s_delay_alu instid0(VALU_DEP_1) | instskip(NEXT) | instid1(VALU_DEP_2)
	v_sub_co_u32 v7, vcc_lo, s75, v3
	v_sub_co_ci_u32_e32 v8, vcc_lo, s25, v4, vcc_lo
	s_mov_b32 s18, 0
	s_mov_b32 s5, exec_lo
                                        ; implicit-def: $vgpr5_vgpr6
	s_delay_alu instid0(VALU_DEP_1)
	v_cmpx_gt_i64_e64 v[7:8], v[0:1]
	s_cbranch_execz .LBB28_147
; %bb.135:                              ;   in Loop: Header=BB28_8 Depth=1
	v_dual_mov_b32 v9, v15 :: v_dual_mov_b32 v10, v16
	v_dual_mov_b32 v12, v1 :: v_dual_mov_b32 v11, v0
	s_mov_b32 s19, 0
                                        ; implicit-def: $sgpr18
	s_set_inst_prefetch_distance 0x1
	s_branch .LBB28_137
	.p2align	6
.LBB28_136:                             ;   in Loop: Header=BB28_137 Depth=2
	s_or_b32 exec_lo, exec_lo, s21
	s_waitcnt vmcnt(0) lgkmcnt(0)
	s_barrier
	buffer_gl0_inv
	ds_load_b128 v[3:6], v18 offset:3072
	v_add_co_u32 v11, vcc_lo, v11, s27
	v_add_co_ci_u32_e32 v12, vcc_lo, 0, v12, vcc_lo
	s_waitcnt lgkmcnt(0)
	s_barrier
	buffer_gl0_inv
	v_cmp_ge_i64_e32 vcc_lo, v[11:12], v[7:8]
	v_readfirstlane_b32 s61, v4
	v_readfirstlane_b32 s60, v3
	s_delay_alu instid0(VALU_DEP_1) | instskip(SKIP_1) | instid1(SALU_CYCLE_1)
	s_cmp_lg_u64 s[60:61], 0
	s_cselect_b32 s21, -1, 0
	s_or_b32 s24, s21, vcc_lo
	v_add_co_u32 v9, vcc_lo, v9, s44
	s_and_b32 s24, exec_lo, s24
	v_add_co_ci_u32_e32 v10, vcc_lo, s45, v10, vcc_lo
	s_or_b32 s19, s24, s19
	s_and_not1_b32 s18, s18, exec_lo
	s_and_b32 s21, s21, exec_lo
	s_delay_alu instid0(SALU_CYCLE_1)
	s_or_b32 s18, s18, s21
	s_and_not1_b32 exec_lo, exec_lo, s19
	s_cbranch_execz .LBB28_146
.LBB28_137:                             ;   Parent Loop BB28_8 Depth=1
                                        ; =>  This Inner Loop Header: Depth=2
	s_delay_alu instid0(VALU_DEP_1)
	v_cmp_gt_i64_e32 vcc_lo, s[36:37], v[11:12]
	v_mov_b32_e32 v4, 0
	v_mov_b32_e32 v5, 0
	s_and_saveexec_b32 s21, vcc_lo
	s_cbranch_execz .LBB28_139
; %bb.138:                              ;   in Loop: Header=BB28_137 Depth=2
	global_load_b64 v[4:5], v[9:10], off
.LBB28_139:                             ;   in Loop: Header=BB28_137 Depth=2
	s_or_b32 exec_lo, exec_lo, s21
	s_and_saveexec_b32 s21, vcc_lo
	s_cbranch_execz .LBB28_136
; %bb.140:                              ;   in Loop: Header=BB28_137 Depth=2
	s_waitcnt vmcnt(0)
	v_xor_b32_e32 v3, 0x80000000, v5
	v_and_b32_e32 v13, s58, v4
	s_delay_alu instid0(VALU_DEP_2) | instskip(NEXT) | instid1(VALU_DEP_1)
	v_and_b32_e32 v14, s59, v3
	v_cmp_eq_u64_e32 vcc_lo, s[56:57], v[13:14]
	s_and_b32 exec_lo, exec_lo, vcc_lo
	s_cbranch_execz .LBB28_136
; %bb.141:                              ;   in Loop: Header=BB28_137 Depth=2
	v_mov_b32_e32 v3, v18
	ds_store_b128 v18, v[2:5] offset:3072
	s_branch .LBB28_136
.LBB28_142:                             ;   in Loop: Header=BB28_8 Depth=1
                                        ; implicit-def: $sgpr48
                                        ; implicit-def: $sgpr60
                                        ; implicit-def: $sgpr21
	s_branch .LBB28_161
.LBB28_143:                             ;   in Loop: Header=BB28_8 Depth=1
                                        ; implicit-def: $vgpr3_vgpr4
	s_branch .LBB28_88
.LBB28_144:                             ;   in Loop: Header=BB28_8 Depth=1
                                        ; implicit-def: $vgpr3_vgpr4
	s_branch .LBB28_103
.LBB28_145:                             ;   in Loop: Header=BB28_8 Depth=1
	s_mov_b32 s48, -1
	s_mov_b32 s18, 0
                                        ; implicit-def: $sgpr21
                                        ; implicit-def: $vgpr5_vgpr6
	s_mov_b32 s60, s48
	s_cbranch_execnz .LBB28_148
	s_branch .LBB28_161
.LBB28_146:                             ;   in Loop: Header=BB28_8 Depth=1
	s_set_inst_prefetch_distance 0x2
	s_or_b32 exec_lo, exec_lo, s19
	s_delay_alu instid0(SALU_CYCLE_1)
	s_and_b32 s18, s18, exec_lo
.LBB28_147:                             ;   in Loop: Header=BB28_8 Depth=1
	s_or_b32 exec_lo, exec_lo, s5
	s_mov_b32 s21, -1
	s_mov_b32 s48, 0
	s_delay_alu instid0(SALU_CYCLE_1)
	s_mov_b32 s60, s48
	s_branch .LBB28_161
.LBB28_148:                             ;   in Loop: Header=BB28_8 Depth=1
	s_add_u32 s21, s73, s16
	s_addc_u32 s19, s74, s17
	s_mov_b32 s18, s49
	s_delay_alu instid0(SALU_CYCLE_1)
	s_cmp_lg_u64 s[18:19], 0
	s_cbranch_scc0 .LBB28_191
; %bb.149:                              ;   in Loop: Header=BB28_8 Depth=1
	v_cvt_f32_u32_e32 v3, s27
	s_sub_u32 s24, 0, s27
	s_subb_u32 s48, 0, 0
	s_delay_alu instid0(VALU_DEP_1) | instskip(NEXT) | instid1(VALU_DEP_1)
	v_fmac_f32_e32 v3, 0x4f800000, v44
	v_rcp_f32_e32 v3, v3
	s_waitcnt_depctr 0xfff
	v_mul_f32_e32 v3, 0x5f7ffffc, v3
	s_delay_alu instid0(VALU_DEP_1) | instskip(NEXT) | instid1(VALU_DEP_1)
	v_mul_f32_e32 v4, 0x2f800000, v3
	v_trunc_f32_e32 v4, v4
	s_delay_alu instid0(VALU_DEP_1) | instskip(SKIP_1) | instid1(VALU_DEP_2)
	v_fmac_f32_e32 v3, 0xcf800000, v4
	v_cvt_u32_f32_e32 v4, v4
	v_cvt_u32_f32_e32 v3, v3
	s_delay_alu instid0(VALU_DEP_2) | instskip(NEXT) | instid1(VALU_DEP_2)
	v_readfirstlane_b32 s5, v4
	v_readfirstlane_b32 s18, v3
	s_delay_alu instid0(VALU_DEP_2) | instskip(NEXT) | instid1(VALU_DEP_1)
	s_mul_i32 s60, s24, s5
	s_mul_hi_u32 s63, s24, s18
	s_mul_i32 s61, s48, s18
	s_add_i32 s60, s63, s60
	s_mul_i32 s64, s24, s18
	s_add_i32 s60, s60, s61
	s_mul_hi_u32 s63, s18, s64
	s_mul_hi_u32 s65, s5, s64
	s_mul_i32 s61, s5, s64
	s_mul_hi_u32 s64, s18, s60
	s_mul_i32 s18, s18, s60
	s_mul_hi_u32 s66, s5, s60
	s_add_u32 s18, s63, s18
	s_addc_u32 s63, 0, s64
	s_add_u32 s18, s18, s61
	s_mul_i32 s60, s5, s60
	s_addc_u32 s18, s63, s65
	s_addc_u32 s61, s66, 0
	s_add_u32 s18, s18, s60
	s_addc_u32 s60, 0, s61
	v_add_co_u32 v3, s18, v3, s18
	s_delay_alu instid0(VALU_DEP_1) | instskip(SKIP_1) | instid1(VALU_DEP_1)
	s_cmp_lg_u32 s18, 0
	s_addc_u32 s5, s5, s60
	v_readfirstlane_b32 s18, v3
	s_mul_i32 s60, s24, s5
	s_delay_alu instid0(VALU_DEP_1)
	s_mul_hi_u32 s61, s24, s18
	s_mul_i32 s48, s48, s18
	s_add_i32 s60, s61, s60
	s_mul_i32 s24, s24, s18
	s_add_i32 s60, s60, s48
	s_mul_hi_u32 s61, s5, s24
	s_mul_i32 s63, s5, s24
	s_mul_hi_u32 s24, s18, s24
	s_mul_hi_u32 s64, s18, s60
	s_mul_i32 s18, s18, s60
	s_mul_hi_u32 s48, s5, s60
	s_add_u32 s18, s24, s18
	s_addc_u32 s24, 0, s64
	s_add_u32 s18, s18, s63
	s_mul_i32 s60, s5, s60
	s_addc_u32 s18, s24, s61
	s_addc_u32 s24, s48, 0
	s_add_u32 s18, s18, s60
	s_addc_u32 s24, 0, s24
	v_add_co_u32 v3, s18, v3, s18
	s_delay_alu instid0(VALU_DEP_1) | instskip(SKIP_2) | instid1(VALU_DEP_1)
	s_cmp_lg_u32 s18, 0
	s_addc_u32 s5, s5, s24
	s_ashr_i32 s60, s19, 31
	v_readfirstlane_b32 s18, v3
	s_add_u32 s64, s21, s60
	s_mov_b32 s61, s60
	s_addc_u32 s65, s19, s60
	s_delay_alu instid0(SALU_CYCLE_1) | instskip(NEXT) | instid1(SALU_CYCLE_1)
	s_xor_b64 s[64:65], s[64:65], s[60:61]
	s_mul_i32 s48, s64, s5
	s_mul_hi_u32 s61, s64, s18
	s_mul_hi_u32 s24, s64, s5
	;; [unrolled: 1-line block ×3, first 2 shown]
	s_mul_i32 s18, s65, s18
	s_add_u32 s48, s61, s48
	s_addc_u32 s24, 0, s24
	s_mul_hi_u32 s63, s65, s5
	s_add_u32 s18, s48, s18
	s_mul_i32 s5, s65, s5
	s_addc_u32 s18, s24, s66
	s_addc_u32 s24, s63, 0
	s_add_u32 s5, s18, s5
	s_addc_u32 s18, 0, s24
	s_mul_hi_u32 s24, s27, s5
	s_mul_i32 s5, s27, s5
	s_mul_i32 s18, s27, s18
	v_sub_co_u32 v3, s5, s64, s5
	s_add_i32 s24, s24, s18
	s_cmp_lg_u32 s5, 0
	s_delay_alu instid0(VALU_DEP_1) | instskip(SKIP_2) | instid1(VALU_DEP_1)
	v_sub_co_u32 v4, s5, v3, s27
	s_subb_u32 s18, s65, s24
	s_cmp_lg_u32 s5, 0
	v_cmp_le_u32_e32 vcc_lo, s27, v4
	v_sub_co_u32 v5, s5, v4, s27
	s_subb_u32 s24, s18, 0
	s_cmp_lg_u32 s5, 0
	v_cndmask_b32_e64 v6, 0, -1, vcc_lo
	s_subb_u32 s5, s24, 0
	s_cmp_eq_u32 s24, 0
	v_mov_b32_e32 v8, s5
	s_cselect_b32 vcc_lo, -1, 0
	s_cmp_eq_u32 s18, 0
	v_cndmask_b32_e32 v6, -1, v6, vcc_lo
	v_cmp_le_u32_e32 vcc_lo, s27, v3
	s_cselect_b32 s5, -1, 0
	v_cndmask_b32_e64 v7, 0, -1, vcc_lo
	s_delay_alu instid0(VALU_DEP_3) | instskip(NEXT) | instid1(VALU_DEP_2)
	v_cmp_ne_u32_e32 vcc_lo, 0, v6
	v_cndmask_b32_e64 v6, -1, v7, s5
	v_cndmask_b32_e32 v4, v4, v5, vcc_lo
	v_cndmask_b32_e32 v7, s24, v8, vcc_lo
	s_delay_alu instid0(VALU_DEP_3) | instskip(NEXT) | instid1(VALU_DEP_3)
	v_cmp_ne_u32_e32 vcc_lo, 0, v6
	v_cndmask_b32_e32 v3, v3, v4, vcc_lo
	s_delay_alu instid0(VALU_DEP_3) | instskip(NEXT) | instid1(VALU_DEP_2)
	v_cndmask_b32_e32 v5, s18, v7, vcc_lo
	v_xor_b32_e32 v3, s60, v3
	s_delay_alu instid0(VALU_DEP_2) | instskip(NEXT) | instid1(VALU_DEP_2)
	v_xor_b32_e32 v4, s60, v5
	v_sub_co_u32 v3, vcc_lo, v3, s60
	s_delay_alu instid0(VALU_DEP_2)
	v_subrev_co_ci_u32_e32 v4, vcc_lo, s60, v4, vcc_lo
	s_cbranch_execnz .LBB28_151
.LBB28_150:                             ;   in Loop: Header=BB28_8 Depth=1
	v_cvt_f32_u32_e32 v3, s27
	s_sub_i32 s5, 0, s27
	s_delay_alu instid0(VALU_DEP_1) | instskip(SKIP_2) | instid1(VALU_DEP_1)
	v_rcp_iflag_f32_e32 v3, v3
	s_waitcnt_depctr 0xfff
	v_mul_f32_e32 v3, 0x4f7ffffe, v3
	v_cvt_u32_f32_e32 v3, v3
	s_delay_alu instid0(VALU_DEP_1) | instskip(NEXT) | instid1(VALU_DEP_1)
	v_mul_lo_u32 v4, s5, v3
	v_mul_hi_u32 v4, v3, v4
	s_delay_alu instid0(VALU_DEP_1) | instskip(NEXT) | instid1(VALU_DEP_1)
	v_add_nc_u32_e32 v3, v3, v4
	v_mul_hi_u32 v3, s21, v3
	s_delay_alu instid0(VALU_DEP_1) | instskip(NEXT) | instid1(VALU_DEP_1)
	v_mul_lo_u32 v3, v3, s27
	v_sub_nc_u32_e32 v3, s21, v3
	s_delay_alu instid0(VALU_DEP_1) | instskip(SKIP_1) | instid1(VALU_DEP_2)
	v_subrev_nc_u32_e32 v4, s27, v3
	v_cmp_le_u32_e32 vcc_lo, s27, v3
	v_cndmask_b32_e32 v3, v3, v4, vcc_lo
	s_delay_alu instid0(VALU_DEP_1) | instskip(SKIP_1) | instid1(VALU_DEP_2)
	v_subrev_nc_u32_e32 v4, s27, v3
	v_cmp_le_u32_e32 vcc_lo, s27, v3
	v_cndmask_b32_e32 v17, v3, v4, vcc_lo
	s_delay_alu instid0(VALU_DEP_1)
	v_dual_mov_b32 v3, v17 :: v_dual_mov_b32 v4, v18
.LBB28_151:                             ;   in Loop: Header=BB28_8 Depth=1
	s_delay_alu instid0(VALU_DEP_1) | instskip(NEXT) | instid1(VALU_DEP_2)
	v_sub_co_u32 v7, vcc_lo, s21, v3
	v_sub_co_ci_u32_e32 v8, vcc_lo, s19, v4, vcc_lo
	s_mov_b32 s18, 0
	s_mov_b32 s5, exec_lo
                                        ; implicit-def: $vgpr5_vgpr6
	s_delay_alu instid0(VALU_DEP_1)
	v_cmpx_gt_i64_e64 v[7:8], v[0:1]
	s_cbranch_execz .LBB28_160
; %bb.152:                              ;   in Loop: Header=BB28_8 Depth=1
	v_dual_mov_b32 v11, v35 :: v_dual_mov_b32 v10, v1
	v_mov_b32_e32 v9, v0
	s_mov_b32 s19, 0
                                        ; implicit-def: $sgpr18
	s_set_inst_prefetch_distance 0x1
	s_branch .LBB28_154
	.p2align	6
.LBB28_153:                             ;   in Loop: Header=BB28_154 Depth=2
	s_or_b32 exec_lo, exec_lo, s21
	s_waitcnt lgkmcnt(0)
	s_barrier
	buffer_gl0_inv
	ds_load_b128 v[3:6], v18 offset:3072
	v_add_co_u32 v9, vcc_lo, v9, s27
	v_add_co_ci_u32_e32 v10, vcc_lo, 0, v10, vcc_lo
	v_add_nc_u32_e32 v11, s81, v11
	s_waitcnt lgkmcnt(0)
	s_barrier
	s_delay_alu instid0(VALU_DEP_2) | instskip(SKIP_3) | instid1(VALU_DEP_1)
	v_cmp_ge_i64_e32 vcc_lo, v[9:10], v[7:8]
	buffer_gl0_inv
	v_readfirstlane_b32 s61, v4
	v_readfirstlane_b32 s60, v3
	s_cmp_lg_u64 s[60:61], 0
	s_cselect_b32 s21, -1, 0
	s_delay_alu instid0(SALU_CYCLE_1) | instskip(NEXT) | instid1(SALU_CYCLE_1)
	s_or_b32 s24, s21, vcc_lo
	s_and_b32 s24, exec_lo, s24
	s_delay_alu instid0(SALU_CYCLE_1) | instskip(SKIP_2) | instid1(SALU_CYCLE_1)
	s_or_b32 s19, s24, s19
	s_and_not1_b32 s18, s18, exec_lo
	s_and_b32 s21, s21, exec_lo
	s_or_b32 s18, s18, s21
	s_and_not1_b32 exec_lo, exec_lo, s19
	s_cbranch_execz .LBB28_159
.LBB28_154:                             ;   Parent Loop BB28_8 Depth=1
                                        ; =>  This Inner Loop Header: Depth=2
	s_delay_alu instid0(VALU_DEP_1)
	v_cmp_gt_i64_e32 vcc_lo, s[16:17], v[9:10]
	v_mov_b32_e32 v4, 0
	v_mov_b32_e32 v5, 0
	s_and_saveexec_b32 s21, vcc_lo
	s_cbranch_execz .LBB28_156
; %bb.155:                              ;   in Loop: Header=BB28_154 Depth=2
	ds_load_b64 v[4:5], v11
.LBB28_156:                             ;   in Loop: Header=BB28_154 Depth=2
	s_or_b32 exec_lo, exec_lo, s21
	s_and_saveexec_b32 s21, vcc_lo
	s_cbranch_execz .LBB28_153
; %bb.157:                              ;   in Loop: Header=BB28_154 Depth=2
	s_waitcnt lgkmcnt(0)
	v_xor_b32_e32 v3, 0x80000000, v5
	v_and_b32_e32 v12, s58, v4
	s_delay_alu instid0(VALU_DEP_2) | instskip(NEXT) | instid1(VALU_DEP_1)
	v_and_b32_e32 v13, s59, v3
	v_cmp_eq_u64_e32 vcc_lo, s[56:57], v[12:13]
	s_and_b32 exec_lo, exec_lo, vcc_lo
	s_cbranch_execz .LBB28_153
; %bb.158:                              ;   in Loop: Header=BB28_154 Depth=2
	v_mov_b32_e32 v3, v18
	ds_store_b128 v18, v[2:5] offset:3072
	s_branch .LBB28_153
.LBB28_159:                             ;   in Loop: Header=BB28_8 Depth=1
	s_set_inst_prefetch_distance 0x2
	s_or_b32 exec_lo, exec_lo, s19
	s_delay_alu instid0(SALU_CYCLE_1)
	s_and_b32 s18, s18, exec_lo
.LBB28_160:                             ;   in Loop: Header=BB28_8 Depth=1
	s_or_b32 exec_lo, exec_lo, s5
	s_mov_b32 s60, -1
	s_mov_b32 s48, 0
	s_mov_b32 s21, 0
.LBB28_161:                             ;   in Loop: Header=BB28_8 Depth=1
	s_mov_b32 s16, 0
                                        ; implicit-def: $sgpr5
	s_and_saveexec_b32 s61, s18
	s_cbranch_execz .LBB28_272
; %bb.162:                              ;   in Loop: Header=BB28_8 Depth=1
	s_xor_b32 s5, s62, -1
	s_delay_alu instid0(SALU_CYCLE_1)
	s_and_not1_b32 vcc_lo, exec_lo, s5
	s_mov_b32 s5, 1
	s_cbranch_vccnz .LBB28_173
; %bb.163:                              ;   in Loop: Header=BB28_8 Depth=1
	v_cmp_gt_i64_e64 s5, s[38:39], s[14:15]
	s_mov_b32 s24, -1
                                        ; implicit-def: $sgpr16_sgpr17
                                        ; implicit-def: $sgpr18_sgpr19
	s_delay_alu instid0(VALU_DEP_1)
	s_and_b32 vcc_lo, exec_lo, s5
                                        ; implicit-def: $sgpr5
	s_cbranch_vccnz .LBB28_169
; %bb.164:                              ;   in Loop: Header=BB28_8 Depth=1
	ds_load_b64 v[3:4], v18 offset:5120
	s_waitcnt lgkmcnt(0)
	v_cmp_ne_u64_e32 vcc_lo, 0, v[3:4]
	s_cbranch_vccnz .LBB28_168
; %bb.165:                              ;   in Loop: Header=BB28_8 Depth=1
	s_and_saveexec_b32 s5, s0
	s_cbranch_execz .LBB28_167
; %bb.166:                              ;   in Loop: Header=BB28_8 Depth=1
	v_dual_mov_b32 v3, s14 :: v_dual_mov_b32 v4, s15
	ds_store_b64 v18, v[3:4] offset:5128
.LBB28_167:                             ;   in Loop: Header=BB28_8 Depth=1
	s_or_b32 exec_lo, exec_lo, s5
	s_waitcnt lgkmcnt(0)
	s_barrier
	buffer_gl0_inv
.LBB28_168:                             ;   in Loop: Header=BB28_8 Depth=1
	s_lshl_b64 s[16:17], 1, s23
	s_and_b64 s[18:19], s[56:57], s[12:13]
	s_mov_b32 s24, 0
	s_or_b64 s[16:17], s[18:19], s[16:17]
	s_or_b64 s[18:19], s[58:59], s[8:9]
	s_mov_b32 s5, 8
.LBB28_169:                             ;   in Loop: Header=BB28_8 Depth=1
	s_and_not1_b32 vcc_lo, exec_lo, s24
	s_cbranch_vccnz .LBB28_171
; %bb.170:                              ;   in Loop: Header=BB28_8 Depth=1
	s_sub_u32 s38, s38, s14
	s_subb_u32 s39, s39, s15
	s_mov_b32 s24, -1
	s_mov_b32 s5, 0
	s_mov_b64 s[16:17], s[56:57]
	s_mov_b64 s[18:19], s[58:59]
.LBB28_171:                             ;   in Loop: Header=BB28_8 Depth=1
	s_delay_alu instid0(SALU_CYCLE_1)
	s_mov_b64 s[58:59], s[18:19]
	s_mov_b64 s[56:57], s[16:17]
	s_and_not1_b32 vcc_lo, exec_lo, s24
	s_mov_b32 s14, -1
	s_cbranch_vccz .LBB28_174
.LBB28_172:                             ;   in Loop: Header=BB28_8 Depth=1
                                        ; implicit-def: $sgpr19
                                        ; implicit-def: $sgpr62
                                        ; implicit-def: $sgpr18
	s_branch .LBB28_271
.LBB28_173:                             ;   in Loop: Header=BB28_8 Depth=1
	s_mov_b64 s[38:39], 1
	s_mov_b32 s14, -1
	s_cbranch_execnz .LBB28_172
.LBB28_174:                             ;   in Loop: Header=BB28_8 Depth=1
	s_cmp_eq_u64 s[10:11], 1
	s_mov_b32 s16, -1
	s_cselect_b32 s5, -1, 0
	s_cmp_eq_u64 s[38:39], 1
	s_cselect_b32 s14, -1, 0
	s_delay_alu instid0(SALU_CYCLE_1) | instskip(NEXT) | instid1(SALU_CYCLE_1)
	s_and_b32 s64, s5, s14
	s_and_b32 vcc_lo, exec_lo, s64
	s_cbranch_vccz .LBB28_189
; %bb.175:                              ;   in Loop: Header=BB28_8 Depth=1
	ds_load_b64 v[3:4], v18 offset:5120
	s_waitcnt lgkmcnt(0)
	s_barrier
	buffer_gl0_inv
	v_readfirstlane_b32 s14, v3
	v_readfirstlane_b32 s15, v4
	s_and_saveexec_b32 s5, s3
	s_cbranch_execz .LBB28_177
; %bb.176:                              ;   in Loop: Header=BB28_8 Depth=1
	v_mov_b32_e32 v17, v18
	ds_store_b64 v36, v[17:18]
.LBB28_177:                             ;   in Loop: Header=BB28_8 Depth=1
	s_or_b32 exec_lo, exec_lo, s5
	s_delay_alu instid0(VALU_DEP_1)
	v_cmp_gt_i64_e64 s5, s[14:15], 0
	s_lshl_b64 s[16:17], 2, s23
	s_and_b64 s[18:19], s[56:57], s[12:13]
	s_or_b64 s[58:59], s[58:59], s[8:9]
	s_or_b64 s[56:57], s[18:19], s[16:17]
	s_waitcnt lgkmcnt(0)
	s_and_b32 vcc_lo, exec_lo, s5
	s_barrier
	buffer_gl0_inv
	s_cbranch_vccnz .LBB28_192
; %bb.178:                              ;   in Loop: Header=BB28_8 Depth=1
	s_mov_b32 s24, s49
	s_delay_alu instid0(SALU_CYCLE_1)
	s_cmp_lg_u64 s[24:25], 0
	s_cbranch_scc0 .LBB28_237
; %bb.179:                              ;   in Loop: Header=BB28_8 Depth=1
	v_cvt_f32_u32_e32 v3, s27
	s_sub_u32 s17, 0, s27
	s_subb_u32 s18, 0, 0
	s_delay_alu instid0(VALU_DEP_1) | instskip(NEXT) | instid1(VALU_DEP_1)
	v_fmac_f32_e32 v3, 0x4f800000, v44
	v_rcp_f32_e32 v3, v3
	s_waitcnt_depctr 0xfff
	v_mul_f32_e32 v3, 0x5f7ffffc, v3
	s_delay_alu instid0(VALU_DEP_1) | instskip(NEXT) | instid1(VALU_DEP_1)
	v_mul_f32_e32 v4, 0x2f800000, v3
	v_trunc_f32_e32 v4, v4
	s_delay_alu instid0(VALU_DEP_1) | instskip(SKIP_1) | instid1(VALU_DEP_2)
	v_fmac_f32_e32 v3, 0xcf800000, v4
	v_cvt_u32_f32_e32 v4, v4
	v_cvt_u32_f32_e32 v3, v3
	s_delay_alu instid0(VALU_DEP_2) | instskip(NEXT) | instid1(VALU_DEP_2)
	v_readfirstlane_b32 s5, v4
	v_readfirstlane_b32 s16, v3
	s_delay_alu instid0(VALU_DEP_2) | instskip(NEXT) | instid1(VALU_DEP_1)
	s_mul_i32 s19, s17, s5
	s_mul_hi_u32 s62, s17, s16
	s_mul_i32 s24, s18, s16
	s_add_i32 s19, s62, s19
	s_mul_i32 s63, s17, s16
	s_add_i32 s19, s19, s24
	s_mul_hi_u32 s62, s16, s63
	s_mul_hi_u32 s65, s5, s63
	s_mul_i32 s24, s5, s63
	s_mul_hi_u32 s63, s16, s19
	s_mul_i32 s16, s16, s19
	s_mul_hi_u32 s66, s5, s19
	s_add_u32 s16, s62, s16
	s_addc_u32 s62, 0, s63
	s_add_u32 s16, s16, s24
	s_mul_i32 s19, s5, s19
	s_addc_u32 s16, s62, s65
	s_addc_u32 s24, s66, 0
	s_add_u32 s16, s16, s19
	s_addc_u32 s19, 0, s24
	v_add_co_u32 v3, s16, v3, s16
	s_delay_alu instid0(VALU_DEP_1) | instskip(SKIP_1) | instid1(VALU_DEP_1)
	s_cmp_lg_u32 s16, 0
	s_addc_u32 s5, s5, s19
	v_readfirstlane_b32 s16, v3
	s_mul_i32 s19, s17, s5
	s_delay_alu instid0(VALU_DEP_1)
	s_mul_hi_u32 s24, s17, s16
	s_mul_i32 s18, s18, s16
	s_add_i32 s19, s24, s19
	s_mul_i32 s17, s17, s16
	s_add_i32 s19, s19, s18
	s_mul_hi_u32 s24, s5, s17
	s_mul_i32 s62, s5, s17
	s_mul_hi_u32 s17, s16, s17
	s_mul_hi_u32 s63, s16, s19
	s_mul_i32 s16, s16, s19
	s_mul_hi_u32 s18, s5, s19
	s_add_u32 s16, s17, s16
	s_addc_u32 s17, 0, s63
	s_add_u32 s16, s16, s62
	s_mul_i32 s19, s5, s19
	s_addc_u32 s16, s17, s24
	s_addc_u32 s17, s18, 0
	s_add_u32 s16, s16, s19
	s_addc_u32 s17, 0, s17
	v_add_co_u32 v3, s16, v3, s16
	s_delay_alu instid0(VALU_DEP_1) | instskip(SKIP_2) | instid1(VALU_DEP_1)
	s_cmp_lg_u32 s16, 0
	s_addc_u32 s5, s5, s17
	s_ashr_i32 s16, s25, 31
	v_readfirstlane_b32 s24, v3
	s_add_u32 s18, s75, s16
	s_mov_b32 s17, s16
	s_addc_u32 s19, s25, s16
	s_delay_alu instid0(SALU_CYCLE_1) | instskip(NEXT) | instid1(SALU_CYCLE_1)
	s_xor_b64 s[18:19], s[18:19], s[16:17]
	s_mul_i32 s62, s18, s5
	s_mul_hi_u32 s63, s18, s24
	s_mul_hi_u32 s17, s18, s5
	;; [unrolled: 1-line block ×3, first 2 shown]
	s_mul_i32 s24, s19, s24
	s_add_u32 s62, s63, s62
	s_addc_u32 s17, 0, s17
	s_mul_hi_u32 s65, s19, s5
	s_add_u32 s24, s62, s24
	s_mul_i32 s5, s19, s5
	s_addc_u32 s17, s17, s66
	s_addc_u32 s24, s65, 0
	s_add_u32 s5, s17, s5
	s_addc_u32 s17, 0, s24
	s_mul_hi_u32 s24, s27, s5
	s_mul_i32 s5, s27, s5
	s_mul_i32 s17, s27, s17
	v_sub_co_u32 v3, s5, s18, s5
	s_add_i32 s24, s24, s17
	s_cmp_lg_u32 s5, 0
	s_delay_alu instid0(VALU_DEP_1) | instskip(SKIP_2) | instid1(VALU_DEP_1)
	v_sub_co_u32 v4, s5, v3, s27
	s_subb_u32 s17, s19, s24
	s_cmp_lg_u32 s5, 0
	v_cmp_le_u32_e32 vcc_lo, s27, v4
	v_sub_co_u32 v5, s5, v4, s27
	s_subb_u32 s18, s17, 0
	s_cmp_lg_u32 s5, 0
	v_cndmask_b32_e64 v6, 0, -1, vcc_lo
	s_subb_u32 s5, s18, 0
	s_cmp_eq_u32 s18, 0
	v_mov_b32_e32 v8, s5
	s_cselect_b32 vcc_lo, -1, 0
	s_cmp_eq_u32 s17, 0
	v_cndmask_b32_e32 v6, -1, v6, vcc_lo
	v_cmp_le_u32_e32 vcc_lo, s27, v3
	s_cselect_b32 s5, -1, 0
	v_cndmask_b32_e64 v7, 0, -1, vcc_lo
	s_delay_alu instid0(VALU_DEP_3) | instskip(NEXT) | instid1(VALU_DEP_2)
	v_cmp_ne_u32_e32 vcc_lo, 0, v6
	v_cndmask_b32_e64 v6, -1, v7, s5
	v_cndmask_b32_e32 v4, v4, v5, vcc_lo
	v_cndmask_b32_e32 v7, s18, v8, vcc_lo
	s_delay_alu instid0(VALU_DEP_3) | instskip(NEXT) | instid1(VALU_DEP_3)
	v_cmp_ne_u32_e32 vcc_lo, 0, v6
	v_cndmask_b32_e32 v3, v3, v4, vcc_lo
	s_delay_alu instid0(VALU_DEP_3) | instskip(NEXT) | instid1(VALU_DEP_2)
	v_cndmask_b32_e32 v5, s17, v7, vcc_lo
	v_xor_b32_e32 v3, s16, v3
	s_delay_alu instid0(VALU_DEP_2) | instskip(NEXT) | instid1(VALU_DEP_2)
	v_xor_b32_e32 v4, s16, v5
	v_sub_co_u32 v3, vcc_lo, v3, s16
	s_delay_alu instid0(VALU_DEP_2)
	v_subrev_co_ci_u32_e32 v4, vcc_lo, s16, v4, vcc_lo
	s_cbranch_execnz .LBB28_181
.LBB28_180:                             ;   in Loop: Header=BB28_8 Depth=1
	v_cvt_f32_u32_e32 v3, s27
	s_sub_i32 s5, 0, s27
	s_delay_alu instid0(VALU_DEP_1) | instskip(SKIP_2) | instid1(VALU_DEP_1)
	v_rcp_iflag_f32_e32 v3, v3
	s_waitcnt_depctr 0xfff
	v_mul_f32_e32 v3, 0x4f7ffffe, v3
	v_cvt_u32_f32_e32 v3, v3
	s_delay_alu instid0(VALU_DEP_1) | instskip(NEXT) | instid1(VALU_DEP_1)
	v_mul_lo_u32 v4, s5, v3
	v_mul_hi_u32 v4, v3, v4
	s_delay_alu instid0(VALU_DEP_1) | instskip(NEXT) | instid1(VALU_DEP_1)
	v_add_nc_u32_e32 v3, v3, v4
	v_mul_hi_u32 v3, s75, v3
	s_delay_alu instid0(VALU_DEP_1) | instskip(NEXT) | instid1(VALU_DEP_1)
	v_mul_lo_u32 v3, v3, s27
	v_sub_nc_u32_e32 v3, s75, v3
	s_delay_alu instid0(VALU_DEP_1) | instskip(SKIP_1) | instid1(VALU_DEP_2)
	v_subrev_nc_u32_e32 v4, s27, v3
	v_cmp_le_u32_e32 vcc_lo, s27, v3
	v_cndmask_b32_e32 v3, v3, v4, vcc_lo
	s_delay_alu instid0(VALU_DEP_1) | instskip(SKIP_1) | instid1(VALU_DEP_2)
	v_subrev_nc_u32_e32 v4, s27, v3
	v_cmp_le_u32_e32 vcc_lo, s27, v3
	v_cndmask_b32_e32 v17, v3, v4, vcc_lo
	s_delay_alu instid0(VALU_DEP_1)
	v_dual_mov_b32 v3, v17 :: v_dual_mov_b32 v4, v18
.LBB28_181:                             ;   in Loop: Header=BB28_8 Depth=1
	s_delay_alu instid0(VALU_DEP_1) | instskip(NEXT) | instid1(VALU_DEP_2)
	v_sub_co_u32 v7, vcc_lo, s75, v3
	v_sub_co_ci_u32_e32 v8, vcc_lo, s25, v4, vcc_lo
	s_mov_b32 s16, 0
	s_mov_b32 s5, exec_lo
                                        ; implicit-def: $vgpr5_vgpr6
	s_delay_alu instid0(VALU_DEP_1)
	v_cmpx_gt_i64_e64 v[7:8], v[0:1]
	s_cbranch_execz .LBB28_194
; %bb.182:                              ;   in Loop: Header=BB28_8 Depth=1
	v_dual_mov_b32 v9, v15 :: v_dual_mov_b32 v10, v16
	v_dual_mov_b32 v12, v1 :: v_dual_mov_b32 v11, v0
	s_mov_b32 s17, 0
                                        ; implicit-def: $sgpr16
	s_set_inst_prefetch_distance 0x1
	s_branch .LBB28_184
	.p2align	6
.LBB28_183:                             ;   in Loop: Header=BB28_184 Depth=2
	s_or_b32 exec_lo, exec_lo, s18
	s_waitcnt vmcnt(0) lgkmcnt(0)
	s_barrier
	buffer_gl0_inv
	ds_load_b128 v[3:6], v18 offset:3072
	v_add_co_u32 v11, vcc_lo, v11, s27
	v_add_co_ci_u32_e32 v12, vcc_lo, 0, v12, vcc_lo
	s_waitcnt lgkmcnt(0)
	s_barrier
	buffer_gl0_inv
	v_cmp_ge_i64_e32 vcc_lo, v[11:12], v[7:8]
	v_readfirstlane_b32 s19, v4
	v_readfirstlane_b32 s18, v3
	s_delay_alu instid0(VALU_DEP_1) | instskip(SKIP_1) | instid1(SALU_CYCLE_1)
	s_cmp_lg_u64 s[18:19], 0
	s_cselect_b32 s18, -1, 0
	s_or_b32 s19, s18, vcc_lo
	v_add_co_u32 v9, vcc_lo, v9, s44
	s_and_b32 s19, exec_lo, s19
	v_add_co_ci_u32_e32 v10, vcc_lo, s45, v10, vcc_lo
	s_or_b32 s17, s19, s17
	s_and_not1_b32 s16, s16, exec_lo
	s_and_b32 s18, s18, exec_lo
	s_delay_alu instid0(SALU_CYCLE_1)
	s_or_b32 s16, s16, s18
	s_and_not1_b32 exec_lo, exec_lo, s17
	s_cbranch_execz .LBB28_193
.LBB28_184:                             ;   Parent Loop BB28_8 Depth=1
                                        ; =>  This Inner Loop Header: Depth=2
	s_delay_alu instid0(VALU_DEP_1)
	v_cmp_gt_i64_e32 vcc_lo, s[36:37], v[11:12]
	v_mov_b32_e32 v4, 0
	v_mov_b32_e32 v5, 0
	s_and_saveexec_b32 s18, vcc_lo
	s_cbranch_execz .LBB28_186
; %bb.185:                              ;   in Loop: Header=BB28_184 Depth=2
	global_load_b64 v[4:5], v[9:10], off
.LBB28_186:                             ;   in Loop: Header=BB28_184 Depth=2
	s_or_b32 exec_lo, exec_lo, s18
	s_and_saveexec_b32 s18, vcc_lo
	s_cbranch_execz .LBB28_183
; %bb.187:                              ;   in Loop: Header=BB28_184 Depth=2
	s_waitcnt vmcnt(0)
	v_xor_b32_e32 v3, 0x80000000, v5
	v_and_b32_e32 v13, s58, v4
	s_delay_alu instid0(VALU_DEP_2) | instskip(NEXT) | instid1(VALU_DEP_1)
	v_and_b32_e32 v14, s59, v3
	v_cmp_eq_u64_e32 vcc_lo, s[56:57], v[13:14]
	s_and_b32 exec_lo, exec_lo, vcc_lo
	s_cbranch_execz .LBB28_183
; %bb.188:                              ;   in Loop: Header=BB28_184 Depth=2
	v_mov_b32_e32 v3, v18
	ds_store_b128 v18, v[2:5] offset:3072
	s_branch .LBB28_183
.LBB28_189:                             ;   in Loop: Header=BB28_8 Depth=1
                                        ; implicit-def: $sgpr18
                                        ; implicit-def: $sgpr62
                                        ; implicit-def: $sgpr19
	s_branch .LBB28_208
.LBB28_190:                             ;   in Loop: Header=BB28_8 Depth=1
                                        ; implicit-def: $vgpr3_vgpr4
	s_branch .LBB28_133
.LBB28_191:                             ;   in Loop: Header=BB28_8 Depth=1
                                        ; implicit-def: $vgpr3_vgpr4
	s_branch .LBB28_150
.LBB28_192:                             ;   in Loop: Header=BB28_8 Depth=1
	s_mov_b32 s18, -1
	s_mov_b32 s16, 0
                                        ; implicit-def: $sgpr19
                                        ; implicit-def: $vgpr5_vgpr6
	s_mov_b32 s62, s18
	s_cbranch_execnz .LBB28_195
	s_branch .LBB28_208
.LBB28_193:                             ;   in Loop: Header=BB28_8 Depth=1
	s_set_inst_prefetch_distance 0x2
	s_or_b32 exec_lo, exec_lo, s17
	s_delay_alu instid0(SALU_CYCLE_1)
	s_and_b32 s16, s16, exec_lo
.LBB28_194:                             ;   in Loop: Header=BB28_8 Depth=1
	s_or_b32 exec_lo, exec_lo, s5
	s_mov_b32 s19, -1
	s_mov_b32 s18, 0
	s_delay_alu instid0(SALU_CYCLE_1)
	s_mov_b32 s62, s18
	s_branch .LBB28_208
.LBB28_195:                             ;   in Loop: Header=BB28_8 Depth=1
	s_add_u32 s18, s73, s14
	s_addc_u32 s17, s74, s15
	s_mov_b32 s16, s49
	s_delay_alu instid0(SALU_CYCLE_1)
	s_cmp_lg_u64 s[16:17], 0
	s_cbranch_scc0 .LBB28_238
; %bb.196:                              ;   in Loop: Header=BB28_8 Depth=1
	v_cvt_f32_u32_e32 v3, s27
	s_sub_u32 s19, 0, s27
	s_subb_u32 s24, 0, 0
	s_delay_alu instid0(VALU_DEP_1) | instskip(NEXT) | instid1(VALU_DEP_1)
	v_fmac_f32_e32 v3, 0x4f800000, v44
	v_rcp_f32_e32 v3, v3
	s_waitcnt_depctr 0xfff
	v_mul_f32_e32 v3, 0x5f7ffffc, v3
	s_delay_alu instid0(VALU_DEP_1) | instskip(NEXT) | instid1(VALU_DEP_1)
	v_mul_f32_e32 v4, 0x2f800000, v3
	v_trunc_f32_e32 v4, v4
	s_delay_alu instid0(VALU_DEP_1) | instskip(SKIP_1) | instid1(VALU_DEP_2)
	v_fmac_f32_e32 v3, 0xcf800000, v4
	v_cvt_u32_f32_e32 v4, v4
	v_cvt_u32_f32_e32 v3, v3
	s_delay_alu instid0(VALU_DEP_2) | instskip(NEXT) | instid1(VALU_DEP_2)
	v_readfirstlane_b32 s5, v4
	v_readfirstlane_b32 s16, v3
	s_delay_alu instid0(VALU_DEP_2) | instskip(NEXT) | instid1(VALU_DEP_1)
	s_mul_i32 s62, s19, s5
	s_mul_hi_u32 s65, s19, s16
	s_mul_i32 s63, s24, s16
	s_add_i32 s62, s65, s62
	s_mul_i32 s66, s19, s16
	s_add_i32 s62, s62, s63
	s_mul_hi_u32 s65, s16, s66
	s_mul_hi_u32 s67, s5, s66
	s_mul_i32 s63, s5, s66
	s_mul_hi_u32 s66, s16, s62
	s_mul_i32 s16, s16, s62
	s_mul_hi_u32 s68, s5, s62
	s_add_u32 s16, s65, s16
	s_addc_u32 s65, 0, s66
	s_add_u32 s16, s16, s63
	s_mul_i32 s62, s5, s62
	s_addc_u32 s16, s65, s67
	s_addc_u32 s63, s68, 0
	s_add_u32 s16, s16, s62
	s_addc_u32 s62, 0, s63
	v_add_co_u32 v3, s16, v3, s16
	s_delay_alu instid0(VALU_DEP_1) | instskip(SKIP_1) | instid1(VALU_DEP_1)
	s_cmp_lg_u32 s16, 0
	s_addc_u32 s5, s5, s62
	v_readfirstlane_b32 s16, v3
	s_mul_i32 s62, s19, s5
	s_delay_alu instid0(VALU_DEP_1)
	s_mul_hi_u32 s63, s19, s16
	s_mul_i32 s24, s24, s16
	s_add_i32 s62, s63, s62
	s_mul_i32 s19, s19, s16
	s_add_i32 s62, s62, s24
	s_mul_hi_u32 s63, s5, s19
	s_mul_i32 s65, s5, s19
	s_mul_hi_u32 s19, s16, s19
	s_mul_hi_u32 s66, s16, s62
	s_mul_i32 s16, s16, s62
	s_mul_hi_u32 s24, s5, s62
	s_add_u32 s16, s19, s16
	s_addc_u32 s19, 0, s66
	s_add_u32 s16, s16, s65
	s_mul_i32 s62, s5, s62
	s_addc_u32 s16, s19, s63
	s_addc_u32 s19, s24, 0
	s_add_u32 s16, s16, s62
	s_addc_u32 s19, 0, s19
	v_add_co_u32 v3, s16, v3, s16
	s_delay_alu instid0(VALU_DEP_1) | instskip(SKIP_2) | instid1(VALU_DEP_1)
	s_cmp_lg_u32 s16, 0
	s_addc_u32 s5, s5, s19
	s_ashr_i32 s62, s17, 31
	v_readfirstlane_b32 s16, v3
	s_add_u32 s66, s18, s62
	s_mov_b32 s63, s62
	s_addc_u32 s67, s17, s62
	s_delay_alu instid0(SALU_CYCLE_1) | instskip(NEXT) | instid1(SALU_CYCLE_1)
	s_xor_b64 s[66:67], s[66:67], s[62:63]
	s_mul_i32 s24, s66, s5
	s_mul_hi_u32 s63, s66, s16
	s_mul_hi_u32 s19, s66, s5
	s_mul_hi_u32 s68, s67, s16
	s_mul_i32 s16, s67, s16
	s_add_u32 s24, s63, s24
	s_addc_u32 s19, 0, s19
	s_mul_hi_u32 s65, s67, s5
	s_add_u32 s16, s24, s16
	s_mul_i32 s5, s67, s5
	s_addc_u32 s16, s19, s68
	s_addc_u32 s19, s65, 0
	s_add_u32 s5, s16, s5
	s_addc_u32 s16, 0, s19
	s_mul_hi_u32 s19, s27, s5
	s_mul_i32 s5, s27, s5
	s_mul_i32 s16, s27, s16
	v_sub_co_u32 v3, s5, s66, s5
	s_add_i32 s19, s19, s16
	s_cmp_lg_u32 s5, 0
	s_delay_alu instid0(VALU_DEP_1) | instskip(SKIP_2) | instid1(VALU_DEP_1)
	v_sub_co_u32 v4, s5, v3, s27
	s_subb_u32 s16, s67, s19
	s_cmp_lg_u32 s5, 0
	v_cmp_le_u32_e32 vcc_lo, s27, v4
	v_sub_co_u32 v5, s5, v4, s27
	s_subb_u32 s19, s16, 0
	s_cmp_lg_u32 s5, 0
	v_cndmask_b32_e64 v6, 0, -1, vcc_lo
	s_subb_u32 s5, s19, 0
	s_cmp_eq_u32 s19, 0
	v_mov_b32_e32 v8, s5
	s_cselect_b32 vcc_lo, -1, 0
	s_cmp_eq_u32 s16, 0
	v_cndmask_b32_e32 v6, -1, v6, vcc_lo
	v_cmp_le_u32_e32 vcc_lo, s27, v3
	s_cselect_b32 s5, -1, 0
	v_cndmask_b32_e64 v7, 0, -1, vcc_lo
	s_delay_alu instid0(VALU_DEP_3) | instskip(NEXT) | instid1(VALU_DEP_2)
	v_cmp_ne_u32_e32 vcc_lo, 0, v6
	v_cndmask_b32_e64 v6, -1, v7, s5
	v_cndmask_b32_e32 v4, v4, v5, vcc_lo
	v_cndmask_b32_e32 v7, s19, v8, vcc_lo
	s_delay_alu instid0(VALU_DEP_3) | instskip(NEXT) | instid1(VALU_DEP_3)
	v_cmp_ne_u32_e32 vcc_lo, 0, v6
	v_cndmask_b32_e32 v3, v3, v4, vcc_lo
	s_delay_alu instid0(VALU_DEP_3) | instskip(NEXT) | instid1(VALU_DEP_2)
	v_cndmask_b32_e32 v5, s16, v7, vcc_lo
	v_xor_b32_e32 v3, s62, v3
	s_delay_alu instid0(VALU_DEP_2) | instskip(NEXT) | instid1(VALU_DEP_2)
	v_xor_b32_e32 v4, s62, v5
	v_sub_co_u32 v3, vcc_lo, v3, s62
	s_delay_alu instid0(VALU_DEP_2)
	v_subrev_co_ci_u32_e32 v4, vcc_lo, s62, v4, vcc_lo
	s_cbranch_execnz .LBB28_198
.LBB28_197:                             ;   in Loop: Header=BB28_8 Depth=1
	v_cvt_f32_u32_e32 v3, s27
	s_sub_i32 s5, 0, s27
	s_delay_alu instid0(VALU_DEP_1) | instskip(SKIP_2) | instid1(VALU_DEP_1)
	v_rcp_iflag_f32_e32 v3, v3
	s_waitcnt_depctr 0xfff
	v_mul_f32_e32 v3, 0x4f7ffffe, v3
	v_cvt_u32_f32_e32 v3, v3
	s_delay_alu instid0(VALU_DEP_1) | instskip(NEXT) | instid1(VALU_DEP_1)
	v_mul_lo_u32 v4, s5, v3
	v_mul_hi_u32 v4, v3, v4
	s_delay_alu instid0(VALU_DEP_1) | instskip(NEXT) | instid1(VALU_DEP_1)
	v_add_nc_u32_e32 v3, v3, v4
	v_mul_hi_u32 v3, s18, v3
	s_delay_alu instid0(VALU_DEP_1) | instskip(NEXT) | instid1(VALU_DEP_1)
	v_mul_lo_u32 v3, v3, s27
	v_sub_nc_u32_e32 v3, s18, v3
	s_delay_alu instid0(VALU_DEP_1) | instskip(SKIP_1) | instid1(VALU_DEP_2)
	v_subrev_nc_u32_e32 v4, s27, v3
	v_cmp_le_u32_e32 vcc_lo, s27, v3
	v_cndmask_b32_e32 v3, v3, v4, vcc_lo
	s_delay_alu instid0(VALU_DEP_1) | instskip(SKIP_1) | instid1(VALU_DEP_2)
	v_subrev_nc_u32_e32 v4, s27, v3
	v_cmp_le_u32_e32 vcc_lo, s27, v3
	v_cndmask_b32_e32 v17, v3, v4, vcc_lo
	s_delay_alu instid0(VALU_DEP_1)
	v_dual_mov_b32 v3, v17 :: v_dual_mov_b32 v4, v18
.LBB28_198:                             ;   in Loop: Header=BB28_8 Depth=1
	s_delay_alu instid0(VALU_DEP_1) | instskip(NEXT) | instid1(VALU_DEP_2)
	v_sub_co_u32 v7, vcc_lo, s18, v3
	v_sub_co_ci_u32_e32 v8, vcc_lo, s17, v4, vcc_lo
	s_mov_b32 s16, 0
	s_mov_b32 s5, exec_lo
                                        ; implicit-def: $vgpr5_vgpr6
	s_delay_alu instid0(VALU_DEP_1)
	v_cmpx_gt_i64_e64 v[7:8], v[0:1]
	s_cbranch_execz .LBB28_207
; %bb.199:                              ;   in Loop: Header=BB28_8 Depth=1
	v_dual_mov_b32 v11, v35 :: v_dual_mov_b32 v10, v1
	v_mov_b32_e32 v9, v0
	s_mov_b32 s17, 0
                                        ; implicit-def: $sgpr16
	s_set_inst_prefetch_distance 0x1
	s_branch .LBB28_201
	.p2align	6
.LBB28_200:                             ;   in Loop: Header=BB28_201 Depth=2
	s_or_b32 exec_lo, exec_lo, s18
	s_waitcnt lgkmcnt(0)
	s_barrier
	buffer_gl0_inv
	ds_load_b128 v[3:6], v18 offset:3072
	v_add_co_u32 v9, vcc_lo, v9, s27
	v_add_co_ci_u32_e32 v10, vcc_lo, 0, v10, vcc_lo
	v_add_nc_u32_e32 v11, s81, v11
	s_waitcnt lgkmcnt(0)
	s_barrier
	s_delay_alu instid0(VALU_DEP_2) | instskip(SKIP_3) | instid1(VALU_DEP_1)
	v_cmp_ge_i64_e32 vcc_lo, v[9:10], v[7:8]
	buffer_gl0_inv
	v_readfirstlane_b32 s19, v4
	v_readfirstlane_b32 s18, v3
	s_cmp_lg_u64 s[18:19], 0
	s_cselect_b32 s18, -1, 0
	s_delay_alu instid0(SALU_CYCLE_1) | instskip(NEXT) | instid1(SALU_CYCLE_1)
	s_or_b32 s19, s18, vcc_lo
	s_and_b32 s19, exec_lo, s19
	s_delay_alu instid0(SALU_CYCLE_1) | instskip(SKIP_2) | instid1(SALU_CYCLE_1)
	s_or_b32 s17, s19, s17
	s_and_not1_b32 s16, s16, exec_lo
	s_and_b32 s18, s18, exec_lo
	s_or_b32 s16, s16, s18
	s_and_not1_b32 exec_lo, exec_lo, s17
	s_cbranch_execz .LBB28_206
.LBB28_201:                             ;   Parent Loop BB28_8 Depth=1
                                        ; =>  This Inner Loop Header: Depth=2
	s_delay_alu instid0(VALU_DEP_1)
	v_cmp_gt_i64_e32 vcc_lo, s[14:15], v[9:10]
	v_mov_b32_e32 v4, 0
	v_mov_b32_e32 v5, 0
	s_and_saveexec_b32 s18, vcc_lo
	s_cbranch_execz .LBB28_203
; %bb.202:                              ;   in Loop: Header=BB28_201 Depth=2
	ds_load_b64 v[4:5], v11
.LBB28_203:                             ;   in Loop: Header=BB28_201 Depth=2
	s_or_b32 exec_lo, exec_lo, s18
	s_and_saveexec_b32 s18, vcc_lo
	s_cbranch_execz .LBB28_200
; %bb.204:                              ;   in Loop: Header=BB28_201 Depth=2
	s_waitcnt lgkmcnt(0)
	v_xor_b32_e32 v3, 0x80000000, v5
	v_and_b32_e32 v12, s58, v4
	s_delay_alu instid0(VALU_DEP_2) | instskip(NEXT) | instid1(VALU_DEP_1)
	v_and_b32_e32 v13, s59, v3
	v_cmp_eq_u64_e32 vcc_lo, s[56:57], v[12:13]
	s_and_b32 exec_lo, exec_lo, vcc_lo
	s_cbranch_execz .LBB28_200
; %bb.205:                              ;   in Loop: Header=BB28_201 Depth=2
	v_mov_b32_e32 v3, v18
	ds_store_b128 v18, v[2:5] offset:3072
	s_branch .LBB28_200
.LBB28_206:                             ;   in Loop: Header=BB28_8 Depth=1
	s_set_inst_prefetch_distance 0x2
	s_or_b32 exec_lo, exec_lo, s17
	s_delay_alu instid0(SALU_CYCLE_1)
	s_and_b32 s16, s16, exec_lo
.LBB28_207:                             ;   in Loop: Header=BB28_8 Depth=1
	s_or_b32 exec_lo, exec_lo, s5
	s_mov_b32 s62, -1
	s_mov_b32 s18, 0
	s_mov_b32 s19, 0
.LBB28_208:                             ;   in Loop: Header=BB28_8 Depth=1
	s_mov_b32 s14, 0
                                        ; implicit-def: $sgpr5
	s_and_saveexec_b32 s63, s16
	s_cbranch_execz .LBB28_270
; %bb.209:                              ;   in Loop: Header=BB28_8 Depth=1
	s_xor_b32 s5, s64, -1
	s_delay_alu instid0(SALU_CYCLE_1)
	s_and_not1_b32 vcc_lo, exec_lo, s5
	s_mov_b32 s5, 1
	s_cbranch_vccnz .LBB28_220
; %bb.210:                              ;   in Loop: Header=BB28_8 Depth=1
	v_cmp_gt_i64_e64 s5, s[38:39], s[10:11]
	s_mov_b32 s24, -1
                                        ; implicit-def: $sgpr14_sgpr15
                                        ; implicit-def: $sgpr16_sgpr17
	s_delay_alu instid0(VALU_DEP_1)
	s_and_b32 vcc_lo, exec_lo, s5
                                        ; implicit-def: $sgpr5
	s_cbranch_vccnz .LBB28_216
; %bb.211:                              ;   in Loop: Header=BB28_8 Depth=1
	ds_load_b64 v[3:4], v18 offset:5120
	s_waitcnt lgkmcnt(0)
	v_cmp_ne_u64_e32 vcc_lo, 0, v[3:4]
	s_cbranch_vccnz .LBB28_215
; %bb.212:                              ;   in Loop: Header=BB28_8 Depth=1
	s_and_saveexec_b32 s5, s0
	s_cbranch_execz .LBB28_214
; %bb.213:                              ;   in Loop: Header=BB28_8 Depth=1
	v_dual_mov_b32 v3, s10 :: v_dual_mov_b32 v4, s11
	ds_store_b64 v18, v[3:4] offset:5128
.LBB28_214:                             ;   in Loop: Header=BB28_8 Depth=1
	s_or_b32 exec_lo, exec_lo, s5
	s_waitcnt lgkmcnt(0)
	s_barrier
	buffer_gl0_inv
.LBB28_215:                             ;   in Loop: Header=BB28_8 Depth=1
	s_lshl_b64 s[14:15], 2, s23
	s_and_b64 s[12:13], s[56:57], s[12:13]
	s_or_b64 s[16:17], s[58:59], s[8:9]
	s_or_b64 s[14:15], s[12:13], s[14:15]
	s_mov_b32 s24, 0
	s_mov_b32 s5, 8
.LBB28_216:                             ;   in Loop: Header=BB28_8 Depth=1
	s_and_not1_b32 vcc_lo, exec_lo, s24
	s_cbranch_vccnz .LBB28_218
; %bb.217:                              ;   in Loop: Header=BB28_8 Depth=1
	s_sub_u32 s38, s38, s10
	s_subb_u32 s39, s39, s11
	s_mov_b32 s24, -1
	s_mov_b32 s5, 0
	s_mov_b64 s[14:15], s[56:57]
	s_mov_b64 s[16:17], s[58:59]
.LBB28_218:                             ;   in Loop: Header=BB28_8 Depth=1
	s_delay_alu instid0(SALU_CYCLE_1)
	s_mov_b64 s[58:59], s[16:17]
	s_mov_b64 s[56:57], s[14:15]
	s_and_not1_b32 vcc_lo, exec_lo, s24
	s_mov_b32 s13, -1
	s_cbranch_vccz .LBB28_221
.LBB28_219:                             ;   in Loop: Header=BB28_8 Depth=1
                                        ; implicit-def: $sgpr15
                                        ; implicit-def: $sgpr17
                                        ; implicit-def: $sgpr16
	s_branch .LBB28_269
.LBB28_220:                             ;   in Loop: Header=BB28_8 Depth=1
	s_mov_b64 s[38:39], 1
	s_mov_b32 s13, -1
	s_cbranch_execnz .LBB28_219
.LBB28_221:                             ;   in Loop: Header=BB28_8 Depth=1
	s_cmp_eq_u64 s[6:7], 1
	s_mov_b32 s12, -1
	s_cselect_b32 s5, -1, 0
	s_cmp_eq_u64 s[38:39], 1
	s_cselect_b32 s10, -1, 0
	s_delay_alu instid0(SALU_CYCLE_1) | instskip(NEXT) | instid1(SALU_CYCLE_1)
	s_and_b32 s14, s5, s10
	s_and_b32 vcc_lo, exec_lo, s14
	s_cbranch_vccz .LBB28_236
; %bb.222:                              ;   in Loop: Header=BB28_8 Depth=1
	ds_load_b64 v[3:4], v18 offset:5120
	s_waitcnt lgkmcnt(0)
	s_barrier
	buffer_gl0_inv
	v_readfirstlane_b32 s10, v3
	v_readfirstlane_b32 s11, v4
	s_and_saveexec_b32 s5, s3
	s_cbranch_execz .LBB28_224
; %bb.223:                              ;   in Loop: Header=BB28_8 Depth=1
	v_mov_b32_e32 v17, v18
	ds_store_b64 v36, v[17:18]
.LBB28_224:                             ;   in Loop: Header=BB28_8 Depth=1
	s_or_b32 exec_lo, exec_lo, s5
	s_delay_alu instid0(VALU_DEP_1)
	v_cmp_gt_i64_e64 s5, s[10:11], 0
	s_or_b64 s[56:57], s[56:57], s[8:9]
	s_or_b64 s[58:59], s[58:59], s[8:9]
	s_waitcnt lgkmcnt(0)
	s_barrier
	buffer_gl0_inv
	s_and_b32 vcc_lo, exec_lo, s5
	s_cbranch_vccnz .LBB28_239
; %bb.225:                              ;   in Loop: Header=BB28_8 Depth=1
	s_mov_b32 s24, s49
	s_delay_alu instid0(SALU_CYCLE_1)
	s_cmp_lg_u64 s[24:25], 0
	s_cbranch_scc0 .LBB28_275
; %bb.226:                              ;   in Loop: Header=BB28_8 Depth=1
	v_cvt_f32_u32_e32 v3, s27
	s_sub_u32 s13, 0, s27
	s_subb_u32 s15, 0, 0
	s_delay_alu instid0(VALU_DEP_1) | instskip(NEXT) | instid1(VALU_DEP_1)
	v_fmac_f32_e32 v3, 0x4f800000, v44
	v_rcp_f32_e32 v3, v3
	s_waitcnt_depctr 0xfff
	v_mul_f32_e32 v3, 0x5f7ffffc, v3
	s_delay_alu instid0(VALU_DEP_1) | instskip(NEXT) | instid1(VALU_DEP_1)
	v_mul_f32_e32 v4, 0x2f800000, v3
	v_trunc_f32_e32 v4, v4
	s_delay_alu instid0(VALU_DEP_1) | instskip(SKIP_1) | instid1(VALU_DEP_2)
	v_fmac_f32_e32 v3, 0xcf800000, v4
	v_cvt_u32_f32_e32 v4, v4
	v_cvt_u32_f32_e32 v3, v3
	s_delay_alu instid0(VALU_DEP_2) | instskip(NEXT) | instid1(VALU_DEP_2)
	v_readfirstlane_b32 s5, v4
	v_readfirstlane_b32 s12, v3
	s_delay_alu instid0(VALU_DEP_2) | instskip(NEXT) | instid1(VALU_DEP_1)
	s_mul_i32 s16, s13, s5
	s_mul_hi_u32 s23, s13, s12
	s_mul_i32 s17, s15, s12
	s_add_i32 s16, s23, s16
	s_mul_i32 s24, s13, s12
	s_add_i32 s16, s16, s17
	s_mul_hi_u32 s23, s12, s24
	s_mul_hi_u32 s64, s5, s24
	s_mul_i32 s17, s5, s24
	s_mul_hi_u32 s24, s12, s16
	s_mul_i32 s12, s12, s16
	s_mul_hi_u32 s65, s5, s16
	s_add_u32 s12, s23, s12
	s_addc_u32 s23, 0, s24
	s_add_u32 s12, s12, s17
	s_mul_i32 s16, s5, s16
	s_addc_u32 s12, s23, s64
	s_addc_u32 s17, s65, 0
	s_add_u32 s12, s12, s16
	s_addc_u32 s16, 0, s17
	v_add_co_u32 v3, s12, v3, s12
	s_delay_alu instid0(VALU_DEP_1) | instskip(SKIP_1) | instid1(VALU_DEP_1)
	s_cmp_lg_u32 s12, 0
	s_addc_u32 s5, s5, s16
	v_readfirstlane_b32 s12, v3
	s_mul_i32 s16, s13, s5
	s_delay_alu instid0(VALU_DEP_1)
	s_mul_hi_u32 s17, s13, s12
	s_mul_i32 s15, s15, s12
	s_add_i32 s16, s17, s16
	s_mul_i32 s13, s13, s12
	s_add_i32 s16, s16, s15
	s_mul_hi_u32 s17, s5, s13
	s_mul_i32 s23, s5, s13
	s_mul_hi_u32 s13, s12, s13
	s_mul_hi_u32 s24, s12, s16
	s_mul_i32 s12, s12, s16
	s_mul_hi_u32 s15, s5, s16
	s_add_u32 s12, s13, s12
	s_addc_u32 s13, 0, s24
	s_add_u32 s12, s12, s23
	s_mul_i32 s16, s5, s16
	s_addc_u32 s12, s13, s17
	s_addc_u32 s13, s15, 0
	s_add_u32 s12, s12, s16
	s_addc_u32 s13, 0, s13
	v_add_co_u32 v3, s12, v3, s12
	s_delay_alu instid0(VALU_DEP_1) | instskip(SKIP_2) | instid1(VALU_DEP_1)
	s_cmp_lg_u32 s12, 0
	s_addc_u32 s5, s5, s13
	s_ashr_i32 s12, s25, 31
	v_readfirstlane_b32 s15, v3
	s_add_u32 s16, s75, s12
	s_mov_b32 s13, s12
	s_addc_u32 s17, s25, s12
	s_delay_alu instid0(SALU_CYCLE_1) | instskip(NEXT) | instid1(SALU_CYCLE_1)
	s_xor_b64 s[16:17], s[16:17], s[12:13]
	s_mul_i32 s23, s16, s5
	s_mul_hi_u32 s24, s16, s15
	s_mul_hi_u32 s13, s16, s5
	;; [unrolled: 1-line block ×3, first 2 shown]
	s_mul_i32 s15, s17, s15
	s_add_u32 s23, s24, s23
	s_addc_u32 s13, 0, s13
	s_mul_hi_u32 s64, s17, s5
	s_add_u32 s15, s23, s15
	s_mul_i32 s5, s17, s5
	s_addc_u32 s13, s13, s65
	s_addc_u32 s15, s64, 0
	s_add_u32 s5, s13, s5
	s_addc_u32 s13, 0, s15
	s_mul_hi_u32 s15, s27, s5
	s_mul_i32 s5, s27, s5
	s_mul_i32 s13, s27, s13
	v_sub_co_u32 v3, s5, s16, s5
	s_add_i32 s15, s15, s13
	s_cmp_lg_u32 s5, 0
	s_delay_alu instid0(VALU_DEP_1) | instskip(SKIP_2) | instid1(VALU_DEP_1)
	v_sub_co_u32 v4, s5, v3, s27
	s_subb_u32 s13, s17, s15
	s_cmp_lg_u32 s5, 0
	v_cmp_le_u32_e32 vcc_lo, s27, v4
	v_sub_co_u32 v5, s5, v4, s27
	s_subb_u32 s15, s13, 0
	s_cmp_lg_u32 s5, 0
	v_cndmask_b32_e64 v6, 0, -1, vcc_lo
	s_subb_u32 s5, s15, 0
	s_cmp_eq_u32 s15, 0
	v_mov_b32_e32 v8, s5
	s_cselect_b32 vcc_lo, -1, 0
	s_cmp_eq_u32 s13, 0
	v_cndmask_b32_e32 v6, -1, v6, vcc_lo
	v_cmp_le_u32_e32 vcc_lo, s27, v3
	s_cselect_b32 s5, -1, 0
	v_cndmask_b32_e64 v7, 0, -1, vcc_lo
	s_delay_alu instid0(VALU_DEP_3) | instskip(NEXT) | instid1(VALU_DEP_2)
	v_cmp_ne_u32_e32 vcc_lo, 0, v6
	v_cndmask_b32_e64 v6, -1, v7, s5
	v_cndmask_b32_e32 v4, v4, v5, vcc_lo
	v_cndmask_b32_e32 v7, s15, v8, vcc_lo
	s_delay_alu instid0(VALU_DEP_3) | instskip(NEXT) | instid1(VALU_DEP_3)
	v_cmp_ne_u32_e32 vcc_lo, 0, v6
	v_cndmask_b32_e32 v3, v3, v4, vcc_lo
	s_delay_alu instid0(VALU_DEP_3) | instskip(NEXT) | instid1(VALU_DEP_2)
	v_cndmask_b32_e32 v5, s13, v7, vcc_lo
	v_xor_b32_e32 v3, s12, v3
	s_delay_alu instid0(VALU_DEP_2) | instskip(NEXT) | instid1(VALU_DEP_2)
	v_xor_b32_e32 v4, s12, v5
	v_sub_co_u32 v3, vcc_lo, v3, s12
	s_delay_alu instid0(VALU_DEP_2)
	v_subrev_co_ci_u32_e32 v4, vcc_lo, s12, v4, vcc_lo
	s_cbranch_execnz .LBB28_228
.LBB28_227:                             ;   in Loop: Header=BB28_8 Depth=1
	v_cvt_f32_u32_e32 v3, s27
	s_sub_i32 s5, 0, s27
	s_delay_alu instid0(VALU_DEP_1) | instskip(SKIP_2) | instid1(VALU_DEP_1)
	v_rcp_iflag_f32_e32 v3, v3
	s_waitcnt_depctr 0xfff
	v_mul_f32_e32 v3, 0x4f7ffffe, v3
	v_cvt_u32_f32_e32 v3, v3
	s_delay_alu instid0(VALU_DEP_1) | instskip(NEXT) | instid1(VALU_DEP_1)
	v_mul_lo_u32 v4, s5, v3
	v_mul_hi_u32 v4, v3, v4
	s_delay_alu instid0(VALU_DEP_1) | instskip(NEXT) | instid1(VALU_DEP_1)
	v_add_nc_u32_e32 v3, v3, v4
	v_mul_hi_u32 v3, s75, v3
	s_delay_alu instid0(VALU_DEP_1) | instskip(NEXT) | instid1(VALU_DEP_1)
	v_mul_lo_u32 v3, v3, s27
	v_sub_nc_u32_e32 v3, s75, v3
	s_delay_alu instid0(VALU_DEP_1) | instskip(SKIP_1) | instid1(VALU_DEP_2)
	v_subrev_nc_u32_e32 v4, s27, v3
	v_cmp_le_u32_e32 vcc_lo, s27, v3
	v_cndmask_b32_e32 v3, v3, v4, vcc_lo
	s_delay_alu instid0(VALU_DEP_1) | instskip(SKIP_1) | instid1(VALU_DEP_2)
	v_subrev_nc_u32_e32 v4, s27, v3
	v_cmp_le_u32_e32 vcc_lo, s27, v3
	v_cndmask_b32_e32 v17, v3, v4, vcc_lo
	s_delay_alu instid0(VALU_DEP_1)
	v_dual_mov_b32 v3, v17 :: v_dual_mov_b32 v4, v18
.LBB28_228:                             ;   in Loop: Header=BB28_8 Depth=1
	s_delay_alu instid0(VALU_DEP_1) | instskip(NEXT) | instid1(VALU_DEP_2)
	v_sub_co_u32 v7, vcc_lo, s75, v3
	v_sub_co_ci_u32_e32 v8, vcc_lo, s25, v4, vcc_lo
	s_mov_b32 s12, 0
	s_mov_b32 s5, exec_lo
                                        ; implicit-def: $vgpr5_vgpr6
	s_delay_alu instid0(VALU_DEP_1)
	v_cmpx_gt_i64_e64 v[7:8], v[0:1]
	s_cbranch_execz .LBB28_241
; %bb.229:                              ;   in Loop: Header=BB28_8 Depth=1
	v_dual_mov_b32 v9, v15 :: v_dual_mov_b32 v10, v16
	v_dual_mov_b32 v12, v1 :: v_dual_mov_b32 v11, v0
	s_mov_b32 s13, 0
                                        ; implicit-def: $sgpr12
	s_set_inst_prefetch_distance 0x1
	s_branch .LBB28_231
	.p2align	6
.LBB28_230:                             ;   in Loop: Header=BB28_231 Depth=2
	s_or_b32 exec_lo, exec_lo, s15
	s_waitcnt vmcnt(0) lgkmcnt(0)
	s_barrier
	buffer_gl0_inv
	ds_load_b128 v[3:6], v18 offset:3072
	v_add_co_u32 v11, vcc_lo, v11, s27
	v_add_co_ci_u32_e32 v12, vcc_lo, 0, v12, vcc_lo
	s_waitcnt lgkmcnt(0)
	s_barrier
	buffer_gl0_inv
	v_cmp_ge_i64_e32 vcc_lo, v[11:12], v[7:8]
	v_readfirstlane_b32 s17, v4
	v_readfirstlane_b32 s16, v3
	s_delay_alu instid0(VALU_DEP_1) | instskip(SKIP_1) | instid1(SALU_CYCLE_1)
	s_cmp_lg_u64 s[16:17], 0
	s_cselect_b32 s15, -1, 0
	s_or_b32 s16, s15, vcc_lo
	v_add_co_u32 v9, vcc_lo, v9, s44
	s_and_b32 s16, exec_lo, s16
	v_add_co_ci_u32_e32 v10, vcc_lo, s45, v10, vcc_lo
	s_or_b32 s13, s16, s13
	s_and_not1_b32 s12, s12, exec_lo
	s_and_b32 s15, s15, exec_lo
	s_delay_alu instid0(SALU_CYCLE_1)
	s_or_b32 s12, s12, s15
	s_and_not1_b32 exec_lo, exec_lo, s13
	s_cbranch_execz .LBB28_240
.LBB28_231:                             ;   Parent Loop BB28_8 Depth=1
                                        ; =>  This Inner Loop Header: Depth=2
	s_delay_alu instid0(VALU_DEP_1)
	v_cmp_gt_i64_e32 vcc_lo, s[36:37], v[11:12]
	v_mov_b32_e32 v4, 0
	v_mov_b32_e32 v5, 0
	s_and_saveexec_b32 s15, vcc_lo
	s_cbranch_execz .LBB28_233
; %bb.232:                              ;   in Loop: Header=BB28_231 Depth=2
	global_load_b64 v[4:5], v[9:10], off
.LBB28_233:                             ;   in Loop: Header=BB28_231 Depth=2
	s_or_b32 exec_lo, exec_lo, s15
	s_and_saveexec_b32 s15, vcc_lo
	s_cbranch_execz .LBB28_230
; %bb.234:                              ;   in Loop: Header=BB28_231 Depth=2
	s_waitcnt vmcnt(0)
	v_xor_b32_e32 v3, 0x80000000, v5
	v_and_b32_e32 v13, s58, v4
	s_delay_alu instid0(VALU_DEP_2) | instskip(NEXT) | instid1(VALU_DEP_1)
	v_and_b32_e32 v14, s59, v3
	v_cmp_eq_u64_e32 vcc_lo, s[56:57], v[13:14]
	s_and_b32 exec_lo, exec_lo, vcc_lo
	s_cbranch_execz .LBB28_230
; %bb.235:                              ;   in Loop: Header=BB28_231 Depth=2
	v_mov_b32_e32 v3, v18
	ds_store_b128 v18, v[2:5] offset:3072
	s_branch .LBB28_230
.LBB28_236:                             ;   in Loop: Header=BB28_8 Depth=1
                                        ; implicit-def: $sgpr15
                                        ; implicit-def: $sgpr17
                                        ; implicit-def: $sgpr16
	s_branch .LBB28_255
.LBB28_237:                             ;   in Loop: Header=BB28_8 Depth=1
                                        ; implicit-def: $vgpr3_vgpr4
	s_branch .LBB28_180
.LBB28_238:                             ;   in Loop: Header=BB28_8 Depth=1
                                        ; implicit-def: $vgpr3_vgpr4
	s_branch .LBB28_197
.LBB28_239:                             ;   in Loop: Header=BB28_8 Depth=1
	s_mov_b32 s15, -1
	s_mov_b32 s12, 0
                                        ; implicit-def: $sgpr16
                                        ; implicit-def: $vgpr5_vgpr6
	s_mov_b32 s17, s15
	s_cbranch_execnz .LBB28_242
	s_branch .LBB28_255
.LBB28_240:                             ;   in Loop: Header=BB28_8 Depth=1
	s_set_inst_prefetch_distance 0x2
	s_or_b32 exec_lo, exec_lo, s13
	s_delay_alu instid0(SALU_CYCLE_1)
	s_and_b32 s12, s12, exec_lo
.LBB28_241:                             ;   in Loop: Header=BB28_8 Depth=1
	s_or_b32 exec_lo, exec_lo, s5
	s_mov_b32 s16, -1
	s_mov_b32 s15, 0
	s_delay_alu instid0(SALU_CYCLE_1)
	s_mov_b32 s17, s15
	s_branch .LBB28_255
.LBB28_242:                             ;   in Loop: Header=BB28_8 Depth=1
	s_add_u32 s15, s73, s10
	s_addc_u32 s13, s74, s11
	s_mov_b32 s12, s49
	s_delay_alu instid0(SALU_CYCLE_1)
	s_cmp_lg_u64 s[12:13], 0
	s_cbranch_scc0 .LBB28_276
; %bb.243:                              ;   in Loop: Header=BB28_8 Depth=1
	v_cvt_f32_u32_e32 v3, s27
	s_sub_u32 s16, 0, s27
	s_subb_u32 s17, 0, 0
	s_delay_alu instid0(VALU_DEP_1) | instskip(NEXT) | instid1(VALU_DEP_1)
	v_fmac_f32_e32 v3, 0x4f800000, v44
	v_rcp_f32_e32 v3, v3
	s_waitcnt_depctr 0xfff
	v_mul_f32_e32 v3, 0x5f7ffffc, v3
	s_delay_alu instid0(VALU_DEP_1) | instskip(NEXT) | instid1(VALU_DEP_1)
	v_mul_f32_e32 v4, 0x2f800000, v3
	v_trunc_f32_e32 v4, v4
	s_delay_alu instid0(VALU_DEP_1) | instskip(SKIP_1) | instid1(VALU_DEP_2)
	v_fmac_f32_e32 v3, 0xcf800000, v4
	v_cvt_u32_f32_e32 v4, v4
	v_cvt_u32_f32_e32 v3, v3
	s_delay_alu instid0(VALU_DEP_2) | instskip(NEXT) | instid1(VALU_DEP_2)
	v_readfirstlane_b32 s5, v4
	v_readfirstlane_b32 s12, v3
	s_delay_alu instid0(VALU_DEP_2) | instskip(NEXT) | instid1(VALU_DEP_1)
	s_mul_i32 s23, s16, s5
	s_mul_hi_u32 s64, s16, s12
	s_mul_i32 s24, s17, s12
	s_add_i32 s23, s64, s23
	s_mul_i32 s65, s16, s12
	s_add_i32 s23, s23, s24
	s_mul_hi_u32 s64, s12, s65
	s_mul_hi_u32 s66, s5, s65
	s_mul_i32 s24, s5, s65
	s_mul_hi_u32 s65, s12, s23
	s_mul_i32 s12, s12, s23
	s_mul_hi_u32 s67, s5, s23
	s_add_u32 s12, s64, s12
	s_addc_u32 s64, 0, s65
	s_add_u32 s12, s12, s24
	s_mul_i32 s23, s5, s23
	s_addc_u32 s12, s64, s66
	s_addc_u32 s24, s67, 0
	s_add_u32 s12, s12, s23
	s_addc_u32 s23, 0, s24
	v_add_co_u32 v3, s12, v3, s12
	s_delay_alu instid0(VALU_DEP_1) | instskip(SKIP_1) | instid1(VALU_DEP_1)
	s_cmp_lg_u32 s12, 0
	s_addc_u32 s5, s5, s23
	v_readfirstlane_b32 s12, v3
	s_mul_i32 s23, s16, s5
	s_delay_alu instid0(VALU_DEP_1)
	s_mul_hi_u32 s24, s16, s12
	s_mul_i32 s17, s17, s12
	s_add_i32 s23, s24, s23
	s_mul_i32 s16, s16, s12
	s_add_i32 s23, s23, s17
	s_mul_hi_u32 s24, s5, s16
	s_mul_i32 s64, s5, s16
	s_mul_hi_u32 s16, s12, s16
	s_mul_hi_u32 s65, s12, s23
	s_mul_i32 s12, s12, s23
	s_mul_hi_u32 s17, s5, s23
	s_add_u32 s12, s16, s12
	s_addc_u32 s16, 0, s65
	s_add_u32 s12, s12, s64
	s_mul_i32 s23, s5, s23
	s_addc_u32 s12, s16, s24
	s_addc_u32 s16, s17, 0
	s_add_u32 s12, s12, s23
	s_addc_u32 s16, 0, s16
	v_add_co_u32 v3, s12, v3, s12
	s_delay_alu instid0(VALU_DEP_1) | instskip(SKIP_2) | instid1(VALU_DEP_1)
	s_cmp_lg_u32 s12, 0
	s_addc_u32 s5, s5, s16
	s_ashr_i32 s16, s13, 31
	v_readfirstlane_b32 s12, v3
	s_add_u32 s64, s15, s16
	s_mov_b32 s17, s16
	s_addc_u32 s65, s13, s16
	s_delay_alu instid0(SALU_CYCLE_1) | instskip(NEXT) | instid1(SALU_CYCLE_1)
	s_xor_b64 s[64:65], s[64:65], s[16:17]
	s_mul_i32 s23, s64, s5
	s_mul_hi_u32 s24, s64, s12
	s_mul_hi_u32 s17, s64, s5
	;; [unrolled: 1-line block ×3, first 2 shown]
	s_mul_i32 s12, s65, s12
	s_add_u32 s23, s24, s23
	s_addc_u32 s17, 0, s17
	s_mul_hi_u32 s66, s65, s5
	s_add_u32 s12, s23, s12
	s_mul_i32 s5, s65, s5
	s_addc_u32 s12, s17, s67
	s_addc_u32 s17, s66, 0
	s_add_u32 s5, s12, s5
	s_addc_u32 s12, 0, s17
	s_mul_hi_u32 s17, s27, s5
	s_mul_i32 s5, s27, s5
	s_mul_i32 s12, s27, s12
	v_sub_co_u32 v3, s5, s64, s5
	s_add_i32 s17, s17, s12
	s_cmp_lg_u32 s5, 0
	s_delay_alu instid0(VALU_DEP_1) | instskip(SKIP_2) | instid1(VALU_DEP_1)
	v_sub_co_u32 v4, s5, v3, s27
	s_subb_u32 s12, s65, s17
	s_cmp_lg_u32 s5, 0
	v_cmp_le_u32_e32 vcc_lo, s27, v4
	v_sub_co_u32 v5, s5, v4, s27
	s_subb_u32 s17, s12, 0
	s_cmp_lg_u32 s5, 0
	v_cndmask_b32_e64 v6, 0, -1, vcc_lo
	s_subb_u32 s5, s17, 0
	s_cmp_eq_u32 s17, 0
	v_mov_b32_e32 v8, s5
	s_cselect_b32 vcc_lo, -1, 0
	s_cmp_eq_u32 s12, 0
	v_cndmask_b32_e32 v6, -1, v6, vcc_lo
	v_cmp_le_u32_e32 vcc_lo, s27, v3
	s_cselect_b32 s5, -1, 0
	v_cndmask_b32_e64 v7, 0, -1, vcc_lo
	s_delay_alu instid0(VALU_DEP_3) | instskip(NEXT) | instid1(VALU_DEP_2)
	v_cmp_ne_u32_e32 vcc_lo, 0, v6
	v_cndmask_b32_e64 v6, -1, v7, s5
	v_cndmask_b32_e32 v4, v4, v5, vcc_lo
	v_cndmask_b32_e32 v7, s17, v8, vcc_lo
	s_delay_alu instid0(VALU_DEP_3) | instskip(NEXT) | instid1(VALU_DEP_3)
	v_cmp_ne_u32_e32 vcc_lo, 0, v6
	v_cndmask_b32_e32 v3, v3, v4, vcc_lo
	s_delay_alu instid0(VALU_DEP_3) | instskip(NEXT) | instid1(VALU_DEP_2)
	v_cndmask_b32_e32 v5, s12, v7, vcc_lo
	v_xor_b32_e32 v3, s16, v3
	s_delay_alu instid0(VALU_DEP_2) | instskip(NEXT) | instid1(VALU_DEP_2)
	v_xor_b32_e32 v4, s16, v5
	v_sub_co_u32 v3, vcc_lo, v3, s16
	s_delay_alu instid0(VALU_DEP_2)
	v_subrev_co_ci_u32_e32 v4, vcc_lo, s16, v4, vcc_lo
	s_cbranch_execnz .LBB28_245
.LBB28_244:                             ;   in Loop: Header=BB28_8 Depth=1
	v_cvt_f32_u32_e32 v3, s27
	s_sub_i32 s5, 0, s27
	s_delay_alu instid0(VALU_DEP_1) | instskip(SKIP_2) | instid1(VALU_DEP_1)
	v_rcp_iflag_f32_e32 v3, v3
	s_waitcnt_depctr 0xfff
	v_mul_f32_e32 v3, 0x4f7ffffe, v3
	v_cvt_u32_f32_e32 v3, v3
	s_delay_alu instid0(VALU_DEP_1) | instskip(NEXT) | instid1(VALU_DEP_1)
	v_mul_lo_u32 v4, s5, v3
	v_mul_hi_u32 v4, v3, v4
	s_delay_alu instid0(VALU_DEP_1) | instskip(NEXT) | instid1(VALU_DEP_1)
	v_add_nc_u32_e32 v3, v3, v4
	v_mul_hi_u32 v3, s15, v3
	s_delay_alu instid0(VALU_DEP_1) | instskip(NEXT) | instid1(VALU_DEP_1)
	v_mul_lo_u32 v3, v3, s27
	v_sub_nc_u32_e32 v3, s15, v3
	s_delay_alu instid0(VALU_DEP_1) | instskip(SKIP_1) | instid1(VALU_DEP_2)
	v_subrev_nc_u32_e32 v4, s27, v3
	v_cmp_le_u32_e32 vcc_lo, s27, v3
	v_cndmask_b32_e32 v3, v3, v4, vcc_lo
	s_delay_alu instid0(VALU_DEP_1) | instskip(SKIP_1) | instid1(VALU_DEP_2)
	v_subrev_nc_u32_e32 v4, s27, v3
	v_cmp_le_u32_e32 vcc_lo, s27, v3
	v_cndmask_b32_e32 v17, v3, v4, vcc_lo
	s_delay_alu instid0(VALU_DEP_1)
	v_dual_mov_b32 v3, v17 :: v_dual_mov_b32 v4, v18
.LBB28_245:                             ;   in Loop: Header=BB28_8 Depth=1
	s_delay_alu instid0(VALU_DEP_1) | instskip(NEXT) | instid1(VALU_DEP_2)
	v_sub_co_u32 v7, vcc_lo, s15, v3
	v_sub_co_ci_u32_e32 v8, vcc_lo, s13, v4, vcc_lo
	s_mov_b32 s12, 0
	s_mov_b32 s5, exec_lo
                                        ; implicit-def: $vgpr5_vgpr6
	s_delay_alu instid0(VALU_DEP_1)
	v_cmpx_gt_i64_e64 v[7:8], v[0:1]
	s_cbranch_execz .LBB28_254
; %bb.246:                              ;   in Loop: Header=BB28_8 Depth=1
	v_dual_mov_b32 v11, v35 :: v_dual_mov_b32 v10, v1
	v_mov_b32_e32 v9, v0
	s_mov_b32 s13, 0
                                        ; implicit-def: $sgpr12
	s_set_inst_prefetch_distance 0x1
	s_branch .LBB28_248
	.p2align	6
.LBB28_247:                             ;   in Loop: Header=BB28_248 Depth=2
	s_or_b32 exec_lo, exec_lo, s15
	s_waitcnt lgkmcnt(0)
	s_barrier
	buffer_gl0_inv
	ds_load_b128 v[3:6], v18 offset:3072
	v_add_co_u32 v9, vcc_lo, v9, s27
	v_add_co_ci_u32_e32 v10, vcc_lo, 0, v10, vcc_lo
	v_add_nc_u32_e32 v11, s81, v11
	s_waitcnt lgkmcnt(0)
	s_barrier
	s_delay_alu instid0(VALU_DEP_2) | instskip(SKIP_3) | instid1(VALU_DEP_1)
	v_cmp_ge_i64_e32 vcc_lo, v[9:10], v[7:8]
	buffer_gl0_inv
	v_readfirstlane_b32 s17, v4
	v_readfirstlane_b32 s16, v3
	s_cmp_lg_u64 s[16:17], 0
	s_cselect_b32 s15, -1, 0
	s_delay_alu instid0(SALU_CYCLE_1) | instskip(NEXT) | instid1(SALU_CYCLE_1)
	s_or_b32 s16, s15, vcc_lo
	s_and_b32 s16, exec_lo, s16
	s_delay_alu instid0(SALU_CYCLE_1) | instskip(SKIP_2) | instid1(SALU_CYCLE_1)
	s_or_b32 s13, s16, s13
	s_and_not1_b32 s12, s12, exec_lo
	s_and_b32 s15, s15, exec_lo
	s_or_b32 s12, s12, s15
	s_and_not1_b32 exec_lo, exec_lo, s13
	s_cbranch_execz .LBB28_253
.LBB28_248:                             ;   Parent Loop BB28_8 Depth=1
                                        ; =>  This Inner Loop Header: Depth=2
	s_delay_alu instid0(VALU_DEP_1)
	v_cmp_gt_i64_e32 vcc_lo, s[10:11], v[9:10]
	v_mov_b32_e32 v4, 0
	v_mov_b32_e32 v5, 0
	s_and_saveexec_b32 s15, vcc_lo
	s_cbranch_execz .LBB28_250
; %bb.249:                              ;   in Loop: Header=BB28_248 Depth=2
	ds_load_b64 v[4:5], v11
.LBB28_250:                             ;   in Loop: Header=BB28_248 Depth=2
	s_or_b32 exec_lo, exec_lo, s15
	s_and_saveexec_b32 s15, vcc_lo
	s_cbranch_execz .LBB28_247
; %bb.251:                              ;   in Loop: Header=BB28_248 Depth=2
	s_waitcnt lgkmcnt(0)
	v_xor_b32_e32 v3, 0x80000000, v5
	v_and_b32_e32 v12, s58, v4
	s_delay_alu instid0(VALU_DEP_2) | instskip(NEXT) | instid1(VALU_DEP_1)
	v_and_b32_e32 v13, s59, v3
	v_cmp_eq_u64_e32 vcc_lo, s[56:57], v[12:13]
	s_and_b32 exec_lo, exec_lo, vcc_lo
	s_cbranch_execz .LBB28_247
; %bb.252:                              ;   in Loop: Header=BB28_248 Depth=2
	v_mov_b32_e32 v3, v18
	ds_store_b128 v18, v[2:5] offset:3072
	s_branch .LBB28_247
.LBB28_253:                             ;   in Loop: Header=BB28_8 Depth=1
	s_set_inst_prefetch_distance 0x2
	s_or_b32 exec_lo, exec_lo, s13
	s_delay_alu instid0(SALU_CYCLE_1)
	s_and_b32 s12, s12, exec_lo
.LBB28_254:                             ;   in Loop: Header=BB28_8 Depth=1
	s_or_b32 exec_lo, exec_lo, s5
	s_mov_b32 s17, -1
	s_mov_b32 s15, 0
	s_mov_b32 s16, 0
.LBB28_255:                             ;   in Loop: Header=BB28_8 Depth=1
	s_mov_b32 s13, 0
                                        ; implicit-def: $sgpr5
                                        ; implicit-def: $sgpr10_sgpr11
	s_and_saveexec_b32 s23, s12
	s_cbranch_execz .LBB28_268
; %bb.256:                              ;   in Loop: Header=BB28_8 Depth=1
	s_xor_b32 s5, s14, -1
	s_mov_b64 s[10:11], 1
	s_and_not1_b32 vcc_lo, exec_lo, s5
	s_mov_b32 s5, 1
	s_cbranch_vccnz .LBB28_267
; %bb.257:                              ;   in Loop: Header=BB28_8 Depth=1
	v_cmp_gt_i64_e64 s5, s[38:39], s[6:7]
	s_delay_alu instid0(VALU_DEP_1)
	s_and_b32 vcc_lo, exec_lo, s5
	s_cbranch_vccnz .LBB28_263
; %bb.258:                              ;   in Loop: Header=BB28_8 Depth=1
	ds_load_b64 v[3:4], v18 offset:5120
	s_waitcnt lgkmcnt(0)
	v_cmp_ne_u64_e32 vcc_lo, 0, v[3:4]
	s_cbranch_vccnz .LBB28_262
; %bb.259:                              ;   in Loop: Header=BB28_8 Depth=1
	s_and_saveexec_b32 s5, s0
	s_cbranch_execz .LBB28_261
; %bb.260:                              ;   in Loop: Header=BB28_8 Depth=1
	v_dual_mov_b32 v3, s6 :: v_dual_mov_b32 v4, s7
	ds_store_b64 v18, v[3:4] offset:5128
.LBB28_261:                             ;   in Loop: Header=BB28_8 Depth=1
	s_or_b32 exec_lo, exec_lo, s5
	s_waitcnt lgkmcnt(0)
	s_barrier
	buffer_gl0_inv
.LBB28_262:                             ;   in Loop: Header=BB28_8 Depth=1
	s_or_b64 s[12:13], s[56:57], s[8:9]
	s_or_b64 s[8:9], s[58:59], s[8:9]
	s_mov_b32 s10, 0
	s_mov_b32 s5, 8
	s_branch .LBB28_264
.LBB28_263:                             ;   in Loop: Header=BB28_8 Depth=1
	s_mov_b32 s10, -1
                                        ; implicit-def: $sgpr5
                                        ; implicit-def: $sgpr12_sgpr13
                                        ; implicit-def: $sgpr8_sgpr9
.LBB28_264:                             ;   in Loop: Header=BB28_8 Depth=1
	s_delay_alu instid0(SALU_CYCLE_1)
	s_and_not1_b32 vcc_lo, exec_lo, s10
	s_cbranch_vccnz .LBB28_266
; %bb.265:                              ;   in Loop: Header=BB28_8 Depth=1
	s_sub_u32 s38, s38, s6
	s_subb_u32 s39, s39, s7
	s_mov_b32 s5, 8
	s_mov_b64 s[12:13], s[56:57]
	s_mov_b64 s[8:9], s[58:59]
.LBB28_266:                             ;   in Loop: Header=BB28_8 Depth=1
	s_mov_b64 s[10:11], s[38:39]
	s_mov_b64 s[56:57], s[12:13]
	;; [unrolled: 1-line block ×3, first 2 shown]
.LBB28_267:                             ;   in Loop: Header=BB28_8 Depth=1
	s_mov_b32 s13, exec_lo
.LBB28_268:                             ;   in Loop: Header=BB28_8 Depth=1
	s_or_b32 exec_lo, exec_lo, s23
	s_mov_b64 s[38:39], s[10:11]
.LBB28_269:                             ;   in Loop: Header=BB28_8 Depth=1
	s_and_not1_b32 s6, s18, exec_lo
	s_and_b32 s7, s15, exec_lo
	s_and_not1_b32 s8, s19, exec_lo
	s_or_b32 s18, s6, s7
	s_and_not1_b32 s6, s62, exec_lo
	s_and_b32 s7, s17, exec_lo
	s_and_b32 s9, s16, exec_lo
	s_or_b32 s62, s6, s7
	s_or_b32 s19, s8, s9
	s_and_b32 s14, s13, exec_lo
.LBB28_270:                             ;   in Loop: Header=BB28_8 Depth=1
	s_or_b32 exec_lo, exec_lo, s63
.LBB28_271:                             ;   in Loop: Header=BB28_8 Depth=1
	s_delay_alu instid0(SALU_CYCLE_1)
	s_and_not1_b32 s6, s48, exec_lo
	s_and_b32 s7, s18, exec_lo
	s_and_not1_b32 s8, s21, exec_lo
	s_or_b32 s48, s6, s7
	s_and_not1_b32 s6, s60, exec_lo
	s_and_b32 s7, s62, exec_lo
	s_and_b32 s9, s19, exec_lo
	s_or_b32 s60, s6, s7
	s_or_b32 s21, s8, s9
	s_and_b32 s16, s14, exec_lo
.LBB28_272:                             ;   in Loop: Header=BB28_8 Depth=1
	s_or_b32 exec_lo, exec_lo, s61
	s_and_saveexec_b32 s6, s16
	s_delay_alu instid0(SALU_CYCLE_1)
	s_xor_b32 s6, exec_lo, s6
	s_cbranch_execz .LBB28_6
.LBB28_273:                             ;   in Loop: Header=BB28_8 Depth=1
	s_and_b32 s5, s5, -9
	s_delay_alu instid0(SALU_CYCLE_1)
	s_cmp_eq_u32 s5, 0
	s_cbranch_scc1 .LBB28_4
; %bb.274:                              ;   in Loop: Header=BB28_8 Depth=1
	s_mov_b32 s5, -1
	s_mov_b32 s7, -1
                                        ; implicit-def: $sgpr58_sgpr59
                                        ; implicit-def: $sgpr85
                                        ; implicit-def: $sgpr87
	s_branch .LBB28_5
.LBB28_275:                             ;   in Loop: Header=BB28_8 Depth=1
                                        ; implicit-def: $vgpr3_vgpr4
	s_branch .LBB28_227
.LBB28_276:                             ;   in Loop: Header=BB28_8 Depth=1
                                        ; implicit-def: $vgpr3_vgpr4
	s_branch .LBB28_244
.LBB28_277:
	s_or_b32 exec_lo, exec_lo, s82
	s_xor_b32 s5, s86, -1
	s_xor_b32 s2, s83, -1
	;; [unrolled: 1-line block ×3, first 2 shown]
	s_mov_b32 s3, 0
	s_and_saveexec_b32 s6, s2
	s_delay_alu instid0(SALU_CYCLE_1)
	s_xor_b32 s2, exec_lo, s6
	s_cbranch_execz .LBB28_300
; %bb.278:
	s_and_saveexec_b32 s3, s5
	s_delay_alu instid0(SALU_CYCLE_1)
	s_xor_b32 s3, exec_lo, s3
	s_cbranch_execz .LBB28_298
; %bb.279:
	s_and_saveexec_b32 s5, s4
	s_delay_alu instid0(SALU_CYCLE_1)
	s_xor_b32 s4, exec_lo, s5
; %bb.280:
	v_xor_b32_e32 v4, 0x80000000, v4
	s_delay_alu instid0(VALU_DEP_1)
	v_dual_mov_b32 v6, v4 :: v_dual_mov_b32 v5, v3
; %bb.281:
	s_or_b32 exec_lo, exec_lo, s4
	s_and_saveexec_b32 s4, s0
	s_cbranch_execz .LBB28_283
; %bb.282:
	v_dual_mov_b32 v2, 0 :: v_dual_mov_b32 v3, s36
	ds_store_b32 v2, v3 offset:5140
.LBB28_283:
	s_or_b32 exec_lo, exec_lo, s4
	s_waitcnt lgkmcnt(0)
	s_barrier
	buffer_gl0_inv
	s_and_saveexec_b32 s4, s1
	s_cbranch_execz .LBB28_295
; %bb.284:
	v_mov_b32_e32 v2, 0
	s_mov_b32 s5, 0
                                        ; implicit-def: $sgpr6
                                        ; implicit-def: $sgpr7
                                        ; implicit-def: $sgpr8
	ds_load_b32 v7, v2 offset:5140
	s_waitcnt lgkmcnt(0)
	v_ashrrev_i32_e32 v8, 31, v7
	s_set_inst_prefetch_distance 0x1
	s_branch .LBB28_287
	.p2align	6
.LBB28_285:                             ;   in Loop: Header=BB28_287 Depth=1
	s_or_b32 exec_lo, exec_lo, s11
	s_delay_alu instid0(SALU_CYCLE_1)
	s_and_not1_b32 s8, s8, exec_lo
	s_and_b32 s10, s10, exec_lo
	s_and_not1_b32 s7, s7, exec_lo
	s_and_b32 s1, s1, exec_lo
	s_or_b32 s8, s8, s10
	s_or_b32 s7, s7, s1
.LBB28_286:                             ;   in Loop: Header=BB28_287 Depth=1
	s_or_b32 exec_lo, exec_lo, s9
	s_delay_alu instid0(SALU_CYCLE_1) | instskip(NEXT) | instid1(SALU_CYCLE_1)
	s_and_b32 s1, exec_lo, s7
	s_or_b32 s5, s1, s5
	s_and_not1_b32 s1, s6, exec_lo
	s_and_b32 s6, s8, exec_lo
	s_delay_alu instid0(SALU_CYCLE_1)
	s_or_b32 s6, s1, s6
	s_and_not1_b32 exec_lo, exec_lo, s5
	s_cbranch_execz .LBB28_290
.LBB28_287:                             ; =>This Inner Loop Header: Depth=1
	v_dual_mov_b32 v3, v1 :: v_dual_mov_b32 v2, v0
	s_or_b32 s8, s8, exec_lo
	s_or_b32 s7, s7, exec_lo
	s_mov_b32 s9, exec_lo
                                        ; implicit-def: $vgpr0_vgpr1
	s_delay_alu instid0(VALU_DEP_1)
	v_cmpx_lt_i64_e64 v[2:3], v[7:8]
	s_cbranch_execz .LBB28_286
; %bb.288:                              ;   in Loop: Header=BB28_287 Depth=1
	global_load_b64 v[0:1], v[15:16], off
	s_mov_b32 s1, -1
	s_mov_b32 s10, 0
	s_waitcnt vmcnt(0)
	v_cmp_ne_u64_e32 vcc_lo, v[0:1], v[5:6]
                                        ; implicit-def: $vgpr0_vgpr1
	s_and_saveexec_b32 s11, vcc_lo
	s_cbranch_execz .LBB28_285
; %bb.289:                              ;   in Loop: Header=BB28_287 Depth=1
	v_add_co_u32 v0, vcc_lo, v2, s27
	v_add_co_ci_u32_e32 v1, vcc_lo, 0, v3, vcc_lo
	v_add_co_u32 v15, s1, v15, s44
	s_delay_alu instid0(VALU_DEP_1) | instskip(NEXT) | instid1(VALU_DEP_3)
	v_add_co_ci_u32_e64 v16, s1, s45, v16, s1
	v_cmp_le_i64_e32 vcc_lo, s[36:37], v[0:1]
	s_mov_b32 s10, exec_lo
	s_or_not1_b32 s1, vcc_lo, exec_lo
	s_branch .LBB28_285
.LBB28_290:
	s_set_inst_prefetch_distance 0x2
	s_or_b32 exec_lo, exec_lo, s5
	s_xor_b32 s1, s6, -1
	s_delay_alu instid0(SALU_CYCLE_1) | instskip(NEXT) | instid1(SALU_CYCLE_1)
	s_and_saveexec_b32 s5, s1
	s_xor_b32 s5, exec_lo, s5
	s_cbranch_execz .LBB28_295
; %bb.291:
	s_mov_b32 s5, exec_lo
	s_brev_b32 s1, -2
.LBB28_292:                             ; =>This Inner Loop Header: Depth=1
	s_ctz_i32_b32 s6, s5
	s_delay_alu instid0(SALU_CYCLE_1) | instskip(SKIP_1) | instid1(SALU_CYCLE_1)
	v_readlane_b32 s7, v2, s6
	s_lshl_b32 s6, 1, s6
	s_and_not1_b32 s5, s5, s6
	s_delay_alu instid0(VALU_DEP_1)
	s_min_i32 s1, s1, s7
	s_cmp_lg_u32 s5, 0
	s_cbranch_scc1 .LBB28_292
; %bb.293:
	v_mbcnt_lo_u32_b32 v0, exec_lo, 0
	s_mov_b32 s5, exec_lo
	s_delay_alu instid0(VALU_DEP_1)
	v_cmpx_eq_u32_e32 0, v0
	s_xor_b32 s5, exec_lo, s5
	s_cbranch_execz .LBB28_295
; %bb.294:
	v_dual_mov_b32 v0, 0 :: v_dual_mov_b32 v1, s1
	ds_min_i32 v0, v1 offset:5140
.LBB28_295:
	s_or_b32 exec_lo, exec_lo, s4
	s_waitcnt lgkmcnt(0)
	s_barrier
	buffer_gl0_inv
	s_and_saveexec_b32 s1, s0
	s_cbranch_execz .LBB28_297
; %bb.296:
	v_mov_b32_e32 v2, 0
	s_mul_i32 s0, s41, s26
	s_mul_hi_u32 s5, s40, s26
	s_mul_i32 s4, s40, s26
	s_add_i32 s5, s5, s0
	ds_load_b32 v0, v2 offset:5140
	s_mul_i32 s7, s35, s26
	s_mul_hi_u32 s8, s34, s26
	s_lshl_b64 s[4:5], s[4:5], 3
	s_mul_i32 s6, s34, s26
	s_add_i32 s7, s8, s7
	s_add_u32 s4, s30, s4
	s_addc_u32 s5, s31, s5
	s_lshl_b64 s[6:7], s[6:7], 3
	s_delay_alu instid0(SALU_CYCLE_1)
	s_add_u32 s6, s28, s6
	s_addc_u32 s7, s29, s7
	s_waitcnt lgkmcnt(0)
	v_ashrrev_i32_e32 v1, 31, v0
	s_clause 0x1
	global_store_b64 v2, v[0:1], s[6:7]
	global_store_b64 v2, v[5:6], s[4:5]
.LBB28_297:
	s_or_b32 exec_lo, exec_lo, s1
.LBB28_298:
	s_or_saveexec_b32 s0, s3
	s_mov_b32 s1, 0
	s_xor_b32 exec_lo, exec_lo, s0
	s_cbranch_execnz .LBB28_306
.LBB28_299:
	s_or_b32 exec_lo, exec_lo, s0
	s_delay_alu instid0(SALU_CYCLE_1)
	s_and_b32 s3, s1, exec_lo
.LBB28_300:
	s_and_not1_saveexec_b32 s0, s2
	s_cbranch_execnz .LBB28_304
; %bb.301:
	s_or_b32 exec_lo, exec_lo, s0
	s_and_saveexec_b32 s0, s3
.LBB28_302:
	; divergent unreachable
.LBB28_303:
	s_nop 0
	s_sendmsg sendmsg(MSG_DEALLOC_VGPRS)
	s_endpgm
.LBB28_304:
	s_cbranch_execnz .LBB28_308
; %bb.305:
	s_or_b32 s3, s3, exec_lo
	s_or_b32 exec_lo, exec_lo, s0
	s_and_saveexec_b32 s0, s3
	s_cbranch_execnz .LBB28_302
	s_branch .LBB28_303
.LBB28_306:
	s_cbranch_execnz .LBB28_310
; %bb.307:
	s_mov_b32 s1, exec_lo
	s_branch .LBB28_299
.LBB28_308:
	s_trap 2
	s_sendmsg_rtn_b32 s0, sendmsg(MSG_RTN_GET_DOORBELL)
	s_mov_b32 ttmp2, m0
	s_waitcnt lgkmcnt(0)
	s_and_b32 s0, s0, 0x3ff
	s_delay_alu instid0(SALU_CYCLE_1) | instskip(NEXT) | instid1(SALU_CYCLE_1)
	s_bitset1_b32 s0, 10
	s_mov_b32 m0, s0
	s_sendmsg sendmsg(MSG_INTERRUPT)
	s_mov_b32 m0, ttmp2
.LBB28_309:                             ; =>This Inner Loop Header: Depth=1
	s_sethalt 5
	s_branch .LBB28_309
.LBB28_310:
	s_trap 2
	s_sendmsg_rtn_b32 s0, sendmsg(MSG_RTN_GET_DOORBELL)
	s_mov_b32 ttmp2, m0
	s_waitcnt lgkmcnt(0)
	s_and_b32 s0, s0, 0x3ff
	s_delay_alu instid0(SALU_CYCLE_1) | instskip(NEXT) | instid1(SALU_CYCLE_1)
	s_bitset1_b32 s0, 10
	s_mov_b32 m0, s0
	s_sendmsg sendmsg(MSG_INTERRUPT)
	s_mov_b32 m0, ttmp2
.LBB28_311:                             ; =>This Inner Loop Header: Depth=1
	s_sethalt 5
	s_branch .LBB28_311
	.section	.rodata,"a",@progbits
	.p2align	6, 0x0
	.amdhsa_kernel _ZN2at6native12_GLOBAL__N_114gatherKthValueIllLi1EEEvNS_4cuda6detail10TensorInfoIKT_T0_EES8_S8_S8_S8_NS5_IS6_S8_EENS5_IlS8_EE
		.amdhsa_group_segment_fixed_size 5144
		.amdhsa_private_segment_fixed_size 0
		.amdhsa_kernarg_size 1536
		.amdhsa_user_sgpr_count 13
		.amdhsa_user_sgpr_dispatch_ptr 0
		.amdhsa_user_sgpr_queue_ptr 0
		.amdhsa_user_sgpr_kernarg_segment_ptr 1
		.amdhsa_user_sgpr_dispatch_id 0
		.amdhsa_user_sgpr_private_segment_size 0
		.amdhsa_wavefront_size32 1
		.amdhsa_uses_dynamic_stack 0
		.amdhsa_enable_private_segment 0
		.amdhsa_system_sgpr_workgroup_id_x 1
		.amdhsa_system_sgpr_workgroup_id_y 1
		.amdhsa_system_sgpr_workgroup_id_z 1
		.amdhsa_system_sgpr_workgroup_info 0
		.amdhsa_system_vgpr_workitem_id 0
		.amdhsa_next_free_vgpr 57
		.amdhsa_next_free_sgpr 96
		.amdhsa_reserve_vcc 1
		.amdhsa_float_round_mode_32 0
		.amdhsa_float_round_mode_16_64 0
		.amdhsa_float_denorm_mode_32 3
		.amdhsa_float_denorm_mode_16_64 3
		.amdhsa_dx10_clamp 1
		.amdhsa_ieee_mode 1
		.amdhsa_fp16_overflow 0
		.amdhsa_workgroup_processor_mode 1
		.amdhsa_memory_ordered 1
		.amdhsa_forward_progress 0
		.amdhsa_shared_vgpr_count 0
		.amdhsa_exception_fp_ieee_invalid_op 0
		.amdhsa_exception_fp_denorm_src 0
		.amdhsa_exception_fp_ieee_div_zero 0
		.amdhsa_exception_fp_ieee_overflow 0
		.amdhsa_exception_fp_ieee_underflow 0
		.amdhsa_exception_fp_ieee_inexact 0
		.amdhsa_exception_int_div_zero 0
	.end_amdhsa_kernel
	.section	.text._ZN2at6native12_GLOBAL__N_114gatherKthValueIllLi1EEEvNS_4cuda6detail10TensorInfoIKT_T0_EES8_S8_S8_S8_NS5_IS6_S8_EENS5_IlS8_EE,"axG",@progbits,_ZN2at6native12_GLOBAL__N_114gatherKthValueIllLi1EEEvNS_4cuda6detail10TensorInfoIKT_T0_EES8_S8_S8_S8_NS5_IS6_S8_EENS5_IlS8_EE,comdat
.Lfunc_end28:
	.size	_ZN2at6native12_GLOBAL__N_114gatherKthValueIllLi1EEEvNS_4cuda6detail10TensorInfoIKT_T0_EES8_S8_S8_S8_NS5_IS6_S8_EENS5_IlS8_EE, .Lfunc_end28-_ZN2at6native12_GLOBAL__N_114gatherKthValueIllLi1EEEvNS_4cuda6detail10TensorInfoIKT_T0_EES8_S8_S8_S8_NS5_IS6_S8_EENS5_IlS8_EE
                                        ; -- End function
	.section	.AMDGPU.csdata,"",@progbits
; Kernel info:
; codeLenInByte = 17244
; NumSgprs: 98
; NumVgprs: 57
; ScratchSize: 0
; MemoryBound: 0
; FloatMode: 240
; IeeeMode: 1
; LDSByteSize: 5144 bytes/workgroup (compile time only)
; SGPRBlocks: 12
; VGPRBlocks: 7
; NumSGPRsForWavesPerEU: 98
; NumVGPRsForWavesPerEU: 57
; Occupancy: 16
; WaveLimiterHint : 1
; COMPUTE_PGM_RSRC2:SCRATCH_EN: 0
; COMPUTE_PGM_RSRC2:USER_SGPR: 13
; COMPUTE_PGM_RSRC2:TRAP_HANDLER: 0
; COMPUTE_PGM_RSRC2:TGID_X_EN: 1
; COMPUTE_PGM_RSRC2:TGID_Y_EN: 1
; COMPUTE_PGM_RSRC2:TGID_Z_EN: 1
; COMPUTE_PGM_RSRC2:TIDIG_COMP_CNT: 0
	.section	.text._ZN2at6native12_GLOBAL__N_114gatherKthValueIllLi2EEEvNS_4cuda6detail10TensorInfoIKT_T0_EES8_S8_S8_S8_NS5_IS6_S8_EENS5_IlS8_EE,"axG",@progbits,_ZN2at6native12_GLOBAL__N_114gatherKthValueIllLi2EEEvNS_4cuda6detail10TensorInfoIKT_T0_EES8_S8_S8_S8_NS5_IS6_S8_EENS5_IlS8_EE,comdat
	.globl	_ZN2at6native12_GLOBAL__N_114gatherKthValueIllLi2EEEvNS_4cuda6detail10TensorInfoIKT_T0_EES8_S8_S8_S8_NS5_IS6_S8_EENS5_IlS8_EE ; -- Begin function _ZN2at6native12_GLOBAL__N_114gatherKthValueIllLi2EEEvNS_4cuda6detail10TensorInfoIKT_T0_EES8_S8_S8_S8_NS5_IS6_S8_EENS5_IlS8_EE
	.p2align	8
	.type	_ZN2at6native12_GLOBAL__N_114gatherKthValueIllLi2EEEvNS_4cuda6detail10TensorInfoIKT_T0_EES8_S8_S8_S8_NS5_IS6_S8_EENS5_IlS8_EE,@function
_ZN2at6native12_GLOBAL__N_114gatherKthValueIllLi2EEEvNS_4cuda6detail10TensorInfoIKT_T0_EES8_S8_S8_S8_NS5_IS6_S8_EENS5_IlS8_EE: ; @_ZN2at6native12_GLOBAL__N_114gatherKthValueIllLi2EEEvNS_4cuda6detail10TensorInfoIKT_T0_EES8_S8_S8_S8_NS5_IS6_S8_EENS5_IlS8_EE
; %bb.0:
	s_clause 0x1
	s_load_b64 s[10:11], s[0:1], 0x500
	s_load_b256 s[36:43], s[0:1], 0x1a0
	s_add_u32 s8, s0, 0x500
	s_addc_u32 s9, s1, 0
	s_mov_b32 s27, 0
	s_waitcnt lgkmcnt(0)
	s_mul_i32 s2, s11, s15
	s_delay_alu instid0(SALU_CYCLE_1) | instskip(NEXT) | instid1(SALU_CYCLE_1)
	s_add_i32 s2, s2, s14
	s_mul_i32 s2, s2, s10
	s_delay_alu instid0(SALU_CYCLE_1) | instskip(NEXT) | instid1(SALU_CYCLE_1)
	s_add_i32 s26, s2, s13
	v_cmp_ge_i64_e64 s2, s[26:27], s[40:41]
	s_delay_alu instid0(VALU_DEP_1)
	s_and_b32 vcc_lo, exec_lo, s2
	s_cbranch_vccnz .LBB29_315
; %bb.1:
	s_clause 0x1
	s_load_b64 s[14:15], s[0:1], 0x10
	s_load_b64 s[34:35], s[0:1], 0x1d0
	s_mov_b32 s2, s27
	s_waitcnt lgkmcnt(0)
	s_mov_b32 s3, s15
	s_delay_alu instid0(SALU_CYCLE_1)
	s_cmp_lg_u64 s[2:3], 0
	s_cbranch_scc0 .LBB29_299
; %bb.2:
	s_ashr_i32 s2, s15, 31
	s_delay_alu instid0(SALU_CYCLE_1) | instskip(SKIP_2) | instid1(SALU_CYCLE_1)
	s_add_u32 s4, s14, s2
	s_mov_b32 s3, s2
	s_addc_u32 s5, s15, s2
	s_xor_b64 s[4:5], s[4:5], s[2:3]
	s_delay_alu instid0(SALU_CYCLE_1) | instskip(SKIP_3) | instid1(VALU_DEP_1)
	v_cvt_f32_u32_e32 v1, s4
	v_cvt_f32_u32_e32 v2, s5
	s_sub_u32 s11, 0, s4
	s_subb_u32 s12, 0, s5
	v_fmamk_f32 v1, v2, 0x4f800000, v1
	s_delay_alu instid0(VALU_DEP_1) | instskip(SKIP_2) | instid1(VALU_DEP_1)
	v_rcp_f32_e32 v1, v1
	s_waitcnt_depctr 0xfff
	v_mul_f32_e32 v1, 0x5f7ffffc, v1
	v_mul_f32_e32 v2, 0x2f800000, v1
	s_delay_alu instid0(VALU_DEP_1) | instskip(NEXT) | instid1(VALU_DEP_1)
	v_trunc_f32_e32 v2, v2
	v_fmamk_f32 v1, v2, 0xcf800000, v1
	v_cvt_u32_f32_e32 v2, v2
	s_delay_alu instid0(VALU_DEP_2) | instskip(NEXT) | instid1(VALU_DEP_2)
	v_cvt_u32_f32_e32 v1, v1
	v_readfirstlane_b32 s6, v2
	s_delay_alu instid0(VALU_DEP_2) | instskip(NEXT) | instid1(VALU_DEP_2)
	v_readfirstlane_b32 s7, v1
	s_mul_i32 s16, s11, s6
	s_delay_alu instid0(VALU_DEP_1)
	s_mul_hi_u32 s18, s11, s7
	s_mul_i32 s17, s12, s7
	s_add_i32 s16, s18, s16
	s_mul_i32 s19, s11, s7
	s_add_i32 s16, s16, s17
	s_mul_hi_u32 s18, s7, s19
	s_mul_hi_u32 s20, s6, s19
	s_mul_i32 s17, s6, s19
	s_mul_hi_u32 s19, s7, s16
	s_mul_i32 s7, s7, s16
	s_mul_hi_u32 s21, s6, s16
	s_add_u32 s7, s18, s7
	s_addc_u32 s18, 0, s19
	s_add_u32 s7, s7, s17
	s_mul_i32 s16, s6, s16
	s_addc_u32 s7, s18, s20
	s_addc_u32 s17, s21, 0
	s_add_u32 s7, s7, s16
	s_addc_u32 s16, 0, s17
	v_add_co_u32 v1, s7, v1, s7
	s_delay_alu instid0(VALU_DEP_1) | instskip(SKIP_1) | instid1(VALU_DEP_1)
	s_cmp_lg_u32 s7, 0
	s_addc_u32 s6, s6, s16
	v_readfirstlane_b32 s7, v1
	s_mul_i32 s16, s11, s6
	s_delay_alu instid0(VALU_DEP_1)
	s_mul_hi_u32 s17, s11, s7
	s_mul_i32 s12, s12, s7
	s_add_i32 s16, s17, s16
	s_mul_i32 s11, s11, s7
	s_add_i32 s16, s16, s12
	s_mul_hi_u32 s17, s6, s11
	s_mul_i32 s18, s6, s11
	s_mul_hi_u32 s11, s7, s11
	s_mul_hi_u32 s19, s7, s16
	s_mul_i32 s7, s7, s16
	s_mul_hi_u32 s12, s6, s16
	s_add_u32 s7, s11, s7
	s_addc_u32 s11, 0, s19
	s_add_u32 s7, s7, s18
	s_mul_i32 s16, s6, s16
	s_addc_u32 s7, s11, s17
	s_addc_u32 s11, s12, 0
	s_add_u32 s7, s7, s16
	s_addc_u32 s11, 0, s11
	v_add_co_u32 v1, s7, v1, s7
	s_delay_alu instid0(VALU_DEP_1) | instskip(SKIP_2) | instid1(VALU_DEP_1)
	s_cmp_lg_u32 s7, 0
	s_addc_u32 s11, s6, s11
	s_ashr_i32 s6, 0, 31
	v_readfirstlane_b32 s12, v1
	s_add_u32 s16, s26, s6
	s_mov_b32 s7, s6
	s_addc_u32 s17, 0, s6
	s_delay_alu instid0(SALU_CYCLE_1) | instskip(NEXT) | instid1(SALU_CYCLE_1)
	s_xor_b64 s[16:17], s[16:17], s[6:7]
	s_mul_i32 s19, s16, s11
	s_mul_hi_u32 s20, s16, s12
	s_mul_hi_u32 s18, s16, s11
	;; [unrolled: 1-line block ×3, first 2 shown]
	s_mul_i32 s12, s17, s12
	s_add_u32 s19, s20, s19
	s_addc_u32 s18, 0, s18
	s_mul_hi_u32 s21, s17, s11
	s_add_u32 s12, s19, s12
	s_mul_i32 s11, s17, s11
	s_addc_u32 s12, s18, s22
	s_addc_u32 s18, s21, 0
	s_add_u32 s11, s12, s11
	s_addc_u32 s12, 0, s18
	s_mul_i32 s21, s4, s11
	s_mul_hi_u32 s18, s4, s11
	s_mul_i32 s20, s4, s12
	v_sub_co_u32 v1, s16, s16, s21
	s_mul_i32 s19, s5, s11
	s_add_i32 s18, s18, s20
	s_delay_alu instid0(SALU_CYCLE_1) | instskip(NEXT) | instid1(VALU_DEP_1)
	s_add_i32 s18, s18, s19
	v_sub_co_u32 v2, s20, v1, s4
	s_sub_i32 s19, s17, s18
	s_cmp_lg_u32 s16, 0
	s_subb_u32 s19, s19, s5
	s_cmp_lg_u32 s20, 0
	v_readfirstlane_b32 s20, v2
	s_subb_u32 s19, s19, 0
	s_delay_alu instid0(SALU_CYCLE_1) | instskip(SKIP_1) | instid1(VALU_DEP_1)
	s_cmp_ge_u32 s19, s5
	s_cselect_b32 s21, -1, 0
	s_cmp_ge_u32 s20, s4
	s_cselect_b32 s20, -1, 0
	s_cmp_eq_u32 s19, s5
	s_cselect_b32 s19, s20, s21
	s_add_u32 s20, s11, 1
	s_addc_u32 s21, s12, 0
	s_add_u32 s22, s11, 2
	s_addc_u32 s23, s12, 0
	s_cmp_lg_u32 s19, 0
	s_cselect_b32 s19, s22, s20
	s_cselect_b32 s20, s23, s21
	s_cmp_lg_u32 s16, 0
	v_readfirstlane_b32 s16, v1
	s_subb_u32 s17, s17, s18
	s_delay_alu instid0(SALU_CYCLE_1) | instskip(SKIP_1) | instid1(VALU_DEP_1)
	s_cmp_ge_u32 s17, s5
	s_cselect_b32 s18, -1, 0
	s_cmp_ge_u32 s16, s4
	s_cselect_b32 s4, -1, 0
	s_cmp_eq_u32 s17, s5
	s_cselect_b32 s4, s4, s18
	s_delay_alu instid0(SALU_CYCLE_1) | instskip(SKIP_3) | instid1(SALU_CYCLE_1)
	s_cmp_lg_u32 s4, 0
	s_cselect_b32 s5, s20, s12
	s_cselect_b32 s4, s19, s11
	s_xor_b64 s[6:7], s[6:7], s[2:3]
	s_xor_b64 s[4:5], s[4:5], s[6:7]
	s_delay_alu instid0(SALU_CYCLE_1)
	s_sub_u32 s16, s4, s6
	s_subb_u32 s17, s5, s7
	s_cbranch_execnz .LBB29_4
.LBB29_3:
	v_cvt_f32_u32_e32 v1, s14
	s_sub_i32 s3, 0, s14
	s_mov_b32 s17, 0
	s_delay_alu instid0(VALU_DEP_1) | instskip(SKIP_2) | instid1(VALU_DEP_1)
	v_rcp_iflag_f32_e32 v1, v1
	s_waitcnt_depctr 0xfff
	v_mul_f32_e32 v1, 0x4f7ffffe, v1
	v_cvt_u32_f32_e32 v1, v1
	s_delay_alu instid0(VALU_DEP_1) | instskip(NEXT) | instid1(VALU_DEP_1)
	v_readfirstlane_b32 s2, v1
	s_mul_i32 s3, s3, s2
	s_delay_alu instid0(SALU_CYCLE_1) | instskip(NEXT) | instid1(SALU_CYCLE_1)
	s_mul_hi_u32 s3, s2, s3
	s_add_i32 s2, s2, s3
	s_delay_alu instid0(SALU_CYCLE_1) | instskip(NEXT) | instid1(SALU_CYCLE_1)
	s_mul_hi_u32 s2, s26, s2
	s_mul_i32 s3, s2, s14
	s_add_i32 s4, s2, 1
	s_sub_i32 s3, s26, s3
	s_delay_alu instid0(SALU_CYCLE_1)
	s_sub_i32 s5, s3, s14
	s_cmp_ge_u32 s3, s14
	s_cselect_b32 s2, s4, s2
	s_cselect_b32 s3, s5, s3
	s_add_i32 s4, s2, 1
	s_cmp_ge_u32 s3, s14
	s_cselect_b32 s16, s4, s2
.LBB29_4:
	s_load_b64 s[40:41], s[0:1], 0x370
	s_mov_b32 s2, 0
	s_mov_b32 s3, s35
	s_delay_alu instid0(SALU_CYCLE_1)
	s_cmp_lg_u64 s[2:3], 0
	s_cbranch_scc0 .LBB29_300
; %bb.5:
	s_ashr_i32 s4, s35, 31
	s_delay_alu instid0(SALU_CYCLE_1) | instskip(SKIP_2) | instid1(SALU_CYCLE_1)
	s_add_u32 s6, s34, s4
	s_mov_b32 s5, s4
	s_addc_u32 s7, s35, s4
	s_xor_b64 s[6:7], s[6:7], s[4:5]
	s_delay_alu instid0(SALU_CYCLE_1) | instskip(SKIP_3) | instid1(VALU_DEP_1)
	v_cvt_f32_u32_e32 v1, s6
	v_cvt_f32_u32_e32 v2, s7
	s_sub_u32 s12, 0, s6
	s_subb_u32 s18, 0, s7
	v_fmamk_f32 v1, v2, 0x4f800000, v1
	s_delay_alu instid0(VALU_DEP_1) | instskip(SKIP_2) | instid1(VALU_DEP_1)
	v_rcp_f32_e32 v1, v1
	s_waitcnt_depctr 0xfff
	v_mul_f32_e32 v1, 0x5f7ffffc, v1
	v_mul_f32_e32 v2, 0x2f800000, v1
	s_delay_alu instid0(VALU_DEP_1) | instskip(NEXT) | instid1(VALU_DEP_1)
	v_trunc_f32_e32 v2, v2
	v_fmamk_f32 v1, v2, 0xcf800000, v1
	v_cvt_u32_f32_e32 v2, v2
	s_delay_alu instid0(VALU_DEP_2) | instskip(NEXT) | instid1(VALU_DEP_2)
	v_cvt_u32_f32_e32 v1, v1
	v_readfirstlane_b32 s3, v2
	s_delay_alu instid0(VALU_DEP_2) | instskip(NEXT) | instid1(VALU_DEP_2)
	v_readfirstlane_b32 s11, v1
	s_mul_i32 s19, s12, s3
	s_delay_alu instid0(VALU_DEP_1)
	s_mul_hi_u32 s21, s12, s11
	s_mul_i32 s20, s18, s11
	s_add_i32 s19, s21, s19
	s_mul_i32 s22, s12, s11
	s_add_i32 s19, s19, s20
	s_mul_hi_u32 s21, s11, s22
	s_mul_hi_u32 s23, s3, s22
	s_mul_i32 s20, s3, s22
	s_mul_hi_u32 s22, s11, s19
	s_mul_i32 s11, s11, s19
	s_mul_hi_u32 s24, s3, s19
	s_add_u32 s11, s21, s11
	s_addc_u32 s21, 0, s22
	s_add_u32 s11, s11, s20
	s_mul_i32 s19, s3, s19
	s_addc_u32 s11, s21, s23
	s_addc_u32 s20, s24, 0
	s_add_u32 s11, s11, s19
	s_addc_u32 s19, 0, s20
	v_add_co_u32 v1, s11, v1, s11
	s_delay_alu instid0(VALU_DEP_1) | instskip(SKIP_1) | instid1(VALU_DEP_1)
	s_cmp_lg_u32 s11, 0
	s_addc_u32 s3, s3, s19
	v_readfirstlane_b32 s11, v1
	s_mul_i32 s19, s12, s3
	s_delay_alu instid0(VALU_DEP_1)
	s_mul_hi_u32 s20, s12, s11
	s_mul_i32 s18, s18, s11
	s_add_i32 s19, s20, s19
	s_mul_i32 s12, s12, s11
	s_add_i32 s19, s19, s18
	s_mul_hi_u32 s20, s3, s12
	s_mul_i32 s21, s3, s12
	s_mul_hi_u32 s12, s11, s12
	s_mul_hi_u32 s22, s11, s19
	s_mul_i32 s11, s11, s19
	s_mul_hi_u32 s18, s3, s19
	s_add_u32 s11, s12, s11
	s_addc_u32 s12, 0, s22
	s_add_u32 s11, s11, s21
	s_mul_i32 s19, s3, s19
	s_addc_u32 s11, s12, s20
	s_addc_u32 s12, s18, 0
	s_add_u32 s11, s11, s19
	s_addc_u32 s12, 0, s12
	v_add_co_u32 v1, s11, v1, s11
	s_delay_alu instid0(VALU_DEP_1) | instskip(SKIP_2) | instid1(VALU_DEP_1)
	s_cmp_lg_u32 s11, 0
	s_addc_u32 s3, s3, s12
	s_ashr_i32 s18, 0, 31
	v_readfirstlane_b32 s11, v1
	s_add_u32 s20, s26, s18
	s_mov_b32 s19, s18
	s_addc_u32 s21, 0, s18
	s_delay_alu instid0(SALU_CYCLE_1) | instskip(NEXT) | instid1(SALU_CYCLE_1)
	s_xor_b64 s[20:21], s[20:21], s[18:19]
	s_mul_i32 s22, s20, s3
	s_mul_hi_u32 s23, s20, s11
	s_mul_hi_u32 s12, s20, s3
	;; [unrolled: 1-line block ×3, first 2 shown]
	s_mul_i32 s11, s21, s11
	s_add_u32 s22, s23, s22
	s_addc_u32 s12, 0, s12
	s_mul_hi_u32 s24, s21, s3
	s_add_u32 s11, s22, s11
	s_mul_i32 s3, s21, s3
	s_addc_u32 s11, s12, s25
	s_addc_u32 s12, s24, 0
	s_add_u32 s3, s11, s3
	s_addc_u32 s11, 0, s12
	s_mul_i32 s24, s6, s3
	s_mul_hi_u32 s12, s6, s3
	s_mul_i32 s23, s6, s11
	v_sub_co_u32 v1, s20, s20, s24
	s_mul_i32 s22, s7, s3
	s_add_i32 s12, s12, s23
	s_delay_alu instid0(SALU_CYCLE_1) | instskip(NEXT) | instid1(VALU_DEP_1)
	s_add_i32 s12, s12, s22
	v_sub_co_u32 v2, s23, v1, s6
	s_sub_i32 s22, s21, s12
	s_cmp_lg_u32 s20, 0
	s_subb_u32 s22, s22, s7
	s_cmp_lg_u32 s23, 0
	v_readfirstlane_b32 s23, v2
	s_subb_u32 s22, s22, 0
	s_delay_alu instid0(SALU_CYCLE_1) | instskip(SKIP_1) | instid1(VALU_DEP_1)
	s_cmp_ge_u32 s22, s7
	s_cselect_b32 s24, -1, 0
	s_cmp_ge_u32 s23, s6
	s_cselect_b32 s23, -1, 0
	s_cmp_eq_u32 s22, s7
	s_cselect_b32 s22, s23, s24
	s_add_u32 s23, s3, 1
	s_addc_u32 s24, s11, 0
	s_add_u32 s25, s3, 2
	s_addc_u32 s27, s11, 0
	s_cmp_lg_u32 s22, 0
	s_cselect_b32 s22, s25, s23
	s_cselect_b32 s23, s27, s24
	s_cmp_lg_u32 s20, 0
	v_readfirstlane_b32 s20, v1
	s_subb_u32 s12, s21, s12
	s_delay_alu instid0(SALU_CYCLE_1) | instskip(SKIP_1) | instid1(VALU_DEP_1)
	s_cmp_ge_u32 s12, s7
	s_cselect_b32 s21, -1, 0
	s_cmp_ge_u32 s20, s6
	s_cselect_b32 s6, -1, 0
	s_cmp_eq_u32 s12, s7
	s_cselect_b32 s6, s6, s21
	s_delay_alu instid0(SALU_CYCLE_1) | instskip(SKIP_3) | instid1(SALU_CYCLE_1)
	s_cmp_lg_u32 s6, 0
	s_cselect_b32 s7, s23, s11
	s_cselect_b32 s6, s22, s3
	s_xor_b64 s[4:5], s[18:19], s[4:5]
	s_xor_b64 s[6:7], s[6:7], s[4:5]
	s_delay_alu instid0(SALU_CYCLE_1)
	s_sub_u32 s48, s6, s4
	s_subb_u32 s49, s7, s5
	s_and_not1_b32 vcc_lo, exec_lo, s2
	s_cbranch_vccnz .LBB29_7
.LBB29_6:
	v_cvt_f32_u32_e32 v1, s34
	s_sub_i32 s3, 0, s34
	s_mov_b32 s49, 0
	s_delay_alu instid0(VALU_DEP_1) | instskip(SKIP_2) | instid1(VALU_DEP_1)
	v_rcp_iflag_f32_e32 v1, v1
	s_waitcnt_depctr 0xfff
	v_mul_f32_e32 v1, 0x4f7ffffe, v1
	v_cvt_u32_f32_e32 v1, v1
	s_delay_alu instid0(VALU_DEP_1) | instskip(NEXT) | instid1(VALU_DEP_1)
	v_readfirstlane_b32 s2, v1
	s_mul_i32 s3, s3, s2
	s_delay_alu instid0(SALU_CYCLE_1) | instskip(NEXT) | instid1(SALU_CYCLE_1)
	s_mul_hi_u32 s3, s2, s3
	s_add_i32 s2, s2, s3
	s_delay_alu instid0(SALU_CYCLE_1) | instskip(NEXT) | instid1(SALU_CYCLE_1)
	s_mul_hi_u32 s2, s26, s2
	s_mul_i32 s3, s2, s34
	s_add_i32 s4, s2, 1
	s_sub_i32 s3, s26, s3
	s_delay_alu instid0(SALU_CYCLE_1)
	s_sub_i32 s5, s3, s34
	s_cmp_ge_u32 s3, s34
	s_cselect_b32 s2, s4, s2
	s_cselect_b32 s3, s5, s3
	s_add_i32 s4, s2, 1
	s_cmp_ge_u32 s3, s34
	s_cselect_b32 s48, s4, s2
.LBB29_7:
	s_mov_b32 s2, 0
	s_waitcnt lgkmcnt(0)
	s_mov_b32 s3, s41
	s_delay_alu instid0(SALU_CYCLE_1)
	s_cmp_lg_u64 s[2:3], 0
	s_cbranch_scc0 .LBB29_301
; %bb.8:
	s_ashr_i32 s4, s41, 31
	s_delay_alu instid0(SALU_CYCLE_1) | instskip(SKIP_2) | instid1(SALU_CYCLE_1)
	s_add_u32 s6, s40, s4
	s_mov_b32 s5, s4
	s_addc_u32 s7, s41, s4
	s_xor_b64 s[6:7], s[6:7], s[4:5]
	s_delay_alu instid0(SALU_CYCLE_1) | instskip(SKIP_3) | instid1(VALU_DEP_1)
	v_cvt_f32_u32_e32 v1, s6
	v_cvt_f32_u32_e32 v2, s7
	s_sub_u32 s12, 0, s6
	s_subb_u32 s18, 0, s7
	v_fmamk_f32 v1, v2, 0x4f800000, v1
	s_delay_alu instid0(VALU_DEP_1) | instskip(SKIP_2) | instid1(VALU_DEP_1)
	v_rcp_f32_e32 v1, v1
	s_waitcnt_depctr 0xfff
	v_mul_f32_e32 v1, 0x5f7ffffc, v1
	v_mul_f32_e32 v2, 0x2f800000, v1
	s_delay_alu instid0(VALU_DEP_1) | instskip(NEXT) | instid1(VALU_DEP_1)
	v_trunc_f32_e32 v2, v2
	v_fmamk_f32 v1, v2, 0xcf800000, v1
	v_cvt_u32_f32_e32 v2, v2
	s_delay_alu instid0(VALU_DEP_2) | instskip(NEXT) | instid1(VALU_DEP_2)
	v_cvt_u32_f32_e32 v1, v1
	v_readfirstlane_b32 s3, v2
	s_delay_alu instid0(VALU_DEP_2) | instskip(NEXT) | instid1(VALU_DEP_2)
	v_readfirstlane_b32 s11, v1
	s_mul_i32 s19, s12, s3
	s_delay_alu instid0(VALU_DEP_1)
	s_mul_hi_u32 s21, s12, s11
	s_mul_i32 s20, s18, s11
	s_add_i32 s19, s21, s19
	s_mul_i32 s22, s12, s11
	s_add_i32 s19, s19, s20
	s_mul_hi_u32 s21, s11, s22
	s_mul_hi_u32 s23, s3, s22
	s_mul_i32 s20, s3, s22
	s_mul_hi_u32 s22, s11, s19
	s_mul_i32 s11, s11, s19
	s_mul_hi_u32 s24, s3, s19
	s_add_u32 s11, s21, s11
	s_addc_u32 s21, 0, s22
	s_add_u32 s11, s11, s20
	s_mul_i32 s19, s3, s19
	s_addc_u32 s11, s21, s23
	s_addc_u32 s20, s24, 0
	s_add_u32 s11, s11, s19
	s_addc_u32 s19, 0, s20
	v_add_co_u32 v1, s11, v1, s11
	s_delay_alu instid0(VALU_DEP_1) | instskip(SKIP_1) | instid1(VALU_DEP_1)
	s_cmp_lg_u32 s11, 0
	s_addc_u32 s3, s3, s19
	v_readfirstlane_b32 s11, v1
	s_mul_i32 s19, s12, s3
	s_delay_alu instid0(VALU_DEP_1)
	s_mul_hi_u32 s20, s12, s11
	s_mul_i32 s18, s18, s11
	s_add_i32 s19, s20, s19
	s_mul_i32 s12, s12, s11
	s_add_i32 s19, s19, s18
	s_mul_hi_u32 s20, s3, s12
	s_mul_i32 s21, s3, s12
	s_mul_hi_u32 s12, s11, s12
	s_mul_hi_u32 s22, s11, s19
	s_mul_i32 s11, s11, s19
	s_mul_hi_u32 s18, s3, s19
	s_add_u32 s11, s12, s11
	s_addc_u32 s12, 0, s22
	s_add_u32 s11, s11, s21
	s_mul_i32 s19, s3, s19
	s_addc_u32 s11, s12, s20
	s_addc_u32 s12, s18, 0
	s_add_u32 s11, s11, s19
	s_addc_u32 s12, 0, s12
	v_add_co_u32 v1, s11, v1, s11
	s_delay_alu instid0(VALU_DEP_1) | instskip(SKIP_2) | instid1(VALU_DEP_1)
	s_cmp_lg_u32 s11, 0
	s_addc_u32 s3, s3, s12
	s_ashr_i32 s18, 0, 31
	v_readfirstlane_b32 s11, v1
	s_add_u32 s20, s26, s18
	s_mov_b32 s19, s18
	s_addc_u32 s21, 0, s18
	s_delay_alu instid0(SALU_CYCLE_1) | instskip(NEXT) | instid1(SALU_CYCLE_1)
	s_xor_b64 s[20:21], s[20:21], s[18:19]
	s_mul_i32 s22, s20, s3
	s_mul_hi_u32 s23, s20, s11
	s_mul_hi_u32 s12, s20, s3
	;; [unrolled: 1-line block ×3, first 2 shown]
	s_mul_i32 s11, s21, s11
	s_add_u32 s22, s23, s22
	s_addc_u32 s12, 0, s12
	s_mul_hi_u32 s24, s21, s3
	s_add_u32 s11, s22, s11
	s_mul_i32 s3, s21, s3
	s_addc_u32 s11, s12, s25
	s_addc_u32 s12, s24, 0
	s_add_u32 s3, s11, s3
	s_addc_u32 s11, 0, s12
	s_mul_i32 s24, s6, s3
	s_mul_hi_u32 s12, s6, s3
	s_mul_i32 s23, s6, s11
	v_sub_co_u32 v1, s20, s20, s24
	s_mul_i32 s22, s7, s3
	s_add_i32 s12, s12, s23
	s_delay_alu instid0(SALU_CYCLE_1) | instskip(NEXT) | instid1(VALU_DEP_1)
	s_add_i32 s12, s12, s22
	v_sub_co_u32 v2, s23, v1, s6
	s_sub_i32 s22, s21, s12
	s_cmp_lg_u32 s20, 0
	s_subb_u32 s22, s22, s7
	s_cmp_lg_u32 s23, 0
	v_readfirstlane_b32 s23, v2
	s_subb_u32 s22, s22, 0
	s_delay_alu instid0(SALU_CYCLE_1) | instskip(SKIP_1) | instid1(VALU_DEP_1)
	s_cmp_ge_u32 s22, s7
	s_cselect_b32 s24, -1, 0
	s_cmp_ge_u32 s23, s6
	s_cselect_b32 s23, -1, 0
	s_cmp_eq_u32 s22, s7
	s_cselect_b32 s22, s23, s24
	s_add_u32 s23, s3, 1
	s_addc_u32 s24, s11, 0
	s_add_u32 s25, s3, 2
	s_addc_u32 s27, s11, 0
	s_cmp_lg_u32 s22, 0
	s_cselect_b32 s22, s25, s23
	s_cselect_b32 s23, s27, s24
	s_cmp_lg_u32 s20, 0
	v_readfirstlane_b32 s20, v1
	s_subb_u32 s12, s21, s12
	s_delay_alu instid0(SALU_CYCLE_1) | instskip(SKIP_1) | instid1(VALU_DEP_1)
	s_cmp_ge_u32 s12, s7
	s_cselect_b32 s21, -1, 0
	s_cmp_ge_u32 s20, s6
	s_cselect_b32 s6, -1, 0
	s_cmp_eq_u32 s12, s7
	s_cselect_b32 s6, s6, s21
	s_delay_alu instid0(SALU_CYCLE_1) | instskip(SKIP_3) | instid1(SALU_CYCLE_1)
	s_cmp_lg_u32 s6, 0
	s_cselect_b32 s7, s23, s11
	s_cselect_b32 s6, s22, s3
	s_xor_b64 s[4:5], s[18:19], s[4:5]
	s_xor_b64 s[6:7], s[6:7], s[4:5]
	s_delay_alu instid0(SALU_CYCLE_1)
	s_sub_u32 s50, s6, s4
	s_subb_u32 s51, s7, s5
	s_load_b64 s[18:19], s[0:1], 0x0
	s_and_not1_b32 vcc_lo, exec_lo, s2
	s_cbranch_vccnz .LBB29_10
.LBB29_9:
	v_cvt_f32_u32_e32 v1, s40
	s_sub_i32 s3, 0, s40
	s_mov_b32 s51, 0
	s_delay_alu instid0(VALU_DEP_1) | instskip(SKIP_2) | instid1(VALU_DEP_1)
	v_rcp_iflag_f32_e32 v1, v1
	s_waitcnt_depctr 0xfff
	v_mul_f32_e32 v1, 0x4f7ffffe, v1
	v_cvt_u32_f32_e32 v1, v1
	s_delay_alu instid0(VALU_DEP_1) | instskip(NEXT) | instid1(VALU_DEP_1)
	v_readfirstlane_b32 s2, v1
	s_mul_i32 s3, s3, s2
	s_delay_alu instid0(SALU_CYCLE_1) | instskip(NEXT) | instid1(SALU_CYCLE_1)
	s_mul_hi_u32 s3, s2, s3
	s_add_i32 s2, s2, s3
	s_delay_alu instid0(SALU_CYCLE_1) | instskip(NEXT) | instid1(SALU_CYCLE_1)
	s_mul_hi_u32 s2, s26, s2
	s_mul_i32 s3, s2, s40
	s_add_i32 s4, s2, 1
	s_sub_i32 s3, s26, s3
	s_delay_alu instid0(SALU_CYCLE_1)
	s_sub_i32 s5, s3, s40
	s_cmp_ge_u32 s3, s40
	s_cselect_b32 s2, s4, s2
	s_cselect_b32 s3, s5, s3
	s_add_i32 s4, s2, 1
	s_cmp_ge_u32 s3, s40
	s_cselect_b32 s50, s4, s2
.LBB29_10:
	s_clause 0x2
	s_load_b64 s[52:53], s[0:1], 0x360
	s_load_b64 s[54:55], s[0:1], 0x1c0
	s_load_b128 s[4:7], s[0:1], 0xd0
	v_cmp_eq_u32_e64 s2, 0, v0
	s_mov_b32 s57, 0
	s_delay_alu instid0(VALU_DEP_1)
	s_and_saveexec_b32 s3, s2
	s_cbranch_execz .LBB29_12
; %bb.11:
	v_dual_mov_b32 v1, 0 :: v_dual_mov_b32 v4, s37
	s_delay_alu instid0(VALU_DEP_1)
	v_dual_mov_b32 v3, s36 :: v_dual_mov_b32 v2, v1
	ds_store_b32 v1, v1 offset:5136
	ds_store_b128 v1, v[1:4] offset:5120
.LBB29_12:
	s_or_b32 exec_lo, exec_lo, s3
	v_mad_u64_u32 v[2:3], null, v0, s42, 0
	s_mul_i32 s3, s16, s15
	s_mul_hi_u32 s11, s16, s14
	s_mul_i32 s12, s16, s14
	s_add_i32 s3, s11, s3
	s_mul_i32 s11, s17, s14
	s_waitcnt lgkmcnt(0)
	s_mul_i32 s5, s16, s5
	s_add_i32 s3, s3, s11
	s_sub_u32 s11, s26, s12
	v_dual_mov_b32 v1, v3 :: v_dual_mov_b32 v18, 0
	s_mul_i32 s7, s11, s7
	s_mul_hi_u32 s12, s11, s6
	s_subb_u32 s3, 0, s3
	s_add_i32 s7, s12, s7
	s_mul_i32 s3, s3, s6
	s_mul_hi_u32 s12, s16, s4
	v_lshlrev_b32_e32 v38, 5, v0
	v_mad_u64_u32 v[3:4], null, v0, s43, v[1:2]
	s_add_i32 s7, s7, s3
	s_add_i32 s3, s12, s5
	s_mul_i32 s5, s17, s4
	s_mul_i32 s6, s11, s6
	s_add_i32 s5, s3, s5
	s_mul_i32 s4, s16, s4
	v_mbcnt_lo_u32_b32 v34, -1, 0
	v_or_b32_e32 v10, 16, v38
	s_lshl_b64 s[4:5], s[4:5], 3
	s_lshl_b64 s[6:7], s[6:7], 3
	s_clause 0x1
	s_load_b128 s[28:31], s[0:1], 0x430
	s_load_b128 s[44:47], s[0:1], 0x290
	s_add_u32 s0, s4, s6
	s_addc_u32 s1, s5, s7
	v_lshlrev_b64 v[4:5], 3, v[2:3]
	s_add_u32 s60, s18, s0
	v_cmp_gt_u32_e32 vcc_lo, 32, v0
	v_cmp_gt_i32_e64 s0, 4, v34
	v_mad_u64_u32 v[23:24], null, s42, v10, 0
	s_addc_u32 s61, s19, s1
	s_waitcnt lgkmcnt(0)
	s_barrier
	buffer_gl0_inv
	s_load_b32 s5, s[8:9], 0xc
	s_and_b32 s33, vcc_lo, s0
	v_add_co_u32 v15, vcc_lo, s60, v4
	v_add_co_ci_u32_e32 v16, vcc_lo, s61, v5, vcc_lo
	v_lshlrev_b64 v[4:5], v34, -1
	v_mov_b32_e32 v5, v24
	v_or_b32_e32 v9, 24, v38
	v_or_b32_e32 v11, 8, v38
	v_lshrrev_b32_e32 v6, 3, v0
	v_dual_mov_b32 v20, v18 :: v_dual_lshlrev_b32 v35, 3, v0
	s_delay_alu instid0(VALU_DEP_4)
	v_mad_u64_u32 v[21:22], null, s42, v9, 0
	v_lshlrev_b32_e32 v19, 2, v0
	v_mad_u64_u32 v[25:26], null, s42, v11, 0
	v_not_b32_e32 v39, v4
	v_and_b32_e32 v37, 0x7c, v6
	s_waitcnt lgkmcnt(0)
	s_and_b32 s27, s5, 0xffff
	v_mov_b32_e32 v4, v22
	s_bfe_u32 s6, s5, 0xb0005
	s_add_u32 s83, s27, -1
	v_mov_b32_e32 v6, v26
	s_addc_u32 s84, 0, -1
	v_mad_u64_u32 v[7:8], null, s43, v9, v[4:5]
	s_add_u32 s85, s83, s36
	s_addc_u32 s25, s84, s37
	s_cmp_lt_u32 s13, s10
	v_mad_u64_u32 v[8:9], null, s43, v10, v[5:6]
	s_cselect_b32 s7, 12, 18
	s_delay_alu instid0(VALU_DEP_2)
	v_mad_u64_u32 v[4:5], null, s43, v11, v[6:7]
	s_add_u32 s62, s8, s7
	v_dual_mov_b32 v1, v18 :: v_dual_add_nc_u32 v36, 0xc00, v35
	s_addc_u32 s63, s9, 0
	s_add_i32 s7, s6, -1
	s_bfe_u32 s86, s27, 0x30005
	s_cmp_gt_u32 s7, 6
	v_add_co_u32 v41, s7, s36, v0
	s_cselect_b32 s87, -1, 0
	s_and_b32 s88, s6, 0x7f8
	v_cmp_lt_i64_e64 s82, 0x180, s[36:37]
	v_cmp_gt_u64_e64 s4, s[36:37], v[0:1]
	v_cmp_gt_i64_e64 s0, s[36:37], v[0:1]
	s_cmp_lg_u32 s86, 0
	v_cmp_gt_u16_e64 s89, s5, 31
	v_dual_mov_b32 v22, v7 :: v_dual_mov_b32 v5, 0
	v_lshlrev_b64 v[26:27], 5, v[2:3]
	s_mul_i32 s5, s43, s27
	s_mul_hi_u32 s6, s42, s27
	v_cmp_eq_u32_e64 s1, 0, v34
	v_cmp_gt_u32_e64 s3, 2, v0
	v_mov_b32_e32 v24, v8
	v_mov_b32_e32 v40, v4
	v_add_co_ci_u32_e64 v42, null, s37, 0, s7
	v_lshl_or_b32 v43, v34, 3, 0xc00
	v_mov_b32_e32 v6, 0
	v_mov_b32_e32 v2, 1
	v_cvt_f32_ubyte0_e32 v44, 0
	s_cselect_b32 s90, -1, 0
	s_add_i32 s7, s6, s5
	s_mul_i32 s6, s42, s27
	s_lshl_b64 s[64:65], s[42:43], 3
	s_lshl_b64 s[66:67], s[42:43], 5
	s_lshl_b64 s[58:59], s[6:7], 3
	s_lshl_b32 s91, s27, 3
	s_mov_b32 s95, 62
	s_mov_b64 s[68:69], 0
	s_mov_b32 s92, 0
	s_mov_b32 s97, 0
	s_mov_b64 s[70:71], 0
                                        ; implicit-def: $sgpr93
                                        ; implicit-def: $sgpr96
                                        ; implicit-def: $sgpr94
                                        ; implicit-def: $sgpr99
                                        ; implicit-def: $sgpr100
                                        ; implicit-def: $sgpr98
	s_branch .LBB29_17
.LBB29_13:                              ;   in Loop: Header=BB29_17 Depth=1
	s_xor_b32 s97, s97, 1
	s_add_i32 s8, s95, -2
	s_cmp_eq_u32 s95, 0
	s_mov_b32 s5, 0
	s_cselect_b32 s7, -1, 0
	s_mov_b32 s95, s8
.LBB29_14:                              ;   in Loop: Header=BB29_17 Depth=1
	s_and_not1_b32 s8, s56, exec_lo
	s_and_b32 s5, s5, exec_lo
	s_and_not1_b32 s72, s72, exec_lo
	s_or_b32 s56, s8, s5
	s_and_not1_b32 s21, s21, exec_lo
	s_or_not1_b32 s20, s7, exec_lo
.LBB29_15:                              ;   in Loop: Header=BB29_17 Depth=1
	s_or_b32 exec_lo, exec_lo, s6
	s_delay_alu instid0(SALU_CYCLE_1)
	s_and_not1_b32 s5, s98, exec_lo
	s_and_b32 s6, s56, exec_lo
	s_and_not1_b32 s7, s99, exec_lo
	s_or_b32 s98, s5, s6
	s_and_not1_b32 s5, s100, exec_lo
	s_and_b32 s6, s72, exec_lo
	s_and_b32 s8, s21, exec_lo
	s_or_b32 s100, s5, s6
	s_or_b32 s99, s7, s8
	s_or_not1_b32 s56, s20, exec_lo
.LBB29_16:                              ;   in Loop: Header=BB29_17 Depth=1
	s_or_b32 exec_lo, exec_lo, s22
	s_delay_alu instid0(SALU_CYCLE_1)
	s_and_b32 s5, exec_lo, s56
	v_dual_mov_b32 v3, s68 :: v_dual_mov_b32 v4, s69
	s_or_b32 s92, s5, s92
	s_and_not1_b32 s5, s94, exec_lo
	s_and_b32 s6, s98, exec_lo
	s_and_not1_b32 s7, s93, exec_lo
	s_or_b32 s94, s5, s6
	s_and_not1_b32 s5, s96, exec_lo
	s_and_b32 s6, s100, exec_lo
	s_and_b32 s8, s99, exec_lo
	s_or_b32 s96, s5, s6
	s_or_b32 s93, s7, s8
	s_and_not1_b32 exec_lo, exec_lo, s92
	s_cbranch_execz .LBB29_286
.LBB29_17:                              ; =>This Loop Header: Depth=1
                                        ;     Child Loop BB29_25 Depth 2
                                        ;     Child Loop BB29_44 Depth 2
	;; [unrolled: 1-line block ×16, first 2 shown]
	ds_load_b128 v[7:10], v18 offset:5120
	s_waitcnt lgkmcnt(0)
	v_readfirstlane_b32 s73, v8
	v_readfirstlane_b32 s72, v7
	s_delay_alu instid0(VALU_DEP_1) | instskip(NEXT) | instid1(VALU_DEP_1)
	v_cmp_gt_i64_e64 s5, s[72:73], 0
	s_and_b32 vcc_lo, exec_lo, s5
	s_cbranch_vccnz .LBB29_51
; %bb.18:                               ;   in Loop: Header=BB29_17 Depth=1
	s_and_b32 vcc_lo, exec_lo, s82
	s_cbranch_vccz .LBB29_33
; %bb.19:                               ;   in Loop: Header=BB29_17 Depth=1
	v_cmp_gt_i64_e32 vcc_lo, 0x181, v[9:10]
	s_mov_b32 s7, 0
	s_mov_b32 s5, 0
	s_cbranch_vccz .LBB29_38
; %bb.20:                               ;   in Loop: Header=BB29_17 Depth=1
	v_mov_b32_e32 v3, 0
	v_mov_b32_e32 v4, 0
	s_and_saveexec_b32 s5, s4
	s_cbranch_execz .LBB29_22
; %bb.21:                               ;   in Loop: Header=BB29_17 Depth=1
	global_load_b64 v[3:4], v[15:16], off
.LBB29_22:                              ;   in Loop: Header=BB29_17 Depth=1
	s_or_b32 exec_lo, exec_lo, s5
	s_and_saveexec_b32 s8, s4
	s_cbranch_execz .LBB29_34
; %bb.23:                               ;   in Loop: Header=BB29_17 Depth=1
	global_load_u16 v11, v18, s[62:63]
	s_mov_b32 s11, 0
	s_waitcnt vmcnt(0)
	v_readfirstlane_b32 s5, v11
	s_delay_alu instid0(VALU_DEP_1) | instskip(NEXT) | instid1(SALU_CYCLE_1)
	s_and_b32 s5, 0xffff, s5
	v_add_nc_u32_e32 v12, s5, v0
	s_mul_i32 s6, s65, s5
	s_mul_hi_u32 s9, s64, s5
	s_mul_i32 s10, s64, s5
	s_add_i32 s9, s9, s6
	v_mad_u64_u32 v[7:8], null, s64, v12, s[60:61]
	s_delay_alu instid0(VALU_DEP_1) | instskip(NEXT) | instid1(VALU_DEP_1)
	v_mad_u64_u32 v[9:10], null, s65, v12, v[8:9]
	v_dual_mov_b32 v8, v9 :: v_dual_and_b32 v13, 0xffff, v11
	v_dual_mov_b32 v10, v1 :: v_dual_mov_b32 v9, v0
	s_branch .LBB29_25
.LBB29_24:                              ;   in Loop: Header=BB29_25 Depth=2
	s_or_b32 exec_lo, exec_lo, s6
	v_add_co_u32 v7, vcc_lo, v7, s10
	v_add_co_ci_u32_e32 v8, vcc_lo, s9, v8, vcc_lo
	s_waitcnt vmcnt(0)
	v_dual_mov_b32 v3, v11 :: v_dual_mov_b32 v4, v12
	s_and_not1_b32 exec_lo, exec_lo, s11
	s_cbranch_execz .LBB29_34
.LBB29_25:                              ;   Parent Loop BB29_17 Depth=1
                                        ; =>  This Inner Loop Header: Depth=2
	s_delay_alu instid0(VALU_DEP_1) | instskip(NEXT) | instid1(VALU_DEP_2)
	v_add_co_u32 v9, vcc_lo, v9, v13
	v_add_co_ci_u32_e32 v10, vcc_lo, 0, v10, vcc_lo
	v_mov_b32_e32 v11, 0
	v_mov_b32_e32 v12, 0
	s_mov_b32 s6, exec_lo
	s_delay_alu instid0(VALU_DEP_3)
	v_cmp_le_i64_e32 vcc_lo, s[36:37], v[9:10]
	v_cmpx_gt_i64_e64 s[36:37], v[9:10]
	s_cbranch_execz .LBB29_27
; %bb.26:                               ;   in Loop: Header=BB29_25 Depth=2
	global_load_b64 v[11:12], v[7:8], off
.LBB29_27:                              ;   in Loop: Header=BB29_25 Depth=2
	s_or_b32 exec_lo, exec_lo, s6
	s_waitcnt lgkmcnt(0)
	v_xor_b32_e32 v14, 0x80000000, v4
	v_and_b32_e32 v28, s70, v3
	s_delay_alu instid0(VALU_DEP_2) | instskip(NEXT) | instid1(VALU_DEP_1)
	v_dual_mov_b32 v14, 0 :: v_dual_and_b32 v29, s71, v14
	v_cmp_eq_u64_e64 s5, s[68:69], v[28:29]
	s_delay_alu instid0(VALU_DEP_1) | instskip(SKIP_1) | instid1(SALU_CYCLE_1)
	s_cmp_lg_u32 s5, 0
	s_cselect_b32 s6, -1, 0
	s_and_b32 s6, s1, s6
	s_delay_alu instid0(SALU_CYCLE_1)
	s_and_saveexec_b32 s12, s6
	s_cbranch_execz .LBB29_31
; %bb.28:                               ;   in Loop: Header=BB29_25 Depth=2
	s_mov_b32 s15, exec_lo
	s_bcnt1_i32_b32 s13, s5
	v_mbcnt_lo_u32_b32 v14, s15, 0
	s_mov_b32 s14, exec_lo
                                        ; implicit-def: $vgpr17
	s_delay_alu instid0(VALU_DEP_1)
	v_cmpx_eq_u32_e32 0, v14
	s_cbranch_execz .LBB29_30
; %bb.29:                               ;   in Loop: Header=BB29_25 Depth=2
	s_bcnt1_i32_b32 s6, s15
	s_delay_alu instid0(SALU_CYCLE_1) | instskip(NEXT) | instid1(SALU_CYCLE_1)
	s_mul_i32 s6, s13, s6
	v_mov_b32_e32 v17, s6
	ds_add_rtn_u32 v17, v18, v17 offset:5136
.LBB29_30:                              ;   in Loop: Header=BB29_25 Depth=2
	s_or_b32 exec_lo, exec_lo, s14
	s_waitcnt lgkmcnt(0)
	v_readfirstlane_b32 s6, v17
	s_delay_alu instid0(VALU_DEP_1)
	v_mad_u32_u24 v14, s13, v14, s6
.LBB29_31:                              ;   in Loop: Header=BB29_25 Depth=2
	s_or_b32 exec_lo, exec_lo, s12
	ds_bpermute_b32 v14, v18, v14
	s_and_b32 s6, exec_lo, vcc_lo
	s_delay_alu instid0(SALU_CYCLE_1)
	s_or_b32 s11, s6, s11
	s_and_saveexec_b32 s6, s5
	s_cbranch_execz .LBB29_24
; %bb.32:                               ;   in Loop: Header=BB29_25 Depth=2
	v_and_b32_e32 v17, s5, v39
	s_delay_alu instid0(VALU_DEP_1) | instskip(NEXT) | instid1(VALU_DEP_1)
	v_bcnt_u32_b32 v17, v17, 0
	v_lshlrev_b32_e32 v17, 3, v17
	s_waitcnt lgkmcnt(0)
	s_delay_alu instid0(VALU_DEP_1)
	v_lshl_add_u32 v14, v14, 3, v17
	ds_store_b64 v14, v[3:4]
	s_branch .LBB29_24
.LBB29_33:                              ;   in Loop: Header=BB29_17 Depth=1
	s_mov_b32 s7, -1
	s_mov_b32 s5, 0
	s_branch .LBB29_37
.LBB29_34:                              ;   in Loop: Header=BB29_17 Depth=1
	s_or_b32 exec_lo, exec_lo, s8
	s_waitcnt vmcnt(0) lgkmcnt(0)
	s_barrier
	buffer_gl0_inv
	s_and_saveexec_b32 s5, s2
	s_cbranch_execz .LBB29_36
; %bb.35:                               ;   in Loop: Header=BB29_17 Depth=1
	ds_load_b32 v3, v18 offset:5136
	s_waitcnt lgkmcnt(0)
	v_ashrrev_i32_e32 v4, 31, v3
	ds_store_b64 v18, v[3:4] offset:5120
.LBB29_36:                              ;   in Loop: Header=BB29_17 Depth=1
	s_or_b32 exec_lo, exec_lo, s5
	s_waitcnt lgkmcnt(0)
	s_mov_b32 s5, -1
	s_barrier
.LBB29_37:                              ;   in Loop: Header=BB29_17 Depth=1
                                        ; implicit-def: $sgpr72_sgpr73
.LBB29_38:                              ;   in Loop: Header=BB29_17 Depth=1
	s_and_b32 vcc_lo, exec_lo, s7
	s_cbranch_vccz .LBB29_49
; %bb.39:                               ;   in Loop: Header=BB29_17 Depth=1
	v_mov_b32_e32 v3, 0
	v_mov_b32_e32 v4, 0
	s_and_saveexec_b32 s5, s0
	s_cbranch_execz .LBB29_41
; %bb.40:                               ;   in Loop: Header=BB29_17 Depth=1
	global_load_b64 v[3:4], v[15:16], off
.LBB29_41:                              ;   in Loop: Header=BB29_17 Depth=1
	s_or_b32 exec_lo, exec_lo, s5
	s_and_saveexec_b32 s6, s0
	s_cbranch_execz .LBB29_46
; %bb.42:                               ;   in Loop: Header=BB29_17 Depth=1
	global_load_u16 v11, v18, s[62:63]
	s_mov_b32 s10, 0
	v_mov_b32_e32 v13, v35
	s_waitcnt vmcnt(0)
	v_readfirstlane_b32 s5, v11
	v_and_b32_e32 v14, 0xffff, v11
	s_delay_alu instid0(VALU_DEP_2) | instskip(NEXT) | instid1(SALU_CYCLE_1)
	s_and_b32 s5, 0xffff, s5
	v_add_nc_u32_e32 v12, s5, v0
	s_mul_i32 s8, s65, s5
	s_mul_hi_u32 s9, s64, s5
	s_lshl_b32 s7, s5, 3
	s_add_i32 s8, s9, s8
	v_mad_u64_u32 v[7:8], null, s64, v12, s[60:61]
	s_mul_i32 s9, s64, s5
	s_delay_alu instid0(VALU_DEP_1) | instskip(NEXT) | instid1(VALU_DEP_1)
	v_mad_u64_u32 v[9:10], null, s65, v12, v[8:9]
	v_mov_b32_e32 v8, v9
	v_dual_mov_b32 v10, v1 :: v_dual_mov_b32 v9, v0
	s_set_inst_prefetch_distance 0x1
	s_branch .LBB29_44
	.p2align	6
.LBB29_43:                              ;   in Loop: Header=BB29_44 Depth=2
	s_or_b32 exec_lo, exec_lo, s11
	s_delay_alu instid0(SALU_CYCLE_1)
	s_and_b32 s5, exec_lo, vcc_lo
	v_add_co_u32 v7, vcc_lo, v7, s9
	ds_store_b64 v13, v[3:4]
	s_waitcnt vmcnt(0)
	v_mov_b32_e32 v3, v11
	v_dual_mov_b32 v4, v12 :: v_dual_add_nc_u32 v13, s7, v13
	v_add_co_ci_u32_e32 v8, vcc_lo, s8, v8, vcc_lo
	s_or_b32 s10, s5, s10
	s_delay_alu instid0(SALU_CYCLE_1)
	s_and_not1_b32 exec_lo, exec_lo, s10
	s_cbranch_execz .LBB29_46
.LBB29_44:                              ;   Parent Loop BB29_17 Depth=1
                                        ; =>  This Inner Loop Header: Depth=2
	s_delay_alu instid0(VALU_DEP_1) | instskip(NEXT) | instid1(VALU_DEP_2)
	v_add_co_u32 v9, vcc_lo, v9, v14
	v_add_co_ci_u32_e32 v10, vcc_lo, 0, v10, vcc_lo
	v_mov_b32_e32 v11, 0
	v_mov_b32_e32 v12, 0
	s_mov_b32 s11, exec_lo
	s_delay_alu instid0(VALU_DEP_3)
	v_cmp_le_i64_e32 vcc_lo, s[36:37], v[9:10]
	v_cmpx_gt_i64_e64 s[36:37], v[9:10]
	s_cbranch_execz .LBB29_43
; %bb.45:                               ;   in Loop: Header=BB29_44 Depth=2
	global_load_b64 v[11:12], v[7:8], off
	s_branch .LBB29_43
.LBB29_46:                              ;   in Loop: Header=BB29_17 Depth=1
	s_set_inst_prefetch_distance 0x2
	s_or_b32 exec_lo, exec_lo, s6
	s_waitcnt vmcnt(0) lgkmcnt(0)
	s_barrier
	buffer_gl0_inv
	s_and_saveexec_b32 s5, s2
	s_cbranch_execz .LBB29_48
; %bb.47:                               ;   in Loop: Header=BB29_17 Depth=1
	v_dual_mov_b32 v3, s36 :: v_dual_mov_b32 v4, s37
	ds_store_b64 v18, v[3:4] offset:5120
.LBB29_48:                              ;   in Loop: Header=BB29_17 Depth=1
	s_or_b32 exec_lo, exec_lo, s5
	s_mov_b32 s5, -1
	s_waitcnt lgkmcnt(0)
	s_barrier
                                        ; implicit-def: $sgpr72_sgpr73
.LBB29_49:                              ;   in Loop: Header=BB29_17 Depth=1
	s_and_b32 vcc_lo, exec_lo, s5
	s_cbranch_vccz .LBB29_51
; %bb.50:                               ;   in Loop: Header=BB29_17 Depth=1
	buffer_gl0_inv
	ds_load_b64 v[3:4], v18 offset:5120
	s_waitcnt lgkmcnt(0)
	v_readfirstlane_b32 s72, v3
.LBB29_51:                              ;   in Loop: Header=BB29_17 Depth=1
	s_delay_alu instid0(VALU_DEP_1)
	s_cmp_lt_i32 s72, 1
	s_cbranch_scc0 .LBB29_66
; %bb.52:                               ;   in Loop: Header=BB29_17 Depth=1
	global_load_u16 v9, v18, s[62:63]
	s_mov_b32 s6, s57
	s_mov_b32 s7, s37
	s_waitcnt vmcnt(0)
	v_readfirstlane_b32 s5, v9
	s_delay_alu instid0(VALU_DEP_1) | instskip(NEXT) | instid1(SALU_CYCLE_1)
	s_and_b32 s5, 0xffff, s5
	s_lshl_b32 s56, s5, 2
	s_cmp_lg_u64 s[6:7], 0
	s_cbranch_scc0 .LBB29_86
; %bb.53:                               ;   in Loop: Header=BB29_17 Depth=1
	v_cvt_f32_u32_e32 v3, s56
	s_sub_u32 s7, 0, s56
	s_subb_u32 s8, 0, 0
	s_delay_alu instid0(VALU_DEP_1) | instskip(NEXT) | instid1(VALU_DEP_1)
	v_fmac_f32_e32 v3, 0x4f800000, v44
	v_rcp_f32_e32 v3, v3
	s_waitcnt_depctr 0xfff
	v_mul_f32_e32 v3, 0x5f7ffffc, v3
	s_delay_alu instid0(VALU_DEP_1) | instskip(NEXT) | instid1(VALU_DEP_1)
	v_mul_f32_e32 v4, 0x2f800000, v3
	v_trunc_f32_e32 v4, v4
	s_delay_alu instid0(VALU_DEP_1) | instskip(SKIP_1) | instid1(VALU_DEP_2)
	v_fmac_f32_e32 v3, 0xcf800000, v4
	v_cvt_u32_f32_e32 v4, v4
	v_cvt_u32_f32_e32 v3, v3
	s_delay_alu instid0(VALU_DEP_2) | instskip(NEXT) | instid1(VALU_DEP_2)
	v_readfirstlane_b32 s5, v4
	v_readfirstlane_b32 s6, v3
	s_delay_alu instid0(VALU_DEP_2) | instskip(NEXT) | instid1(VALU_DEP_1)
	s_mul_i32 s9, s7, s5
	s_mul_hi_u32 s11, s7, s6
	s_mul_i32 s10, s8, s6
	s_add_i32 s9, s11, s9
	s_mul_i32 s12, s7, s6
	s_add_i32 s9, s9, s10
	s_mul_hi_u32 s11, s6, s12
	s_mul_hi_u32 s13, s5, s12
	s_mul_i32 s10, s5, s12
	s_mul_hi_u32 s12, s6, s9
	s_mul_i32 s6, s6, s9
	s_mul_hi_u32 s14, s5, s9
	s_add_u32 s6, s11, s6
	s_addc_u32 s11, 0, s12
	s_add_u32 s6, s6, s10
	s_mul_i32 s9, s5, s9
	s_addc_u32 s6, s11, s13
	s_addc_u32 s10, s14, 0
	s_add_u32 s6, s6, s9
	s_addc_u32 s9, 0, s10
	v_add_co_u32 v3, s6, v3, s6
	s_delay_alu instid0(VALU_DEP_1) | instskip(SKIP_1) | instid1(VALU_DEP_1)
	s_cmp_lg_u32 s6, 0
	s_addc_u32 s5, s5, s9
	v_readfirstlane_b32 s6, v3
	s_mul_i32 s9, s7, s5
	s_delay_alu instid0(VALU_DEP_1)
	s_mul_hi_u32 s10, s7, s6
	s_mul_i32 s8, s8, s6
	s_add_i32 s9, s10, s9
	s_mul_i32 s7, s7, s6
	s_add_i32 s9, s9, s8
	s_mul_hi_u32 s10, s5, s7
	s_mul_i32 s11, s5, s7
	s_mul_hi_u32 s7, s6, s7
	s_mul_hi_u32 s12, s6, s9
	s_mul_i32 s6, s6, s9
	s_mul_hi_u32 s8, s5, s9
	s_add_u32 s6, s7, s6
	s_addc_u32 s7, 0, s12
	s_add_u32 s6, s6, s11
	s_mul_i32 s9, s5, s9
	s_addc_u32 s6, s7, s10
	s_addc_u32 s7, s8, 0
	s_add_u32 s6, s6, s9
	s_addc_u32 s7, 0, s7
	v_add_co_u32 v3, s6, v3, s6
	s_delay_alu instid0(VALU_DEP_1) | instskip(SKIP_2) | instid1(VALU_DEP_1)
	s_cmp_lg_u32 s6, 0
	s_addc_u32 s5, s5, s7
	s_ashr_i32 s6, s37, 31
	v_readfirstlane_b32 s10, v3
	s_add_u32 s8, s36, s6
	s_mov_b32 s7, s6
	s_addc_u32 s9, s37, s6
	s_delay_alu instid0(SALU_CYCLE_1) | instskip(NEXT) | instid1(SALU_CYCLE_1)
	s_xor_b64 s[8:9], s[8:9], s[6:7]
	s_mul_i32 s11, s8, s5
	s_mul_hi_u32 s12, s8, s10
	s_mul_hi_u32 s7, s8, s5
	s_mul_hi_u32 s14, s9, s10
	s_mul_i32 s10, s9, s10
	s_add_u32 s11, s12, s11
	s_addc_u32 s7, 0, s7
	s_mul_hi_u32 s13, s9, s5
	s_add_u32 s10, s11, s10
	s_mul_i32 s5, s9, s5
	s_addc_u32 s7, s7, s14
	s_addc_u32 s10, s13, 0
	s_add_u32 s5, s7, s5
	s_addc_u32 s7, 0, s10
	s_mul_hi_u32 s10, s56, s5
	s_mul_i32 s5, s56, s5
	s_mul_i32 s7, s56, s7
	v_sub_co_u32 v3, s5, s8, s5
	s_add_i32 s10, s10, s7
	s_cmp_lg_u32 s5, 0
	s_delay_alu instid0(VALU_DEP_1) | instskip(SKIP_2) | instid1(VALU_DEP_1)
	v_sub_co_u32 v4, s5, v3, s56
	s_subb_u32 s7, s9, s10
	s_cmp_lg_u32 s5, 0
	v_cmp_le_u32_e32 vcc_lo, s56, v4
	v_sub_co_u32 v7, s5, v4, s56
	s_subb_u32 s8, s7, 0
	s_cmp_lg_u32 s5, 0
	v_cndmask_b32_e64 v8, 0, -1, vcc_lo
	s_subb_u32 s5, s8, 0
	s_cmp_eq_u32 s8, 0
	v_mov_b32_e32 v11, s5
	s_cselect_b32 vcc_lo, -1, 0
	s_cmp_eq_u32 s7, 0
	v_cndmask_b32_e32 v8, -1, v8, vcc_lo
	v_cmp_le_u32_e32 vcc_lo, s56, v3
	s_cselect_b32 s5, -1, 0
	v_cndmask_b32_e64 v10, 0, -1, vcc_lo
	s_delay_alu instid0(VALU_DEP_3) | instskip(NEXT) | instid1(VALU_DEP_2)
	v_cmp_ne_u32_e32 vcc_lo, 0, v8
	v_cndmask_b32_e64 v8, -1, v10, s5
	v_cndmask_b32_e32 v10, s8, v11, vcc_lo
	v_cndmask_b32_e32 v4, v4, v7, vcc_lo
	s_delay_alu instid0(VALU_DEP_3) | instskip(NEXT) | instid1(VALU_DEP_2)
	v_cmp_ne_u32_e32 vcc_lo, 0, v8
	v_cndmask_b32_e32 v3, v3, v4, vcc_lo
	s_delay_alu instid0(VALU_DEP_4) | instskip(NEXT) | instid1(VALU_DEP_2)
	v_cndmask_b32_e32 v7, s7, v10, vcc_lo
	v_xor_b32_e32 v3, s6, v3
	s_delay_alu instid0(VALU_DEP_2) | instskip(NEXT) | instid1(VALU_DEP_2)
	v_xor_b32_e32 v4, s6, v7
	v_sub_co_u32 v3, vcc_lo, v3, s6
	s_delay_alu instid0(VALU_DEP_2)
	v_subrev_co_ci_u32_e32 v4, vcc_lo, s6, v4, vcc_lo
	s_cbranch_execnz .LBB29_55
.LBB29_54:                              ;   in Loop: Header=BB29_17 Depth=1
	v_cvt_f32_u32_e32 v3, s56
	s_sub_i32 s5, 0, s56
	s_delay_alu instid0(VALU_DEP_1) | instskip(SKIP_2) | instid1(VALU_DEP_1)
	v_rcp_iflag_f32_e32 v3, v3
	s_waitcnt_depctr 0xfff
	v_mul_f32_e32 v3, 0x4f7ffffe, v3
	v_cvt_u32_f32_e32 v3, v3
	s_delay_alu instid0(VALU_DEP_1) | instskip(NEXT) | instid1(VALU_DEP_1)
	v_mul_lo_u32 v4, s5, v3
	v_mul_hi_u32 v4, v3, v4
	s_delay_alu instid0(VALU_DEP_1) | instskip(NEXT) | instid1(VALU_DEP_1)
	v_add_nc_u32_e32 v3, v3, v4
	v_mul_hi_u32 v3, s36, v3
	s_delay_alu instid0(VALU_DEP_1) | instskip(NEXT) | instid1(VALU_DEP_1)
	v_mul_lo_u32 v3, v3, s56
	v_sub_nc_u32_e32 v3, s36, v3
	s_delay_alu instid0(VALU_DEP_1) | instskip(SKIP_1) | instid1(VALU_DEP_2)
	v_subrev_nc_u32_e32 v4, s56, v3
	v_cmp_le_u32_e32 vcc_lo, s56, v3
	v_cndmask_b32_e32 v3, v3, v4, vcc_lo
	s_delay_alu instid0(VALU_DEP_1) | instskip(SKIP_1) | instid1(VALU_DEP_2)
	v_subrev_nc_u32_e32 v4, s56, v3
	v_cmp_le_u32_e32 vcc_lo, s56, v3
	v_cndmask_b32_e32 v17, v3, v4, vcc_lo
	s_delay_alu instid0(VALU_DEP_1)
	v_dual_mov_b32 v3, v17 :: v_dual_mov_b32 v4, v18
.LBB29_55:                              ;   in Loop: Header=BB29_17 Depth=1
	v_mov_b32_e32 v7, 0
	v_dual_mov_b32 v8, 0 :: v_dual_and_b32 v45, 0xffff, v9
	s_delay_alu instid0(VALU_DEP_3) | instskip(NEXT) | instid1(VALU_DEP_4)
	v_sub_co_u32 v28, vcc_lo, s36, v3
	v_sub_co_ci_u32_e32 v29, vcc_lo, s37, v4, vcc_lo
	s_delay_alu instid0(VALU_DEP_3)
	v_dual_mov_b32 v10, v8 :: v_dual_mov_b32 v9, v7
	v_dual_mov_b32 v12, v8 :: v_dual_mov_b32 v11, v7
	;; [unrolled: 1-line block ×3, first 2 shown]
	s_mov_b64 s[74:75], 0
	s_mov_b32 s73, exec_lo
	v_cmpx_gt_i64_e64 v[28:29], v[19:20]
	s_cbranch_execz .LBB29_59
; %bb.56:                               ;   in Loop: Header=BB29_17 Depth=1
	v_mul_lo_u32 v7, s67, v45
	v_mul_hi_u32 v8, s66, v45
	v_mul_lo_u32 v46, s66, v45
	v_dual_mov_b32 v33, v20 :: v_dual_mov_b32 v30, s60
	v_mov_b32_e32 v31, s61
	s_and_b32 s101, s95, 0xfe
	s_mov_b32 s102, 0
	s_delay_alu instid0(VALU_DEP_4)
	v_dual_mov_b32 v32, v19 :: v_dual_add_nc_u32 v47, v8, v7
	s_mov_b64 s[76:77], 0
	s_mov_b64 s[78:79], 0
	;; [unrolled: 1-line block ×3, first 2 shown]
.LBB29_57:                              ;   Parent Loop BB29_17 Depth=1
                                        ; =>  This Inner Loop Header: Depth=2
	v_add_co_u32 v7, vcc_lo, v30, v26
	v_add_co_ci_u32_e32 v8, vcc_lo, v31, v27, vcc_lo
	v_add_co_u32 v9, vcc_lo, v30, v25
	v_add_co_ci_u32_e32 v10, vcc_lo, v31, v40, vcc_lo
	;; [unrolled: 2-line block ×4, first 2 shown]
	s_clause 0x3
	global_load_b64 v[7:8], v[7:8], off
	global_load_b64 v[9:10], v[9:10], off
	global_load_b64 v[11:12], v[11:12], off
	global_load_b64 v[13:14], v[13:14], off
	v_mov_b32_e32 v49, v18
	v_mov_b32_e32 v51, v18
	;; [unrolled: 1-line block ×3, first 2 shown]
	v_add_co_u32 v32, vcc_lo, v32, s56
	v_add_co_ci_u32_e32 v33, vcc_lo, 0, v33, vcc_lo
	v_add_co_u32 v30, vcc_lo, v30, v46
	v_add_co_ci_u32_e32 v31, vcc_lo, v31, v47, vcc_lo
	s_delay_alu instid0(VALU_DEP_3)
	v_cmp_ge_i64_e32 vcc_lo, v[32:33], v[28:29]
	s_waitcnt vmcnt(3)
	v_xor_b32_e32 v8, 0x80000000, v8
	s_waitcnt vmcnt(2)
	v_xor_b32_e32 v10, 0x80000000, v10
	s_waitcnt vmcnt(1)
	v_and_b32_e32 v58, s70, v11
	v_xor_b32_e32 v12, 0x80000000, v12
	v_and_b32_e32 v54, s70, v7
	v_and_b32_e32 v55, s71, v8
	v_lshrrev_b64 v[7:8], s101, v[7:8]
	s_waitcnt vmcnt(0)
	v_xor_b32_e32 v14, 0x80000000, v14
	v_and_b32_e32 v56, s70, v9
	v_lshrrev_b64 v[8:9], s101, v[9:10]
	v_and_b32_e32 v57, s71, v10
	v_lshrrev_b64 v[9:10], s101, v[11:12]
	v_lshrrev_b64 v[10:11], s101, v[13:14]
	v_and_b32_e32 v17, 3, v7
	v_and_b32_e32 v59, s71, v12
	;; [unrolled: 1-line block ×3, first 2 shown]
	v_cmp_eq_u64_e64 s5, s[68:69], v[54:55]
	v_and_b32_e32 v50, 3, v9
	v_cmp_eq_u64_e64 s9, 0, v[17:18]
	v_and_b32_e32 v60, s70, v13
	v_and_b32_e32 v61, s71, v14
	;; [unrolled: 1-line block ×3, first 2 shown]
	v_cmp_eq_u64_e64 s6, s[68:69], v[56:57]
	v_cmp_eq_u64_e64 s10, 0, v[48:49]
	;; [unrolled: 1-line block ×6, first 2 shown]
	s_and_b32 s9, s5, s9
	v_cmp_eq_u64_e64 s13, 1, v[17:18]
	v_cndmask_b32_e64 v7, 0, 1, s9
	s_and_b32 s9, s6, s10
	v_cmp_eq_u64_e64 s14, 1, v[48:49]
	v_cndmask_b32_e64 v8, 0, 1, s9
	;; [unrolled: 3-line block ×3, first 2 shown]
	s_and_b32 s9, s8, s12
	v_cmp_ne_u32_e64 s10, 0, v8
	v_cndmask_b32_e64 v10, 0, 1, s9
	v_cmp_ne_u32_e64 s9, 0, v7
	v_cmp_ne_u32_e64 s11, 0, v9
	v_cmp_eq_u64_e64 s16, 1, v[52:53]
	s_bcnt1_i32_b32 s10, s10
	v_cmp_ne_u32_e64 s12, 0, v10
	s_bcnt1_i32_b32 s9, s9
	s_bcnt1_i32_b32 s11, s11
	s_add_i32 s9, s10, s9
	v_cmp_eq_u64_e64 s17, 2, v[17:18]
	s_bcnt1_i32_b32 s12, s12
	s_add_i32 s9, s9, s11
	v_cmp_eq_u64_e64 s18, 2, v[48:49]
	s_add_i32 s9, s9, s12
	v_cmp_eq_u64_e64 s19, 2, v[50:51]
	s_add_u32 s80, s80, s9
	s_addc_u32 s81, s81, 0
	s_and_b32 s9, s5, s13
	v_cmp_eq_u64_e64 s20, 2, v[52:53]
	v_cndmask_b32_e64 v7, 0, 1, s9
	s_and_b32 s9, s6, s14
	v_cmp_eq_u64_e64 s21, 3, v[17:18]
	v_cndmask_b32_e64 v8, 0, 1, s9
	;; [unrolled: 3-line block ×3, first 2 shown]
	s_and_b32 s9, s8, s16
	v_cmp_ne_u32_e64 s10, 0, v8
	v_cndmask_b32_e64 v10, 0, 1, s9
	v_cmp_ne_u32_e64 s9, 0, v7
	v_cmp_ne_u32_e64 s11, 0, v9
	v_cmp_eq_u64_e64 s24, 3, v[52:53]
	s_bcnt1_i32_b32 s10, s10
	v_cmp_ne_u32_e64 s12, 0, v10
	s_bcnt1_i32_b32 s9, s9
	s_bcnt1_i32_b32 s11, s11
	s_add_i32 s9, s10, s9
	s_delay_alu instid0(VALU_DEP_1) | instskip(SKIP_1) | instid1(SALU_CYCLE_1)
	s_bcnt1_i32_b32 s12, s12
	s_add_i32 s9, s9, s11
	s_add_i32 s9, s9, s12
	s_delay_alu instid0(SALU_CYCLE_1) | instskip(SKIP_2) | instid1(SALU_CYCLE_1)
	s_add_u32 s78, s78, s9
	s_addc_u32 s79, s79, 0
	s_and_b32 s9, s5, s17
	v_cndmask_b32_e64 v7, 0, 1, s9
	s_and_b32 s9, s6, s18
	s_delay_alu instid0(SALU_CYCLE_1) | instskip(SKIP_1) | instid1(SALU_CYCLE_1)
	v_cndmask_b32_e64 v8, 0, 1, s9
	s_and_b32 s9, s7, s19
	v_cndmask_b32_e64 v9, 0, 1, s9
	s_and_b32 s9, s8, s20
	s_delay_alu instid0(VALU_DEP_2) | instskip(SKIP_3) | instid1(VALU_DEP_4)
	v_cmp_ne_u32_e64 s10, 0, v8
	v_cndmask_b32_e64 v10, 0, 1, s9
	v_cmp_ne_u32_e64 s9, 0, v7
	v_cmp_ne_u32_e64 s11, 0, v9
	s_bcnt1_i32_b32 s10, s10
	s_delay_alu instid0(VALU_DEP_3) | instskip(NEXT) | instid1(VALU_DEP_3)
	v_cmp_ne_u32_e64 s12, 0, v10
	s_bcnt1_i32_b32 s9, s9
	s_delay_alu instid0(VALU_DEP_2) | instskip(SKIP_1) | instid1(VALU_DEP_1)
	s_bcnt1_i32_b32 s11, s11
	s_add_i32 s9, s10, s9
	s_bcnt1_i32_b32 s12, s12
	s_add_i32 s9, s9, s11
	s_delay_alu instid0(SALU_CYCLE_1) | instskip(NEXT) | instid1(SALU_CYCLE_1)
	s_add_i32 s9, s9, s12
	s_add_u32 s76, s76, s9
	s_addc_u32 s77, s77, 0
	v_mov_b32_e32 v11, s76
	v_cmp_eq_u64_e64 s23, 3, v[50:51]
	s_and_b32 s5, s5, s21
	v_mov_b32_e32 v12, s77
	v_cndmask_b32_e64 v7, 0, 1, s5
	s_and_b32 s5, s6, s22
	s_delay_alu instid0(SALU_CYCLE_1) | instskip(SKIP_1) | instid1(SALU_CYCLE_1)
	v_cndmask_b32_e64 v8, 0, 1, s5
	s_and_b32 s5, s7, s23
	v_cndmask_b32_e64 v9, 0, 1, s5
	s_and_b32 s5, s8, s24
	s_delay_alu instid0(VALU_DEP_2)
	v_cmp_ne_u32_e64 s6, 0, v8
	v_cndmask_b32_e64 v10, 0, 1, s5
	v_cmp_ne_u32_e64 s5, 0, v7
	v_cmp_ne_u32_e64 s7, 0, v9
	v_mov_b32_e32 v7, s80
	s_bcnt1_i32_b32 s6, s6
	v_cmp_ne_u32_e64 s8, 0, v10
	s_bcnt1_i32_b32 s5, s5
	s_bcnt1_i32_b32 s7, s7
	s_add_i32 s5, s6, s5
	v_mov_b32_e32 v9, s78
	s_bcnt1_i32_b32 s6, s8
	s_add_i32 s5, s5, s7
	v_mov_b32_e32 v8, s81
	s_add_i32 s5, s5, s6
	v_mov_b32_e32 v10, s79
	s_add_u32 s74, s74, s5
	s_addc_u32 s75, s75, 0
	s_delay_alu instid0(SALU_CYCLE_1) | instskip(SKIP_1) | instid1(SALU_CYCLE_1)
	v_dual_mov_b32 v13, s74 :: v_dual_mov_b32 v14, s75
	s_or_b32 s102, vcc_lo, s102
	s_and_not1_b32 exec_lo, exec_lo, s102
	s_cbranch_execnz .LBB29_57
; %bb.58:                               ;   in Loop: Header=BB29_17 Depth=1
	s_or_b32 exec_lo, exec_lo, s102
.LBB29_59:                              ;   in Loop: Header=BB29_17 Depth=1
	s_delay_alu instid0(SALU_CYCLE_1) | instskip(SKIP_4) | instid1(VALU_DEP_3)
	s_or_b32 exec_lo, exec_lo, s73
	v_add_co_u32 v28, vcc_lo, v28, v0
	v_add_co_ci_u32_e32 v29, vcc_lo, 0, v29, vcc_lo
	v_mov_b32_e32 v30, 0
	v_mov_b32_e32 v31, 0
	v_cmp_gt_i64_e32 vcc_lo, s[36:37], v[28:29]
	s_and_saveexec_b32 s6, vcc_lo
	s_cbranch_execz .LBB29_61
; %bb.60:                               ;   in Loop: Header=BB29_17 Depth=1
	v_mul_lo_u32 v17, v29, s42
	v_mul_lo_u32 v32, v28, s43
	v_mad_u64_u32 v[30:31], null, v28, s42, 0
	s_delay_alu instid0(VALU_DEP_1) | instskip(NEXT) | instid1(VALU_DEP_1)
	v_add3_u32 v31, v31, v32, v17
	v_lshlrev_b64 v[30:31], 3, v[30:31]
	s_delay_alu instid0(VALU_DEP_1) | instskip(NEXT) | instid1(VALU_DEP_1)
	v_add_co_u32 v30, s5, s60, v30
	v_add_co_ci_u32_e64 v31, s5, s61, v31, s5
	global_load_b64 v[30:31], v[30:31], off
.LBB29_61:                              ;   in Loop: Header=BB29_17 Depth=1
	s_or_b32 exec_lo, exec_lo, s6
	s_and_saveexec_b32 s9, vcc_lo
	s_cbranch_execz .LBB29_68
; %bb.62:                               ;   in Loop: Header=BB29_17 Depth=1
	v_add_co_u32 v17, vcc_lo, v41, v45
	v_add_co_ci_u32_e32 v32, vcc_lo, 0, v42, vcc_lo
	v_mul_hi_u32 v47, s64, v45
	s_delay_alu instid0(VALU_DEP_3) | instskip(NEXT) | instid1(VALU_DEP_3)
	v_sub_co_u32 v17, vcc_lo, v17, v3
	v_sub_co_ci_u32_e32 v3, vcc_lo, v32, v4, vcc_lo
	v_mul_lo_u32 v46, s64, v45
	s_delay_alu instid0(VALU_DEP_3) | instskip(SKIP_1) | instid1(VALU_DEP_3)
	v_mul_lo_u32 v33, s65, v17
	s_and_b32 s11, s95, 0xfe
	v_mul_lo_u32 v32, s64, v3
	v_mad_u64_u32 v[3:4], null, s64, v17, s[60:61]
	v_mul_lo_u32 v17, s65, v45
	s_mov_b32 s10, 0
	s_delay_alu instid0(VALU_DEP_2) | instskip(NEXT) | instid1(VALU_DEP_2)
	v_add3_u32 v4, v33, v4, v32
	v_add_nc_u32_e32 v47, v47, v17
	s_branch .LBB29_64
.LBB29_63:                              ;   in Loop: Header=BB29_64 Depth=2
	s_or_b32 exec_lo, exec_lo, s6
	s_waitcnt vmcnt(0)
	v_xor_b32_e32 v31, 0x80000000, v31
	s_and_b32 s7, exec_lo, vcc_lo
	s_delay_alu instid0(SALU_CYCLE_1) | instskip(NEXT) | instid1(VALU_DEP_1)
	s_or_b32 s10, s7, s10
	v_lshrrev_b64 v[48:49], s11, v[30:31]
	v_and_b32_e32 v30, s70, v30
	v_and_b32_e32 v31, s71, v31
	s_delay_alu instid0(VALU_DEP_3) | instskip(NEXT) | instid1(VALU_DEP_2)
	v_and_b32_e32 v17, 3, v48
	v_cmp_eq_u64_e64 s5, s[68:69], v[30:31]
	s_delay_alu instid0(VALU_DEP_2) | instskip(SKIP_3) | instid1(VALU_DEP_4)
	v_cmp_eq_u64_e64 s6, 0, v[17:18]
	v_cmp_eq_u64_e32 vcc_lo, 1, v[17:18]
	v_cmp_eq_u64_e64 s7, 2, v[17:18]
	v_cmp_eq_u64_e64 s8, 3, v[17:18]
	s_and_b32 s6, s5, s6
	s_delay_alu instid0(SALU_CYCLE_1) | instskip(SKIP_1) | instid1(SALU_CYCLE_1)
	v_cndmask_b32_e64 v17, 0, 1, s6
	s_and_b32 s6, s5, vcc_lo
	v_cndmask_b32_e64 v30, 0, 1, s6
	s_and_b32 s6, s5, s7
	s_delay_alu instid0(VALU_DEP_2) | instskip(SKIP_2) | instid1(SALU_CYCLE_1)
	v_cmp_ne_u32_e32 vcc_lo, 0, v17
	v_cndmask_b32_e64 v31, 0, 1, s6
	s_and_b32 s5, s5, s8
	v_cndmask_b32_e64 v48, 0, 1, s5
	v_cmp_ne_u32_e64 s5, 0, v30
	s_bcnt1_i32_b32 s8, vcc_lo
	v_cmp_ne_u32_e64 s6, 0, v31
	v_mov_b32_e32 v30, v32
	v_add_co_u32 v7, vcc_lo, v7, s8
	s_bcnt1_i32_b32 s5, s5
	v_cmp_ne_u32_e64 s7, 0, v48
	v_add_co_ci_u32_e32 v8, vcc_lo, 0, v8, vcc_lo
	v_add_co_u32 v9, vcc_lo, v9, s5
	s_bcnt1_i32_b32 s6, s6
	v_add_co_ci_u32_e32 v10, vcc_lo, 0, v10, vcc_lo
	v_add_co_u32 v11, vcc_lo, v11, s6
	s_bcnt1_i32_b32 s5, s7
	v_add_co_ci_u32_e32 v12, vcc_lo, 0, v12, vcc_lo
	v_add_co_u32 v13, vcc_lo, v13, s5
	v_add_co_ci_u32_e32 v14, vcc_lo, 0, v14, vcc_lo
	v_add_co_u32 v3, vcc_lo, v3, v46
	v_add_co_ci_u32_e32 v4, vcc_lo, v4, v47, vcc_lo
	v_mov_b32_e32 v31, v33
	s_and_not1_b32 exec_lo, exec_lo, s10
	s_cbranch_execz .LBB29_67
.LBB29_64:                              ;   Parent Loop BB29_17 Depth=1
                                        ; =>  This Inner Loop Header: Depth=2
	v_add_co_u32 v28, vcc_lo, v28, v45
	v_add_co_ci_u32_e32 v29, vcc_lo, 0, v29, vcc_lo
	v_mov_b32_e32 v32, 0
	v_mov_b32_e32 v33, 0
	s_mov_b32 s6, exec_lo
	s_delay_alu instid0(VALU_DEP_3)
	v_cmp_le_i64_e32 vcc_lo, s[36:37], v[28:29]
	v_cmpx_gt_i64_e64 s[36:37], v[28:29]
	s_cbranch_execz .LBB29_63
; %bb.65:                               ;   in Loop: Header=BB29_64 Depth=2
	global_load_b64 v[32:33], v[3:4], off
	s_branch .LBB29_63
.LBB29_66:                              ;   in Loop: Header=BB29_17 Depth=1
                                        ; implicit-def: $vgpr13_vgpr14
                                        ; implicit-def: $vgpr9_vgpr10
	s_cbranch_execnz .LBB29_69
	s_branch .LBB29_78
.LBB29_67:                              ;   in Loop: Header=BB29_17 Depth=1
	s_or_b32 exec_lo, exec_lo, s10
.LBB29_68:                              ;   in Loop: Header=BB29_17 Depth=1
	s_delay_alu instid0(SALU_CYCLE_1)
	s_or_b32 exec_lo, exec_lo, s9
	s_branch .LBB29_78
.LBB29_69:                              ;   in Loop: Header=BB29_17 Depth=1
	global_load_u16 v3, v18, s[62:63]
	s_mov_b64 s[74:75], 0
	s_mov_b32 s101, exec_lo
	v_mov_b32_e32 v7, 0
	v_mov_b32_e32 v8, 0
	s_delay_alu instid0(VALU_DEP_1) | instskip(NEXT) | instid1(VALU_DEP_3)
	v_mov_b32_e32 v14, v8
	v_dual_mov_b32 v10, v8 :: v_dual_mov_b32 v9, v7
	v_dual_mov_b32 v12, v8 :: v_dual_mov_b32 v11, v7
	v_mov_b32_e32 v13, v7
	s_waitcnt vmcnt(0)
	v_readfirstlane_b32 s5, v3
	v_and_b32_e32 v28, 0xffff, v3
	s_delay_alu instid0(VALU_DEP_2) | instskip(NEXT) | instid1(SALU_CYCLE_1)
	s_and_b32 s5, 0xffff, s5
	s_lshl_b32 s73, s5, 2
	s_delay_alu instid0(SALU_CYCLE_1) | instskip(SKIP_1) | instid1(VALU_DEP_1)
	v_cvt_f32_u32_e32 v4, s73
	s_sub_i32 s6, 0, s73
	v_rcp_iflag_f32_e32 v4, v4
	s_waitcnt_depctr 0xfff
	v_mul_f32_e32 v4, 0x4f7ffffe, v4
	s_delay_alu instid0(VALU_DEP_1) | instskip(NEXT) | instid1(VALU_DEP_1)
	v_cvt_u32_f32_e32 v4, v4
	v_readfirstlane_b32 s5, v4
	s_delay_alu instid0(VALU_DEP_1) | instskip(NEXT) | instid1(SALU_CYCLE_1)
	s_mul_i32 s6, s6, s5
	s_mul_hi_u32 s6, s5, s6
	s_delay_alu instid0(SALU_CYCLE_1) | instskip(NEXT) | instid1(SALU_CYCLE_1)
	s_add_i32 s5, s5, s6
	s_mul_hi_u32 s5, s72, s5
	s_delay_alu instid0(SALU_CYCLE_1) | instskip(NEXT) | instid1(SALU_CYCLE_1)
	s_mul_i32 s5, s5, s73
	s_sub_i32 s5, s72, s5
	s_delay_alu instid0(SALU_CYCLE_1) | instskip(SKIP_2) | instid1(SALU_CYCLE_1)
	s_sub_i32 s6, s5, s73
	s_cmp_ge_u32 s5, s73
	s_cselect_b32 s5, s6, s5
	s_sub_i32 s6, s5, s73
	s_cmp_ge_u32 s5, s73
	s_cselect_b32 s5, s6, s5
	s_delay_alu instid0(SALU_CYCLE_1) | instskip(NEXT) | instid1(SALU_CYCLE_1)
	s_sub_i32 s56, s72, s5
	v_cmpx_gt_u32_e64 s56, v19
	s_cbranch_execz .LBB29_73
; %bb.70:                               ;   in Loop: Header=BB29_17 Depth=1
	v_dual_mov_b32 v30, v38 :: v_dual_lshlrev_b32 v29, 5, v28
	v_dual_mov_b32 v3, v19 :: v_dual_mov_b32 v4, v20
	s_and_b32 s102, s95, 0xfe
	s_mov_b32 s103, 0
	s_mov_b64 s[76:77], 0
	s_mov_b64 s[78:79], 0
	;; [unrolled: 1-line block ×3, first 2 shown]
.LBB29_71:                              ;   Parent Loop BB29_17 Depth=1
                                        ; =>  This Inner Loop Header: Depth=2
	ds_load_b128 v[7:10], v30
	ds_load_b128 v[11:14], v30 offset:16
	v_mov_b32_e32 v32, v18
	v_mov_b32_e32 v46, v18
	;; [unrolled: 1-line block ×3, first 2 shown]
	v_add_co_u32 v3, vcc_lo, v3, s73
	v_add_co_ci_u32_e32 v4, vcc_lo, 0, v4, vcc_lo
	s_delay_alu instid0(VALU_DEP_1)
	v_cmp_le_u64_e32 vcc_lo, s[56:57], v[3:4]
	s_waitcnt lgkmcnt(1)
	v_xor_b32_e32 v8, 0x80000000, v8
	s_waitcnt lgkmcnt(0)
	v_and_b32_e32 v53, s70, v11
	v_xor_b32_e32 v10, 0x80000000, v10
	v_xor_b32_e32 v12, 0x80000000, v12
	v_and_b32_e32 v49, s70, v7
	v_and_b32_e32 v50, s71, v8
	v_lshrrev_b64 v[7:8], s102, v[7:8]
	v_xor_b32_e32 v14, 0x80000000, v14
	v_and_b32_e32 v51, s70, v9
	v_lshrrev_b64 v[8:9], s102, v[9:10]
	v_and_b32_e32 v52, s71, v10
	v_lshrrev_b64 v[9:10], s102, v[11:12]
	v_lshrrev_b64 v[10:11], s102, v[13:14]
	v_and_b32_e32 v17, 3, v7
	v_and_b32_e32 v54, s71, v12
	;; [unrolled: 1-line block ×3, first 2 shown]
	v_cmp_eq_u64_e64 s5, s[68:69], v[49:50]
	v_and_b32_e32 v45, 3, v9
	v_cmp_eq_u64_e64 s9, 0, v[17:18]
	v_and_b32_e32 v55, s70, v13
	v_and_b32_e32 v56, s71, v14
	v_and_b32_e32 v47, 3, v10
	v_cmp_eq_u64_e64 s6, s[68:69], v[51:52]
	v_cmp_eq_u64_e64 s10, 0, v[31:32]
	;; [unrolled: 1-line block ×6, first 2 shown]
	s_and_b32 s9, s5, s9
	v_cmp_eq_u64_e64 s13, 1, v[17:18]
	v_cndmask_b32_e64 v7, 0, 1, s9
	s_and_b32 s9, s6, s10
	v_cmp_eq_u64_e64 s14, 1, v[31:32]
	v_cndmask_b32_e64 v8, 0, 1, s9
	;; [unrolled: 3-line block ×3, first 2 shown]
	s_and_b32 s9, s8, s12
	v_cmp_ne_u32_e64 s10, 0, v8
	v_cndmask_b32_e64 v10, 0, 1, s9
	v_cmp_ne_u32_e64 s9, 0, v7
	v_cmp_ne_u32_e64 s11, 0, v9
	v_cmp_eq_u64_e64 s16, 1, v[47:48]
	s_bcnt1_i32_b32 s10, s10
	v_cmp_ne_u32_e64 s12, 0, v10
	s_bcnt1_i32_b32 s9, s9
	s_bcnt1_i32_b32 s11, s11
	s_add_i32 s9, s10, s9
	v_cmp_eq_u64_e64 s17, 2, v[17:18]
	s_bcnt1_i32_b32 s12, s12
	s_add_i32 s9, s9, s11
	v_cmp_eq_u64_e64 s18, 2, v[31:32]
	s_add_i32 s9, s9, s12
	v_cmp_eq_u64_e64 s19, 2, v[45:46]
	s_add_u32 s80, s80, s9
	s_addc_u32 s81, s81, 0
	s_and_b32 s9, s5, s13
	v_cmp_eq_u64_e64 s20, 2, v[47:48]
	v_cndmask_b32_e64 v7, 0, 1, s9
	s_and_b32 s9, s6, s14
	v_cmp_eq_u64_e64 s21, 3, v[17:18]
	v_cndmask_b32_e64 v8, 0, 1, s9
	;; [unrolled: 3-line block ×3, first 2 shown]
	s_and_b32 s9, s8, s16
	v_cmp_ne_u32_e64 s10, 0, v8
	v_cndmask_b32_e64 v10, 0, 1, s9
	v_cmp_ne_u32_e64 s9, 0, v7
	v_cmp_ne_u32_e64 s11, 0, v9
	v_cmp_eq_u64_e64 s24, 3, v[47:48]
	s_bcnt1_i32_b32 s10, s10
	v_cmp_ne_u32_e64 s12, 0, v10
	s_bcnt1_i32_b32 s9, s9
	s_bcnt1_i32_b32 s11, s11
	s_add_i32 s9, s10, s9
	v_add_nc_u32_e32 v30, v30, v29
	s_bcnt1_i32_b32 s12, s12
	s_add_i32 s9, s9, s11
	s_delay_alu instid0(SALU_CYCLE_1) | instskip(NEXT) | instid1(SALU_CYCLE_1)
	s_add_i32 s9, s9, s12
	s_add_u32 s78, s78, s9
	s_addc_u32 s79, s79, 0
	s_and_b32 s9, s5, s17
	s_delay_alu instid0(SALU_CYCLE_1) | instskip(SKIP_1) | instid1(SALU_CYCLE_1)
	v_cndmask_b32_e64 v7, 0, 1, s9
	s_and_b32 s9, s6, s18
	v_cndmask_b32_e64 v8, 0, 1, s9
	s_and_b32 s9, s7, s19
	s_delay_alu instid0(SALU_CYCLE_1) | instskip(SKIP_1) | instid1(VALU_DEP_2)
	v_cndmask_b32_e64 v9, 0, 1, s9
	s_and_b32 s9, s8, s20
	v_cmp_ne_u32_e64 s10, 0, v8
	v_cndmask_b32_e64 v10, 0, 1, s9
	v_cmp_ne_u32_e64 s9, 0, v7
	v_cmp_ne_u32_e64 s11, 0, v9
	s_delay_alu instid0(VALU_DEP_4) | instskip(NEXT) | instid1(VALU_DEP_3)
	s_bcnt1_i32_b32 s10, s10
	v_cmp_ne_u32_e64 s12, 0, v10
	s_delay_alu instid0(VALU_DEP_3) | instskip(NEXT) | instid1(VALU_DEP_2)
	s_bcnt1_i32_b32 s9, s9
	s_bcnt1_i32_b32 s11, s11
	s_add_i32 s9, s10, s9
	s_delay_alu instid0(VALU_DEP_1) | instskip(SKIP_1) | instid1(SALU_CYCLE_1)
	s_bcnt1_i32_b32 s12, s12
	s_add_i32 s9, s9, s11
	s_add_i32 s9, s9, s12
	s_delay_alu instid0(SALU_CYCLE_1) | instskip(SKIP_1) | instid1(SALU_CYCLE_1)
	s_add_u32 s76, s76, s9
	s_addc_u32 s77, s77, 0
	v_dual_mov_b32 v11, s76 :: v_dual_mov_b32 v12, s77
	v_cmp_eq_u64_e64 s22, 3, v[31:32]
	s_and_b32 s5, s5, s21
	s_delay_alu instid0(SALU_CYCLE_1) | instskip(NEXT) | instid1(VALU_DEP_2)
	v_cndmask_b32_e64 v7, 0, 1, s5
	s_and_b32 s5, s6, s22
	s_delay_alu instid0(SALU_CYCLE_1) | instskip(SKIP_1) | instid1(SALU_CYCLE_1)
	v_cndmask_b32_e64 v8, 0, 1, s5
	s_and_b32 s5, s7, s23
	v_cndmask_b32_e64 v9, 0, 1, s5
	s_and_b32 s5, s8, s24
	s_delay_alu instid0(VALU_DEP_2)
	v_cmp_ne_u32_e64 s6, 0, v8
	v_cndmask_b32_e64 v10, 0, 1, s5
	v_cmp_ne_u32_e64 s5, 0, v7
	v_mov_b32_e32 v7, s80
	v_cmp_ne_u32_e64 s7, 0, v9
	s_bcnt1_i32_b32 s6, s6
	v_cmp_ne_u32_e64 s8, 0, v10
	s_bcnt1_i32_b32 s5, s5
	v_mov_b32_e32 v9, s78
	s_bcnt1_i32_b32 s7, s7
	s_add_i32 s5, s6, s5
	s_bcnt1_i32_b32 s6, s8
	s_add_i32 s5, s5, s7
	v_mov_b32_e32 v8, s81
	s_add_i32 s5, s5, s6
	v_mov_b32_e32 v10, s79
	s_add_u32 s74, s74, s5
	s_addc_u32 s75, s75, 0
	s_delay_alu instid0(SALU_CYCLE_1) | instskip(SKIP_1) | instid1(SALU_CYCLE_1)
	v_dual_mov_b32 v13, s74 :: v_dual_mov_b32 v14, s75
	s_or_b32 s103, vcc_lo, s103
	s_and_not1_b32 exec_lo, exec_lo, s103
	s_cbranch_execnz .LBB29_71
; %bb.72:                               ;   in Loop: Header=BB29_17 Depth=1
	s_or_b32 exec_lo, exec_lo, s103
.LBB29_73:                              ;   in Loop: Header=BB29_17 Depth=1
	s_delay_alu instid0(SALU_CYCLE_1) | instskip(SKIP_2) | instid1(VALU_DEP_1)
	s_or_b32 exec_lo, exec_lo, s101
	v_add_nc_u32_e32 v17, s56, v0
	s_mov_b32 s12, exec_lo
	v_cmpx_gt_u32_e64 s72, v17
	s_cbranch_execz .LBB29_77
; %bb.74:                               ;   in Loop: Header=BB29_17 Depth=1
	v_dual_mov_b32 v3, v17 :: v_dual_lshlrev_b32 v30, 3, v28
	v_dual_mov_b32 v4, v18 :: v_dual_lshlrev_b32 v29, 3, v17
	s_mov_b32 s11, 0
	s_and_b32 s10, s72, 0x7fffffff
	s_and_b32 s14, s95, 0xfe
	s_mov_b32 s13, s11
.LBB29_75:                              ;   Parent Loop BB29_17 Depth=1
                                        ; =>  This Inner Loop Header: Depth=2
	ds_load_b64 v[31:32], v29
	v_add_co_u32 v3, vcc_lo, v3, v28
	v_add_co_ci_u32_e32 v4, vcc_lo, 0, v4, vcc_lo
	v_add_nc_u32_e32 v29, v29, v30
	s_delay_alu instid0(VALU_DEP_2) | instskip(SKIP_3) | instid1(VALU_DEP_2)
	v_cmp_le_u64_e32 vcc_lo, s[10:11], v[3:4]
	s_waitcnt lgkmcnt(0)
	v_xor_b32_e32 v32, 0x80000000, v32
	v_and_b32_e32 v45, s70, v31
	v_and_b32_e32 v46, s71, v32
	v_lshrrev_b64 v[31:32], s14, v[31:32]
	s_delay_alu instid0(VALU_DEP_2) | instskip(NEXT) | instid1(VALU_DEP_2)
	v_cmp_eq_u64_e64 s5, s[68:69], v[45:46]
	v_and_b32_e32 v17, 3, v31
	s_delay_alu instid0(VALU_DEP_1) | instskip(SKIP_3) | instid1(VALU_DEP_4)
	v_cmp_eq_u64_e64 s6, 0, v[17:18]
	v_cmp_eq_u64_e64 s7, 1, v[17:18]
	;; [unrolled: 1-line block ×4, first 2 shown]
	s_and_b32 s6, s5, s6
	s_delay_alu instid0(SALU_CYCLE_1) | instskip(NEXT) | instid1(VALU_DEP_4)
	v_cndmask_b32_e64 v17, 0, 1, s6
	s_and_b32 s6, s5, s7
	s_delay_alu instid0(SALU_CYCLE_1)
	v_cndmask_b32_e64 v31, 0, 1, s6
	s_and_b32 s6, s5, s8
	s_and_b32 s5, s5, s9
	v_cndmask_b32_e64 v32, 0, 1, s6
	v_cndmask_b32_e64 v33, 0, 1, s5
	v_cmp_ne_u32_e64 s5, 0, v17
	v_cmp_ne_u32_e64 s6, 0, v31
	s_delay_alu instid0(VALU_DEP_4) | instskip(NEXT) | instid1(VALU_DEP_4)
	v_cmp_ne_u32_e64 s7, 0, v32
	v_cmp_ne_u32_e64 s8, 0, v33
	s_delay_alu instid0(VALU_DEP_4) | instskip(NEXT) | instid1(VALU_DEP_3)
	s_bcnt1_i32_b32 s5, s5
	s_bcnt1_i32_b32 s6, s6
	v_add_co_u32 v7, s5, v7, s5
	s_delay_alu instid0(VALU_DEP_1)
	v_add_co_ci_u32_e64 v8, s5, 0, v8, s5
	v_add_co_u32 v9, s5, v9, s6
	s_bcnt1_i32_b32 s7, s7
	v_add_co_ci_u32_e64 v10, s5, 0, v10, s5
	v_add_co_u32 v11, s5, v11, s7
	s_bcnt1_i32_b32 s8, s8
	v_add_co_ci_u32_e64 v12, s5, 0, v12, s5
	v_add_co_u32 v13, s5, v13, s8
	s_delay_alu instid0(VALU_DEP_1) | instskip(SKIP_1) | instid1(SALU_CYCLE_1)
	v_add_co_ci_u32_e64 v14, s5, 0, v14, s5
	s_or_b32 s13, vcc_lo, s13
	s_and_not1_b32 exec_lo, exec_lo, s13
	s_cbranch_execnz .LBB29_75
; %bb.76:                               ;   in Loop: Header=BB29_17 Depth=1
	s_or_b32 exec_lo, exec_lo, s13
.LBB29_77:                              ;   in Loop: Header=BB29_17 Depth=1
	s_delay_alu instid0(SALU_CYCLE_1)
	s_or_b32 exec_lo, exec_lo, s12
.LBB29_78:                              ;   in Loop: Header=BB29_17 Depth=1
	s_lshl_b32 s5, s97, 7
	s_and_saveexec_b32 s6, s1
	s_cbranch_execz .LBB29_80
; %bb.79:                               ;   in Loop: Header=BB29_17 Depth=1
	v_or_b32_e32 v3, s5, v37
	s_delay_alu instid0(VALU_DEP_1)
	v_lshlrev_b32_e32 v3, 3, v3
	ds_store_b128 v3, v[7:10] offset:3072
	ds_store_b128 v3, v[11:14] offset:3088
.LBB29_80:                              ;   in Loop: Header=BB29_17 Depth=1
	s_or_b32 exec_lo, exec_lo, s6
	s_waitcnt vmcnt(0) lgkmcnt(0)
	s_barrier
	buffer_gl0_inv
	s_and_saveexec_b32 s6, s33
	s_cbranch_execz .LBB29_91
; %bb.81:                               ;   in Loop: Header=BB29_17 Depth=1
	v_mov_b32_e32 v3, 0
	v_mov_b32_e32 v4, 0
	s_and_not1_b32 vcc_lo, exec_lo, s89
	s_cbranch_vccnz .LBB29_90
; %bb.82:                               ;   in Loop: Header=BB29_17 Depth=1
	v_mov_b32_e32 v3, 0
	v_mov_b32_e32 v4, 0
	s_and_not1_b32 vcc_lo, exec_lo, s87
	s_cbranch_vccnz .LBB29_87
; %bb.83:                               ;   in Loop: Header=BB29_17 Depth=1
	v_lshl_add_u32 v7, s97, 10, v43
	s_mov_b32 s7, 0
	s_set_inst_prefetch_distance 0x1
	.p2align	6
.LBB29_84:                              ;   Parent Loop BB29_17 Depth=1
                                        ; =>  This Inner Loop Header: Depth=2
	ds_load_2addr_b64 v[8:11], v7 offset1:4
	ds_load_2addr_b64 v[28:31], v7 offset0:8 offset1:12
	ds_load_2addr_b64 v[45:48], v7 offset0:16 offset1:20
	s_add_i32 s7, s7, 8
	s_delay_alu instid0(SALU_CYCLE_1) | instskip(SKIP_3) | instid1(VALU_DEP_2)
	s_cmp_eq_u32 s88, s7
	s_waitcnt lgkmcnt(2)
	v_add_co_u32 v3, vcc_lo, v8, v3
	v_add_co_ci_u32_e32 v4, vcc_lo, v9, v4, vcc_lo
	v_add_co_u32 v3, vcc_lo, v10, v3
	s_delay_alu instid0(VALU_DEP_2)
	v_add_co_ci_u32_e32 v4, vcc_lo, v11, v4, vcc_lo
	ds_load_2addr_b64 v[8:11], v7 offset0:24 offset1:28
	s_waitcnt lgkmcnt(2)
	v_add_co_u32 v3, vcc_lo, v28, v3
	v_add_co_ci_u32_e32 v4, vcc_lo, v29, v4, vcc_lo
	v_add_nc_u32_e32 v7, 0x100, v7
	s_delay_alu instid0(VALU_DEP_3) | instskip(NEXT) | instid1(VALU_DEP_3)
	v_add_co_u32 v3, vcc_lo, v30, v3
	v_add_co_ci_u32_e32 v4, vcc_lo, v31, v4, vcc_lo
	s_waitcnt lgkmcnt(1)
	s_delay_alu instid0(VALU_DEP_2) | instskip(NEXT) | instid1(VALU_DEP_2)
	v_add_co_u32 v3, vcc_lo, v45, v3
	v_add_co_ci_u32_e32 v4, vcc_lo, v46, v4, vcc_lo
	s_delay_alu instid0(VALU_DEP_2) | instskip(NEXT) | instid1(VALU_DEP_2)
	v_add_co_u32 v3, vcc_lo, v47, v3
	v_add_co_ci_u32_e32 v4, vcc_lo, v48, v4, vcc_lo
	s_waitcnt lgkmcnt(0)
	s_delay_alu instid0(VALU_DEP_2) | instskip(NEXT) | instid1(VALU_DEP_2)
	v_add_co_u32 v3, vcc_lo, v8, v3
	v_add_co_ci_u32_e32 v4, vcc_lo, v9, v4, vcc_lo
	s_delay_alu instid0(VALU_DEP_2) | instskip(NEXT) | instid1(VALU_DEP_2)
	v_add_co_u32 v3, vcc_lo, v10, v3
	v_add_co_ci_u32_e32 v4, vcc_lo, v11, v4, vcc_lo
	s_cbranch_scc0 .LBB29_84
; %bb.85:                               ;   in Loop: Header=BB29_17 Depth=1
	s_set_inst_prefetch_distance 0x2
	s_mov_b32 s7, s88
	s_and_not1_b32 vcc_lo, exec_lo, s90
	s_cbranch_vccz .LBB29_88
	s_branch .LBB29_90
.LBB29_86:                              ;   in Loop: Header=BB29_17 Depth=1
                                        ; implicit-def: $vgpr3_vgpr4
	s_branch .LBB29_54
.LBB29_87:                              ;   in Loop: Header=BB29_17 Depth=1
	s_mov_b32 s7, 0
	s_and_not1_b32 vcc_lo, exec_lo, s90
	s_cbranch_vccnz .LBB29_90
.LBB29_88:                              ;   in Loop: Header=BB29_17 Depth=1
	s_lshl_b32 s8, s97, 10
	s_lshl_b32 s7, s7, 5
	s_delay_alu instid0(SALU_CYCLE_1)
	v_add3_u32 v7, s8, s7, v43
	s_mov_b32 s7, s86
.LBB29_89:                              ;   Parent Loop BB29_17 Depth=1
                                        ; =>  This Inner Loop Header: Depth=2
	ds_load_b64 v[8:9], v7
	v_add_nc_u32_e32 v7, 32, v7
	s_add_i32 s7, s7, -1
	s_delay_alu instid0(SALU_CYCLE_1)
	s_cmp_lg_u32 s7, 0
	s_waitcnt lgkmcnt(0)
	v_add_co_u32 v3, vcc_lo, v8, v3
	v_add_co_ci_u32_e32 v4, vcc_lo, v9, v4, vcc_lo
	s_cbranch_scc1 .LBB29_89
.LBB29_90:                              ;   in Loop: Header=BB29_17 Depth=1
	v_add_lshl_u32 v7, s5, v34, 3
	ds_store_b64 v7, v[3:4] offset:3072
.LBB29_91:                              ;   in Loop: Header=BB29_17 Depth=1
	s_or_b32 exec_lo, exec_lo, s6
	s_lshl_b32 s5, s5, 3
	s_waitcnt lgkmcnt(0)
	v_mov_b32_e32 v3, s5
	s_barrier
	buffer_gl0_inv
	s_and_b32 s23, s95, 0xfe
	s_mov_b32 s56, -1
	ds_load_b128 v[7:10], v3 offset:3072
	ds_load_b128 v[11:14], v3 offset:3088
	s_lshl_b64 s[8:9], 3, s23
	s_delay_alu instid0(SALU_CYCLE_1)
	s_not_b64 s[12:13], s[8:9]
	s_waitcnt lgkmcnt(1)
	v_readfirstlane_b32 s17, v8
	v_readfirstlane_b32 s16, v7
	v_readfirstlane_b32 s14, v9
	v_readfirstlane_b32 s15, v10
	s_waitcnt lgkmcnt(0)
	v_readfirstlane_b32 s10, v11
	v_readfirstlane_b32 s11, v12
	s_cmp_eq_u64 s[16:17], 1
	v_readfirstlane_b32 s6, v13
	s_cselect_b32 s5, -1, 0
	s_cmp_eq_u64 s[38:39], 1
	s_cselect_b32 s7, -1, 0
	s_delay_alu instid0(SALU_CYCLE_1)
	s_and_b32 s72, s5, s7
	v_readfirstlane_b32 s7, v14
	s_and_b32 vcc_lo, exec_lo, s72
	s_cbranch_vccz .LBB29_106
; %bb.92:                               ;   in Loop: Header=BB29_17 Depth=1
	ds_load_b64 v[3:4], v18 offset:5120
	s_waitcnt lgkmcnt(0)
	s_barrier
	buffer_gl0_inv
	v_readfirstlane_b32 s18, v3
	v_readfirstlane_b32 s19, v4
	s_and_saveexec_b32 s5, s3
	s_cbranch_execz .LBB29_94
; %bb.93:                               ;   in Loop: Header=BB29_17 Depth=1
	v_mov_b32_e32 v17, v18
	ds_store_b64 v36, v[17:18]
.LBB29_94:                              ;   in Loop: Header=BB29_17 Depth=1
	s_or_b32 exec_lo, exec_lo, s5
	s_delay_alu instid0(VALU_DEP_1)
	v_cmp_lt_i64_e64 s5, s[18:19], 1
	s_and_b64 s[68:69], s[68:69], s[12:13]
	s_or_b64 s[70:71], s[70:71], s[8:9]
	s_waitcnt lgkmcnt(0)
	s_barrier
	buffer_gl0_inv
	s_and_b32 vcc_lo, exec_lo, s5
	s_cbranch_vccz .LBB29_107
; %bb.95:                               ;   in Loop: Header=BB29_17 Depth=1
	s_mov_b32 s24, s57
	s_delay_alu instid0(SALU_CYCLE_1)
	s_cmp_lg_u64 s[24:25], 0
	s_cbranch_scc0 .LBB29_152
; %bb.96:                               ;   in Loop: Header=BB29_17 Depth=1
	v_cvt_f32_u32_e32 v3, s27
	s_sub_u32 s21, 0, s27
	s_subb_u32 s22, 0, 0
	s_delay_alu instid0(VALU_DEP_1) | instskip(NEXT) | instid1(VALU_DEP_1)
	v_fmac_f32_e32 v3, 0x4f800000, v44
	v_rcp_f32_e32 v3, v3
	s_waitcnt_depctr 0xfff
	v_mul_f32_e32 v3, 0x5f7ffffc, v3
	s_delay_alu instid0(VALU_DEP_1) | instskip(NEXT) | instid1(VALU_DEP_1)
	v_mul_f32_e32 v4, 0x2f800000, v3
	v_trunc_f32_e32 v4, v4
	s_delay_alu instid0(VALU_DEP_1) | instskip(SKIP_1) | instid1(VALU_DEP_2)
	v_fmac_f32_e32 v3, 0xcf800000, v4
	v_cvt_u32_f32_e32 v4, v4
	v_cvt_u32_f32_e32 v3, v3
	s_delay_alu instid0(VALU_DEP_2) | instskip(NEXT) | instid1(VALU_DEP_2)
	v_readfirstlane_b32 s5, v4
	v_readfirstlane_b32 s20, v3
	s_delay_alu instid0(VALU_DEP_2) | instskip(NEXT) | instid1(VALU_DEP_1)
	s_mul_i32 s24, s21, s5
	s_mul_hi_u32 s74, s21, s20
	s_mul_i32 s73, s22, s20
	s_add_i32 s24, s74, s24
	s_mul_i32 s75, s21, s20
	s_add_i32 s24, s24, s73
	s_mul_hi_u32 s74, s20, s75
	s_mul_hi_u32 s76, s5, s75
	s_mul_i32 s73, s5, s75
	s_mul_hi_u32 s75, s20, s24
	s_mul_i32 s20, s20, s24
	s_mul_hi_u32 s77, s5, s24
	s_add_u32 s20, s74, s20
	s_addc_u32 s74, 0, s75
	s_add_u32 s20, s20, s73
	s_mul_i32 s24, s5, s24
	s_addc_u32 s20, s74, s76
	s_addc_u32 s73, s77, 0
	s_add_u32 s20, s20, s24
	s_addc_u32 s24, 0, s73
	v_add_co_u32 v3, s20, v3, s20
	s_delay_alu instid0(VALU_DEP_1) | instskip(SKIP_1) | instid1(VALU_DEP_1)
	s_cmp_lg_u32 s20, 0
	s_addc_u32 s5, s5, s24
	v_readfirstlane_b32 s20, v3
	s_mul_i32 s24, s21, s5
	s_delay_alu instid0(VALU_DEP_1)
	s_mul_hi_u32 s73, s21, s20
	s_mul_i32 s22, s22, s20
	s_add_i32 s24, s73, s24
	s_mul_i32 s21, s21, s20
	s_add_i32 s24, s24, s22
	s_mul_hi_u32 s73, s5, s21
	s_mul_i32 s74, s5, s21
	s_mul_hi_u32 s21, s20, s21
	s_mul_hi_u32 s75, s20, s24
	s_mul_i32 s20, s20, s24
	s_mul_hi_u32 s22, s5, s24
	s_add_u32 s20, s21, s20
	s_addc_u32 s21, 0, s75
	s_add_u32 s20, s20, s74
	s_mul_i32 s24, s5, s24
	s_addc_u32 s20, s21, s73
	s_addc_u32 s21, s22, 0
	s_add_u32 s20, s20, s24
	s_addc_u32 s21, 0, s21
	v_add_co_u32 v3, s20, v3, s20
	s_delay_alu instid0(VALU_DEP_1) | instskip(SKIP_2) | instid1(VALU_DEP_1)
	s_cmp_lg_u32 s20, 0
	s_addc_u32 s5, s5, s21
	s_ashr_i32 s20, s25, 31
	v_readfirstlane_b32 s22, v3
	s_add_u32 s74, s85, s20
	s_mov_b32 s21, s20
	s_addc_u32 s75, s25, s20
	s_delay_alu instid0(SALU_CYCLE_1) | instskip(NEXT) | instid1(SALU_CYCLE_1)
	s_xor_b64 s[74:75], s[74:75], s[20:21]
	s_mul_i32 s24, s74, s5
	s_mul_hi_u32 s73, s74, s22
	s_mul_hi_u32 s21, s74, s5
	s_mul_hi_u32 s77, s75, s22
	s_mul_i32 s22, s75, s22
	s_add_u32 s24, s73, s24
	s_addc_u32 s21, 0, s21
	s_mul_hi_u32 s76, s75, s5
	s_add_u32 s22, s24, s22
	s_mul_i32 s5, s75, s5
	s_addc_u32 s21, s21, s77
	s_addc_u32 s22, s76, 0
	s_add_u32 s5, s21, s5
	s_addc_u32 s21, 0, s22
	s_mul_hi_u32 s22, s27, s5
	s_mul_i32 s5, s27, s5
	s_mul_i32 s21, s27, s21
	v_sub_co_u32 v3, s5, s74, s5
	s_add_i32 s22, s22, s21
	s_cmp_lg_u32 s5, 0
	s_delay_alu instid0(VALU_DEP_1) | instskip(SKIP_2) | instid1(VALU_DEP_1)
	v_sub_co_u32 v4, s5, v3, s27
	s_subb_u32 s21, s75, s22
	s_cmp_lg_u32 s5, 0
	v_cmp_le_u32_e32 vcc_lo, s27, v4
	v_sub_co_u32 v5, s5, v4, s27
	s_subb_u32 s22, s21, 0
	s_cmp_lg_u32 s5, 0
	v_cndmask_b32_e64 v6, 0, -1, vcc_lo
	s_subb_u32 s5, s22, 0
	s_cmp_eq_u32 s22, 0
	v_mov_b32_e32 v8, s5
	s_cselect_b32 vcc_lo, -1, 0
	s_cmp_eq_u32 s21, 0
	v_cndmask_b32_e32 v6, -1, v6, vcc_lo
	v_cmp_le_u32_e32 vcc_lo, s27, v3
	s_cselect_b32 s5, -1, 0
	v_cndmask_b32_e64 v7, 0, -1, vcc_lo
	s_delay_alu instid0(VALU_DEP_3) | instskip(NEXT) | instid1(VALU_DEP_2)
	v_cmp_ne_u32_e32 vcc_lo, 0, v6
	v_cndmask_b32_e64 v6, -1, v7, s5
	v_cndmask_b32_e32 v4, v4, v5, vcc_lo
	v_cndmask_b32_e32 v7, s22, v8, vcc_lo
	s_delay_alu instid0(VALU_DEP_3) | instskip(NEXT) | instid1(VALU_DEP_3)
	v_cmp_ne_u32_e32 vcc_lo, 0, v6
	v_cndmask_b32_e32 v3, v3, v4, vcc_lo
	s_delay_alu instid0(VALU_DEP_3) | instskip(NEXT) | instid1(VALU_DEP_2)
	v_cndmask_b32_e32 v5, s21, v7, vcc_lo
	v_xor_b32_e32 v3, s20, v3
	s_delay_alu instid0(VALU_DEP_2) | instskip(NEXT) | instid1(VALU_DEP_2)
	v_xor_b32_e32 v4, s20, v5
	v_sub_co_u32 v3, vcc_lo, v3, s20
	s_delay_alu instid0(VALU_DEP_2)
	v_subrev_co_ci_u32_e32 v4, vcc_lo, s20, v4, vcc_lo
	s_cbranch_execnz .LBB29_98
.LBB29_97:                              ;   in Loop: Header=BB29_17 Depth=1
	v_cvt_f32_u32_e32 v3, s27
	s_sub_i32 s5, 0, s27
	s_delay_alu instid0(VALU_DEP_1) | instskip(SKIP_2) | instid1(VALU_DEP_1)
	v_rcp_iflag_f32_e32 v3, v3
	s_waitcnt_depctr 0xfff
	v_mul_f32_e32 v3, 0x4f7ffffe, v3
	v_cvt_u32_f32_e32 v3, v3
	s_delay_alu instid0(VALU_DEP_1) | instskip(NEXT) | instid1(VALU_DEP_1)
	v_mul_lo_u32 v4, s5, v3
	v_mul_hi_u32 v4, v3, v4
	s_delay_alu instid0(VALU_DEP_1) | instskip(NEXT) | instid1(VALU_DEP_1)
	v_add_nc_u32_e32 v3, v3, v4
	v_mul_hi_u32 v3, s85, v3
	s_delay_alu instid0(VALU_DEP_1) | instskip(NEXT) | instid1(VALU_DEP_1)
	v_mul_lo_u32 v3, v3, s27
	v_sub_nc_u32_e32 v3, s85, v3
	s_delay_alu instid0(VALU_DEP_1) | instskip(SKIP_1) | instid1(VALU_DEP_2)
	v_subrev_nc_u32_e32 v4, s27, v3
	v_cmp_le_u32_e32 vcc_lo, s27, v3
	v_cndmask_b32_e32 v3, v3, v4, vcc_lo
	s_delay_alu instid0(VALU_DEP_1) | instskip(SKIP_1) | instid1(VALU_DEP_2)
	v_subrev_nc_u32_e32 v4, s27, v3
	v_cmp_le_u32_e32 vcc_lo, s27, v3
	v_cndmask_b32_e32 v17, v3, v4, vcc_lo
	s_delay_alu instid0(VALU_DEP_1)
	v_dual_mov_b32 v3, v17 :: v_dual_mov_b32 v4, v18
.LBB29_98:                              ;   in Loop: Header=BB29_17 Depth=1
	s_delay_alu instid0(VALU_DEP_1) | instskip(NEXT) | instid1(VALU_DEP_2)
	v_sub_co_u32 v7, vcc_lo, s85, v3
	v_sub_co_ci_u32_e32 v8, vcc_lo, s25, v4, vcc_lo
	s_mov_b32 s5, 0
	s_mov_b32 s20, exec_lo
                                        ; implicit-def: $vgpr5_vgpr6
	s_delay_alu instid0(VALU_DEP_1)
	v_cmpx_gt_i64_e64 v[7:8], v[0:1]
	s_cbranch_execz .LBB29_109
; %bb.99:                               ;   in Loop: Header=BB29_17 Depth=1
	v_dual_mov_b32 v9, v15 :: v_dual_mov_b32 v10, v16
	v_dual_mov_b32 v12, v1 :: v_dual_mov_b32 v11, v0
	s_mov_b32 s21, 0
                                        ; implicit-def: $sgpr5
	s_set_inst_prefetch_distance 0x1
	s_branch .LBB29_101
	.p2align	6
.LBB29_100:                             ;   in Loop: Header=BB29_101 Depth=2
	s_or_b32 exec_lo, exec_lo, s22
	s_waitcnt vmcnt(0) lgkmcnt(0)
	s_barrier
	buffer_gl0_inv
	ds_load_b128 v[3:6], v18 offset:3072
	v_add_co_u32 v11, vcc_lo, v11, s27
	v_add_co_ci_u32_e32 v12, vcc_lo, 0, v12, vcc_lo
	s_waitcnt lgkmcnt(0)
	s_barrier
	buffer_gl0_inv
	v_cmp_ge_i64_e32 vcc_lo, v[11:12], v[7:8]
	v_readfirstlane_b32 s75, v4
	v_readfirstlane_b32 s74, v3
	s_delay_alu instid0(VALU_DEP_1) | instskip(SKIP_1) | instid1(SALU_CYCLE_1)
	s_cmp_lg_u64 s[74:75], 0
	s_cselect_b32 s22, -1, 0
	s_or_b32 s24, s22, vcc_lo
	v_add_co_u32 v9, vcc_lo, v9, s58
	s_and_b32 s24, exec_lo, s24
	v_add_co_ci_u32_e32 v10, vcc_lo, s59, v10, vcc_lo
	s_or_b32 s21, s24, s21
	s_and_not1_b32 s5, s5, exec_lo
	s_and_b32 s22, s22, exec_lo
	s_delay_alu instid0(SALU_CYCLE_1)
	s_or_b32 s5, s5, s22
	s_and_not1_b32 exec_lo, exec_lo, s21
	s_cbranch_execz .LBB29_108
.LBB29_101:                             ;   Parent Loop BB29_17 Depth=1
                                        ; =>  This Inner Loop Header: Depth=2
	s_delay_alu instid0(VALU_DEP_1)
	v_cmp_gt_i64_e32 vcc_lo, s[36:37], v[11:12]
	v_mov_b32_e32 v4, 0
	v_mov_b32_e32 v5, 0
	s_and_saveexec_b32 s22, vcc_lo
	s_cbranch_execz .LBB29_103
; %bb.102:                              ;   in Loop: Header=BB29_101 Depth=2
	global_load_b64 v[4:5], v[9:10], off
.LBB29_103:                             ;   in Loop: Header=BB29_101 Depth=2
	s_or_b32 exec_lo, exec_lo, s22
	s_and_saveexec_b32 s22, vcc_lo
	s_cbranch_execz .LBB29_100
; %bb.104:                              ;   in Loop: Header=BB29_101 Depth=2
	s_waitcnt vmcnt(0)
	v_xor_b32_e32 v3, 0x80000000, v5
	v_and_b32_e32 v13, s70, v4
	s_delay_alu instid0(VALU_DEP_2) | instskip(NEXT) | instid1(VALU_DEP_1)
	v_and_b32_e32 v14, s71, v3
	v_cmp_eq_u64_e32 vcc_lo, s[68:69], v[13:14]
	s_and_b32 exec_lo, exec_lo, vcc_lo
	s_cbranch_execz .LBB29_100
; %bb.105:                              ;   in Loop: Header=BB29_101 Depth=2
	v_mov_b32_e32 v3, v18
	ds_store_b128 v18, v[2:5] offset:3072
	s_branch .LBB29_100
.LBB29_106:                             ;   in Loop: Header=BB29_17 Depth=1
	s_mov_b32 s5, -1
                                        ; implicit-def: $sgpr20
                                        ; implicit-def: $sgpr22
                                        ; implicit-def: $sgpr21
	s_branch .LBB29_123
.LBB29_107:                             ;   in Loop: Header=BB29_17 Depth=1
	s_mov_b32 s20, -1
	s_mov_b32 s5, 0
                                        ; implicit-def: $sgpr21
                                        ; implicit-def: $vgpr5_vgpr6
	s_mov_b32 s22, s20
	s_cbranch_execnz .LBB29_110
	s_branch .LBB29_123
.LBB29_108:                             ;   in Loop: Header=BB29_17 Depth=1
	s_set_inst_prefetch_distance 0x2
	s_or_b32 exec_lo, exec_lo, s21
	s_delay_alu instid0(SALU_CYCLE_1)
	s_and_b32 s5, s5, exec_lo
.LBB29_109:                             ;   in Loop: Header=BB29_17 Depth=1
	s_or_b32 exec_lo, exec_lo, s20
	s_mov_b32 s21, -1
	s_mov_b32 s20, 0
	s_delay_alu instid0(SALU_CYCLE_1)
	s_mov_b32 s22, s20
	s_branch .LBB29_123
.LBB29_110:                             ;   in Loop: Header=BB29_17 Depth=1
	s_add_u32 s22, s83, s18
	s_addc_u32 s21, s84, s19
	s_mov_b32 s20, s57
	s_delay_alu instid0(SALU_CYCLE_1)
	s_cmp_lg_u64 s[20:21], 0
	s_cbranch_scc0 .LBB29_153
; %bb.111:                              ;   in Loop: Header=BB29_17 Depth=1
	v_cvt_f32_u32_e32 v3, s27
	s_sub_u32 s24, 0, s27
	s_subb_u32 s73, 0, 0
	s_delay_alu instid0(VALU_DEP_1) | instskip(NEXT) | instid1(VALU_DEP_1)
	v_fmac_f32_e32 v3, 0x4f800000, v44
	v_rcp_f32_e32 v3, v3
	s_waitcnt_depctr 0xfff
	v_mul_f32_e32 v3, 0x5f7ffffc, v3
	s_delay_alu instid0(VALU_DEP_1) | instskip(NEXT) | instid1(VALU_DEP_1)
	v_mul_f32_e32 v4, 0x2f800000, v3
	v_trunc_f32_e32 v4, v4
	s_delay_alu instid0(VALU_DEP_1) | instskip(SKIP_1) | instid1(VALU_DEP_2)
	v_fmac_f32_e32 v3, 0xcf800000, v4
	v_cvt_u32_f32_e32 v4, v4
	v_cvt_u32_f32_e32 v3, v3
	s_delay_alu instid0(VALU_DEP_2) | instskip(NEXT) | instid1(VALU_DEP_2)
	v_readfirstlane_b32 s5, v4
	v_readfirstlane_b32 s20, v3
	s_delay_alu instid0(VALU_DEP_2) | instskip(NEXT) | instid1(VALU_DEP_1)
	s_mul_i32 s74, s24, s5
	s_mul_hi_u32 s76, s24, s20
	s_mul_i32 s75, s73, s20
	s_add_i32 s74, s76, s74
	s_mul_i32 s77, s24, s20
	s_add_i32 s74, s74, s75
	s_mul_hi_u32 s76, s20, s77
	s_mul_hi_u32 s78, s5, s77
	s_mul_i32 s75, s5, s77
	s_mul_hi_u32 s77, s20, s74
	s_mul_i32 s20, s20, s74
	s_mul_hi_u32 s79, s5, s74
	s_add_u32 s20, s76, s20
	s_addc_u32 s76, 0, s77
	s_add_u32 s20, s20, s75
	s_mul_i32 s74, s5, s74
	s_addc_u32 s20, s76, s78
	s_addc_u32 s75, s79, 0
	s_add_u32 s20, s20, s74
	s_addc_u32 s74, 0, s75
	v_add_co_u32 v3, s20, v3, s20
	s_delay_alu instid0(VALU_DEP_1) | instskip(SKIP_1) | instid1(VALU_DEP_1)
	s_cmp_lg_u32 s20, 0
	s_addc_u32 s5, s5, s74
	v_readfirstlane_b32 s20, v3
	s_mul_i32 s74, s24, s5
	s_delay_alu instid0(VALU_DEP_1)
	s_mul_hi_u32 s75, s24, s20
	s_mul_i32 s73, s73, s20
	s_add_i32 s74, s75, s74
	s_mul_i32 s24, s24, s20
	s_add_i32 s74, s74, s73
	s_mul_hi_u32 s75, s5, s24
	s_mul_i32 s76, s5, s24
	s_mul_hi_u32 s24, s20, s24
	s_mul_hi_u32 s77, s20, s74
	s_mul_i32 s20, s20, s74
	s_mul_hi_u32 s73, s5, s74
	s_add_u32 s20, s24, s20
	s_addc_u32 s24, 0, s77
	s_add_u32 s20, s20, s76
	s_mul_i32 s74, s5, s74
	s_addc_u32 s20, s24, s75
	s_addc_u32 s24, s73, 0
	s_add_u32 s20, s20, s74
	s_addc_u32 s24, 0, s24
	v_add_co_u32 v3, s20, v3, s20
	s_delay_alu instid0(VALU_DEP_1) | instskip(SKIP_2) | instid1(VALU_DEP_1)
	s_cmp_lg_u32 s20, 0
	s_addc_u32 s5, s5, s24
	s_ashr_i32 s74, s21, 31
	v_readfirstlane_b32 s20, v3
	s_add_u32 s76, s22, s74
	s_mov_b32 s75, s74
	s_addc_u32 s77, s21, s74
	s_delay_alu instid0(SALU_CYCLE_1) | instskip(NEXT) | instid1(SALU_CYCLE_1)
	s_xor_b64 s[76:77], s[76:77], s[74:75]
	s_mul_i32 s73, s76, s5
	s_mul_hi_u32 s75, s76, s20
	s_mul_hi_u32 s24, s76, s5
	;; [unrolled: 1-line block ×3, first 2 shown]
	s_mul_i32 s20, s77, s20
	s_add_u32 s73, s75, s73
	s_addc_u32 s24, 0, s24
	s_mul_hi_u32 s78, s77, s5
	s_add_u32 s20, s73, s20
	s_mul_i32 s5, s77, s5
	s_addc_u32 s20, s24, s79
	s_addc_u32 s24, s78, 0
	s_add_u32 s5, s20, s5
	s_addc_u32 s20, 0, s24
	s_mul_hi_u32 s24, s27, s5
	s_mul_i32 s5, s27, s5
	s_mul_i32 s20, s27, s20
	v_sub_co_u32 v3, s5, s76, s5
	s_add_i32 s24, s24, s20
	s_cmp_lg_u32 s5, 0
	s_delay_alu instid0(VALU_DEP_1) | instskip(SKIP_2) | instid1(VALU_DEP_1)
	v_sub_co_u32 v4, s5, v3, s27
	s_subb_u32 s20, s77, s24
	s_cmp_lg_u32 s5, 0
	v_cmp_le_u32_e32 vcc_lo, s27, v4
	v_sub_co_u32 v5, s5, v4, s27
	s_subb_u32 s24, s20, 0
	s_cmp_lg_u32 s5, 0
	v_cndmask_b32_e64 v6, 0, -1, vcc_lo
	s_subb_u32 s5, s24, 0
	s_cmp_eq_u32 s24, 0
	v_mov_b32_e32 v8, s5
	s_cselect_b32 vcc_lo, -1, 0
	s_cmp_eq_u32 s20, 0
	v_cndmask_b32_e32 v6, -1, v6, vcc_lo
	v_cmp_le_u32_e32 vcc_lo, s27, v3
	s_cselect_b32 s5, -1, 0
	v_cndmask_b32_e64 v7, 0, -1, vcc_lo
	s_delay_alu instid0(VALU_DEP_3) | instskip(NEXT) | instid1(VALU_DEP_2)
	v_cmp_ne_u32_e32 vcc_lo, 0, v6
	v_cndmask_b32_e64 v6, -1, v7, s5
	v_cndmask_b32_e32 v4, v4, v5, vcc_lo
	v_cndmask_b32_e32 v7, s24, v8, vcc_lo
	s_delay_alu instid0(VALU_DEP_3) | instskip(NEXT) | instid1(VALU_DEP_3)
	v_cmp_ne_u32_e32 vcc_lo, 0, v6
	v_cndmask_b32_e32 v3, v3, v4, vcc_lo
	s_delay_alu instid0(VALU_DEP_3) | instskip(NEXT) | instid1(VALU_DEP_2)
	v_cndmask_b32_e32 v5, s20, v7, vcc_lo
	v_xor_b32_e32 v3, s74, v3
	s_delay_alu instid0(VALU_DEP_2) | instskip(NEXT) | instid1(VALU_DEP_2)
	v_xor_b32_e32 v4, s74, v5
	v_sub_co_u32 v3, vcc_lo, v3, s74
	s_delay_alu instid0(VALU_DEP_2)
	v_subrev_co_ci_u32_e32 v4, vcc_lo, s74, v4, vcc_lo
	s_cbranch_execnz .LBB29_113
.LBB29_112:                             ;   in Loop: Header=BB29_17 Depth=1
	v_cvt_f32_u32_e32 v3, s27
	s_sub_i32 s5, 0, s27
	s_delay_alu instid0(VALU_DEP_1) | instskip(SKIP_2) | instid1(VALU_DEP_1)
	v_rcp_iflag_f32_e32 v3, v3
	s_waitcnt_depctr 0xfff
	v_mul_f32_e32 v3, 0x4f7ffffe, v3
	v_cvt_u32_f32_e32 v3, v3
	s_delay_alu instid0(VALU_DEP_1) | instskip(NEXT) | instid1(VALU_DEP_1)
	v_mul_lo_u32 v4, s5, v3
	v_mul_hi_u32 v4, v3, v4
	s_delay_alu instid0(VALU_DEP_1) | instskip(NEXT) | instid1(VALU_DEP_1)
	v_add_nc_u32_e32 v3, v3, v4
	v_mul_hi_u32 v3, s22, v3
	s_delay_alu instid0(VALU_DEP_1) | instskip(NEXT) | instid1(VALU_DEP_1)
	v_mul_lo_u32 v3, v3, s27
	v_sub_nc_u32_e32 v3, s22, v3
	s_delay_alu instid0(VALU_DEP_1) | instskip(SKIP_1) | instid1(VALU_DEP_2)
	v_subrev_nc_u32_e32 v4, s27, v3
	v_cmp_le_u32_e32 vcc_lo, s27, v3
	v_cndmask_b32_e32 v3, v3, v4, vcc_lo
	s_delay_alu instid0(VALU_DEP_1) | instskip(SKIP_1) | instid1(VALU_DEP_2)
	v_subrev_nc_u32_e32 v4, s27, v3
	v_cmp_le_u32_e32 vcc_lo, s27, v3
	v_cndmask_b32_e32 v17, v3, v4, vcc_lo
	s_delay_alu instid0(VALU_DEP_1)
	v_dual_mov_b32 v3, v17 :: v_dual_mov_b32 v4, v18
.LBB29_113:                             ;   in Loop: Header=BB29_17 Depth=1
	s_delay_alu instid0(VALU_DEP_1) | instskip(NEXT) | instid1(VALU_DEP_2)
	v_sub_co_u32 v7, vcc_lo, s22, v3
	v_sub_co_ci_u32_e32 v8, vcc_lo, s21, v4, vcc_lo
	s_mov_b32 s5, 0
	s_mov_b32 s20, exec_lo
                                        ; implicit-def: $vgpr5_vgpr6
	s_delay_alu instid0(VALU_DEP_1)
	v_cmpx_gt_i64_e64 v[7:8], v[0:1]
	s_cbranch_execz .LBB29_122
; %bb.114:                              ;   in Loop: Header=BB29_17 Depth=1
	v_dual_mov_b32 v11, v35 :: v_dual_mov_b32 v10, v1
	v_mov_b32_e32 v9, v0
	s_mov_b32 s21, 0
                                        ; implicit-def: $sgpr5
	s_set_inst_prefetch_distance 0x1
	s_branch .LBB29_116
	.p2align	6
.LBB29_115:                             ;   in Loop: Header=BB29_116 Depth=2
	s_or_b32 exec_lo, exec_lo, s22
	s_waitcnt lgkmcnt(0)
	s_barrier
	buffer_gl0_inv
	ds_load_b128 v[3:6], v18 offset:3072
	v_add_co_u32 v9, vcc_lo, v9, s27
	v_add_co_ci_u32_e32 v10, vcc_lo, 0, v10, vcc_lo
	v_add_nc_u32_e32 v11, s91, v11
	s_waitcnt lgkmcnt(0)
	s_barrier
	s_delay_alu instid0(VALU_DEP_2) | instskip(SKIP_3) | instid1(VALU_DEP_1)
	v_cmp_ge_i64_e32 vcc_lo, v[9:10], v[7:8]
	buffer_gl0_inv
	v_readfirstlane_b32 s75, v4
	v_readfirstlane_b32 s74, v3
	s_cmp_lg_u64 s[74:75], 0
	s_cselect_b32 s22, -1, 0
	s_delay_alu instid0(SALU_CYCLE_1) | instskip(NEXT) | instid1(SALU_CYCLE_1)
	s_or_b32 s24, s22, vcc_lo
	s_and_b32 s24, exec_lo, s24
	s_delay_alu instid0(SALU_CYCLE_1) | instskip(SKIP_2) | instid1(SALU_CYCLE_1)
	s_or_b32 s21, s24, s21
	s_and_not1_b32 s5, s5, exec_lo
	s_and_b32 s22, s22, exec_lo
	s_or_b32 s5, s5, s22
	s_and_not1_b32 exec_lo, exec_lo, s21
	s_cbranch_execz .LBB29_121
.LBB29_116:                             ;   Parent Loop BB29_17 Depth=1
                                        ; =>  This Inner Loop Header: Depth=2
	s_delay_alu instid0(VALU_DEP_1)
	v_cmp_gt_i64_e32 vcc_lo, s[18:19], v[9:10]
	v_mov_b32_e32 v4, 0
	v_mov_b32_e32 v5, 0
	s_and_saveexec_b32 s22, vcc_lo
	s_cbranch_execz .LBB29_118
; %bb.117:                              ;   in Loop: Header=BB29_116 Depth=2
	ds_load_b64 v[4:5], v11
.LBB29_118:                             ;   in Loop: Header=BB29_116 Depth=2
	s_or_b32 exec_lo, exec_lo, s22
	s_and_saveexec_b32 s22, vcc_lo
	s_cbranch_execz .LBB29_115
; %bb.119:                              ;   in Loop: Header=BB29_116 Depth=2
	s_waitcnt lgkmcnt(0)
	v_xor_b32_e32 v3, 0x80000000, v5
	v_and_b32_e32 v12, s70, v4
	s_delay_alu instid0(VALU_DEP_2) | instskip(NEXT) | instid1(VALU_DEP_1)
	v_and_b32_e32 v13, s71, v3
	v_cmp_eq_u64_e32 vcc_lo, s[68:69], v[12:13]
	s_and_b32 exec_lo, exec_lo, vcc_lo
	s_cbranch_execz .LBB29_115
; %bb.120:                              ;   in Loop: Header=BB29_116 Depth=2
	v_mov_b32_e32 v3, v18
	ds_store_b128 v18, v[2:5] offset:3072
	s_branch .LBB29_115
.LBB29_121:                             ;   in Loop: Header=BB29_17 Depth=1
	s_set_inst_prefetch_distance 0x2
	s_or_b32 exec_lo, exec_lo, s21
	s_delay_alu instid0(SALU_CYCLE_1)
	s_and_b32 s5, s5, exec_lo
.LBB29_122:                             ;   in Loop: Header=BB29_17 Depth=1
	s_or_b32 exec_lo, exec_lo, s20
	s_mov_b32 s22, -1
	s_mov_b32 s20, 0
	s_mov_b32 s21, 0
.LBB29_123:                             ;   in Loop: Header=BB29_17 Depth=1
	s_and_not1_b32 s18, s98, exec_lo
	s_and_b32 s19, s20, exec_lo
	s_and_not1_b32 s20, s99, exec_lo
	s_or_b32 s98, s18, s19
	s_and_not1_b32 s18, s100, exec_lo
	s_and_b32 s19, s22, exec_lo
	s_and_b32 s21, s21, exec_lo
	s_or_b32 s100, s18, s19
	s_or_b32 s99, s20, s21
	s_and_saveexec_b32 s22, s5
	s_cbranch_execz .LBB29_16
; %bb.124:                              ;   in Loop: Header=BB29_17 Depth=1
	s_xor_b32 s5, s72, -1
	s_delay_alu instid0(SALU_CYCLE_1)
	s_and_not1_b32 vcc_lo, exec_lo, s5
	s_mov_b32 s5, 1
	s_cbranch_vccnz .LBB29_135
; %bb.125:                              ;   in Loop: Header=BB29_17 Depth=1
	v_cmp_gt_i64_e64 s5, s[38:39], s[16:17]
	s_mov_b32 s24, -1
                                        ; implicit-def: $sgpr18_sgpr19
                                        ; implicit-def: $sgpr20_sgpr21
	s_delay_alu instid0(VALU_DEP_1)
	s_and_b32 vcc_lo, exec_lo, s5
                                        ; implicit-def: $sgpr5
	s_cbranch_vccnz .LBB29_131
; %bb.126:                              ;   in Loop: Header=BB29_17 Depth=1
	ds_load_b64 v[3:4], v18 offset:5120
	s_waitcnt lgkmcnt(0)
	v_cmp_ne_u64_e32 vcc_lo, 0, v[3:4]
	s_cbranch_vccnz .LBB29_130
; %bb.127:                              ;   in Loop: Header=BB29_17 Depth=1
	s_and_saveexec_b32 s5, s2
	s_cbranch_execz .LBB29_129
; %bb.128:                              ;   in Loop: Header=BB29_17 Depth=1
	v_dual_mov_b32 v3, s16 :: v_dual_mov_b32 v4, s17
	ds_store_b64 v18, v[3:4] offset:5128
.LBB29_129:                             ;   in Loop: Header=BB29_17 Depth=1
	s_or_b32 exec_lo, exec_lo, s5
	s_waitcnt lgkmcnt(0)
	s_barrier
	buffer_gl0_inv
.LBB29_130:                             ;   in Loop: Header=BB29_17 Depth=1
	s_and_b64 s[18:19], s[68:69], s[12:13]
	s_or_b64 s[20:21], s[70:71], s[8:9]
	s_mov_b32 s24, 0
	s_mov_b32 s5, 8
.LBB29_131:                             ;   in Loop: Header=BB29_17 Depth=1
	s_and_not1_b32 vcc_lo, exec_lo, s24
	s_cbranch_vccnz .LBB29_133
; %bb.132:                              ;   in Loop: Header=BB29_17 Depth=1
	s_sub_u32 s38, s38, s16
	s_subb_u32 s39, s39, s17
	s_mov_b32 s24, -1
	s_mov_b32 s5, 0
	s_mov_b64 s[18:19], s[68:69]
	s_mov_b64 s[20:21], s[70:71]
.LBB29_133:                             ;   in Loop: Header=BB29_17 Depth=1
	s_delay_alu instid0(SALU_CYCLE_1)
	s_mov_b64 s[70:71], s[20:21]
	s_mov_b64 s[68:69], s[18:19]
	s_and_b32 vcc_lo, exec_lo, s24
	s_mov_b32 s20, -1
	s_cbranch_vccnz .LBB29_136
.LBB29_134:                             ;   in Loop: Header=BB29_17 Depth=1
	s_mov_b32 s16, -1
                                        ; implicit-def: $sgpr21
                                        ; implicit-def: $sgpr72
                                        ; implicit-def: $sgpr56
	s_delay_alu instid0(SALU_CYCLE_1) | instskip(NEXT) | instid1(SALU_CYCLE_1)
	s_and_saveexec_b32 s6, s16
	s_xor_b32 s6, exec_lo, s6
	s_cbranch_execz .LBB29_15
	s_branch .LBB29_282
.LBB29_135:                             ;   in Loop: Header=BB29_17 Depth=1
	s_mov_b64 s[38:39], 1
	s_mov_b32 s20, -1
	s_branch .LBB29_134
.LBB29_136:                             ;   in Loop: Header=BB29_17 Depth=1
	s_cmp_eq_u64 s[14:15], 1
	s_mov_b32 s18, -1
	s_cselect_b32 s5, -1, 0
	s_cmp_eq_u64 s[38:39], 1
	s_cselect_b32 s16, -1, 0
	s_delay_alu instid0(SALU_CYCLE_1) | instskip(NEXT) | instid1(SALU_CYCLE_1)
	s_and_b32 s74, s5, s16
	s_and_b32 vcc_lo, exec_lo, s74
	s_cbranch_vccz .LBB29_151
; %bb.137:                              ;   in Loop: Header=BB29_17 Depth=1
	ds_load_b64 v[3:4], v18 offset:5120
	s_waitcnt lgkmcnt(0)
	s_barrier
	buffer_gl0_inv
	v_readfirstlane_b32 s16, v3
	v_readfirstlane_b32 s17, v4
	s_and_saveexec_b32 s5, s3
	s_cbranch_execz .LBB29_139
; %bb.138:                              ;   in Loop: Header=BB29_17 Depth=1
	v_mov_b32_e32 v17, v18
	ds_store_b64 v36, v[17:18]
.LBB29_139:                             ;   in Loop: Header=BB29_17 Depth=1
	s_or_b32 exec_lo, exec_lo, s5
	s_delay_alu instid0(VALU_DEP_1)
	v_cmp_gt_i64_e64 s5, s[16:17], 0
	s_lshl_b64 s[18:19], 1, s23
	s_and_b64 s[68:69], s[68:69], s[12:13]
	s_or_b64 s[70:71], s[70:71], s[8:9]
	s_or_b64 s[68:69], s[68:69], s[18:19]
	s_waitcnt lgkmcnt(0)
	s_and_b32 vcc_lo, exec_lo, s5
	s_barrier
	buffer_gl0_inv
	s_cbranch_vccnz .LBB29_154
; %bb.140:                              ;   in Loop: Header=BB29_17 Depth=1
	s_mov_b32 s24, s57
	s_delay_alu instid0(SALU_CYCLE_1)
	s_cmp_lg_u64 s[24:25], 0
	s_cbranch_scc0 .LBB29_199
; %bb.141:                              ;   in Loop: Header=BB29_17 Depth=1
	v_cvt_f32_u32_e32 v3, s27
	s_sub_u32 s19, 0, s27
	s_subb_u32 s21, 0, 0
	s_delay_alu instid0(VALU_DEP_1) | instskip(NEXT) | instid1(VALU_DEP_1)
	v_fmac_f32_e32 v3, 0x4f800000, v44
	v_rcp_f32_e32 v3, v3
	s_waitcnt_depctr 0xfff
	v_mul_f32_e32 v3, 0x5f7ffffc, v3
	s_delay_alu instid0(VALU_DEP_1) | instskip(NEXT) | instid1(VALU_DEP_1)
	v_mul_f32_e32 v4, 0x2f800000, v3
	v_trunc_f32_e32 v4, v4
	s_delay_alu instid0(VALU_DEP_1) | instskip(SKIP_1) | instid1(VALU_DEP_2)
	v_fmac_f32_e32 v3, 0xcf800000, v4
	v_cvt_u32_f32_e32 v4, v4
	v_cvt_u32_f32_e32 v3, v3
	s_delay_alu instid0(VALU_DEP_2) | instskip(NEXT) | instid1(VALU_DEP_2)
	v_readfirstlane_b32 s5, v4
	v_readfirstlane_b32 s18, v3
	s_delay_alu instid0(VALU_DEP_2) | instskip(NEXT) | instid1(VALU_DEP_1)
	s_mul_i32 s24, s19, s5
	s_mul_hi_u32 s72, s19, s18
	s_mul_i32 s56, s21, s18
	s_add_i32 s24, s72, s24
	s_mul_i32 s73, s19, s18
	s_add_i32 s24, s24, s56
	s_mul_hi_u32 s72, s18, s73
	s_mul_hi_u32 s75, s5, s73
	s_mul_i32 s56, s5, s73
	s_mul_hi_u32 s73, s18, s24
	s_mul_i32 s18, s18, s24
	s_mul_hi_u32 s76, s5, s24
	s_add_u32 s18, s72, s18
	s_addc_u32 s72, 0, s73
	s_add_u32 s18, s18, s56
	s_mul_i32 s24, s5, s24
	s_addc_u32 s18, s72, s75
	s_addc_u32 s56, s76, 0
	s_add_u32 s18, s18, s24
	s_addc_u32 s24, 0, s56
	v_add_co_u32 v3, s18, v3, s18
	s_delay_alu instid0(VALU_DEP_1) | instskip(SKIP_1) | instid1(VALU_DEP_1)
	s_cmp_lg_u32 s18, 0
	s_addc_u32 s5, s5, s24
	v_readfirstlane_b32 s18, v3
	s_mul_i32 s24, s19, s5
	s_delay_alu instid0(VALU_DEP_1)
	s_mul_hi_u32 s56, s19, s18
	s_mul_i32 s21, s21, s18
	s_add_i32 s24, s56, s24
	s_mul_i32 s19, s19, s18
	s_add_i32 s24, s24, s21
	s_mul_hi_u32 s56, s5, s19
	s_mul_i32 s72, s5, s19
	s_mul_hi_u32 s19, s18, s19
	s_mul_hi_u32 s73, s18, s24
	s_mul_i32 s18, s18, s24
	s_mul_hi_u32 s21, s5, s24
	s_add_u32 s18, s19, s18
	s_addc_u32 s19, 0, s73
	s_add_u32 s18, s18, s72
	s_mul_i32 s24, s5, s24
	s_addc_u32 s18, s19, s56
	s_addc_u32 s19, s21, 0
	s_add_u32 s18, s18, s24
	s_addc_u32 s19, 0, s19
	v_add_co_u32 v3, s18, v3, s18
	s_delay_alu instid0(VALU_DEP_1) | instskip(SKIP_2) | instid1(VALU_DEP_1)
	s_cmp_lg_u32 s18, 0
	s_addc_u32 s5, s5, s19
	s_ashr_i32 s18, s25, 31
	v_readfirstlane_b32 s21, v3
	s_add_u32 s72, s85, s18
	s_mov_b32 s19, s18
	s_addc_u32 s73, s25, s18
	s_delay_alu instid0(SALU_CYCLE_1) | instskip(NEXT) | instid1(SALU_CYCLE_1)
	s_xor_b64 s[72:73], s[72:73], s[18:19]
	s_mul_i32 s24, s72, s5
	s_mul_hi_u32 s56, s72, s21
	s_mul_hi_u32 s19, s72, s5
	;; [unrolled: 1-line block ×3, first 2 shown]
	s_mul_i32 s21, s73, s21
	s_add_u32 s24, s56, s24
	s_addc_u32 s19, 0, s19
	s_mul_hi_u32 s75, s73, s5
	s_add_u32 s21, s24, s21
	s_mul_i32 s5, s73, s5
	s_addc_u32 s19, s19, s76
	s_addc_u32 s21, s75, 0
	s_add_u32 s5, s19, s5
	s_addc_u32 s19, 0, s21
	s_mul_hi_u32 s21, s27, s5
	s_mul_i32 s5, s27, s5
	s_mul_i32 s19, s27, s19
	v_sub_co_u32 v3, s5, s72, s5
	s_add_i32 s21, s21, s19
	s_cmp_lg_u32 s5, 0
	s_delay_alu instid0(VALU_DEP_1) | instskip(SKIP_2) | instid1(VALU_DEP_1)
	v_sub_co_u32 v4, s5, v3, s27
	s_subb_u32 s19, s73, s21
	s_cmp_lg_u32 s5, 0
	v_cmp_le_u32_e32 vcc_lo, s27, v4
	v_sub_co_u32 v5, s5, v4, s27
	s_subb_u32 s21, s19, 0
	s_cmp_lg_u32 s5, 0
	v_cndmask_b32_e64 v6, 0, -1, vcc_lo
	s_subb_u32 s5, s21, 0
	s_cmp_eq_u32 s21, 0
	v_mov_b32_e32 v8, s5
	s_cselect_b32 vcc_lo, -1, 0
	s_cmp_eq_u32 s19, 0
	v_cndmask_b32_e32 v6, -1, v6, vcc_lo
	v_cmp_le_u32_e32 vcc_lo, s27, v3
	s_cselect_b32 s5, -1, 0
	v_cndmask_b32_e64 v7, 0, -1, vcc_lo
	s_delay_alu instid0(VALU_DEP_3) | instskip(NEXT) | instid1(VALU_DEP_2)
	v_cmp_ne_u32_e32 vcc_lo, 0, v6
	v_cndmask_b32_e64 v6, -1, v7, s5
	v_cndmask_b32_e32 v4, v4, v5, vcc_lo
	v_cndmask_b32_e32 v7, s21, v8, vcc_lo
	s_delay_alu instid0(VALU_DEP_3) | instskip(NEXT) | instid1(VALU_DEP_3)
	v_cmp_ne_u32_e32 vcc_lo, 0, v6
	v_cndmask_b32_e32 v3, v3, v4, vcc_lo
	s_delay_alu instid0(VALU_DEP_3) | instskip(NEXT) | instid1(VALU_DEP_2)
	v_cndmask_b32_e32 v5, s19, v7, vcc_lo
	v_xor_b32_e32 v3, s18, v3
	s_delay_alu instid0(VALU_DEP_2) | instskip(NEXT) | instid1(VALU_DEP_2)
	v_xor_b32_e32 v4, s18, v5
	v_sub_co_u32 v3, vcc_lo, v3, s18
	s_delay_alu instid0(VALU_DEP_2)
	v_subrev_co_ci_u32_e32 v4, vcc_lo, s18, v4, vcc_lo
	s_cbranch_execnz .LBB29_143
.LBB29_142:                             ;   in Loop: Header=BB29_17 Depth=1
	v_cvt_f32_u32_e32 v3, s27
	s_sub_i32 s5, 0, s27
	s_delay_alu instid0(VALU_DEP_1) | instskip(SKIP_2) | instid1(VALU_DEP_1)
	v_rcp_iflag_f32_e32 v3, v3
	s_waitcnt_depctr 0xfff
	v_mul_f32_e32 v3, 0x4f7ffffe, v3
	v_cvt_u32_f32_e32 v3, v3
	s_delay_alu instid0(VALU_DEP_1) | instskip(NEXT) | instid1(VALU_DEP_1)
	v_mul_lo_u32 v4, s5, v3
	v_mul_hi_u32 v4, v3, v4
	s_delay_alu instid0(VALU_DEP_1) | instskip(NEXT) | instid1(VALU_DEP_1)
	v_add_nc_u32_e32 v3, v3, v4
	v_mul_hi_u32 v3, s85, v3
	s_delay_alu instid0(VALU_DEP_1) | instskip(NEXT) | instid1(VALU_DEP_1)
	v_mul_lo_u32 v3, v3, s27
	v_sub_nc_u32_e32 v3, s85, v3
	s_delay_alu instid0(VALU_DEP_1) | instskip(SKIP_1) | instid1(VALU_DEP_2)
	v_subrev_nc_u32_e32 v4, s27, v3
	v_cmp_le_u32_e32 vcc_lo, s27, v3
	v_cndmask_b32_e32 v3, v3, v4, vcc_lo
	s_delay_alu instid0(VALU_DEP_1) | instskip(SKIP_1) | instid1(VALU_DEP_2)
	v_subrev_nc_u32_e32 v4, s27, v3
	v_cmp_le_u32_e32 vcc_lo, s27, v3
	v_cndmask_b32_e32 v17, v3, v4, vcc_lo
	s_delay_alu instid0(VALU_DEP_1)
	v_dual_mov_b32 v3, v17 :: v_dual_mov_b32 v4, v18
.LBB29_143:                             ;   in Loop: Header=BB29_17 Depth=1
	s_delay_alu instid0(VALU_DEP_1) | instskip(NEXT) | instid1(VALU_DEP_2)
	v_sub_co_u32 v7, vcc_lo, s85, v3
	v_sub_co_ci_u32_e32 v8, vcc_lo, s25, v4, vcc_lo
	s_mov_b32 s18, 0
	s_mov_b32 s5, exec_lo
                                        ; implicit-def: $vgpr5_vgpr6
	s_delay_alu instid0(VALU_DEP_1)
	v_cmpx_gt_i64_e64 v[7:8], v[0:1]
	s_cbranch_execz .LBB29_156
; %bb.144:                              ;   in Loop: Header=BB29_17 Depth=1
	v_dual_mov_b32 v9, v15 :: v_dual_mov_b32 v10, v16
	v_dual_mov_b32 v12, v1 :: v_dual_mov_b32 v11, v0
	s_mov_b32 s19, 0
                                        ; implicit-def: $sgpr18
	s_set_inst_prefetch_distance 0x1
	s_branch .LBB29_146
	.p2align	6
.LBB29_145:                             ;   in Loop: Header=BB29_146 Depth=2
	s_or_b32 exec_lo, exec_lo, s21
	s_waitcnt vmcnt(0) lgkmcnt(0)
	s_barrier
	buffer_gl0_inv
	ds_load_b128 v[3:6], v18 offset:3072
	v_add_co_u32 v11, vcc_lo, v11, s27
	v_add_co_ci_u32_e32 v12, vcc_lo, 0, v12, vcc_lo
	s_waitcnt lgkmcnt(0)
	s_barrier
	buffer_gl0_inv
	v_cmp_ge_i64_e32 vcc_lo, v[11:12], v[7:8]
	v_readfirstlane_b32 s73, v4
	v_readfirstlane_b32 s72, v3
	s_delay_alu instid0(VALU_DEP_1) | instskip(SKIP_1) | instid1(SALU_CYCLE_1)
	s_cmp_lg_u64 s[72:73], 0
	s_cselect_b32 s21, -1, 0
	s_or_b32 s24, s21, vcc_lo
	v_add_co_u32 v9, vcc_lo, v9, s58
	s_and_b32 s24, exec_lo, s24
	v_add_co_ci_u32_e32 v10, vcc_lo, s59, v10, vcc_lo
	s_or_b32 s19, s24, s19
	s_and_not1_b32 s18, s18, exec_lo
	s_and_b32 s21, s21, exec_lo
	s_delay_alu instid0(SALU_CYCLE_1)
	s_or_b32 s18, s18, s21
	s_and_not1_b32 exec_lo, exec_lo, s19
	s_cbranch_execz .LBB29_155
.LBB29_146:                             ;   Parent Loop BB29_17 Depth=1
                                        ; =>  This Inner Loop Header: Depth=2
	s_delay_alu instid0(VALU_DEP_1)
	v_cmp_gt_i64_e32 vcc_lo, s[36:37], v[11:12]
	v_mov_b32_e32 v4, 0
	v_mov_b32_e32 v5, 0
	s_and_saveexec_b32 s21, vcc_lo
	s_cbranch_execz .LBB29_148
; %bb.147:                              ;   in Loop: Header=BB29_146 Depth=2
	global_load_b64 v[4:5], v[9:10], off
.LBB29_148:                             ;   in Loop: Header=BB29_146 Depth=2
	s_or_b32 exec_lo, exec_lo, s21
	s_and_saveexec_b32 s21, vcc_lo
	s_cbranch_execz .LBB29_145
; %bb.149:                              ;   in Loop: Header=BB29_146 Depth=2
	s_waitcnt vmcnt(0)
	v_xor_b32_e32 v3, 0x80000000, v5
	v_and_b32_e32 v13, s70, v4
	s_delay_alu instid0(VALU_DEP_2) | instskip(NEXT) | instid1(VALU_DEP_1)
	v_and_b32_e32 v14, s71, v3
	v_cmp_eq_u64_e32 vcc_lo, s[68:69], v[13:14]
	s_and_b32 exec_lo, exec_lo, vcc_lo
	s_cbranch_execz .LBB29_145
; %bb.150:                              ;   in Loop: Header=BB29_146 Depth=2
	v_mov_b32_e32 v3, v18
	ds_store_b128 v18, v[2:5] offset:3072
	s_branch .LBB29_145
.LBB29_151:                             ;   in Loop: Header=BB29_17 Depth=1
                                        ; implicit-def: $sgpr56
                                        ; implicit-def: $sgpr72
                                        ; implicit-def: $sgpr21
	s_branch .LBB29_170
.LBB29_152:                             ;   in Loop: Header=BB29_17 Depth=1
                                        ; implicit-def: $vgpr3_vgpr4
	s_branch .LBB29_97
.LBB29_153:                             ;   in Loop: Header=BB29_17 Depth=1
                                        ; implicit-def: $vgpr3_vgpr4
	s_branch .LBB29_112
.LBB29_154:                             ;   in Loop: Header=BB29_17 Depth=1
	s_mov_b32 s56, -1
	s_mov_b32 s18, 0
                                        ; implicit-def: $sgpr21
                                        ; implicit-def: $vgpr5_vgpr6
	s_mov_b32 s72, s56
	s_cbranch_execnz .LBB29_157
	s_branch .LBB29_170
.LBB29_155:                             ;   in Loop: Header=BB29_17 Depth=1
	s_set_inst_prefetch_distance 0x2
	s_or_b32 exec_lo, exec_lo, s19
	s_delay_alu instid0(SALU_CYCLE_1)
	s_and_b32 s18, s18, exec_lo
.LBB29_156:                             ;   in Loop: Header=BB29_17 Depth=1
	s_or_b32 exec_lo, exec_lo, s5
	s_mov_b32 s21, -1
	s_mov_b32 s56, 0
	s_delay_alu instid0(SALU_CYCLE_1)
	s_mov_b32 s72, s56
	s_branch .LBB29_170
.LBB29_157:                             ;   in Loop: Header=BB29_17 Depth=1
	s_add_u32 s21, s83, s16
	s_addc_u32 s19, s84, s17
	s_mov_b32 s18, s57
	s_delay_alu instid0(SALU_CYCLE_1)
	s_cmp_lg_u64 s[18:19], 0
	s_cbranch_scc0 .LBB29_200
; %bb.158:                              ;   in Loop: Header=BB29_17 Depth=1
	v_cvt_f32_u32_e32 v3, s27
	s_sub_u32 s24, 0, s27
	s_subb_u32 s56, 0, 0
	s_delay_alu instid0(VALU_DEP_1) | instskip(NEXT) | instid1(VALU_DEP_1)
	v_fmac_f32_e32 v3, 0x4f800000, v44
	v_rcp_f32_e32 v3, v3
	s_waitcnt_depctr 0xfff
	v_mul_f32_e32 v3, 0x5f7ffffc, v3
	s_delay_alu instid0(VALU_DEP_1) | instskip(NEXT) | instid1(VALU_DEP_1)
	v_mul_f32_e32 v4, 0x2f800000, v3
	v_trunc_f32_e32 v4, v4
	s_delay_alu instid0(VALU_DEP_1) | instskip(SKIP_1) | instid1(VALU_DEP_2)
	v_fmac_f32_e32 v3, 0xcf800000, v4
	v_cvt_u32_f32_e32 v4, v4
	v_cvt_u32_f32_e32 v3, v3
	s_delay_alu instid0(VALU_DEP_2) | instskip(NEXT) | instid1(VALU_DEP_2)
	v_readfirstlane_b32 s5, v4
	v_readfirstlane_b32 s18, v3
	s_delay_alu instid0(VALU_DEP_2) | instskip(NEXT) | instid1(VALU_DEP_1)
	s_mul_i32 s72, s24, s5
	s_mul_hi_u32 s75, s24, s18
	s_mul_i32 s73, s56, s18
	s_add_i32 s72, s75, s72
	s_mul_i32 s76, s24, s18
	s_add_i32 s72, s72, s73
	s_mul_hi_u32 s75, s18, s76
	s_mul_hi_u32 s77, s5, s76
	s_mul_i32 s73, s5, s76
	s_mul_hi_u32 s76, s18, s72
	s_mul_i32 s18, s18, s72
	s_mul_hi_u32 s78, s5, s72
	s_add_u32 s18, s75, s18
	s_addc_u32 s75, 0, s76
	s_add_u32 s18, s18, s73
	s_mul_i32 s72, s5, s72
	s_addc_u32 s18, s75, s77
	s_addc_u32 s73, s78, 0
	s_add_u32 s18, s18, s72
	s_addc_u32 s72, 0, s73
	v_add_co_u32 v3, s18, v3, s18
	s_delay_alu instid0(VALU_DEP_1) | instskip(SKIP_1) | instid1(VALU_DEP_1)
	s_cmp_lg_u32 s18, 0
	s_addc_u32 s5, s5, s72
	v_readfirstlane_b32 s18, v3
	s_mul_i32 s72, s24, s5
	s_delay_alu instid0(VALU_DEP_1)
	s_mul_hi_u32 s73, s24, s18
	s_mul_i32 s56, s56, s18
	s_add_i32 s72, s73, s72
	s_mul_i32 s24, s24, s18
	s_add_i32 s72, s72, s56
	s_mul_hi_u32 s73, s5, s24
	s_mul_i32 s75, s5, s24
	s_mul_hi_u32 s24, s18, s24
	s_mul_hi_u32 s76, s18, s72
	s_mul_i32 s18, s18, s72
	s_mul_hi_u32 s56, s5, s72
	s_add_u32 s18, s24, s18
	s_addc_u32 s24, 0, s76
	s_add_u32 s18, s18, s75
	s_mul_i32 s72, s5, s72
	s_addc_u32 s18, s24, s73
	s_addc_u32 s24, s56, 0
	s_add_u32 s18, s18, s72
	s_addc_u32 s24, 0, s24
	v_add_co_u32 v3, s18, v3, s18
	s_delay_alu instid0(VALU_DEP_1) | instskip(SKIP_2) | instid1(VALU_DEP_1)
	s_cmp_lg_u32 s18, 0
	s_addc_u32 s5, s5, s24
	s_ashr_i32 s72, s19, 31
	v_readfirstlane_b32 s18, v3
	s_add_u32 s76, s21, s72
	s_mov_b32 s73, s72
	s_addc_u32 s77, s19, s72
	s_delay_alu instid0(SALU_CYCLE_1) | instskip(NEXT) | instid1(SALU_CYCLE_1)
	s_xor_b64 s[76:77], s[76:77], s[72:73]
	s_mul_i32 s56, s76, s5
	s_mul_hi_u32 s73, s76, s18
	s_mul_hi_u32 s24, s76, s5
	;; [unrolled: 1-line block ×3, first 2 shown]
	s_mul_i32 s18, s77, s18
	s_add_u32 s56, s73, s56
	s_addc_u32 s24, 0, s24
	s_mul_hi_u32 s75, s77, s5
	s_add_u32 s18, s56, s18
	s_mul_i32 s5, s77, s5
	s_addc_u32 s18, s24, s78
	s_addc_u32 s24, s75, 0
	s_add_u32 s5, s18, s5
	s_addc_u32 s18, 0, s24
	s_mul_hi_u32 s24, s27, s5
	s_mul_i32 s5, s27, s5
	s_mul_i32 s18, s27, s18
	v_sub_co_u32 v3, s5, s76, s5
	s_add_i32 s24, s24, s18
	s_cmp_lg_u32 s5, 0
	s_delay_alu instid0(VALU_DEP_1) | instskip(SKIP_2) | instid1(VALU_DEP_1)
	v_sub_co_u32 v4, s5, v3, s27
	s_subb_u32 s18, s77, s24
	s_cmp_lg_u32 s5, 0
	v_cmp_le_u32_e32 vcc_lo, s27, v4
	v_sub_co_u32 v5, s5, v4, s27
	s_subb_u32 s24, s18, 0
	s_cmp_lg_u32 s5, 0
	v_cndmask_b32_e64 v6, 0, -1, vcc_lo
	s_subb_u32 s5, s24, 0
	s_cmp_eq_u32 s24, 0
	v_mov_b32_e32 v8, s5
	s_cselect_b32 vcc_lo, -1, 0
	s_cmp_eq_u32 s18, 0
	v_cndmask_b32_e32 v6, -1, v6, vcc_lo
	v_cmp_le_u32_e32 vcc_lo, s27, v3
	s_cselect_b32 s5, -1, 0
	v_cndmask_b32_e64 v7, 0, -1, vcc_lo
	s_delay_alu instid0(VALU_DEP_3) | instskip(NEXT) | instid1(VALU_DEP_2)
	v_cmp_ne_u32_e32 vcc_lo, 0, v6
	v_cndmask_b32_e64 v6, -1, v7, s5
	v_cndmask_b32_e32 v4, v4, v5, vcc_lo
	v_cndmask_b32_e32 v7, s24, v8, vcc_lo
	s_delay_alu instid0(VALU_DEP_3) | instskip(NEXT) | instid1(VALU_DEP_3)
	v_cmp_ne_u32_e32 vcc_lo, 0, v6
	v_cndmask_b32_e32 v3, v3, v4, vcc_lo
	s_delay_alu instid0(VALU_DEP_3) | instskip(NEXT) | instid1(VALU_DEP_2)
	v_cndmask_b32_e32 v5, s18, v7, vcc_lo
	v_xor_b32_e32 v3, s72, v3
	s_delay_alu instid0(VALU_DEP_2) | instskip(NEXT) | instid1(VALU_DEP_2)
	v_xor_b32_e32 v4, s72, v5
	v_sub_co_u32 v3, vcc_lo, v3, s72
	s_delay_alu instid0(VALU_DEP_2)
	v_subrev_co_ci_u32_e32 v4, vcc_lo, s72, v4, vcc_lo
	s_cbranch_execnz .LBB29_160
.LBB29_159:                             ;   in Loop: Header=BB29_17 Depth=1
	v_cvt_f32_u32_e32 v3, s27
	s_sub_i32 s5, 0, s27
	s_delay_alu instid0(VALU_DEP_1) | instskip(SKIP_2) | instid1(VALU_DEP_1)
	v_rcp_iflag_f32_e32 v3, v3
	s_waitcnt_depctr 0xfff
	v_mul_f32_e32 v3, 0x4f7ffffe, v3
	v_cvt_u32_f32_e32 v3, v3
	s_delay_alu instid0(VALU_DEP_1) | instskip(NEXT) | instid1(VALU_DEP_1)
	v_mul_lo_u32 v4, s5, v3
	v_mul_hi_u32 v4, v3, v4
	s_delay_alu instid0(VALU_DEP_1) | instskip(NEXT) | instid1(VALU_DEP_1)
	v_add_nc_u32_e32 v3, v3, v4
	v_mul_hi_u32 v3, s21, v3
	s_delay_alu instid0(VALU_DEP_1) | instskip(NEXT) | instid1(VALU_DEP_1)
	v_mul_lo_u32 v3, v3, s27
	v_sub_nc_u32_e32 v3, s21, v3
	s_delay_alu instid0(VALU_DEP_1) | instskip(SKIP_1) | instid1(VALU_DEP_2)
	v_subrev_nc_u32_e32 v4, s27, v3
	v_cmp_le_u32_e32 vcc_lo, s27, v3
	v_cndmask_b32_e32 v3, v3, v4, vcc_lo
	s_delay_alu instid0(VALU_DEP_1) | instskip(SKIP_1) | instid1(VALU_DEP_2)
	v_subrev_nc_u32_e32 v4, s27, v3
	v_cmp_le_u32_e32 vcc_lo, s27, v3
	v_cndmask_b32_e32 v17, v3, v4, vcc_lo
	s_delay_alu instid0(VALU_DEP_1)
	v_dual_mov_b32 v3, v17 :: v_dual_mov_b32 v4, v18
.LBB29_160:                             ;   in Loop: Header=BB29_17 Depth=1
	s_delay_alu instid0(VALU_DEP_1) | instskip(NEXT) | instid1(VALU_DEP_2)
	v_sub_co_u32 v7, vcc_lo, s21, v3
	v_sub_co_ci_u32_e32 v8, vcc_lo, s19, v4, vcc_lo
	s_mov_b32 s18, 0
	s_mov_b32 s5, exec_lo
                                        ; implicit-def: $vgpr5_vgpr6
	s_delay_alu instid0(VALU_DEP_1)
	v_cmpx_gt_i64_e64 v[7:8], v[0:1]
	s_cbranch_execz .LBB29_169
; %bb.161:                              ;   in Loop: Header=BB29_17 Depth=1
	v_dual_mov_b32 v11, v35 :: v_dual_mov_b32 v10, v1
	v_mov_b32_e32 v9, v0
	s_mov_b32 s19, 0
                                        ; implicit-def: $sgpr18
	s_set_inst_prefetch_distance 0x1
	s_branch .LBB29_163
	.p2align	6
.LBB29_162:                             ;   in Loop: Header=BB29_163 Depth=2
	s_or_b32 exec_lo, exec_lo, s21
	s_waitcnt lgkmcnt(0)
	s_barrier
	buffer_gl0_inv
	ds_load_b128 v[3:6], v18 offset:3072
	v_add_co_u32 v9, vcc_lo, v9, s27
	v_add_co_ci_u32_e32 v10, vcc_lo, 0, v10, vcc_lo
	v_add_nc_u32_e32 v11, s91, v11
	s_waitcnt lgkmcnt(0)
	s_barrier
	s_delay_alu instid0(VALU_DEP_2) | instskip(SKIP_3) | instid1(VALU_DEP_1)
	v_cmp_ge_i64_e32 vcc_lo, v[9:10], v[7:8]
	buffer_gl0_inv
	v_readfirstlane_b32 s73, v4
	v_readfirstlane_b32 s72, v3
	s_cmp_lg_u64 s[72:73], 0
	s_cselect_b32 s21, -1, 0
	s_delay_alu instid0(SALU_CYCLE_1) | instskip(NEXT) | instid1(SALU_CYCLE_1)
	s_or_b32 s24, s21, vcc_lo
	s_and_b32 s24, exec_lo, s24
	s_delay_alu instid0(SALU_CYCLE_1) | instskip(SKIP_2) | instid1(SALU_CYCLE_1)
	s_or_b32 s19, s24, s19
	s_and_not1_b32 s18, s18, exec_lo
	s_and_b32 s21, s21, exec_lo
	s_or_b32 s18, s18, s21
	s_and_not1_b32 exec_lo, exec_lo, s19
	s_cbranch_execz .LBB29_168
.LBB29_163:                             ;   Parent Loop BB29_17 Depth=1
                                        ; =>  This Inner Loop Header: Depth=2
	s_delay_alu instid0(VALU_DEP_1)
	v_cmp_gt_i64_e32 vcc_lo, s[16:17], v[9:10]
	v_mov_b32_e32 v4, 0
	v_mov_b32_e32 v5, 0
	s_and_saveexec_b32 s21, vcc_lo
	s_cbranch_execz .LBB29_165
; %bb.164:                              ;   in Loop: Header=BB29_163 Depth=2
	ds_load_b64 v[4:5], v11
.LBB29_165:                             ;   in Loop: Header=BB29_163 Depth=2
	s_or_b32 exec_lo, exec_lo, s21
	s_and_saveexec_b32 s21, vcc_lo
	s_cbranch_execz .LBB29_162
; %bb.166:                              ;   in Loop: Header=BB29_163 Depth=2
	s_waitcnt lgkmcnt(0)
	v_xor_b32_e32 v3, 0x80000000, v5
	v_and_b32_e32 v12, s70, v4
	s_delay_alu instid0(VALU_DEP_2) | instskip(NEXT) | instid1(VALU_DEP_1)
	v_and_b32_e32 v13, s71, v3
	v_cmp_eq_u64_e32 vcc_lo, s[68:69], v[12:13]
	s_and_b32 exec_lo, exec_lo, vcc_lo
	s_cbranch_execz .LBB29_162
; %bb.167:                              ;   in Loop: Header=BB29_163 Depth=2
	v_mov_b32_e32 v3, v18
	ds_store_b128 v18, v[2:5] offset:3072
	s_branch .LBB29_162
.LBB29_168:                             ;   in Loop: Header=BB29_17 Depth=1
	s_set_inst_prefetch_distance 0x2
	s_or_b32 exec_lo, exec_lo, s19
	s_delay_alu instid0(SALU_CYCLE_1)
	s_and_b32 s18, s18, exec_lo
.LBB29_169:                             ;   in Loop: Header=BB29_17 Depth=1
	s_or_b32 exec_lo, exec_lo, s5
	s_mov_b32 s72, -1
	s_mov_b32 s56, 0
	s_mov_b32 s21, 0
.LBB29_170:                             ;   in Loop: Header=BB29_17 Depth=1
	s_mov_b32 s16, 0
                                        ; implicit-def: $sgpr5
	s_and_saveexec_b32 s73, s18
	s_cbranch_execz .LBB29_281
; %bb.171:                              ;   in Loop: Header=BB29_17 Depth=1
	s_xor_b32 s5, s74, -1
	s_delay_alu instid0(SALU_CYCLE_1)
	s_and_not1_b32 vcc_lo, exec_lo, s5
	s_mov_b32 s5, 1
	s_cbranch_vccnz .LBB29_182
; %bb.172:                              ;   in Loop: Header=BB29_17 Depth=1
	v_cmp_gt_i64_e64 s5, s[38:39], s[14:15]
	s_mov_b32 s24, -1
                                        ; implicit-def: $sgpr16_sgpr17
                                        ; implicit-def: $sgpr18_sgpr19
	s_delay_alu instid0(VALU_DEP_1)
	s_and_b32 vcc_lo, exec_lo, s5
                                        ; implicit-def: $sgpr5
	s_cbranch_vccnz .LBB29_178
; %bb.173:                              ;   in Loop: Header=BB29_17 Depth=1
	ds_load_b64 v[3:4], v18 offset:5120
	s_waitcnt lgkmcnt(0)
	v_cmp_ne_u64_e32 vcc_lo, 0, v[3:4]
	s_cbranch_vccnz .LBB29_177
; %bb.174:                              ;   in Loop: Header=BB29_17 Depth=1
	s_and_saveexec_b32 s5, s2
	s_cbranch_execz .LBB29_176
; %bb.175:                              ;   in Loop: Header=BB29_17 Depth=1
	v_dual_mov_b32 v3, s14 :: v_dual_mov_b32 v4, s15
	ds_store_b64 v18, v[3:4] offset:5128
.LBB29_176:                             ;   in Loop: Header=BB29_17 Depth=1
	s_or_b32 exec_lo, exec_lo, s5
	s_waitcnt lgkmcnt(0)
	s_barrier
	buffer_gl0_inv
.LBB29_177:                             ;   in Loop: Header=BB29_17 Depth=1
	s_lshl_b64 s[16:17], 1, s23
	s_and_b64 s[18:19], s[68:69], s[12:13]
	s_mov_b32 s24, 0
	s_or_b64 s[16:17], s[18:19], s[16:17]
	s_or_b64 s[18:19], s[70:71], s[8:9]
	s_mov_b32 s5, 8
.LBB29_178:                             ;   in Loop: Header=BB29_17 Depth=1
	s_and_not1_b32 vcc_lo, exec_lo, s24
	s_cbranch_vccnz .LBB29_180
; %bb.179:                              ;   in Loop: Header=BB29_17 Depth=1
	s_sub_u32 s38, s38, s14
	s_subb_u32 s39, s39, s15
	s_mov_b32 s24, -1
	s_mov_b32 s5, 0
	s_mov_b64 s[16:17], s[68:69]
	s_mov_b64 s[18:19], s[70:71]
.LBB29_180:                             ;   in Loop: Header=BB29_17 Depth=1
	s_delay_alu instid0(SALU_CYCLE_1)
	s_mov_b64 s[70:71], s[18:19]
	s_mov_b64 s[68:69], s[16:17]
	s_and_not1_b32 vcc_lo, exec_lo, s24
	s_mov_b32 s14, -1
	s_cbranch_vccz .LBB29_183
.LBB29_181:                             ;   in Loop: Header=BB29_17 Depth=1
                                        ; implicit-def: $sgpr19
                                        ; implicit-def: $sgpr74
                                        ; implicit-def: $sgpr18
	s_branch .LBB29_280
.LBB29_182:                             ;   in Loop: Header=BB29_17 Depth=1
	s_mov_b64 s[38:39], 1
	s_mov_b32 s14, -1
	s_cbranch_execnz .LBB29_181
.LBB29_183:                             ;   in Loop: Header=BB29_17 Depth=1
	s_cmp_eq_u64 s[10:11], 1
	s_mov_b32 s16, -1
	s_cselect_b32 s5, -1, 0
	s_cmp_eq_u64 s[38:39], 1
	s_cselect_b32 s14, -1, 0
	s_delay_alu instid0(SALU_CYCLE_1) | instskip(NEXT) | instid1(SALU_CYCLE_1)
	s_and_b32 s76, s5, s14
	s_and_b32 vcc_lo, exec_lo, s76
	s_cbranch_vccz .LBB29_198
; %bb.184:                              ;   in Loop: Header=BB29_17 Depth=1
	ds_load_b64 v[3:4], v18 offset:5120
	s_waitcnt lgkmcnt(0)
	s_barrier
	buffer_gl0_inv
	v_readfirstlane_b32 s14, v3
	v_readfirstlane_b32 s15, v4
	s_and_saveexec_b32 s5, s3
	s_cbranch_execz .LBB29_186
; %bb.185:                              ;   in Loop: Header=BB29_17 Depth=1
	v_mov_b32_e32 v17, v18
	ds_store_b64 v36, v[17:18]
.LBB29_186:                             ;   in Loop: Header=BB29_17 Depth=1
	s_or_b32 exec_lo, exec_lo, s5
	s_delay_alu instid0(VALU_DEP_1)
	v_cmp_gt_i64_e64 s5, s[14:15], 0
	s_lshl_b64 s[16:17], 2, s23
	s_and_b64 s[18:19], s[68:69], s[12:13]
	s_or_b64 s[70:71], s[70:71], s[8:9]
	s_or_b64 s[68:69], s[18:19], s[16:17]
	s_waitcnt lgkmcnt(0)
	s_and_b32 vcc_lo, exec_lo, s5
	s_barrier
	buffer_gl0_inv
	s_cbranch_vccnz .LBB29_201
; %bb.187:                              ;   in Loop: Header=BB29_17 Depth=1
	s_mov_b32 s24, s57
	s_delay_alu instid0(SALU_CYCLE_1)
	s_cmp_lg_u64 s[24:25], 0
	s_cbranch_scc0 .LBB29_246
; %bb.188:                              ;   in Loop: Header=BB29_17 Depth=1
	v_cvt_f32_u32_e32 v3, s27
	s_sub_u32 s17, 0, s27
	s_subb_u32 s18, 0, 0
	s_delay_alu instid0(VALU_DEP_1) | instskip(NEXT) | instid1(VALU_DEP_1)
	v_fmac_f32_e32 v3, 0x4f800000, v44
	v_rcp_f32_e32 v3, v3
	s_waitcnt_depctr 0xfff
	v_mul_f32_e32 v3, 0x5f7ffffc, v3
	s_delay_alu instid0(VALU_DEP_1) | instskip(NEXT) | instid1(VALU_DEP_1)
	v_mul_f32_e32 v4, 0x2f800000, v3
	v_trunc_f32_e32 v4, v4
	s_delay_alu instid0(VALU_DEP_1) | instskip(SKIP_1) | instid1(VALU_DEP_2)
	v_fmac_f32_e32 v3, 0xcf800000, v4
	v_cvt_u32_f32_e32 v4, v4
	v_cvt_u32_f32_e32 v3, v3
	s_delay_alu instid0(VALU_DEP_2) | instskip(NEXT) | instid1(VALU_DEP_2)
	v_readfirstlane_b32 s5, v4
	v_readfirstlane_b32 s16, v3
	s_delay_alu instid0(VALU_DEP_2) | instskip(NEXT) | instid1(VALU_DEP_1)
	s_mul_i32 s19, s17, s5
	s_mul_hi_u32 s74, s17, s16
	s_mul_i32 s24, s18, s16
	s_add_i32 s19, s74, s19
	s_mul_i32 s75, s17, s16
	s_add_i32 s19, s19, s24
	s_mul_hi_u32 s74, s16, s75
	s_mul_hi_u32 s77, s5, s75
	s_mul_i32 s24, s5, s75
	s_mul_hi_u32 s75, s16, s19
	s_mul_i32 s16, s16, s19
	s_mul_hi_u32 s78, s5, s19
	s_add_u32 s16, s74, s16
	s_addc_u32 s74, 0, s75
	s_add_u32 s16, s16, s24
	s_mul_i32 s19, s5, s19
	s_addc_u32 s16, s74, s77
	s_addc_u32 s24, s78, 0
	s_add_u32 s16, s16, s19
	s_addc_u32 s19, 0, s24
	v_add_co_u32 v3, s16, v3, s16
	s_delay_alu instid0(VALU_DEP_1) | instskip(SKIP_1) | instid1(VALU_DEP_1)
	s_cmp_lg_u32 s16, 0
	s_addc_u32 s5, s5, s19
	v_readfirstlane_b32 s16, v3
	s_mul_i32 s19, s17, s5
	s_delay_alu instid0(VALU_DEP_1)
	s_mul_hi_u32 s24, s17, s16
	s_mul_i32 s18, s18, s16
	s_add_i32 s19, s24, s19
	s_mul_i32 s17, s17, s16
	s_add_i32 s19, s19, s18
	s_mul_hi_u32 s24, s5, s17
	s_mul_i32 s74, s5, s17
	s_mul_hi_u32 s17, s16, s17
	s_mul_hi_u32 s75, s16, s19
	s_mul_i32 s16, s16, s19
	s_mul_hi_u32 s18, s5, s19
	s_add_u32 s16, s17, s16
	s_addc_u32 s17, 0, s75
	s_add_u32 s16, s16, s74
	s_mul_i32 s19, s5, s19
	s_addc_u32 s16, s17, s24
	s_addc_u32 s17, s18, 0
	s_add_u32 s16, s16, s19
	s_addc_u32 s17, 0, s17
	v_add_co_u32 v3, s16, v3, s16
	s_delay_alu instid0(VALU_DEP_1) | instskip(SKIP_2) | instid1(VALU_DEP_1)
	s_cmp_lg_u32 s16, 0
	s_addc_u32 s5, s5, s17
	s_ashr_i32 s16, s25, 31
	v_readfirstlane_b32 s24, v3
	s_add_u32 s18, s85, s16
	s_mov_b32 s17, s16
	s_addc_u32 s19, s25, s16
	s_delay_alu instid0(SALU_CYCLE_1) | instskip(NEXT) | instid1(SALU_CYCLE_1)
	s_xor_b64 s[18:19], s[18:19], s[16:17]
	s_mul_i32 s74, s18, s5
	s_mul_hi_u32 s75, s18, s24
	s_mul_hi_u32 s17, s18, s5
	;; [unrolled: 1-line block ×3, first 2 shown]
	s_mul_i32 s24, s19, s24
	s_add_u32 s74, s75, s74
	s_addc_u32 s17, 0, s17
	s_mul_hi_u32 s77, s19, s5
	s_add_u32 s24, s74, s24
	s_mul_i32 s5, s19, s5
	s_addc_u32 s17, s17, s78
	s_addc_u32 s24, s77, 0
	s_add_u32 s5, s17, s5
	s_addc_u32 s17, 0, s24
	s_mul_hi_u32 s24, s27, s5
	s_mul_i32 s5, s27, s5
	s_mul_i32 s17, s27, s17
	v_sub_co_u32 v3, s5, s18, s5
	s_add_i32 s24, s24, s17
	s_cmp_lg_u32 s5, 0
	s_delay_alu instid0(VALU_DEP_1) | instskip(SKIP_2) | instid1(VALU_DEP_1)
	v_sub_co_u32 v4, s5, v3, s27
	s_subb_u32 s17, s19, s24
	s_cmp_lg_u32 s5, 0
	v_cmp_le_u32_e32 vcc_lo, s27, v4
	v_sub_co_u32 v5, s5, v4, s27
	s_subb_u32 s18, s17, 0
	s_cmp_lg_u32 s5, 0
	v_cndmask_b32_e64 v6, 0, -1, vcc_lo
	s_subb_u32 s5, s18, 0
	s_cmp_eq_u32 s18, 0
	v_mov_b32_e32 v8, s5
	s_cselect_b32 vcc_lo, -1, 0
	s_cmp_eq_u32 s17, 0
	v_cndmask_b32_e32 v6, -1, v6, vcc_lo
	v_cmp_le_u32_e32 vcc_lo, s27, v3
	s_cselect_b32 s5, -1, 0
	v_cndmask_b32_e64 v7, 0, -1, vcc_lo
	s_delay_alu instid0(VALU_DEP_3) | instskip(NEXT) | instid1(VALU_DEP_2)
	v_cmp_ne_u32_e32 vcc_lo, 0, v6
	v_cndmask_b32_e64 v6, -1, v7, s5
	v_cndmask_b32_e32 v4, v4, v5, vcc_lo
	v_cndmask_b32_e32 v7, s18, v8, vcc_lo
	s_delay_alu instid0(VALU_DEP_3) | instskip(NEXT) | instid1(VALU_DEP_3)
	v_cmp_ne_u32_e32 vcc_lo, 0, v6
	v_cndmask_b32_e32 v3, v3, v4, vcc_lo
	s_delay_alu instid0(VALU_DEP_3) | instskip(NEXT) | instid1(VALU_DEP_2)
	v_cndmask_b32_e32 v5, s17, v7, vcc_lo
	v_xor_b32_e32 v3, s16, v3
	s_delay_alu instid0(VALU_DEP_2) | instskip(NEXT) | instid1(VALU_DEP_2)
	v_xor_b32_e32 v4, s16, v5
	v_sub_co_u32 v3, vcc_lo, v3, s16
	s_delay_alu instid0(VALU_DEP_2)
	v_subrev_co_ci_u32_e32 v4, vcc_lo, s16, v4, vcc_lo
	s_cbranch_execnz .LBB29_190
.LBB29_189:                             ;   in Loop: Header=BB29_17 Depth=1
	v_cvt_f32_u32_e32 v3, s27
	s_sub_i32 s5, 0, s27
	s_delay_alu instid0(VALU_DEP_1) | instskip(SKIP_2) | instid1(VALU_DEP_1)
	v_rcp_iflag_f32_e32 v3, v3
	s_waitcnt_depctr 0xfff
	v_mul_f32_e32 v3, 0x4f7ffffe, v3
	v_cvt_u32_f32_e32 v3, v3
	s_delay_alu instid0(VALU_DEP_1) | instskip(NEXT) | instid1(VALU_DEP_1)
	v_mul_lo_u32 v4, s5, v3
	v_mul_hi_u32 v4, v3, v4
	s_delay_alu instid0(VALU_DEP_1) | instskip(NEXT) | instid1(VALU_DEP_1)
	v_add_nc_u32_e32 v3, v3, v4
	v_mul_hi_u32 v3, s85, v3
	s_delay_alu instid0(VALU_DEP_1) | instskip(NEXT) | instid1(VALU_DEP_1)
	v_mul_lo_u32 v3, v3, s27
	v_sub_nc_u32_e32 v3, s85, v3
	s_delay_alu instid0(VALU_DEP_1) | instskip(SKIP_1) | instid1(VALU_DEP_2)
	v_subrev_nc_u32_e32 v4, s27, v3
	v_cmp_le_u32_e32 vcc_lo, s27, v3
	v_cndmask_b32_e32 v3, v3, v4, vcc_lo
	s_delay_alu instid0(VALU_DEP_1) | instskip(SKIP_1) | instid1(VALU_DEP_2)
	v_subrev_nc_u32_e32 v4, s27, v3
	v_cmp_le_u32_e32 vcc_lo, s27, v3
	v_cndmask_b32_e32 v17, v3, v4, vcc_lo
	s_delay_alu instid0(VALU_DEP_1)
	v_dual_mov_b32 v3, v17 :: v_dual_mov_b32 v4, v18
.LBB29_190:                             ;   in Loop: Header=BB29_17 Depth=1
	s_delay_alu instid0(VALU_DEP_1) | instskip(NEXT) | instid1(VALU_DEP_2)
	v_sub_co_u32 v7, vcc_lo, s85, v3
	v_sub_co_ci_u32_e32 v8, vcc_lo, s25, v4, vcc_lo
	s_mov_b32 s16, 0
	s_mov_b32 s5, exec_lo
                                        ; implicit-def: $vgpr5_vgpr6
	s_delay_alu instid0(VALU_DEP_1)
	v_cmpx_gt_i64_e64 v[7:8], v[0:1]
	s_cbranch_execz .LBB29_203
; %bb.191:                              ;   in Loop: Header=BB29_17 Depth=1
	v_dual_mov_b32 v9, v15 :: v_dual_mov_b32 v10, v16
	v_dual_mov_b32 v12, v1 :: v_dual_mov_b32 v11, v0
	s_mov_b32 s17, 0
                                        ; implicit-def: $sgpr16
	s_set_inst_prefetch_distance 0x1
	s_branch .LBB29_193
	.p2align	6
.LBB29_192:                             ;   in Loop: Header=BB29_193 Depth=2
	s_or_b32 exec_lo, exec_lo, s18
	s_waitcnt vmcnt(0) lgkmcnt(0)
	s_barrier
	buffer_gl0_inv
	ds_load_b128 v[3:6], v18 offset:3072
	v_add_co_u32 v11, vcc_lo, v11, s27
	v_add_co_ci_u32_e32 v12, vcc_lo, 0, v12, vcc_lo
	s_waitcnt lgkmcnt(0)
	s_barrier
	buffer_gl0_inv
	v_cmp_ge_i64_e32 vcc_lo, v[11:12], v[7:8]
	v_readfirstlane_b32 s19, v4
	v_readfirstlane_b32 s18, v3
	s_delay_alu instid0(VALU_DEP_1) | instskip(SKIP_1) | instid1(SALU_CYCLE_1)
	s_cmp_lg_u64 s[18:19], 0
	s_cselect_b32 s18, -1, 0
	s_or_b32 s19, s18, vcc_lo
	v_add_co_u32 v9, vcc_lo, v9, s58
	s_and_b32 s19, exec_lo, s19
	v_add_co_ci_u32_e32 v10, vcc_lo, s59, v10, vcc_lo
	s_or_b32 s17, s19, s17
	s_and_not1_b32 s16, s16, exec_lo
	s_and_b32 s18, s18, exec_lo
	s_delay_alu instid0(SALU_CYCLE_1)
	s_or_b32 s16, s16, s18
	s_and_not1_b32 exec_lo, exec_lo, s17
	s_cbranch_execz .LBB29_202
.LBB29_193:                             ;   Parent Loop BB29_17 Depth=1
                                        ; =>  This Inner Loop Header: Depth=2
	s_delay_alu instid0(VALU_DEP_1)
	v_cmp_gt_i64_e32 vcc_lo, s[36:37], v[11:12]
	v_mov_b32_e32 v4, 0
	v_mov_b32_e32 v5, 0
	s_and_saveexec_b32 s18, vcc_lo
	s_cbranch_execz .LBB29_195
; %bb.194:                              ;   in Loop: Header=BB29_193 Depth=2
	global_load_b64 v[4:5], v[9:10], off
.LBB29_195:                             ;   in Loop: Header=BB29_193 Depth=2
	s_or_b32 exec_lo, exec_lo, s18
	s_and_saveexec_b32 s18, vcc_lo
	s_cbranch_execz .LBB29_192
; %bb.196:                              ;   in Loop: Header=BB29_193 Depth=2
	s_waitcnt vmcnt(0)
	v_xor_b32_e32 v3, 0x80000000, v5
	v_and_b32_e32 v13, s70, v4
	s_delay_alu instid0(VALU_DEP_2) | instskip(NEXT) | instid1(VALU_DEP_1)
	v_and_b32_e32 v14, s71, v3
	v_cmp_eq_u64_e32 vcc_lo, s[68:69], v[13:14]
	s_and_b32 exec_lo, exec_lo, vcc_lo
	s_cbranch_execz .LBB29_192
; %bb.197:                              ;   in Loop: Header=BB29_193 Depth=2
	v_mov_b32_e32 v3, v18
	ds_store_b128 v18, v[2:5] offset:3072
	s_branch .LBB29_192
.LBB29_198:                             ;   in Loop: Header=BB29_17 Depth=1
                                        ; implicit-def: $sgpr18
                                        ; implicit-def: $sgpr74
                                        ; implicit-def: $sgpr19
	s_branch .LBB29_217
.LBB29_199:                             ;   in Loop: Header=BB29_17 Depth=1
                                        ; implicit-def: $vgpr3_vgpr4
	s_branch .LBB29_142
.LBB29_200:                             ;   in Loop: Header=BB29_17 Depth=1
                                        ; implicit-def: $vgpr3_vgpr4
	s_branch .LBB29_159
.LBB29_201:                             ;   in Loop: Header=BB29_17 Depth=1
	s_mov_b32 s18, -1
	s_mov_b32 s16, 0
                                        ; implicit-def: $sgpr19
                                        ; implicit-def: $vgpr5_vgpr6
	s_mov_b32 s74, s18
	s_cbranch_execnz .LBB29_204
	s_branch .LBB29_217
.LBB29_202:                             ;   in Loop: Header=BB29_17 Depth=1
	s_set_inst_prefetch_distance 0x2
	s_or_b32 exec_lo, exec_lo, s17
	s_delay_alu instid0(SALU_CYCLE_1)
	s_and_b32 s16, s16, exec_lo
.LBB29_203:                             ;   in Loop: Header=BB29_17 Depth=1
	s_or_b32 exec_lo, exec_lo, s5
	s_mov_b32 s19, -1
	s_mov_b32 s18, 0
	s_delay_alu instid0(SALU_CYCLE_1)
	s_mov_b32 s74, s18
	s_branch .LBB29_217
.LBB29_204:                             ;   in Loop: Header=BB29_17 Depth=1
	s_add_u32 s18, s83, s14
	s_addc_u32 s17, s84, s15
	s_mov_b32 s16, s57
	s_delay_alu instid0(SALU_CYCLE_1)
	s_cmp_lg_u64 s[16:17], 0
	s_cbranch_scc0 .LBB29_247
; %bb.205:                              ;   in Loop: Header=BB29_17 Depth=1
	v_cvt_f32_u32_e32 v3, s27
	s_sub_u32 s19, 0, s27
	s_subb_u32 s24, 0, 0
	s_delay_alu instid0(VALU_DEP_1) | instskip(NEXT) | instid1(VALU_DEP_1)
	v_fmac_f32_e32 v3, 0x4f800000, v44
	v_rcp_f32_e32 v3, v3
	s_waitcnt_depctr 0xfff
	v_mul_f32_e32 v3, 0x5f7ffffc, v3
	s_delay_alu instid0(VALU_DEP_1) | instskip(NEXT) | instid1(VALU_DEP_1)
	v_mul_f32_e32 v4, 0x2f800000, v3
	v_trunc_f32_e32 v4, v4
	s_delay_alu instid0(VALU_DEP_1) | instskip(SKIP_1) | instid1(VALU_DEP_2)
	v_fmac_f32_e32 v3, 0xcf800000, v4
	v_cvt_u32_f32_e32 v4, v4
	v_cvt_u32_f32_e32 v3, v3
	s_delay_alu instid0(VALU_DEP_2) | instskip(NEXT) | instid1(VALU_DEP_2)
	v_readfirstlane_b32 s5, v4
	v_readfirstlane_b32 s16, v3
	s_delay_alu instid0(VALU_DEP_2) | instskip(NEXT) | instid1(VALU_DEP_1)
	s_mul_i32 s74, s19, s5
	s_mul_hi_u32 s77, s19, s16
	s_mul_i32 s75, s24, s16
	s_add_i32 s74, s77, s74
	s_mul_i32 s78, s19, s16
	s_add_i32 s74, s74, s75
	s_mul_hi_u32 s77, s16, s78
	s_mul_hi_u32 s79, s5, s78
	s_mul_i32 s75, s5, s78
	s_mul_hi_u32 s78, s16, s74
	s_mul_i32 s16, s16, s74
	s_mul_hi_u32 s80, s5, s74
	s_add_u32 s16, s77, s16
	s_addc_u32 s77, 0, s78
	s_add_u32 s16, s16, s75
	s_mul_i32 s74, s5, s74
	s_addc_u32 s16, s77, s79
	s_addc_u32 s75, s80, 0
	s_add_u32 s16, s16, s74
	s_addc_u32 s74, 0, s75
	v_add_co_u32 v3, s16, v3, s16
	s_delay_alu instid0(VALU_DEP_1) | instskip(SKIP_1) | instid1(VALU_DEP_1)
	s_cmp_lg_u32 s16, 0
	s_addc_u32 s5, s5, s74
	v_readfirstlane_b32 s16, v3
	s_mul_i32 s74, s19, s5
	s_delay_alu instid0(VALU_DEP_1)
	s_mul_hi_u32 s75, s19, s16
	s_mul_i32 s24, s24, s16
	s_add_i32 s74, s75, s74
	s_mul_i32 s19, s19, s16
	s_add_i32 s74, s74, s24
	s_mul_hi_u32 s75, s5, s19
	s_mul_i32 s77, s5, s19
	s_mul_hi_u32 s19, s16, s19
	s_mul_hi_u32 s78, s16, s74
	s_mul_i32 s16, s16, s74
	s_mul_hi_u32 s24, s5, s74
	s_add_u32 s16, s19, s16
	s_addc_u32 s19, 0, s78
	s_add_u32 s16, s16, s77
	s_mul_i32 s74, s5, s74
	s_addc_u32 s16, s19, s75
	s_addc_u32 s19, s24, 0
	s_add_u32 s16, s16, s74
	s_addc_u32 s19, 0, s19
	v_add_co_u32 v3, s16, v3, s16
	s_delay_alu instid0(VALU_DEP_1) | instskip(SKIP_2) | instid1(VALU_DEP_1)
	s_cmp_lg_u32 s16, 0
	s_addc_u32 s5, s5, s19
	s_ashr_i32 s74, s17, 31
	v_readfirstlane_b32 s16, v3
	s_add_u32 s78, s18, s74
	s_mov_b32 s75, s74
	s_addc_u32 s79, s17, s74
	s_delay_alu instid0(SALU_CYCLE_1) | instskip(NEXT) | instid1(SALU_CYCLE_1)
	s_xor_b64 s[78:79], s[78:79], s[74:75]
	s_mul_i32 s24, s78, s5
	s_mul_hi_u32 s75, s78, s16
	s_mul_hi_u32 s19, s78, s5
	;; [unrolled: 1-line block ×3, first 2 shown]
	s_mul_i32 s16, s79, s16
	s_add_u32 s24, s75, s24
	s_addc_u32 s19, 0, s19
	s_mul_hi_u32 s77, s79, s5
	s_add_u32 s16, s24, s16
	s_mul_i32 s5, s79, s5
	s_addc_u32 s16, s19, s80
	s_addc_u32 s19, s77, 0
	s_add_u32 s5, s16, s5
	s_addc_u32 s16, 0, s19
	s_mul_hi_u32 s19, s27, s5
	s_mul_i32 s5, s27, s5
	s_mul_i32 s16, s27, s16
	v_sub_co_u32 v3, s5, s78, s5
	s_add_i32 s19, s19, s16
	s_cmp_lg_u32 s5, 0
	s_delay_alu instid0(VALU_DEP_1) | instskip(SKIP_2) | instid1(VALU_DEP_1)
	v_sub_co_u32 v4, s5, v3, s27
	s_subb_u32 s16, s79, s19
	s_cmp_lg_u32 s5, 0
	v_cmp_le_u32_e32 vcc_lo, s27, v4
	v_sub_co_u32 v5, s5, v4, s27
	s_subb_u32 s19, s16, 0
	s_cmp_lg_u32 s5, 0
	v_cndmask_b32_e64 v6, 0, -1, vcc_lo
	s_subb_u32 s5, s19, 0
	s_cmp_eq_u32 s19, 0
	v_mov_b32_e32 v8, s5
	s_cselect_b32 vcc_lo, -1, 0
	s_cmp_eq_u32 s16, 0
	v_cndmask_b32_e32 v6, -1, v6, vcc_lo
	v_cmp_le_u32_e32 vcc_lo, s27, v3
	s_cselect_b32 s5, -1, 0
	v_cndmask_b32_e64 v7, 0, -1, vcc_lo
	s_delay_alu instid0(VALU_DEP_3) | instskip(NEXT) | instid1(VALU_DEP_2)
	v_cmp_ne_u32_e32 vcc_lo, 0, v6
	v_cndmask_b32_e64 v6, -1, v7, s5
	v_cndmask_b32_e32 v4, v4, v5, vcc_lo
	v_cndmask_b32_e32 v7, s19, v8, vcc_lo
	s_delay_alu instid0(VALU_DEP_3) | instskip(NEXT) | instid1(VALU_DEP_3)
	v_cmp_ne_u32_e32 vcc_lo, 0, v6
	v_cndmask_b32_e32 v3, v3, v4, vcc_lo
	s_delay_alu instid0(VALU_DEP_3) | instskip(NEXT) | instid1(VALU_DEP_2)
	v_cndmask_b32_e32 v5, s16, v7, vcc_lo
	v_xor_b32_e32 v3, s74, v3
	s_delay_alu instid0(VALU_DEP_2) | instskip(NEXT) | instid1(VALU_DEP_2)
	v_xor_b32_e32 v4, s74, v5
	v_sub_co_u32 v3, vcc_lo, v3, s74
	s_delay_alu instid0(VALU_DEP_2)
	v_subrev_co_ci_u32_e32 v4, vcc_lo, s74, v4, vcc_lo
	s_cbranch_execnz .LBB29_207
.LBB29_206:                             ;   in Loop: Header=BB29_17 Depth=1
	v_cvt_f32_u32_e32 v3, s27
	s_sub_i32 s5, 0, s27
	s_delay_alu instid0(VALU_DEP_1) | instskip(SKIP_2) | instid1(VALU_DEP_1)
	v_rcp_iflag_f32_e32 v3, v3
	s_waitcnt_depctr 0xfff
	v_mul_f32_e32 v3, 0x4f7ffffe, v3
	v_cvt_u32_f32_e32 v3, v3
	s_delay_alu instid0(VALU_DEP_1) | instskip(NEXT) | instid1(VALU_DEP_1)
	v_mul_lo_u32 v4, s5, v3
	v_mul_hi_u32 v4, v3, v4
	s_delay_alu instid0(VALU_DEP_1) | instskip(NEXT) | instid1(VALU_DEP_1)
	v_add_nc_u32_e32 v3, v3, v4
	v_mul_hi_u32 v3, s18, v3
	s_delay_alu instid0(VALU_DEP_1) | instskip(NEXT) | instid1(VALU_DEP_1)
	v_mul_lo_u32 v3, v3, s27
	v_sub_nc_u32_e32 v3, s18, v3
	s_delay_alu instid0(VALU_DEP_1) | instskip(SKIP_1) | instid1(VALU_DEP_2)
	v_subrev_nc_u32_e32 v4, s27, v3
	v_cmp_le_u32_e32 vcc_lo, s27, v3
	v_cndmask_b32_e32 v3, v3, v4, vcc_lo
	s_delay_alu instid0(VALU_DEP_1) | instskip(SKIP_1) | instid1(VALU_DEP_2)
	v_subrev_nc_u32_e32 v4, s27, v3
	v_cmp_le_u32_e32 vcc_lo, s27, v3
	v_cndmask_b32_e32 v17, v3, v4, vcc_lo
	s_delay_alu instid0(VALU_DEP_1)
	v_dual_mov_b32 v3, v17 :: v_dual_mov_b32 v4, v18
.LBB29_207:                             ;   in Loop: Header=BB29_17 Depth=1
	s_delay_alu instid0(VALU_DEP_1) | instskip(NEXT) | instid1(VALU_DEP_2)
	v_sub_co_u32 v7, vcc_lo, s18, v3
	v_sub_co_ci_u32_e32 v8, vcc_lo, s17, v4, vcc_lo
	s_mov_b32 s16, 0
	s_mov_b32 s5, exec_lo
                                        ; implicit-def: $vgpr5_vgpr6
	s_delay_alu instid0(VALU_DEP_1)
	v_cmpx_gt_i64_e64 v[7:8], v[0:1]
	s_cbranch_execz .LBB29_216
; %bb.208:                              ;   in Loop: Header=BB29_17 Depth=1
	v_dual_mov_b32 v11, v35 :: v_dual_mov_b32 v10, v1
	v_mov_b32_e32 v9, v0
	s_mov_b32 s17, 0
                                        ; implicit-def: $sgpr16
	s_set_inst_prefetch_distance 0x1
	s_branch .LBB29_210
	.p2align	6
.LBB29_209:                             ;   in Loop: Header=BB29_210 Depth=2
	s_or_b32 exec_lo, exec_lo, s18
	s_waitcnt lgkmcnt(0)
	s_barrier
	buffer_gl0_inv
	ds_load_b128 v[3:6], v18 offset:3072
	v_add_co_u32 v9, vcc_lo, v9, s27
	v_add_co_ci_u32_e32 v10, vcc_lo, 0, v10, vcc_lo
	v_add_nc_u32_e32 v11, s91, v11
	s_waitcnt lgkmcnt(0)
	s_barrier
	s_delay_alu instid0(VALU_DEP_2) | instskip(SKIP_3) | instid1(VALU_DEP_1)
	v_cmp_ge_i64_e32 vcc_lo, v[9:10], v[7:8]
	buffer_gl0_inv
	v_readfirstlane_b32 s19, v4
	v_readfirstlane_b32 s18, v3
	s_cmp_lg_u64 s[18:19], 0
	s_cselect_b32 s18, -1, 0
	s_delay_alu instid0(SALU_CYCLE_1) | instskip(NEXT) | instid1(SALU_CYCLE_1)
	s_or_b32 s19, s18, vcc_lo
	s_and_b32 s19, exec_lo, s19
	s_delay_alu instid0(SALU_CYCLE_1) | instskip(SKIP_2) | instid1(SALU_CYCLE_1)
	s_or_b32 s17, s19, s17
	s_and_not1_b32 s16, s16, exec_lo
	s_and_b32 s18, s18, exec_lo
	s_or_b32 s16, s16, s18
	s_and_not1_b32 exec_lo, exec_lo, s17
	s_cbranch_execz .LBB29_215
.LBB29_210:                             ;   Parent Loop BB29_17 Depth=1
                                        ; =>  This Inner Loop Header: Depth=2
	s_delay_alu instid0(VALU_DEP_1)
	v_cmp_gt_i64_e32 vcc_lo, s[14:15], v[9:10]
	v_mov_b32_e32 v4, 0
	v_mov_b32_e32 v5, 0
	s_and_saveexec_b32 s18, vcc_lo
	s_cbranch_execz .LBB29_212
; %bb.211:                              ;   in Loop: Header=BB29_210 Depth=2
	ds_load_b64 v[4:5], v11
.LBB29_212:                             ;   in Loop: Header=BB29_210 Depth=2
	s_or_b32 exec_lo, exec_lo, s18
	s_and_saveexec_b32 s18, vcc_lo
	s_cbranch_execz .LBB29_209
; %bb.213:                              ;   in Loop: Header=BB29_210 Depth=2
	s_waitcnt lgkmcnt(0)
	v_xor_b32_e32 v3, 0x80000000, v5
	v_and_b32_e32 v12, s70, v4
	s_delay_alu instid0(VALU_DEP_2) | instskip(NEXT) | instid1(VALU_DEP_1)
	v_and_b32_e32 v13, s71, v3
	v_cmp_eq_u64_e32 vcc_lo, s[68:69], v[12:13]
	s_and_b32 exec_lo, exec_lo, vcc_lo
	s_cbranch_execz .LBB29_209
; %bb.214:                              ;   in Loop: Header=BB29_210 Depth=2
	v_mov_b32_e32 v3, v18
	ds_store_b128 v18, v[2:5] offset:3072
	s_branch .LBB29_209
.LBB29_215:                             ;   in Loop: Header=BB29_17 Depth=1
	s_set_inst_prefetch_distance 0x2
	s_or_b32 exec_lo, exec_lo, s17
	s_delay_alu instid0(SALU_CYCLE_1)
	s_and_b32 s16, s16, exec_lo
.LBB29_216:                             ;   in Loop: Header=BB29_17 Depth=1
	s_or_b32 exec_lo, exec_lo, s5
	s_mov_b32 s74, -1
	s_mov_b32 s18, 0
	s_mov_b32 s19, 0
.LBB29_217:                             ;   in Loop: Header=BB29_17 Depth=1
	s_mov_b32 s14, 0
                                        ; implicit-def: $sgpr5
	s_and_saveexec_b32 s75, s16
	s_cbranch_execz .LBB29_279
; %bb.218:                              ;   in Loop: Header=BB29_17 Depth=1
	s_xor_b32 s5, s76, -1
	s_delay_alu instid0(SALU_CYCLE_1)
	s_and_not1_b32 vcc_lo, exec_lo, s5
	s_mov_b32 s5, 1
	s_cbranch_vccnz .LBB29_229
; %bb.219:                              ;   in Loop: Header=BB29_17 Depth=1
	v_cmp_gt_i64_e64 s5, s[38:39], s[10:11]
	s_mov_b32 s24, -1
                                        ; implicit-def: $sgpr14_sgpr15
                                        ; implicit-def: $sgpr16_sgpr17
	s_delay_alu instid0(VALU_DEP_1)
	s_and_b32 vcc_lo, exec_lo, s5
                                        ; implicit-def: $sgpr5
	s_cbranch_vccnz .LBB29_225
; %bb.220:                              ;   in Loop: Header=BB29_17 Depth=1
	ds_load_b64 v[3:4], v18 offset:5120
	s_waitcnt lgkmcnt(0)
	v_cmp_ne_u64_e32 vcc_lo, 0, v[3:4]
	s_cbranch_vccnz .LBB29_224
; %bb.221:                              ;   in Loop: Header=BB29_17 Depth=1
	s_and_saveexec_b32 s5, s2
	s_cbranch_execz .LBB29_223
; %bb.222:                              ;   in Loop: Header=BB29_17 Depth=1
	v_dual_mov_b32 v3, s10 :: v_dual_mov_b32 v4, s11
	ds_store_b64 v18, v[3:4] offset:5128
.LBB29_223:                             ;   in Loop: Header=BB29_17 Depth=1
	s_or_b32 exec_lo, exec_lo, s5
	s_waitcnt lgkmcnt(0)
	s_barrier
	buffer_gl0_inv
.LBB29_224:                             ;   in Loop: Header=BB29_17 Depth=1
	s_lshl_b64 s[14:15], 2, s23
	s_and_b64 s[12:13], s[68:69], s[12:13]
	s_or_b64 s[16:17], s[70:71], s[8:9]
	s_or_b64 s[14:15], s[12:13], s[14:15]
	s_mov_b32 s24, 0
	s_mov_b32 s5, 8
.LBB29_225:                             ;   in Loop: Header=BB29_17 Depth=1
	s_and_not1_b32 vcc_lo, exec_lo, s24
	s_cbranch_vccnz .LBB29_227
; %bb.226:                              ;   in Loop: Header=BB29_17 Depth=1
	s_sub_u32 s38, s38, s10
	s_subb_u32 s39, s39, s11
	s_mov_b32 s24, -1
	s_mov_b32 s5, 0
	s_mov_b64 s[14:15], s[68:69]
	s_mov_b64 s[16:17], s[70:71]
.LBB29_227:                             ;   in Loop: Header=BB29_17 Depth=1
	s_delay_alu instid0(SALU_CYCLE_1)
	s_mov_b64 s[70:71], s[16:17]
	s_mov_b64 s[68:69], s[14:15]
	s_and_not1_b32 vcc_lo, exec_lo, s24
	s_mov_b32 s13, -1
	s_cbranch_vccz .LBB29_230
.LBB29_228:                             ;   in Loop: Header=BB29_17 Depth=1
                                        ; implicit-def: $sgpr15
                                        ; implicit-def: $sgpr17
                                        ; implicit-def: $sgpr16
	s_branch .LBB29_278
.LBB29_229:                             ;   in Loop: Header=BB29_17 Depth=1
	s_mov_b64 s[38:39], 1
	s_mov_b32 s13, -1
	s_cbranch_execnz .LBB29_228
.LBB29_230:                             ;   in Loop: Header=BB29_17 Depth=1
	s_cmp_eq_u64 s[6:7], 1
	s_mov_b32 s12, -1
	s_cselect_b32 s5, -1, 0
	s_cmp_eq_u64 s[38:39], 1
	s_cselect_b32 s10, -1, 0
	s_delay_alu instid0(SALU_CYCLE_1) | instskip(NEXT) | instid1(SALU_CYCLE_1)
	s_and_b32 s14, s5, s10
	s_and_b32 vcc_lo, exec_lo, s14
	s_cbranch_vccz .LBB29_245
; %bb.231:                              ;   in Loop: Header=BB29_17 Depth=1
	ds_load_b64 v[3:4], v18 offset:5120
	s_waitcnt lgkmcnt(0)
	s_barrier
	buffer_gl0_inv
	v_readfirstlane_b32 s10, v3
	v_readfirstlane_b32 s11, v4
	s_and_saveexec_b32 s5, s3
	s_cbranch_execz .LBB29_233
; %bb.232:                              ;   in Loop: Header=BB29_17 Depth=1
	v_mov_b32_e32 v17, v18
	ds_store_b64 v36, v[17:18]
.LBB29_233:                             ;   in Loop: Header=BB29_17 Depth=1
	s_or_b32 exec_lo, exec_lo, s5
	s_delay_alu instid0(VALU_DEP_1)
	v_cmp_gt_i64_e64 s5, s[10:11], 0
	s_or_b64 s[68:69], s[68:69], s[8:9]
	s_or_b64 s[70:71], s[70:71], s[8:9]
	s_waitcnt lgkmcnt(0)
	s_barrier
	buffer_gl0_inv
	s_and_b32 vcc_lo, exec_lo, s5
	s_cbranch_vccnz .LBB29_248
; %bb.234:                              ;   in Loop: Header=BB29_17 Depth=1
	s_mov_b32 s24, s57
	s_delay_alu instid0(SALU_CYCLE_1)
	s_cmp_lg_u64 s[24:25], 0
	s_cbranch_scc0 .LBB29_284
; %bb.235:                              ;   in Loop: Header=BB29_17 Depth=1
	v_cvt_f32_u32_e32 v3, s27
	s_sub_u32 s13, 0, s27
	s_subb_u32 s15, 0, 0
	s_delay_alu instid0(VALU_DEP_1) | instskip(NEXT) | instid1(VALU_DEP_1)
	v_fmac_f32_e32 v3, 0x4f800000, v44
	v_rcp_f32_e32 v3, v3
	s_waitcnt_depctr 0xfff
	v_mul_f32_e32 v3, 0x5f7ffffc, v3
	s_delay_alu instid0(VALU_DEP_1) | instskip(NEXT) | instid1(VALU_DEP_1)
	v_mul_f32_e32 v4, 0x2f800000, v3
	v_trunc_f32_e32 v4, v4
	s_delay_alu instid0(VALU_DEP_1) | instskip(SKIP_1) | instid1(VALU_DEP_2)
	v_fmac_f32_e32 v3, 0xcf800000, v4
	v_cvt_u32_f32_e32 v4, v4
	v_cvt_u32_f32_e32 v3, v3
	s_delay_alu instid0(VALU_DEP_2) | instskip(NEXT) | instid1(VALU_DEP_2)
	v_readfirstlane_b32 s5, v4
	v_readfirstlane_b32 s12, v3
	s_delay_alu instid0(VALU_DEP_2) | instskip(NEXT) | instid1(VALU_DEP_1)
	s_mul_i32 s16, s13, s5
	s_mul_hi_u32 s23, s13, s12
	s_mul_i32 s17, s15, s12
	s_add_i32 s16, s23, s16
	s_mul_i32 s24, s13, s12
	s_add_i32 s16, s16, s17
	s_mul_hi_u32 s23, s12, s24
	s_mul_hi_u32 s76, s5, s24
	s_mul_i32 s17, s5, s24
	s_mul_hi_u32 s24, s12, s16
	s_mul_i32 s12, s12, s16
	s_mul_hi_u32 s77, s5, s16
	s_add_u32 s12, s23, s12
	s_addc_u32 s23, 0, s24
	s_add_u32 s12, s12, s17
	s_mul_i32 s16, s5, s16
	s_addc_u32 s12, s23, s76
	s_addc_u32 s17, s77, 0
	s_add_u32 s12, s12, s16
	s_addc_u32 s16, 0, s17
	v_add_co_u32 v3, s12, v3, s12
	s_delay_alu instid0(VALU_DEP_1) | instskip(SKIP_1) | instid1(VALU_DEP_1)
	s_cmp_lg_u32 s12, 0
	s_addc_u32 s5, s5, s16
	v_readfirstlane_b32 s12, v3
	s_mul_i32 s16, s13, s5
	s_delay_alu instid0(VALU_DEP_1)
	s_mul_hi_u32 s17, s13, s12
	s_mul_i32 s15, s15, s12
	s_add_i32 s16, s17, s16
	s_mul_i32 s13, s13, s12
	s_add_i32 s16, s16, s15
	s_mul_hi_u32 s17, s5, s13
	s_mul_i32 s23, s5, s13
	s_mul_hi_u32 s13, s12, s13
	s_mul_hi_u32 s24, s12, s16
	s_mul_i32 s12, s12, s16
	s_mul_hi_u32 s15, s5, s16
	s_add_u32 s12, s13, s12
	s_addc_u32 s13, 0, s24
	s_add_u32 s12, s12, s23
	s_mul_i32 s16, s5, s16
	s_addc_u32 s12, s13, s17
	s_addc_u32 s13, s15, 0
	s_add_u32 s12, s12, s16
	s_addc_u32 s13, 0, s13
	v_add_co_u32 v3, s12, v3, s12
	s_delay_alu instid0(VALU_DEP_1) | instskip(SKIP_2) | instid1(VALU_DEP_1)
	s_cmp_lg_u32 s12, 0
	s_addc_u32 s5, s5, s13
	s_ashr_i32 s12, s25, 31
	v_readfirstlane_b32 s15, v3
	s_add_u32 s16, s85, s12
	s_mov_b32 s13, s12
	s_addc_u32 s17, s25, s12
	s_delay_alu instid0(SALU_CYCLE_1) | instskip(NEXT) | instid1(SALU_CYCLE_1)
	s_xor_b64 s[16:17], s[16:17], s[12:13]
	s_mul_i32 s23, s16, s5
	s_mul_hi_u32 s24, s16, s15
	s_mul_hi_u32 s13, s16, s5
	;; [unrolled: 1-line block ×3, first 2 shown]
	s_mul_i32 s15, s17, s15
	s_add_u32 s23, s24, s23
	s_addc_u32 s13, 0, s13
	s_mul_hi_u32 s76, s17, s5
	s_add_u32 s15, s23, s15
	s_mul_i32 s5, s17, s5
	s_addc_u32 s13, s13, s77
	s_addc_u32 s15, s76, 0
	s_add_u32 s5, s13, s5
	s_addc_u32 s13, 0, s15
	s_mul_hi_u32 s15, s27, s5
	s_mul_i32 s5, s27, s5
	s_mul_i32 s13, s27, s13
	v_sub_co_u32 v3, s5, s16, s5
	s_add_i32 s15, s15, s13
	s_cmp_lg_u32 s5, 0
	s_delay_alu instid0(VALU_DEP_1) | instskip(SKIP_2) | instid1(VALU_DEP_1)
	v_sub_co_u32 v4, s5, v3, s27
	s_subb_u32 s13, s17, s15
	s_cmp_lg_u32 s5, 0
	v_cmp_le_u32_e32 vcc_lo, s27, v4
	v_sub_co_u32 v5, s5, v4, s27
	s_subb_u32 s15, s13, 0
	s_cmp_lg_u32 s5, 0
	v_cndmask_b32_e64 v6, 0, -1, vcc_lo
	s_subb_u32 s5, s15, 0
	s_cmp_eq_u32 s15, 0
	v_mov_b32_e32 v8, s5
	s_cselect_b32 vcc_lo, -1, 0
	s_cmp_eq_u32 s13, 0
	v_cndmask_b32_e32 v6, -1, v6, vcc_lo
	v_cmp_le_u32_e32 vcc_lo, s27, v3
	s_cselect_b32 s5, -1, 0
	v_cndmask_b32_e64 v7, 0, -1, vcc_lo
	s_delay_alu instid0(VALU_DEP_3) | instskip(NEXT) | instid1(VALU_DEP_2)
	v_cmp_ne_u32_e32 vcc_lo, 0, v6
	v_cndmask_b32_e64 v6, -1, v7, s5
	v_cndmask_b32_e32 v4, v4, v5, vcc_lo
	v_cndmask_b32_e32 v7, s15, v8, vcc_lo
	s_delay_alu instid0(VALU_DEP_3) | instskip(NEXT) | instid1(VALU_DEP_3)
	v_cmp_ne_u32_e32 vcc_lo, 0, v6
	v_cndmask_b32_e32 v3, v3, v4, vcc_lo
	s_delay_alu instid0(VALU_DEP_3) | instskip(NEXT) | instid1(VALU_DEP_2)
	v_cndmask_b32_e32 v5, s13, v7, vcc_lo
	v_xor_b32_e32 v3, s12, v3
	s_delay_alu instid0(VALU_DEP_2) | instskip(NEXT) | instid1(VALU_DEP_2)
	v_xor_b32_e32 v4, s12, v5
	v_sub_co_u32 v3, vcc_lo, v3, s12
	s_delay_alu instid0(VALU_DEP_2)
	v_subrev_co_ci_u32_e32 v4, vcc_lo, s12, v4, vcc_lo
	s_cbranch_execnz .LBB29_237
.LBB29_236:                             ;   in Loop: Header=BB29_17 Depth=1
	v_cvt_f32_u32_e32 v3, s27
	s_sub_i32 s5, 0, s27
	s_delay_alu instid0(VALU_DEP_1) | instskip(SKIP_2) | instid1(VALU_DEP_1)
	v_rcp_iflag_f32_e32 v3, v3
	s_waitcnt_depctr 0xfff
	v_mul_f32_e32 v3, 0x4f7ffffe, v3
	v_cvt_u32_f32_e32 v3, v3
	s_delay_alu instid0(VALU_DEP_1) | instskip(NEXT) | instid1(VALU_DEP_1)
	v_mul_lo_u32 v4, s5, v3
	v_mul_hi_u32 v4, v3, v4
	s_delay_alu instid0(VALU_DEP_1) | instskip(NEXT) | instid1(VALU_DEP_1)
	v_add_nc_u32_e32 v3, v3, v4
	v_mul_hi_u32 v3, s85, v3
	s_delay_alu instid0(VALU_DEP_1) | instskip(NEXT) | instid1(VALU_DEP_1)
	v_mul_lo_u32 v3, v3, s27
	v_sub_nc_u32_e32 v3, s85, v3
	s_delay_alu instid0(VALU_DEP_1) | instskip(SKIP_1) | instid1(VALU_DEP_2)
	v_subrev_nc_u32_e32 v4, s27, v3
	v_cmp_le_u32_e32 vcc_lo, s27, v3
	v_cndmask_b32_e32 v3, v3, v4, vcc_lo
	s_delay_alu instid0(VALU_DEP_1) | instskip(SKIP_1) | instid1(VALU_DEP_2)
	v_subrev_nc_u32_e32 v4, s27, v3
	v_cmp_le_u32_e32 vcc_lo, s27, v3
	v_cndmask_b32_e32 v17, v3, v4, vcc_lo
	s_delay_alu instid0(VALU_DEP_1)
	v_dual_mov_b32 v3, v17 :: v_dual_mov_b32 v4, v18
.LBB29_237:                             ;   in Loop: Header=BB29_17 Depth=1
	s_delay_alu instid0(VALU_DEP_1) | instskip(NEXT) | instid1(VALU_DEP_2)
	v_sub_co_u32 v7, vcc_lo, s85, v3
	v_sub_co_ci_u32_e32 v8, vcc_lo, s25, v4, vcc_lo
	s_mov_b32 s12, 0
	s_mov_b32 s5, exec_lo
                                        ; implicit-def: $vgpr5_vgpr6
	s_delay_alu instid0(VALU_DEP_1)
	v_cmpx_gt_i64_e64 v[7:8], v[0:1]
	s_cbranch_execz .LBB29_250
; %bb.238:                              ;   in Loop: Header=BB29_17 Depth=1
	v_dual_mov_b32 v9, v15 :: v_dual_mov_b32 v10, v16
	v_dual_mov_b32 v12, v1 :: v_dual_mov_b32 v11, v0
	s_mov_b32 s13, 0
                                        ; implicit-def: $sgpr12
	s_set_inst_prefetch_distance 0x1
	s_branch .LBB29_240
	.p2align	6
.LBB29_239:                             ;   in Loop: Header=BB29_240 Depth=2
	s_or_b32 exec_lo, exec_lo, s15
	s_waitcnt vmcnt(0) lgkmcnt(0)
	s_barrier
	buffer_gl0_inv
	ds_load_b128 v[3:6], v18 offset:3072
	v_add_co_u32 v11, vcc_lo, v11, s27
	v_add_co_ci_u32_e32 v12, vcc_lo, 0, v12, vcc_lo
	s_waitcnt lgkmcnt(0)
	s_barrier
	buffer_gl0_inv
	v_cmp_ge_i64_e32 vcc_lo, v[11:12], v[7:8]
	v_readfirstlane_b32 s17, v4
	v_readfirstlane_b32 s16, v3
	s_delay_alu instid0(VALU_DEP_1) | instskip(SKIP_1) | instid1(SALU_CYCLE_1)
	s_cmp_lg_u64 s[16:17], 0
	s_cselect_b32 s15, -1, 0
	s_or_b32 s16, s15, vcc_lo
	v_add_co_u32 v9, vcc_lo, v9, s58
	s_and_b32 s16, exec_lo, s16
	v_add_co_ci_u32_e32 v10, vcc_lo, s59, v10, vcc_lo
	s_or_b32 s13, s16, s13
	s_and_not1_b32 s12, s12, exec_lo
	s_and_b32 s15, s15, exec_lo
	s_delay_alu instid0(SALU_CYCLE_1)
	s_or_b32 s12, s12, s15
	s_and_not1_b32 exec_lo, exec_lo, s13
	s_cbranch_execz .LBB29_249
.LBB29_240:                             ;   Parent Loop BB29_17 Depth=1
                                        ; =>  This Inner Loop Header: Depth=2
	s_delay_alu instid0(VALU_DEP_1)
	v_cmp_gt_i64_e32 vcc_lo, s[36:37], v[11:12]
	v_mov_b32_e32 v4, 0
	v_mov_b32_e32 v5, 0
	s_and_saveexec_b32 s15, vcc_lo
	s_cbranch_execz .LBB29_242
; %bb.241:                              ;   in Loop: Header=BB29_240 Depth=2
	global_load_b64 v[4:5], v[9:10], off
.LBB29_242:                             ;   in Loop: Header=BB29_240 Depth=2
	s_or_b32 exec_lo, exec_lo, s15
	s_and_saveexec_b32 s15, vcc_lo
	s_cbranch_execz .LBB29_239
; %bb.243:                              ;   in Loop: Header=BB29_240 Depth=2
	s_waitcnt vmcnt(0)
	v_xor_b32_e32 v3, 0x80000000, v5
	v_and_b32_e32 v13, s70, v4
	s_delay_alu instid0(VALU_DEP_2) | instskip(NEXT) | instid1(VALU_DEP_1)
	v_and_b32_e32 v14, s71, v3
	v_cmp_eq_u64_e32 vcc_lo, s[68:69], v[13:14]
	s_and_b32 exec_lo, exec_lo, vcc_lo
	s_cbranch_execz .LBB29_239
; %bb.244:                              ;   in Loop: Header=BB29_240 Depth=2
	v_mov_b32_e32 v3, v18
	ds_store_b128 v18, v[2:5] offset:3072
	s_branch .LBB29_239
.LBB29_245:                             ;   in Loop: Header=BB29_17 Depth=1
                                        ; implicit-def: $sgpr15
                                        ; implicit-def: $sgpr17
                                        ; implicit-def: $sgpr16
	s_branch .LBB29_264
.LBB29_246:                             ;   in Loop: Header=BB29_17 Depth=1
                                        ; implicit-def: $vgpr3_vgpr4
	s_branch .LBB29_189
.LBB29_247:                             ;   in Loop: Header=BB29_17 Depth=1
                                        ; implicit-def: $vgpr3_vgpr4
	s_branch .LBB29_206
.LBB29_248:                             ;   in Loop: Header=BB29_17 Depth=1
	s_mov_b32 s15, -1
	s_mov_b32 s12, 0
                                        ; implicit-def: $sgpr16
                                        ; implicit-def: $vgpr5_vgpr6
	s_mov_b32 s17, s15
	s_cbranch_execnz .LBB29_251
	s_branch .LBB29_264
.LBB29_249:                             ;   in Loop: Header=BB29_17 Depth=1
	s_set_inst_prefetch_distance 0x2
	s_or_b32 exec_lo, exec_lo, s13
	s_delay_alu instid0(SALU_CYCLE_1)
	s_and_b32 s12, s12, exec_lo
.LBB29_250:                             ;   in Loop: Header=BB29_17 Depth=1
	s_or_b32 exec_lo, exec_lo, s5
	s_mov_b32 s16, -1
	s_mov_b32 s15, 0
	s_delay_alu instid0(SALU_CYCLE_1)
	s_mov_b32 s17, s15
	s_branch .LBB29_264
.LBB29_251:                             ;   in Loop: Header=BB29_17 Depth=1
	s_add_u32 s15, s83, s10
	s_addc_u32 s13, s84, s11
	s_mov_b32 s12, s57
	s_delay_alu instid0(SALU_CYCLE_1)
	s_cmp_lg_u64 s[12:13], 0
	s_cbranch_scc0 .LBB29_285
; %bb.252:                              ;   in Loop: Header=BB29_17 Depth=1
	v_cvt_f32_u32_e32 v3, s27
	s_sub_u32 s16, 0, s27
	s_subb_u32 s17, 0, 0
	s_delay_alu instid0(VALU_DEP_1) | instskip(NEXT) | instid1(VALU_DEP_1)
	v_fmac_f32_e32 v3, 0x4f800000, v44
	v_rcp_f32_e32 v3, v3
	s_waitcnt_depctr 0xfff
	v_mul_f32_e32 v3, 0x5f7ffffc, v3
	s_delay_alu instid0(VALU_DEP_1) | instskip(NEXT) | instid1(VALU_DEP_1)
	v_mul_f32_e32 v4, 0x2f800000, v3
	v_trunc_f32_e32 v4, v4
	s_delay_alu instid0(VALU_DEP_1) | instskip(SKIP_1) | instid1(VALU_DEP_2)
	v_fmac_f32_e32 v3, 0xcf800000, v4
	v_cvt_u32_f32_e32 v4, v4
	v_cvt_u32_f32_e32 v3, v3
	s_delay_alu instid0(VALU_DEP_2) | instskip(NEXT) | instid1(VALU_DEP_2)
	v_readfirstlane_b32 s5, v4
	v_readfirstlane_b32 s12, v3
	s_delay_alu instid0(VALU_DEP_2) | instskip(NEXT) | instid1(VALU_DEP_1)
	s_mul_i32 s23, s16, s5
	s_mul_hi_u32 s76, s16, s12
	s_mul_i32 s24, s17, s12
	s_add_i32 s23, s76, s23
	s_mul_i32 s77, s16, s12
	s_add_i32 s23, s23, s24
	s_mul_hi_u32 s76, s12, s77
	s_mul_hi_u32 s78, s5, s77
	s_mul_i32 s24, s5, s77
	s_mul_hi_u32 s77, s12, s23
	s_mul_i32 s12, s12, s23
	s_mul_hi_u32 s79, s5, s23
	s_add_u32 s12, s76, s12
	s_addc_u32 s76, 0, s77
	s_add_u32 s12, s12, s24
	s_mul_i32 s23, s5, s23
	s_addc_u32 s12, s76, s78
	s_addc_u32 s24, s79, 0
	s_add_u32 s12, s12, s23
	s_addc_u32 s23, 0, s24
	v_add_co_u32 v3, s12, v3, s12
	s_delay_alu instid0(VALU_DEP_1) | instskip(SKIP_1) | instid1(VALU_DEP_1)
	s_cmp_lg_u32 s12, 0
	s_addc_u32 s5, s5, s23
	v_readfirstlane_b32 s12, v3
	s_mul_i32 s23, s16, s5
	s_delay_alu instid0(VALU_DEP_1)
	s_mul_hi_u32 s24, s16, s12
	s_mul_i32 s17, s17, s12
	s_add_i32 s23, s24, s23
	s_mul_i32 s16, s16, s12
	s_add_i32 s23, s23, s17
	s_mul_hi_u32 s24, s5, s16
	s_mul_i32 s76, s5, s16
	s_mul_hi_u32 s16, s12, s16
	s_mul_hi_u32 s77, s12, s23
	s_mul_i32 s12, s12, s23
	s_mul_hi_u32 s17, s5, s23
	s_add_u32 s12, s16, s12
	s_addc_u32 s16, 0, s77
	s_add_u32 s12, s12, s76
	s_mul_i32 s23, s5, s23
	s_addc_u32 s12, s16, s24
	s_addc_u32 s16, s17, 0
	s_add_u32 s12, s12, s23
	s_addc_u32 s16, 0, s16
	v_add_co_u32 v3, s12, v3, s12
	s_delay_alu instid0(VALU_DEP_1) | instskip(SKIP_2) | instid1(VALU_DEP_1)
	s_cmp_lg_u32 s12, 0
	s_addc_u32 s5, s5, s16
	s_ashr_i32 s16, s13, 31
	v_readfirstlane_b32 s12, v3
	s_add_u32 s76, s15, s16
	s_mov_b32 s17, s16
	s_addc_u32 s77, s13, s16
	s_delay_alu instid0(SALU_CYCLE_1) | instskip(NEXT) | instid1(SALU_CYCLE_1)
	s_xor_b64 s[76:77], s[76:77], s[16:17]
	s_mul_i32 s23, s76, s5
	s_mul_hi_u32 s24, s76, s12
	s_mul_hi_u32 s17, s76, s5
	;; [unrolled: 1-line block ×3, first 2 shown]
	s_mul_i32 s12, s77, s12
	s_add_u32 s23, s24, s23
	s_addc_u32 s17, 0, s17
	s_mul_hi_u32 s78, s77, s5
	s_add_u32 s12, s23, s12
	s_mul_i32 s5, s77, s5
	s_addc_u32 s12, s17, s79
	s_addc_u32 s17, s78, 0
	s_add_u32 s5, s12, s5
	s_addc_u32 s12, 0, s17
	s_mul_hi_u32 s17, s27, s5
	s_mul_i32 s5, s27, s5
	s_mul_i32 s12, s27, s12
	v_sub_co_u32 v3, s5, s76, s5
	s_add_i32 s17, s17, s12
	s_cmp_lg_u32 s5, 0
	s_delay_alu instid0(VALU_DEP_1) | instskip(SKIP_2) | instid1(VALU_DEP_1)
	v_sub_co_u32 v4, s5, v3, s27
	s_subb_u32 s12, s77, s17
	s_cmp_lg_u32 s5, 0
	v_cmp_le_u32_e32 vcc_lo, s27, v4
	v_sub_co_u32 v5, s5, v4, s27
	s_subb_u32 s17, s12, 0
	s_cmp_lg_u32 s5, 0
	v_cndmask_b32_e64 v6, 0, -1, vcc_lo
	s_subb_u32 s5, s17, 0
	s_cmp_eq_u32 s17, 0
	v_mov_b32_e32 v8, s5
	s_cselect_b32 vcc_lo, -1, 0
	s_cmp_eq_u32 s12, 0
	v_cndmask_b32_e32 v6, -1, v6, vcc_lo
	v_cmp_le_u32_e32 vcc_lo, s27, v3
	s_cselect_b32 s5, -1, 0
	v_cndmask_b32_e64 v7, 0, -1, vcc_lo
	s_delay_alu instid0(VALU_DEP_3) | instskip(NEXT) | instid1(VALU_DEP_2)
	v_cmp_ne_u32_e32 vcc_lo, 0, v6
	v_cndmask_b32_e64 v6, -1, v7, s5
	v_cndmask_b32_e32 v4, v4, v5, vcc_lo
	v_cndmask_b32_e32 v7, s17, v8, vcc_lo
	s_delay_alu instid0(VALU_DEP_3) | instskip(NEXT) | instid1(VALU_DEP_3)
	v_cmp_ne_u32_e32 vcc_lo, 0, v6
	v_cndmask_b32_e32 v3, v3, v4, vcc_lo
	s_delay_alu instid0(VALU_DEP_3) | instskip(NEXT) | instid1(VALU_DEP_2)
	v_cndmask_b32_e32 v5, s12, v7, vcc_lo
	v_xor_b32_e32 v3, s16, v3
	s_delay_alu instid0(VALU_DEP_2) | instskip(NEXT) | instid1(VALU_DEP_2)
	v_xor_b32_e32 v4, s16, v5
	v_sub_co_u32 v3, vcc_lo, v3, s16
	s_delay_alu instid0(VALU_DEP_2)
	v_subrev_co_ci_u32_e32 v4, vcc_lo, s16, v4, vcc_lo
	s_cbranch_execnz .LBB29_254
.LBB29_253:                             ;   in Loop: Header=BB29_17 Depth=1
	v_cvt_f32_u32_e32 v3, s27
	s_sub_i32 s5, 0, s27
	s_delay_alu instid0(VALU_DEP_1) | instskip(SKIP_2) | instid1(VALU_DEP_1)
	v_rcp_iflag_f32_e32 v3, v3
	s_waitcnt_depctr 0xfff
	v_mul_f32_e32 v3, 0x4f7ffffe, v3
	v_cvt_u32_f32_e32 v3, v3
	s_delay_alu instid0(VALU_DEP_1) | instskip(NEXT) | instid1(VALU_DEP_1)
	v_mul_lo_u32 v4, s5, v3
	v_mul_hi_u32 v4, v3, v4
	s_delay_alu instid0(VALU_DEP_1) | instskip(NEXT) | instid1(VALU_DEP_1)
	v_add_nc_u32_e32 v3, v3, v4
	v_mul_hi_u32 v3, s15, v3
	s_delay_alu instid0(VALU_DEP_1) | instskip(NEXT) | instid1(VALU_DEP_1)
	v_mul_lo_u32 v3, v3, s27
	v_sub_nc_u32_e32 v3, s15, v3
	s_delay_alu instid0(VALU_DEP_1) | instskip(SKIP_1) | instid1(VALU_DEP_2)
	v_subrev_nc_u32_e32 v4, s27, v3
	v_cmp_le_u32_e32 vcc_lo, s27, v3
	v_cndmask_b32_e32 v3, v3, v4, vcc_lo
	s_delay_alu instid0(VALU_DEP_1) | instskip(SKIP_1) | instid1(VALU_DEP_2)
	v_subrev_nc_u32_e32 v4, s27, v3
	v_cmp_le_u32_e32 vcc_lo, s27, v3
	v_cndmask_b32_e32 v17, v3, v4, vcc_lo
	s_delay_alu instid0(VALU_DEP_1)
	v_dual_mov_b32 v3, v17 :: v_dual_mov_b32 v4, v18
.LBB29_254:                             ;   in Loop: Header=BB29_17 Depth=1
	s_delay_alu instid0(VALU_DEP_1) | instskip(NEXT) | instid1(VALU_DEP_2)
	v_sub_co_u32 v7, vcc_lo, s15, v3
	v_sub_co_ci_u32_e32 v8, vcc_lo, s13, v4, vcc_lo
	s_mov_b32 s12, 0
	s_mov_b32 s5, exec_lo
                                        ; implicit-def: $vgpr5_vgpr6
	s_delay_alu instid0(VALU_DEP_1)
	v_cmpx_gt_i64_e64 v[7:8], v[0:1]
	s_cbranch_execz .LBB29_263
; %bb.255:                              ;   in Loop: Header=BB29_17 Depth=1
	v_dual_mov_b32 v11, v35 :: v_dual_mov_b32 v10, v1
	v_mov_b32_e32 v9, v0
	s_mov_b32 s13, 0
                                        ; implicit-def: $sgpr12
	s_set_inst_prefetch_distance 0x1
	s_branch .LBB29_257
	.p2align	6
.LBB29_256:                             ;   in Loop: Header=BB29_257 Depth=2
	s_or_b32 exec_lo, exec_lo, s15
	s_waitcnt lgkmcnt(0)
	s_barrier
	buffer_gl0_inv
	ds_load_b128 v[3:6], v18 offset:3072
	v_add_co_u32 v9, vcc_lo, v9, s27
	v_add_co_ci_u32_e32 v10, vcc_lo, 0, v10, vcc_lo
	v_add_nc_u32_e32 v11, s91, v11
	s_waitcnt lgkmcnt(0)
	s_barrier
	s_delay_alu instid0(VALU_DEP_2) | instskip(SKIP_3) | instid1(VALU_DEP_1)
	v_cmp_ge_i64_e32 vcc_lo, v[9:10], v[7:8]
	buffer_gl0_inv
	v_readfirstlane_b32 s17, v4
	v_readfirstlane_b32 s16, v3
	s_cmp_lg_u64 s[16:17], 0
	s_cselect_b32 s15, -1, 0
	s_delay_alu instid0(SALU_CYCLE_1) | instskip(NEXT) | instid1(SALU_CYCLE_1)
	s_or_b32 s16, s15, vcc_lo
	s_and_b32 s16, exec_lo, s16
	s_delay_alu instid0(SALU_CYCLE_1) | instskip(SKIP_2) | instid1(SALU_CYCLE_1)
	s_or_b32 s13, s16, s13
	s_and_not1_b32 s12, s12, exec_lo
	s_and_b32 s15, s15, exec_lo
	s_or_b32 s12, s12, s15
	s_and_not1_b32 exec_lo, exec_lo, s13
	s_cbranch_execz .LBB29_262
.LBB29_257:                             ;   Parent Loop BB29_17 Depth=1
                                        ; =>  This Inner Loop Header: Depth=2
	s_delay_alu instid0(VALU_DEP_1)
	v_cmp_gt_i64_e32 vcc_lo, s[10:11], v[9:10]
	v_mov_b32_e32 v4, 0
	v_mov_b32_e32 v5, 0
	s_and_saveexec_b32 s15, vcc_lo
	s_cbranch_execz .LBB29_259
; %bb.258:                              ;   in Loop: Header=BB29_257 Depth=2
	ds_load_b64 v[4:5], v11
.LBB29_259:                             ;   in Loop: Header=BB29_257 Depth=2
	s_or_b32 exec_lo, exec_lo, s15
	s_and_saveexec_b32 s15, vcc_lo
	s_cbranch_execz .LBB29_256
; %bb.260:                              ;   in Loop: Header=BB29_257 Depth=2
	s_waitcnt lgkmcnt(0)
	v_xor_b32_e32 v3, 0x80000000, v5
	v_and_b32_e32 v12, s70, v4
	s_delay_alu instid0(VALU_DEP_2) | instskip(NEXT) | instid1(VALU_DEP_1)
	v_and_b32_e32 v13, s71, v3
	v_cmp_eq_u64_e32 vcc_lo, s[68:69], v[12:13]
	s_and_b32 exec_lo, exec_lo, vcc_lo
	s_cbranch_execz .LBB29_256
; %bb.261:                              ;   in Loop: Header=BB29_257 Depth=2
	v_mov_b32_e32 v3, v18
	ds_store_b128 v18, v[2:5] offset:3072
	s_branch .LBB29_256
.LBB29_262:                             ;   in Loop: Header=BB29_17 Depth=1
	s_set_inst_prefetch_distance 0x2
	s_or_b32 exec_lo, exec_lo, s13
	s_delay_alu instid0(SALU_CYCLE_1)
	s_and_b32 s12, s12, exec_lo
.LBB29_263:                             ;   in Loop: Header=BB29_17 Depth=1
	s_or_b32 exec_lo, exec_lo, s5
	s_mov_b32 s17, -1
	s_mov_b32 s15, 0
	s_mov_b32 s16, 0
.LBB29_264:                             ;   in Loop: Header=BB29_17 Depth=1
	s_mov_b32 s13, 0
                                        ; implicit-def: $sgpr5
                                        ; implicit-def: $sgpr10_sgpr11
	s_and_saveexec_b32 s23, s12
	s_cbranch_execz .LBB29_277
; %bb.265:                              ;   in Loop: Header=BB29_17 Depth=1
	s_xor_b32 s5, s14, -1
	s_mov_b64 s[10:11], 1
	s_and_not1_b32 vcc_lo, exec_lo, s5
	s_mov_b32 s5, 1
	s_cbranch_vccnz .LBB29_276
; %bb.266:                              ;   in Loop: Header=BB29_17 Depth=1
	v_cmp_gt_i64_e64 s5, s[38:39], s[6:7]
	s_delay_alu instid0(VALU_DEP_1)
	s_and_b32 vcc_lo, exec_lo, s5
	s_cbranch_vccnz .LBB29_272
; %bb.267:                              ;   in Loop: Header=BB29_17 Depth=1
	ds_load_b64 v[3:4], v18 offset:5120
	s_waitcnt lgkmcnt(0)
	v_cmp_ne_u64_e32 vcc_lo, 0, v[3:4]
	s_cbranch_vccnz .LBB29_271
; %bb.268:                              ;   in Loop: Header=BB29_17 Depth=1
	s_and_saveexec_b32 s5, s2
	s_cbranch_execz .LBB29_270
; %bb.269:                              ;   in Loop: Header=BB29_17 Depth=1
	v_dual_mov_b32 v3, s6 :: v_dual_mov_b32 v4, s7
	ds_store_b64 v18, v[3:4] offset:5128
.LBB29_270:                             ;   in Loop: Header=BB29_17 Depth=1
	s_or_b32 exec_lo, exec_lo, s5
	s_waitcnt lgkmcnt(0)
	s_barrier
	buffer_gl0_inv
.LBB29_271:                             ;   in Loop: Header=BB29_17 Depth=1
	s_or_b64 s[12:13], s[68:69], s[8:9]
	s_or_b64 s[8:9], s[70:71], s[8:9]
	s_mov_b32 s10, 0
	s_mov_b32 s5, 8
	s_branch .LBB29_273
.LBB29_272:                             ;   in Loop: Header=BB29_17 Depth=1
	s_mov_b32 s10, -1
                                        ; implicit-def: $sgpr5
                                        ; implicit-def: $sgpr12_sgpr13
                                        ; implicit-def: $sgpr8_sgpr9
.LBB29_273:                             ;   in Loop: Header=BB29_17 Depth=1
	s_delay_alu instid0(SALU_CYCLE_1)
	s_and_not1_b32 vcc_lo, exec_lo, s10
	s_cbranch_vccnz .LBB29_275
; %bb.274:                              ;   in Loop: Header=BB29_17 Depth=1
	s_sub_u32 s38, s38, s6
	s_subb_u32 s39, s39, s7
	s_mov_b32 s5, 8
	s_mov_b64 s[12:13], s[68:69]
	s_mov_b64 s[8:9], s[70:71]
.LBB29_275:                             ;   in Loop: Header=BB29_17 Depth=1
	s_mov_b64 s[10:11], s[38:39]
	s_mov_b64 s[68:69], s[12:13]
	;; [unrolled: 1-line block ×3, first 2 shown]
.LBB29_276:                             ;   in Loop: Header=BB29_17 Depth=1
	s_mov_b32 s13, exec_lo
.LBB29_277:                             ;   in Loop: Header=BB29_17 Depth=1
	s_or_b32 exec_lo, exec_lo, s23
	s_mov_b64 s[38:39], s[10:11]
.LBB29_278:                             ;   in Loop: Header=BB29_17 Depth=1
	s_and_not1_b32 s6, s18, exec_lo
	s_and_b32 s7, s15, exec_lo
	s_and_not1_b32 s8, s19, exec_lo
	s_or_b32 s18, s6, s7
	s_and_not1_b32 s6, s74, exec_lo
	s_and_b32 s7, s17, exec_lo
	s_and_b32 s9, s16, exec_lo
	s_or_b32 s74, s6, s7
	s_or_b32 s19, s8, s9
	s_and_b32 s14, s13, exec_lo
.LBB29_279:                             ;   in Loop: Header=BB29_17 Depth=1
	s_or_b32 exec_lo, exec_lo, s75
.LBB29_280:                             ;   in Loop: Header=BB29_17 Depth=1
	s_delay_alu instid0(SALU_CYCLE_1)
	s_and_not1_b32 s6, s56, exec_lo
	s_and_b32 s7, s18, exec_lo
	s_and_not1_b32 s8, s21, exec_lo
	s_or_b32 s56, s6, s7
	s_and_not1_b32 s6, s72, exec_lo
	s_and_b32 s7, s74, exec_lo
	s_and_b32 s9, s19, exec_lo
	s_or_b32 s72, s6, s7
	s_or_b32 s21, s8, s9
	s_and_b32 s16, s14, exec_lo
.LBB29_281:                             ;   in Loop: Header=BB29_17 Depth=1
	s_or_b32 exec_lo, exec_lo, s73
	s_and_saveexec_b32 s6, s16
	s_delay_alu instid0(SALU_CYCLE_1)
	s_xor_b32 s6, exec_lo, s6
	s_cbranch_execz .LBB29_15
.LBB29_282:                             ;   in Loop: Header=BB29_17 Depth=1
	s_and_b32 s5, s5, -9
	s_delay_alu instid0(SALU_CYCLE_1)
	s_cmp_eq_u32 s5, 0
	s_cbranch_scc1 .LBB29_13
; %bb.283:                              ;   in Loop: Header=BB29_17 Depth=1
	s_mov_b32 s5, -1
	s_mov_b32 s7, -1
                                        ; implicit-def: $sgpr70_sgpr71
                                        ; implicit-def: $sgpr95
                                        ; implicit-def: $sgpr97
	s_branch .LBB29_14
.LBB29_284:                             ;   in Loop: Header=BB29_17 Depth=1
                                        ; implicit-def: $vgpr3_vgpr4
	s_branch .LBB29_236
.LBB29_285:                             ;   in Loop: Header=BB29_17 Depth=1
                                        ; implicit-def: $vgpr3_vgpr4
	s_branch .LBB29_253
.LBB29_286:
	s_or_b32 exec_lo, exec_lo, s92
	s_xor_b32 s5, s96, -1
	s_xor_b32 s1, s93, -1
	;; [unrolled: 1-line block ×3, first 2 shown]
	s_mov_b32 s3, 0
	s_and_saveexec_b32 s6, s1
	s_delay_alu instid0(SALU_CYCLE_1)
	s_xor_b32 s1, exec_lo, s6
	s_cbranch_execz .LBB29_312
; %bb.287:
	s_and_saveexec_b32 s3, s5
	s_delay_alu instid0(SALU_CYCLE_1)
	s_xor_b32 s3, exec_lo, s3
	s_cbranch_execz .LBB29_310
; %bb.288:
	s_and_saveexec_b32 s5, s4
	s_delay_alu instid0(SALU_CYCLE_1)
	s_xor_b32 s4, exec_lo, s5
; %bb.289:
	v_xor_b32_e32 v4, 0x80000000, v4
	s_delay_alu instid0(VALU_DEP_1)
	v_dual_mov_b32 v6, v4 :: v_dual_mov_b32 v5, v3
; %bb.290:
	s_or_b32 exec_lo, exec_lo, s4
	s_and_saveexec_b32 s4, s2
	s_cbranch_execz .LBB29_292
; %bb.291:
	v_dual_mov_b32 v2, 0 :: v_dual_mov_b32 v3, s36
	ds_store_b32 v2, v3 offset:5140
.LBB29_292:
	s_or_b32 exec_lo, exec_lo, s4
	s_waitcnt lgkmcnt(0)
	s_barrier
	buffer_gl0_inv
	s_and_saveexec_b32 s4, s0
	s_cbranch_execz .LBB29_307
; %bb.293:
	v_mov_b32_e32 v2, 0
	s_mov_b32 s5, 0
                                        ; implicit-def: $sgpr6
                                        ; implicit-def: $sgpr7
                                        ; implicit-def: $sgpr8
	ds_load_b32 v7, v2 offset:5140
	s_waitcnt lgkmcnt(0)
	v_ashrrev_i32_e32 v8, 31, v7
	s_set_inst_prefetch_distance 0x1
	s_branch .LBB29_296
	.p2align	6
.LBB29_294:                             ;   in Loop: Header=BB29_296 Depth=1
	s_or_b32 exec_lo, exec_lo, s11
	s_delay_alu instid0(SALU_CYCLE_1)
	s_and_not1_b32 s8, s8, exec_lo
	s_and_b32 s10, s10, exec_lo
	s_and_not1_b32 s7, s7, exec_lo
	s_and_b32 s0, s0, exec_lo
	s_or_b32 s8, s8, s10
	s_or_b32 s7, s7, s0
.LBB29_295:                             ;   in Loop: Header=BB29_296 Depth=1
	s_or_b32 exec_lo, exec_lo, s9
	s_delay_alu instid0(SALU_CYCLE_1) | instskip(NEXT) | instid1(SALU_CYCLE_1)
	s_and_b32 s0, exec_lo, s7
	s_or_b32 s5, s0, s5
	s_and_not1_b32 s0, s6, exec_lo
	s_and_b32 s6, s8, exec_lo
	s_delay_alu instid0(SALU_CYCLE_1)
	s_or_b32 s6, s0, s6
	s_and_not1_b32 exec_lo, exec_lo, s5
	s_cbranch_execz .LBB29_302
.LBB29_296:                             ; =>This Inner Loop Header: Depth=1
	v_dual_mov_b32 v3, v1 :: v_dual_mov_b32 v2, v0
	s_or_b32 s8, s8, exec_lo
	s_or_b32 s7, s7, exec_lo
	s_mov_b32 s9, exec_lo
                                        ; implicit-def: $vgpr0_vgpr1
	s_delay_alu instid0(VALU_DEP_1)
	v_cmpx_lt_i64_e64 v[2:3], v[7:8]
	s_cbranch_execz .LBB29_295
; %bb.297:                              ;   in Loop: Header=BB29_296 Depth=1
	global_load_b64 v[0:1], v[15:16], off
	s_mov_b32 s0, -1
	s_mov_b32 s10, 0
	s_waitcnt vmcnt(0)
	v_cmp_ne_u64_e32 vcc_lo, v[0:1], v[5:6]
                                        ; implicit-def: $vgpr0_vgpr1
	s_and_saveexec_b32 s11, vcc_lo
	s_cbranch_execz .LBB29_294
; %bb.298:                              ;   in Loop: Header=BB29_296 Depth=1
	v_add_co_u32 v0, vcc_lo, v2, s27
	v_add_co_ci_u32_e32 v1, vcc_lo, 0, v3, vcc_lo
	v_add_co_u32 v15, s0, v15, s58
	s_delay_alu instid0(VALU_DEP_1) | instskip(NEXT) | instid1(VALU_DEP_3)
	v_add_co_ci_u32_e64 v16, s0, s59, v16, s0
	v_cmp_le_i64_e32 vcc_lo, s[36:37], v[0:1]
	s_mov_b32 s10, exec_lo
	s_or_not1_b32 s0, vcc_lo, exec_lo
	s_branch .LBB29_294
.LBB29_299:
                                        ; implicit-def: $sgpr16_sgpr17
	s_branch .LBB29_3
.LBB29_300:
                                        ; implicit-def: $sgpr48_sgpr49
	s_branch .LBB29_6
.LBB29_301:
                                        ; implicit-def: $sgpr50_sgpr51
	s_load_b64 s[18:19], s[0:1], 0x0
	s_branch .LBB29_9
.LBB29_302:
	s_set_inst_prefetch_distance 0x2
	s_or_b32 exec_lo, exec_lo, s5
	s_xor_b32 s0, s6, -1
	s_delay_alu instid0(SALU_CYCLE_1) | instskip(NEXT) | instid1(SALU_CYCLE_1)
	s_and_saveexec_b32 s5, s0
	s_xor_b32 s5, exec_lo, s5
	s_cbranch_execz .LBB29_307
; %bb.303:
	s_mov_b32 s5, exec_lo
	s_brev_b32 s0, -2
.LBB29_304:                             ; =>This Inner Loop Header: Depth=1
	s_ctz_i32_b32 s6, s5
	s_delay_alu instid0(SALU_CYCLE_1) | instskip(SKIP_1) | instid1(SALU_CYCLE_1)
	v_readlane_b32 s7, v2, s6
	s_lshl_b32 s6, 1, s6
	s_and_not1_b32 s5, s5, s6
	s_delay_alu instid0(VALU_DEP_1)
	s_min_i32 s0, s0, s7
	s_cmp_lg_u32 s5, 0
	s_cbranch_scc1 .LBB29_304
; %bb.305:
	v_mbcnt_lo_u32_b32 v0, exec_lo, 0
	s_mov_b32 s5, exec_lo
	s_delay_alu instid0(VALU_DEP_1)
	v_cmpx_eq_u32_e32 0, v0
	s_xor_b32 s5, exec_lo, s5
	s_cbranch_execz .LBB29_307
; %bb.306:
	v_dual_mov_b32 v0, 0 :: v_dual_mov_b32 v1, s0
	ds_min_i32 v0, v1 offset:5140
.LBB29_307:
	s_or_b32 exec_lo, exec_lo, s4
	s_waitcnt lgkmcnt(0)
	s_barrier
	buffer_gl0_inv
	s_and_saveexec_b32 s0, s2
	s_cbranch_execz .LBB29_309
; %bb.308:
	s_mul_i32 s2, s48, s35
	s_mul_hi_u32 s4, s48, s34
	s_mul_i32 s5, s48, s34
	s_add_i32 s2, s4, s2
	s_mul_i32 s4, s49, s34
	s_mul_hi_u32 s7, s48, s44
	s_add_i32 s2, s2, s4
	s_sub_u32 s4, s26, s5
	s_subb_u32 s2, 0, s2
	s_mul_i32 s5, s4, s47
	s_mul_hi_u32 s6, s4, s46
	s_mul_i32 s2, s2, s46
	s_add_i32 s5, s6, s5
	s_mul_i32 s6, s48, s45
	v_mov_b32_e32 v2, 0
	s_add_i32 s5, s5, s2
	s_add_i32 s2, s7, s6
	s_mul_i32 s6, s49, s44
	s_mul_hi_u32 s8, s50, s40
	s_add_i32 s7, s2, s6
	s_mul_i32 s2, s50, s41
	ds_load_b32 v0, v2 offset:5140
	s_add_i32 s2, s8, s2
	s_mul_i32 s8, s51, s40
	s_mul_i32 s9, s50, s40
	s_add_i32 s2, s2, s8
	s_sub_u32 s8, s26, s9
	s_subb_u32 s2, 0, s2
	s_mul_i32 s9, s8, s31
	s_mul_hi_u32 s10, s8, s30
	s_mul_i32 s2, s2, s30
	s_add_i32 s9, s10, s9
	s_mul_i32 s10, s50, s29
	s_mul_hi_u32 s11, s50, s28
	s_mul_i32 s6, s48, s44
	s_add_i32 s9, s9, s2
	s_add_i32 s2, s11, s10
	s_mul_i32 s10, s51, s28
	s_lshl_b64 s[6:7], s[6:7], 3
	s_mul_i32 s4, s4, s46
	s_add_i32 s11, s2, s10
	s_add_u32 s2, s54, s6
	s_addc_u32 s6, s55, s7
	s_lshl_b64 s[4:5], s[4:5], 3
	s_mul_i32 s10, s50, s28
	s_add_u32 s4, s2, s4
	s_addc_u32 s5, s6, s5
	s_lshl_b64 s[6:7], s[10:11], 3
	s_mul_i32 s8, s8, s30
	s_add_u32 s2, s52, s6
	s_addc_u32 s10, s53, s7
	s_lshl_b64 s[6:7], s[8:9], 3
	s_waitcnt lgkmcnt(0)
	v_ashrrev_i32_e32 v1, 31, v0
	s_add_u32 s6, s2, s6
	s_addc_u32 s7, s10, s7
	s_clause 0x1
	global_store_b64 v2, v[0:1], s[6:7]
	global_store_b64 v2, v[5:6], s[4:5]
.LBB29_309:
	s_or_b32 exec_lo, exec_lo, s0
.LBB29_310:
	s_or_saveexec_b32 s0, s3
	s_mov_b32 s2, 0
	s_xor_b32 exec_lo, exec_lo, s0
	s_cbranch_execnz .LBB29_318
.LBB29_311:
	s_or_b32 exec_lo, exec_lo, s0
	s_delay_alu instid0(SALU_CYCLE_1)
	s_and_b32 s3, s2, exec_lo
.LBB29_312:
	s_and_not1_saveexec_b32 s0, s1
	s_cbranch_execnz .LBB29_316
; %bb.313:
	s_or_b32 exec_lo, exec_lo, s0
	s_and_saveexec_b32 s0, s3
.LBB29_314:
	; divergent unreachable
.LBB29_315:
	s_nop 0
	s_sendmsg sendmsg(MSG_DEALLOC_VGPRS)
	s_endpgm
.LBB29_316:
	s_cbranch_execnz .LBB29_320
; %bb.317:
	s_or_b32 s3, s3, exec_lo
	s_or_b32 exec_lo, exec_lo, s0
	s_and_saveexec_b32 s0, s3
	s_cbranch_execnz .LBB29_314
	s_branch .LBB29_315
.LBB29_318:
	s_cbranch_execnz .LBB29_322
; %bb.319:
	s_mov_b32 s2, exec_lo
	s_branch .LBB29_311
.LBB29_320:
	s_trap 2
	s_sendmsg_rtn_b32 s0, sendmsg(MSG_RTN_GET_DOORBELL)
	s_mov_b32 ttmp2, m0
	s_waitcnt lgkmcnt(0)
	s_and_b32 s0, s0, 0x3ff
	s_delay_alu instid0(SALU_CYCLE_1) | instskip(NEXT) | instid1(SALU_CYCLE_1)
	s_bitset1_b32 s0, 10
	s_mov_b32 m0, s0
	s_sendmsg sendmsg(MSG_INTERRUPT)
	s_mov_b32 m0, ttmp2
.LBB29_321:                             ; =>This Inner Loop Header: Depth=1
	s_sethalt 5
	s_branch .LBB29_321
.LBB29_322:
	s_trap 2
	s_sendmsg_rtn_b32 s0, sendmsg(MSG_RTN_GET_DOORBELL)
	s_mov_b32 ttmp2, m0
	s_waitcnt lgkmcnt(0)
	s_and_b32 s0, s0, 0x3ff
	s_delay_alu instid0(SALU_CYCLE_1) | instskip(NEXT) | instid1(SALU_CYCLE_1)
	s_bitset1_b32 s0, 10
	s_mov_b32 m0, s0
	s_sendmsg sendmsg(MSG_INTERRUPT)
	s_mov_b32 m0, ttmp2
.LBB29_323:                             ; =>This Inner Loop Header: Depth=1
	s_sethalt 5
	s_branch .LBB29_323
	.section	.rodata,"a",@progbits
	.p2align	6, 0x0
	.amdhsa_kernel _ZN2at6native12_GLOBAL__N_114gatherKthValueIllLi2EEEvNS_4cuda6detail10TensorInfoIKT_T0_EES8_S8_S8_S8_NS5_IS6_S8_EENS5_IlS8_EE
		.amdhsa_group_segment_fixed_size 5144
		.amdhsa_private_segment_fixed_size 0
		.amdhsa_kernarg_size 1536
		.amdhsa_user_sgpr_count 13
		.amdhsa_user_sgpr_dispatch_ptr 0
		.amdhsa_user_sgpr_queue_ptr 0
		.amdhsa_user_sgpr_kernarg_segment_ptr 1
		.amdhsa_user_sgpr_dispatch_id 0
		.amdhsa_user_sgpr_private_segment_size 0
		.amdhsa_wavefront_size32 1
		.amdhsa_uses_dynamic_stack 0
		.amdhsa_enable_private_segment 0
		.amdhsa_system_sgpr_workgroup_id_x 1
		.amdhsa_system_sgpr_workgroup_id_y 1
		.amdhsa_system_sgpr_workgroup_id_z 1
		.amdhsa_system_sgpr_workgroup_info 0
		.amdhsa_system_vgpr_workitem_id 0
		.amdhsa_next_free_vgpr 62
		.amdhsa_next_free_sgpr 104
		.amdhsa_reserve_vcc 1
		.amdhsa_float_round_mode_32 0
		.amdhsa_float_round_mode_16_64 0
		.amdhsa_float_denorm_mode_32 3
		.amdhsa_float_denorm_mode_16_64 3
		.amdhsa_dx10_clamp 1
		.amdhsa_ieee_mode 1
		.amdhsa_fp16_overflow 0
		.amdhsa_workgroup_processor_mode 1
		.amdhsa_memory_ordered 1
		.amdhsa_forward_progress 0
		.amdhsa_shared_vgpr_count 0
		.amdhsa_exception_fp_ieee_invalid_op 0
		.amdhsa_exception_fp_denorm_src 0
		.amdhsa_exception_fp_ieee_div_zero 0
		.amdhsa_exception_fp_ieee_overflow 0
		.amdhsa_exception_fp_ieee_underflow 0
		.amdhsa_exception_fp_ieee_inexact 0
		.amdhsa_exception_int_div_zero 0
	.end_amdhsa_kernel
	.section	.text._ZN2at6native12_GLOBAL__N_114gatherKthValueIllLi2EEEvNS_4cuda6detail10TensorInfoIKT_T0_EES8_S8_S8_S8_NS5_IS6_S8_EENS5_IlS8_EE,"axG",@progbits,_ZN2at6native12_GLOBAL__N_114gatherKthValueIllLi2EEEvNS_4cuda6detail10TensorInfoIKT_T0_EES8_S8_S8_S8_NS5_IS6_S8_EENS5_IlS8_EE,comdat
.Lfunc_end29:
	.size	_ZN2at6native12_GLOBAL__N_114gatherKthValueIllLi2EEEvNS_4cuda6detail10TensorInfoIKT_T0_EES8_S8_S8_S8_NS5_IS6_S8_EENS5_IlS8_EE, .Lfunc_end29-_ZN2at6native12_GLOBAL__N_114gatherKthValueIllLi2EEEvNS_4cuda6detail10TensorInfoIKT_T0_EES8_S8_S8_S8_NS5_IS6_S8_EENS5_IlS8_EE
                                        ; -- End function
	.section	.AMDGPU.csdata,"",@progbits
; Kernel info:
; codeLenInByte = 19832
; NumSgprs: 106
; NumVgprs: 62
; ScratchSize: 0
; MemoryBound: 0
; FloatMode: 240
; IeeeMode: 1
; LDSByteSize: 5144 bytes/workgroup (compile time only)
; SGPRBlocks: 13
; VGPRBlocks: 7
; NumSGPRsForWavesPerEU: 106
; NumVGPRsForWavesPerEU: 62
; Occupancy: 16
; WaveLimiterHint : 1
; COMPUTE_PGM_RSRC2:SCRATCH_EN: 0
; COMPUTE_PGM_RSRC2:USER_SGPR: 13
; COMPUTE_PGM_RSRC2:TRAP_HANDLER: 0
; COMPUTE_PGM_RSRC2:TGID_X_EN: 1
; COMPUTE_PGM_RSRC2:TGID_Y_EN: 1
; COMPUTE_PGM_RSRC2:TGID_Z_EN: 1
; COMPUTE_PGM_RSRC2:TIDIG_COMP_CNT: 0
	.section	.text._ZN2at6native12_GLOBAL__N_114gatherKthValueIllLi3EEEvNS_4cuda6detail10TensorInfoIKT_T0_EES8_S8_S8_S8_NS5_IS6_S8_EENS5_IlS8_EE,"axG",@progbits,_ZN2at6native12_GLOBAL__N_114gatherKthValueIllLi3EEEvNS_4cuda6detail10TensorInfoIKT_T0_EES8_S8_S8_S8_NS5_IS6_S8_EENS5_IlS8_EE,comdat
	.globl	_ZN2at6native12_GLOBAL__N_114gatherKthValueIllLi3EEEvNS_4cuda6detail10TensorInfoIKT_T0_EES8_S8_S8_S8_NS5_IS6_S8_EENS5_IlS8_EE ; -- Begin function _ZN2at6native12_GLOBAL__N_114gatherKthValueIllLi3EEEvNS_4cuda6detail10TensorInfoIKT_T0_EES8_S8_S8_S8_NS5_IS6_S8_EENS5_IlS8_EE
	.p2align	8
	.type	_ZN2at6native12_GLOBAL__N_114gatherKthValueIllLi3EEEvNS_4cuda6detail10TensorInfoIKT_T0_EES8_S8_S8_S8_NS5_IS6_S8_EENS5_IlS8_EE,@function
_ZN2at6native12_GLOBAL__N_114gatherKthValueIllLi3EEEvNS_4cuda6detail10TensorInfoIKT_T0_EES8_S8_S8_S8_NS5_IS6_S8_EENS5_IlS8_EE: ; @_ZN2at6native12_GLOBAL__N_114gatherKthValueIllLi3EEEvNS_4cuda6detail10TensorInfoIKT_T0_EES8_S8_S8_S8_NS5_IS6_S8_EENS5_IlS8_EE
; %bb.0:
	s_clause 0x1
	s_load_b64 s[18:19], s[0:1], 0x500
	s_load_b256 s[36:43], s[0:1], 0x1a0
	s_add_u32 s16, s0, 0x500
	s_addc_u32 s17, s1, 0
	s_mov_b32 s27, 0
	s_waitcnt lgkmcnt(0)
	s_mul_i32 s2, s19, s15
	s_delay_alu instid0(SALU_CYCLE_1) | instskip(NEXT) | instid1(SALU_CYCLE_1)
	s_add_i32 s2, s2, s14
	s_mul_i32 s2, s2, s18
	s_delay_alu instid0(SALU_CYCLE_1) | instskip(NEXT) | instid1(SALU_CYCLE_1)
	s_add_i32 s26, s2, s13
	v_cmp_ge_i64_e64 s2, s[26:27], s[40:41]
	s_delay_alu instid0(VALU_DEP_1)
	s_and_b32 vcc_lo, exec_lo, s2
	s_cbranch_vccnz .LBB30_328
; %bb.1:
	s_load_b128 s[4:7], s[0:1], 0x10
	s_mov_b32 s2, s27
	s_waitcnt lgkmcnt(0)
	s_mov_b32 s3, s7
	s_delay_alu instid0(SALU_CYCLE_1)
	s_cmp_lg_u64 s[2:3], 0
	s_cbranch_scc0 .LBB30_18
; %bb.2:
	s_ashr_i32 s2, s7, 31
	s_delay_alu instid0(SALU_CYCLE_1) | instskip(SKIP_2) | instid1(SALU_CYCLE_1)
	s_add_u32 s8, s6, s2
	s_mov_b32 s3, s2
	s_addc_u32 s9, s7, s2
	s_xor_b64 s[8:9], s[8:9], s[2:3]
	s_delay_alu instid0(SALU_CYCLE_1) | instskip(SKIP_3) | instid1(VALU_DEP_1)
	v_cvt_f32_u32_e32 v1, s8
	v_cvt_f32_u32_e32 v2, s9
	s_sub_u32 s12, 0, s8
	s_subb_u32 s14, 0, s9
	v_fmamk_f32 v1, v2, 0x4f800000, v1
	s_delay_alu instid0(VALU_DEP_1) | instskip(SKIP_2) | instid1(VALU_DEP_1)
	v_rcp_f32_e32 v1, v1
	s_waitcnt_depctr 0xfff
	v_mul_f32_e32 v1, 0x5f7ffffc, v1
	v_mul_f32_e32 v2, 0x2f800000, v1
	s_delay_alu instid0(VALU_DEP_1) | instskip(NEXT) | instid1(VALU_DEP_1)
	v_trunc_f32_e32 v2, v2
	v_fmamk_f32 v1, v2, 0xcf800000, v1
	v_cvt_u32_f32_e32 v2, v2
	s_delay_alu instid0(VALU_DEP_2) | instskip(NEXT) | instid1(VALU_DEP_2)
	v_cvt_u32_f32_e32 v1, v1
	v_readfirstlane_b32 s10, v2
	s_delay_alu instid0(VALU_DEP_2) | instskip(NEXT) | instid1(VALU_DEP_2)
	v_readfirstlane_b32 s11, v1
	s_mul_i32 s15, s12, s10
	s_delay_alu instid0(VALU_DEP_1)
	s_mul_hi_u32 s20, s12, s11
	s_mul_i32 s19, s14, s11
	s_add_i32 s15, s20, s15
	s_mul_i32 s21, s12, s11
	s_add_i32 s15, s15, s19
	s_mul_hi_u32 s20, s11, s21
	s_mul_hi_u32 s22, s10, s21
	s_mul_i32 s19, s10, s21
	s_mul_hi_u32 s21, s11, s15
	s_mul_i32 s11, s11, s15
	s_mul_hi_u32 s23, s10, s15
	s_add_u32 s11, s20, s11
	s_addc_u32 s20, 0, s21
	s_add_u32 s11, s11, s19
	s_mul_i32 s15, s10, s15
	s_addc_u32 s11, s20, s22
	s_addc_u32 s19, s23, 0
	s_add_u32 s11, s11, s15
	s_addc_u32 s15, 0, s19
	v_add_co_u32 v1, s11, v1, s11
	s_delay_alu instid0(VALU_DEP_1) | instskip(SKIP_1) | instid1(VALU_DEP_1)
	s_cmp_lg_u32 s11, 0
	s_addc_u32 s10, s10, s15
	v_readfirstlane_b32 s11, v1
	s_mul_i32 s15, s12, s10
	s_delay_alu instid0(VALU_DEP_1)
	s_mul_hi_u32 s19, s12, s11
	s_mul_i32 s14, s14, s11
	s_add_i32 s15, s19, s15
	s_mul_i32 s12, s12, s11
	s_add_i32 s15, s15, s14
	s_mul_hi_u32 s19, s10, s12
	s_mul_i32 s20, s10, s12
	s_mul_hi_u32 s12, s11, s12
	s_mul_hi_u32 s21, s11, s15
	s_mul_i32 s11, s11, s15
	s_mul_hi_u32 s14, s10, s15
	s_add_u32 s11, s12, s11
	s_addc_u32 s12, 0, s21
	s_add_u32 s11, s11, s20
	s_mul_i32 s15, s10, s15
	s_addc_u32 s11, s12, s19
	s_addc_u32 s12, s14, 0
	s_add_u32 s11, s11, s15
	s_addc_u32 s12, 0, s12
	v_add_co_u32 v1, s11, v1, s11
	s_delay_alu instid0(VALU_DEP_1) | instskip(SKIP_2) | instid1(VALU_DEP_1)
	s_cmp_lg_u32 s11, 0
	s_addc_u32 s12, s10, s12
	s_ashr_i32 s10, 0, 31
	v_readfirstlane_b32 s19, v1
	s_add_u32 s14, s26, s10
	s_mov_b32 s11, s10
	s_addc_u32 s15, 0, s10
	s_delay_alu instid0(SALU_CYCLE_1) | instskip(NEXT) | instid1(SALU_CYCLE_1)
	s_xor_b64 s[14:15], s[14:15], s[10:11]
	s_mul_i32 s21, s14, s12
	s_mul_hi_u32 s22, s14, s19
	s_mul_hi_u32 s20, s14, s12
	;; [unrolled: 1-line block ×3, first 2 shown]
	s_mul_i32 s19, s15, s19
	s_add_u32 s21, s22, s21
	s_addc_u32 s20, 0, s20
	s_mul_hi_u32 s23, s15, s12
	s_add_u32 s19, s21, s19
	s_mul_i32 s12, s15, s12
	s_addc_u32 s19, s20, s24
	s_addc_u32 s20, s23, 0
	s_add_u32 s12, s19, s12
	s_addc_u32 s19, 0, s20
	s_mul_i32 s23, s8, s12
	s_mul_hi_u32 s20, s8, s12
	s_mul_i32 s22, s8, s19
	v_sub_co_u32 v1, s14, s14, s23
	s_mul_i32 s21, s9, s12
	s_add_i32 s20, s20, s22
	s_delay_alu instid0(SALU_CYCLE_1) | instskip(NEXT) | instid1(VALU_DEP_1)
	s_add_i32 s20, s20, s21
	v_sub_co_u32 v2, s22, v1, s8
	s_sub_i32 s21, s15, s20
	s_cmp_lg_u32 s14, 0
	s_subb_u32 s21, s21, s9
	s_cmp_lg_u32 s22, 0
	v_readfirstlane_b32 s22, v2
	s_subb_u32 s21, s21, 0
	s_delay_alu instid0(SALU_CYCLE_1) | instskip(SKIP_1) | instid1(VALU_DEP_1)
	s_cmp_ge_u32 s21, s9
	s_cselect_b32 s23, -1, 0
	s_cmp_ge_u32 s22, s8
	s_cselect_b32 s22, -1, 0
	s_cmp_eq_u32 s21, s9
	s_cselect_b32 s21, s22, s23
	s_add_u32 s22, s12, 1
	s_addc_u32 s23, s19, 0
	s_add_u32 s24, s12, 2
	s_addc_u32 s25, s19, 0
	s_cmp_lg_u32 s21, 0
	s_cselect_b32 s21, s24, s22
	s_cselect_b32 s22, s25, s23
	s_cmp_lg_u32 s14, 0
	v_readfirstlane_b32 s14, v1
	s_subb_u32 s15, s15, s20
	s_delay_alu instid0(SALU_CYCLE_1) | instskip(SKIP_1) | instid1(VALU_DEP_1)
	s_cmp_ge_u32 s15, s9
	s_cselect_b32 s20, -1, 0
	s_cmp_ge_u32 s14, s8
	s_cselect_b32 s8, -1, 0
	s_cmp_eq_u32 s15, s9
	s_cselect_b32 s8, s8, s20
	s_delay_alu instid0(SALU_CYCLE_1) | instskip(SKIP_3) | instid1(SALU_CYCLE_1)
	s_cmp_lg_u32 s8, 0
	s_cselect_b32 s9, s22, s19
	s_cselect_b32 s8, s21, s12
	s_xor_b64 s[2:3], s[10:11], s[2:3]
	s_xor_b64 s[10:11], s[8:9], s[2:3]
	s_delay_alu instid0(SALU_CYCLE_1)
	s_sub_u32 s2, s10, s2
	s_subb_u32 s3, s11, s3
	s_cbranch_execnz .LBB30_4
.LBB30_3:
	v_cvt_f32_u32_e32 v1, s6
	s_sub_i32 s3, 0, s6
	s_delay_alu instid0(VALU_DEP_1) | instskip(SKIP_2) | instid1(VALU_DEP_1)
	v_rcp_iflag_f32_e32 v1, v1
	s_waitcnt_depctr 0xfff
	v_mul_f32_e32 v1, 0x4f7ffffe, v1
	v_cvt_u32_f32_e32 v1, v1
	s_delay_alu instid0(VALU_DEP_1) | instskip(NEXT) | instid1(VALU_DEP_1)
	v_readfirstlane_b32 s2, v1
	s_mul_i32 s3, s3, s2
	s_delay_alu instid0(SALU_CYCLE_1) | instskip(NEXT) | instid1(SALU_CYCLE_1)
	s_mul_hi_u32 s3, s2, s3
	s_add_i32 s2, s2, s3
	s_delay_alu instid0(SALU_CYCLE_1) | instskip(NEXT) | instid1(SALU_CYCLE_1)
	s_mul_hi_u32 s2, s26, s2
	s_mul_i32 s3, s2, s6
	s_add_i32 s8, s2, 1
	s_sub_i32 s3, s26, s3
	s_delay_alu instid0(SALU_CYCLE_1)
	s_sub_i32 s9, s3, s6
	s_cmp_ge_u32 s3, s6
	s_cselect_b32 s2, s8, s2
	s_cselect_b32 s3, s9, s3
	s_add_i32 s8, s2, 1
	s_cmp_ge_u32 s3, s6
	s_mov_b32 s3, 0
	s_cselect_b32 s2, s8, s2
.LBB30_4:
	s_delay_alu instid0(SALU_CYCLE_1) | instskip(SKIP_1) | instid1(SALU_CYCLE_1)
	s_or_b64 s[8:9], s[2:3], s[4:5]
	s_mov_b32 s8, 0
	s_cmp_lg_u64 s[8:9], 0
	s_cbranch_scc0 .LBB30_19
; %bb.5:
	s_ashr_i32 s10, s5, 31
	s_delay_alu instid0(SALU_CYCLE_1) | instskip(SKIP_2) | instid1(SALU_CYCLE_1)
	s_add_u32 s14, s4, s10
	s_mov_b32 s11, s10
	s_addc_u32 s15, s5, s10
	s_xor_b64 s[14:15], s[14:15], s[10:11]
	s_delay_alu instid0(SALU_CYCLE_1) | instskip(SKIP_3) | instid1(VALU_DEP_1)
	v_cvt_f32_u32_e32 v1, s14
	v_cvt_f32_u32_e32 v2, s15
	s_sub_u32 s19, 0, s14
	s_subb_u32 s20, 0, s15
	v_fmamk_f32 v1, v2, 0x4f800000, v1
	s_delay_alu instid0(VALU_DEP_1) | instskip(SKIP_2) | instid1(VALU_DEP_1)
	v_rcp_f32_e32 v1, v1
	s_waitcnt_depctr 0xfff
	v_mul_f32_e32 v1, 0x5f7ffffc, v1
	v_mul_f32_e32 v2, 0x2f800000, v1
	s_delay_alu instid0(VALU_DEP_1) | instskip(NEXT) | instid1(VALU_DEP_1)
	v_trunc_f32_e32 v2, v2
	v_fmamk_f32 v1, v2, 0xcf800000, v1
	v_cvt_u32_f32_e32 v2, v2
	s_delay_alu instid0(VALU_DEP_2) | instskip(NEXT) | instid1(VALU_DEP_2)
	v_cvt_u32_f32_e32 v1, v1
	v_readfirstlane_b32 s9, v2
	s_delay_alu instid0(VALU_DEP_2) | instskip(NEXT) | instid1(VALU_DEP_2)
	v_readfirstlane_b32 s12, v1
	s_mul_i32 s21, s19, s9
	s_delay_alu instid0(VALU_DEP_1)
	s_mul_hi_u32 s23, s19, s12
	s_mul_i32 s22, s20, s12
	s_add_i32 s21, s23, s21
	s_mul_i32 s24, s19, s12
	s_add_i32 s21, s21, s22
	s_mul_hi_u32 s23, s12, s24
	s_mul_hi_u32 s25, s9, s24
	s_mul_i32 s22, s9, s24
	s_mul_hi_u32 s24, s12, s21
	s_mul_i32 s12, s12, s21
	s_mul_hi_u32 s27, s9, s21
	s_add_u32 s12, s23, s12
	s_addc_u32 s23, 0, s24
	s_add_u32 s12, s12, s22
	s_mul_i32 s21, s9, s21
	s_addc_u32 s12, s23, s25
	s_addc_u32 s22, s27, 0
	s_add_u32 s12, s12, s21
	s_addc_u32 s21, 0, s22
	v_add_co_u32 v1, s12, v1, s12
	s_delay_alu instid0(VALU_DEP_1) | instskip(SKIP_1) | instid1(VALU_DEP_1)
	s_cmp_lg_u32 s12, 0
	s_addc_u32 s9, s9, s21
	v_readfirstlane_b32 s12, v1
	s_mul_i32 s21, s19, s9
	s_delay_alu instid0(VALU_DEP_1)
	s_mul_hi_u32 s22, s19, s12
	s_mul_i32 s20, s20, s12
	s_add_i32 s21, s22, s21
	s_mul_i32 s19, s19, s12
	s_add_i32 s21, s21, s20
	s_mul_hi_u32 s22, s9, s19
	s_mul_i32 s23, s9, s19
	s_mul_hi_u32 s19, s12, s19
	s_mul_hi_u32 s24, s12, s21
	s_mul_i32 s12, s12, s21
	s_mul_hi_u32 s20, s9, s21
	s_add_u32 s12, s19, s12
	s_addc_u32 s19, 0, s24
	s_add_u32 s12, s12, s23
	s_mul_i32 s21, s9, s21
	s_addc_u32 s12, s19, s22
	s_addc_u32 s19, s20, 0
	s_add_u32 s12, s12, s21
	s_addc_u32 s19, 0, s19
	v_add_co_u32 v1, s12, v1, s12
	s_delay_alu instid0(VALU_DEP_1) | instskip(SKIP_2) | instid1(VALU_DEP_1)
	s_cmp_lg_u32 s12, 0
	s_addc_u32 s9, s9, s19
	s_ashr_i32 s20, s3, 31
	v_readfirstlane_b32 s12, v1
	s_add_u32 s22, s2, s20
	s_mov_b32 s21, s20
	s_addc_u32 s23, s3, s20
	s_delay_alu instid0(SALU_CYCLE_1) | instskip(NEXT) | instid1(SALU_CYCLE_1)
	s_xor_b64 s[22:23], s[22:23], s[20:21]
	s_mul_i32 s24, s22, s9
	s_mul_hi_u32 s25, s22, s12
	s_mul_hi_u32 s19, s22, s9
	;; [unrolled: 1-line block ×3, first 2 shown]
	s_mul_i32 s12, s23, s12
	s_add_u32 s24, s25, s24
	s_addc_u32 s19, 0, s19
	s_mul_hi_u32 s27, s23, s9
	s_add_u32 s12, s24, s12
	s_mul_i32 s9, s23, s9
	s_addc_u32 s12, s19, s28
	s_addc_u32 s19, s27, 0
	s_add_u32 s9, s12, s9
	s_addc_u32 s12, 0, s19
	s_mul_i32 s27, s14, s9
	s_mul_hi_u32 s19, s14, s9
	s_mul_i32 s25, s14, s12
	v_sub_co_u32 v1, s22, s22, s27
	s_mul_i32 s24, s15, s9
	s_add_i32 s19, s19, s25
	s_delay_alu instid0(SALU_CYCLE_1) | instskip(NEXT) | instid1(VALU_DEP_1)
	s_add_i32 s19, s19, s24
	v_sub_co_u32 v2, s25, v1, s14
	s_sub_i32 s24, s23, s19
	s_cmp_lg_u32 s22, 0
	s_subb_u32 s24, s24, s15
	s_cmp_lg_u32 s25, 0
	v_readfirstlane_b32 s25, v2
	s_subb_u32 s24, s24, 0
	s_delay_alu instid0(SALU_CYCLE_1) | instskip(SKIP_1) | instid1(VALU_DEP_1)
	s_cmp_ge_u32 s24, s15
	s_cselect_b32 s27, -1, 0
	s_cmp_ge_u32 s25, s14
	s_cselect_b32 s25, -1, 0
	s_cmp_eq_u32 s24, s15
	s_cselect_b32 s24, s25, s27
	s_add_u32 s25, s9, 1
	s_addc_u32 s27, s12, 0
	s_add_u32 s28, s9, 2
	s_addc_u32 s29, s12, 0
	s_cmp_lg_u32 s24, 0
	s_cselect_b32 s24, s28, s25
	s_cselect_b32 s25, s29, s27
	s_cmp_lg_u32 s22, 0
	v_readfirstlane_b32 s22, v1
	s_subb_u32 s19, s23, s19
	s_delay_alu instid0(SALU_CYCLE_1) | instskip(SKIP_1) | instid1(VALU_DEP_1)
	s_cmp_ge_u32 s19, s15
	s_cselect_b32 s23, -1, 0
	s_cmp_ge_u32 s22, s14
	s_cselect_b32 s14, -1, 0
	s_cmp_eq_u32 s19, s15
	s_cselect_b32 s14, s14, s23
	s_delay_alu instid0(SALU_CYCLE_1) | instskip(SKIP_3) | instid1(SALU_CYCLE_1)
	s_cmp_lg_u32 s14, 0
	s_cselect_b32 s15, s25, s12
	s_cselect_b32 s14, s24, s9
	s_xor_b64 s[10:11], s[20:21], s[10:11]
	s_xor_b64 s[14:15], s[14:15], s[10:11]
	s_delay_alu instid0(SALU_CYCLE_1)
	s_sub_u32 s14, s14, s10
	s_subb_u32 s15, s15, s11
	s_load_b128 s[28:31], s[0:1], 0x1d0
	s_and_not1_b32 vcc_lo, exec_lo, s8
	s_cbranch_vccnz .LBB30_7
.LBB30_6:
	v_cvt_f32_u32_e32 v1, s4
	s_sub_i32 s9, 0, s4
	s_mov_b32 s15, 0
	s_delay_alu instid0(VALU_DEP_1) | instskip(SKIP_2) | instid1(VALU_DEP_1)
	v_rcp_iflag_f32_e32 v1, v1
	s_waitcnt_depctr 0xfff
	v_mul_f32_e32 v1, 0x4f7ffffe, v1
	v_cvt_u32_f32_e32 v1, v1
	s_delay_alu instid0(VALU_DEP_1) | instskip(NEXT) | instid1(VALU_DEP_1)
	v_readfirstlane_b32 s8, v1
	s_mul_i32 s9, s9, s8
	s_delay_alu instid0(SALU_CYCLE_1) | instskip(NEXT) | instid1(SALU_CYCLE_1)
	s_mul_hi_u32 s9, s8, s9
	s_add_i32 s8, s8, s9
	s_delay_alu instid0(SALU_CYCLE_1) | instskip(NEXT) | instid1(SALU_CYCLE_1)
	s_mul_hi_u32 s8, s2, s8
	s_mul_i32 s9, s8, s4
	s_add_i32 s10, s8, 1
	s_sub_i32 s9, s2, s9
	s_delay_alu instid0(SALU_CYCLE_1)
	s_sub_i32 s11, s9, s4
	s_cmp_ge_u32 s9, s4
	s_cselect_b32 s8, s10, s8
	s_cselect_b32 s9, s11, s9
	s_add_i32 s10, s8, 1
	s_cmp_ge_u32 s9, s4
	s_cselect_b32 s14, s10, s8
.LBB30_7:
	s_mov_b32 s8, 0
	s_waitcnt lgkmcnt(0)
	s_mov_b32 s9, s31
	s_delay_alu instid0(SALU_CYCLE_1)
	s_cmp_lg_u64 s[8:9], 0
	s_cbranch_scc0 .LBB30_20
; %bb.8:
	s_ashr_i32 s10, s31, 31
	s_delay_alu instid0(SALU_CYCLE_1) | instskip(SKIP_2) | instid1(SALU_CYCLE_1)
	s_add_u32 s20, s30, s10
	s_mov_b32 s11, s10
	s_addc_u32 s21, s31, s10
	s_xor_b64 s[20:21], s[20:21], s[10:11]
	s_delay_alu instid0(SALU_CYCLE_1) | instskip(SKIP_3) | instid1(VALU_DEP_1)
	v_cvt_f32_u32_e32 v1, s20
	v_cvt_f32_u32_e32 v2, s21
	s_sub_u32 s19, 0, s20
	s_subb_u32 s22, 0, s21
	v_fmamk_f32 v1, v2, 0x4f800000, v1
	s_delay_alu instid0(VALU_DEP_1) | instskip(SKIP_2) | instid1(VALU_DEP_1)
	v_rcp_f32_e32 v1, v1
	s_waitcnt_depctr 0xfff
	v_mul_f32_e32 v1, 0x5f7ffffc, v1
	v_mul_f32_e32 v2, 0x2f800000, v1
	s_delay_alu instid0(VALU_DEP_1) | instskip(NEXT) | instid1(VALU_DEP_1)
	v_trunc_f32_e32 v2, v2
	v_fmamk_f32 v1, v2, 0xcf800000, v1
	v_cvt_u32_f32_e32 v2, v2
	s_delay_alu instid0(VALU_DEP_2) | instskip(NEXT) | instid1(VALU_DEP_2)
	v_cvt_u32_f32_e32 v1, v1
	v_readfirstlane_b32 s9, v2
	s_delay_alu instid0(VALU_DEP_2) | instskip(NEXT) | instid1(VALU_DEP_2)
	v_readfirstlane_b32 s12, v1
	s_mul_i32 s23, s19, s9
	s_delay_alu instid0(VALU_DEP_1)
	s_mul_hi_u32 s25, s19, s12
	s_mul_i32 s24, s22, s12
	s_add_i32 s23, s25, s23
	s_mul_i32 s27, s19, s12
	s_add_i32 s23, s23, s24
	s_mul_hi_u32 s25, s12, s27
	s_mul_hi_u32 s33, s9, s27
	s_mul_i32 s24, s9, s27
	s_mul_hi_u32 s27, s12, s23
	s_mul_i32 s12, s12, s23
	s_mul_hi_u32 s34, s9, s23
	s_add_u32 s12, s25, s12
	s_addc_u32 s25, 0, s27
	s_add_u32 s12, s12, s24
	s_mul_i32 s23, s9, s23
	s_addc_u32 s12, s25, s33
	s_addc_u32 s24, s34, 0
	s_add_u32 s12, s12, s23
	s_addc_u32 s23, 0, s24
	v_add_co_u32 v1, s12, v1, s12
	s_delay_alu instid0(VALU_DEP_1) | instskip(SKIP_1) | instid1(VALU_DEP_1)
	s_cmp_lg_u32 s12, 0
	s_addc_u32 s9, s9, s23
	v_readfirstlane_b32 s12, v1
	s_mul_i32 s23, s19, s9
	s_delay_alu instid0(VALU_DEP_1)
	s_mul_hi_u32 s24, s19, s12
	s_mul_i32 s22, s22, s12
	s_add_i32 s23, s24, s23
	s_mul_i32 s19, s19, s12
	s_add_i32 s23, s23, s22
	s_mul_hi_u32 s24, s9, s19
	s_mul_i32 s25, s9, s19
	s_mul_hi_u32 s19, s12, s19
	s_mul_hi_u32 s27, s12, s23
	s_mul_i32 s12, s12, s23
	s_mul_hi_u32 s22, s9, s23
	s_add_u32 s12, s19, s12
	s_addc_u32 s19, 0, s27
	s_add_u32 s12, s12, s25
	s_mul_i32 s23, s9, s23
	s_addc_u32 s12, s19, s24
	s_addc_u32 s19, s22, 0
	s_add_u32 s12, s12, s23
	s_addc_u32 s19, 0, s19
	v_add_co_u32 v1, s12, v1, s12
	s_delay_alu instid0(VALU_DEP_1) | instskip(SKIP_2) | instid1(VALU_DEP_1)
	s_cmp_lg_u32 s12, 0
	s_addc_u32 s9, s9, s19
	s_ashr_i32 s22, 0, 31
	v_readfirstlane_b32 s12, v1
	s_add_u32 s24, s26, s22
	s_mov_b32 s23, s22
	s_addc_u32 s25, 0, s22
	s_delay_alu instid0(SALU_CYCLE_1) | instskip(NEXT) | instid1(SALU_CYCLE_1)
	s_xor_b64 s[24:25], s[24:25], s[22:23]
	s_mul_i32 s27, s24, s9
	s_mul_hi_u32 s33, s24, s12
	s_mul_hi_u32 s19, s24, s9
	;; [unrolled: 1-line block ×3, first 2 shown]
	s_mul_i32 s12, s25, s12
	s_add_u32 s27, s33, s27
	s_addc_u32 s19, 0, s19
	s_mul_hi_u32 s34, s25, s9
	s_add_u32 s12, s27, s12
	s_mul_i32 s9, s25, s9
	s_addc_u32 s12, s19, s35
	s_addc_u32 s19, s34, 0
	s_add_u32 s9, s12, s9
	s_addc_u32 s12, 0, s19
	s_mul_i32 s34, s20, s9
	s_mul_hi_u32 s19, s20, s9
	s_mul_i32 s33, s20, s12
	v_sub_co_u32 v1, s24, s24, s34
	s_mul_i32 s27, s21, s9
	s_add_i32 s19, s19, s33
	s_delay_alu instid0(SALU_CYCLE_1) | instskip(NEXT) | instid1(VALU_DEP_1)
	s_add_i32 s19, s19, s27
	v_sub_co_u32 v2, s33, v1, s20
	s_sub_i32 s27, s25, s19
	s_cmp_lg_u32 s24, 0
	s_subb_u32 s27, s27, s21
	s_cmp_lg_u32 s33, 0
	v_readfirstlane_b32 s33, v2
	s_subb_u32 s27, s27, 0
	s_delay_alu instid0(SALU_CYCLE_1) | instskip(SKIP_1) | instid1(VALU_DEP_1)
	s_cmp_ge_u32 s27, s21
	s_cselect_b32 s34, -1, 0
	s_cmp_ge_u32 s33, s20
	s_cselect_b32 s33, -1, 0
	s_cmp_eq_u32 s27, s21
	s_cselect_b32 s27, s33, s34
	s_add_u32 s33, s9, 1
	s_addc_u32 s34, s12, 0
	s_add_u32 s35, s9, 2
	s_addc_u32 s40, s12, 0
	s_cmp_lg_u32 s27, 0
	s_cselect_b32 s27, s35, s33
	s_cselect_b32 s33, s40, s34
	s_cmp_lg_u32 s24, 0
	v_readfirstlane_b32 s24, v1
	s_subb_u32 s19, s25, s19
	s_delay_alu instid0(SALU_CYCLE_1) | instskip(SKIP_1) | instid1(VALU_DEP_1)
	s_cmp_ge_u32 s19, s21
	s_cselect_b32 s25, -1, 0
	s_cmp_ge_u32 s24, s20
	s_cselect_b32 s20, -1, 0
	s_cmp_eq_u32 s19, s21
	s_cselect_b32 s19, s20, s25
	s_delay_alu instid0(SALU_CYCLE_1) | instskip(SKIP_3) | instid1(SALU_CYCLE_1)
	s_cmp_lg_u32 s19, 0
	s_cselect_b32 s21, s33, s12
	s_cselect_b32 s20, s27, s9
	s_xor_b64 s[10:11], s[22:23], s[10:11]
	s_xor_b64 s[20:21], s[20:21], s[10:11]
	s_delay_alu instid0(SALU_CYCLE_1)
	s_sub_u32 s34, s20, s10
	s_subb_u32 s35, s21, s11
	s_and_not1_b32 vcc_lo, exec_lo, s8
	s_cbranch_vccnz .LBB30_10
.LBB30_9:
	v_cvt_f32_u32_e32 v1, s30
	s_sub_i32 s9, 0, s30
	s_mov_b32 s35, 0
	s_delay_alu instid0(VALU_DEP_1) | instskip(SKIP_2) | instid1(VALU_DEP_1)
	v_rcp_iflag_f32_e32 v1, v1
	s_waitcnt_depctr 0xfff
	v_mul_f32_e32 v1, 0x4f7ffffe, v1
	v_cvt_u32_f32_e32 v1, v1
	s_delay_alu instid0(VALU_DEP_1) | instskip(NEXT) | instid1(VALU_DEP_1)
	v_readfirstlane_b32 s8, v1
	s_mul_i32 s9, s9, s8
	s_delay_alu instid0(SALU_CYCLE_1) | instskip(NEXT) | instid1(SALU_CYCLE_1)
	s_mul_hi_u32 s9, s8, s9
	s_add_i32 s8, s8, s9
	s_delay_alu instid0(SALU_CYCLE_1) | instskip(NEXT) | instid1(SALU_CYCLE_1)
	s_mul_hi_u32 s8, s26, s8
	s_mul_i32 s9, s8, s30
	s_add_i32 s10, s8, 1
	s_sub_i32 s9, s26, s9
	s_delay_alu instid0(SALU_CYCLE_1)
	s_sub_i32 s11, s9, s30
	s_cmp_ge_u32 s9, s30
	s_cselect_b32 s8, s10, s8
	s_cselect_b32 s9, s11, s9
	s_add_i32 s10, s8, 1
	s_cmp_ge_u32 s9, s30
	s_cselect_b32 s34, s10, s8
.LBB30_10:
	s_delay_alu instid0(SALU_CYCLE_1) | instskip(SKIP_1) | instid1(SALU_CYCLE_1)
	s_or_b64 s[8:9], s[34:35], s[28:29]
	s_mov_b32 s8, 0
	s_cmp_lg_u64 s[8:9], 0
	s_cbranch_scc0 .LBB30_21
; %bb.11:
	s_ashr_i32 s10, s29, 31
	s_delay_alu instid0(SALU_CYCLE_1) | instskip(SKIP_2) | instid1(SALU_CYCLE_1)
	s_add_u32 s20, s28, s10
	s_mov_b32 s11, s10
	s_addc_u32 s21, s29, s10
	s_xor_b64 s[20:21], s[20:21], s[10:11]
	s_delay_alu instid0(SALU_CYCLE_1) | instskip(SKIP_3) | instid1(VALU_DEP_1)
	v_cvt_f32_u32_e32 v1, s20
	v_cvt_f32_u32_e32 v2, s21
	s_sub_u32 s19, 0, s20
	s_subb_u32 s22, 0, s21
	v_fmamk_f32 v1, v2, 0x4f800000, v1
	s_delay_alu instid0(VALU_DEP_1) | instskip(SKIP_2) | instid1(VALU_DEP_1)
	v_rcp_f32_e32 v1, v1
	s_waitcnt_depctr 0xfff
	v_mul_f32_e32 v1, 0x5f7ffffc, v1
	v_mul_f32_e32 v2, 0x2f800000, v1
	s_delay_alu instid0(VALU_DEP_1) | instskip(NEXT) | instid1(VALU_DEP_1)
	v_trunc_f32_e32 v2, v2
	v_fmamk_f32 v1, v2, 0xcf800000, v1
	v_cvt_u32_f32_e32 v2, v2
	s_delay_alu instid0(VALU_DEP_2) | instskip(NEXT) | instid1(VALU_DEP_2)
	v_cvt_u32_f32_e32 v1, v1
	v_readfirstlane_b32 s9, v2
	s_delay_alu instid0(VALU_DEP_2) | instskip(NEXT) | instid1(VALU_DEP_2)
	v_readfirstlane_b32 s12, v1
	s_mul_i32 s23, s19, s9
	s_delay_alu instid0(VALU_DEP_1)
	s_mul_hi_u32 s25, s19, s12
	s_mul_i32 s24, s22, s12
	s_add_i32 s23, s25, s23
	s_mul_i32 s27, s19, s12
	s_add_i32 s23, s23, s24
	s_mul_hi_u32 s25, s12, s27
	s_mul_hi_u32 s33, s9, s27
	s_mul_i32 s24, s9, s27
	s_mul_hi_u32 s27, s12, s23
	s_mul_i32 s12, s12, s23
	s_mul_hi_u32 s40, s9, s23
	s_add_u32 s12, s25, s12
	s_addc_u32 s25, 0, s27
	s_add_u32 s12, s12, s24
	s_mul_i32 s23, s9, s23
	s_addc_u32 s12, s25, s33
	s_addc_u32 s24, s40, 0
	s_add_u32 s12, s12, s23
	s_addc_u32 s23, 0, s24
	v_add_co_u32 v1, s12, v1, s12
	s_delay_alu instid0(VALU_DEP_1) | instskip(SKIP_1) | instid1(VALU_DEP_1)
	s_cmp_lg_u32 s12, 0
	s_addc_u32 s9, s9, s23
	v_readfirstlane_b32 s12, v1
	s_mul_i32 s23, s19, s9
	s_delay_alu instid0(VALU_DEP_1)
	s_mul_hi_u32 s24, s19, s12
	s_mul_i32 s22, s22, s12
	s_add_i32 s23, s24, s23
	s_mul_i32 s19, s19, s12
	s_add_i32 s23, s23, s22
	s_mul_hi_u32 s24, s9, s19
	s_mul_i32 s25, s9, s19
	s_mul_hi_u32 s19, s12, s19
	s_mul_hi_u32 s27, s12, s23
	s_mul_i32 s12, s12, s23
	s_mul_hi_u32 s22, s9, s23
	s_add_u32 s12, s19, s12
	s_addc_u32 s19, 0, s27
	s_add_u32 s12, s12, s25
	s_mul_i32 s23, s9, s23
	s_addc_u32 s12, s19, s24
	s_addc_u32 s19, s22, 0
	s_add_u32 s12, s12, s23
	s_addc_u32 s19, 0, s19
	v_add_co_u32 v1, s12, v1, s12
	s_delay_alu instid0(VALU_DEP_1) | instskip(SKIP_2) | instid1(VALU_DEP_1)
	s_cmp_lg_u32 s12, 0
	s_addc_u32 s9, s9, s19
	s_ashr_i32 s22, s35, 31
	v_readfirstlane_b32 s12, v1
	s_add_u32 s24, s34, s22
	s_mov_b32 s23, s22
	s_addc_u32 s25, s35, s22
	s_delay_alu instid0(SALU_CYCLE_1) | instskip(NEXT) | instid1(SALU_CYCLE_1)
	s_xor_b64 s[24:25], s[24:25], s[22:23]
	s_mul_i32 s27, s24, s9
	s_mul_hi_u32 s33, s24, s12
	s_mul_hi_u32 s19, s24, s9
	;; [unrolled: 1-line block ×3, first 2 shown]
	s_mul_i32 s12, s25, s12
	s_add_u32 s27, s33, s27
	s_addc_u32 s19, 0, s19
	s_mul_hi_u32 s40, s25, s9
	s_add_u32 s12, s27, s12
	s_mul_i32 s9, s25, s9
	s_addc_u32 s12, s19, s41
	s_addc_u32 s19, s40, 0
	s_add_u32 s9, s12, s9
	s_addc_u32 s12, 0, s19
	s_mul_i32 s40, s20, s9
	s_mul_hi_u32 s19, s20, s9
	s_mul_i32 s33, s20, s12
	v_sub_co_u32 v1, s24, s24, s40
	s_mul_i32 s27, s21, s9
	s_add_i32 s19, s19, s33
	s_delay_alu instid0(SALU_CYCLE_1) | instskip(NEXT) | instid1(VALU_DEP_1)
	s_add_i32 s19, s19, s27
	v_sub_co_u32 v2, s33, v1, s20
	s_sub_i32 s27, s25, s19
	s_cmp_lg_u32 s24, 0
	s_subb_u32 s27, s27, s21
	s_cmp_lg_u32 s33, 0
	v_readfirstlane_b32 s33, v2
	s_subb_u32 s27, s27, 0
	s_delay_alu instid0(SALU_CYCLE_1) | instskip(SKIP_1) | instid1(VALU_DEP_1)
	s_cmp_ge_u32 s27, s21
	s_cselect_b32 s40, -1, 0
	s_cmp_ge_u32 s33, s20
	s_cselect_b32 s33, -1, 0
	s_cmp_eq_u32 s27, s21
	s_cselect_b32 s27, s33, s40
	s_add_u32 s33, s9, 1
	s_addc_u32 s40, s12, 0
	s_add_u32 s41, s9, 2
	s_addc_u32 s44, s12, 0
	s_cmp_lg_u32 s27, 0
	s_cselect_b32 s27, s41, s33
	s_cselect_b32 s33, s44, s40
	s_cmp_lg_u32 s24, 0
	v_readfirstlane_b32 s24, v1
	s_subb_u32 s19, s25, s19
	s_delay_alu instid0(SALU_CYCLE_1) | instskip(SKIP_1) | instid1(VALU_DEP_1)
	s_cmp_ge_u32 s19, s21
	s_cselect_b32 s25, -1, 0
	s_cmp_ge_u32 s24, s20
	s_cselect_b32 s20, -1, 0
	s_cmp_eq_u32 s19, s21
	s_cselect_b32 s19, s20, s25
	s_delay_alu instid0(SALU_CYCLE_1) | instskip(SKIP_3) | instid1(SALU_CYCLE_1)
	s_cmp_lg_u32 s19, 0
	s_cselect_b32 s21, s33, s12
	s_cselect_b32 s20, s27, s9
	s_xor_b64 s[10:11], s[22:23], s[10:11]
	s_xor_b64 s[20:21], s[20:21], s[10:11]
	s_delay_alu instid0(SALU_CYCLE_1)
	s_sub_u32 s40, s20, s10
	s_subb_u32 s41, s21, s11
	s_load_b128 s[44:47], s[0:1], 0x370
	s_and_not1_b32 vcc_lo, exec_lo, s8
	s_cbranch_vccnz .LBB30_13
.LBB30_12:
	v_cvt_f32_u32_e32 v1, s28
	s_sub_i32 s9, 0, s28
	s_mov_b32 s41, 0
	s_delay_alu instid0(VALU_DEP_1) | instskip(SKIP_2) | instid1(VALU_DEP_1)
	v_rcp_iflag_f32_e32 v1, v1
	s_waitcnt_depctr 0xfff
	v_mul_f32_e32 v1, 0x4f7ffffe, v1
	v_cvt_u32_f32_e32 v1, v1
	s_delay_alu instid0(VALU_DEP_1) | instskip(NEXT) | instid1(VALU_DEP_1)
	v_readfirstlane_b32 s8, v1
	s_mul_i32 s9, s9, s8
	s_delay_alu instid0(SALU_CYCLE_1) | instskip(NEXT) | instid1(SALU_CYCLE_1)
	s_mul_hi_u32 s9, s8, s9
	s_add_i32 s8, s8, s9
	s_delay_alu instid0(SALU_CYCLE_1) | instskip(NEXT) | instid1(SALU_CYCLE_1)
	s_mul_hi_u32 s8, s34, s8
	s_mul_i32 s9, s8, s28
	s_add_i32 s10, s8, 1
	s_sub_i32 s9, s34, s9
	s_delay_alu instid0(SALU_CYCLE_1)
	s_sub_i32 s11, s9, s28
	s_cmp_ge_u32 s9, s28
	s_cselect_b32 s8, s10, s8
	s_cselect_b32 s9, s11, s9
	s_add_i32 s10, s8, 1
	s_cmp_ge_u32 s9, s28
	s_cselect_b32 s40, s10, s8
.LBB30_13:
	s_mov_b32 s8, 0
	s_waitcnt lgkmcnt(0)
	s_mov_b32 s9, s47
	s_delay_alu instid0(SALU_CYCLE_1)
	s_cmp_lg_u64 s[8:9], 0
	s_cbranch_scc0 .LBB30_22
; %bb.14:
	s_ashr_i32 s10, s47, 31
	s_delay_alu instid0(SALU_CYCLE_1) | instskip(SKIP_2) | instid1(SALU_CYCLE_1)
	s_add_u32 s20, s46, s10
	s_mov_b32 s11, s10
	s_addc_u32 s21, s47, s10
	s_xor_b64 s[20:21], s[20:21], s[10:11]
	s_delay_alu instid0(SALU_CYCLE_1) | instskip(SKIP_3) | instid1(VALU_DEP_1)
	v_cvt_f32_u32_e32 v1, s20
	v_cvt_f32_u32_e32 v2, s21
	s_sub_u32 s19, 0, s20
	s_subb_u32 s22, 0, s21
	v_fmamk_f32 v1, v2, 0x4f800000, v1
	s_delay_alu instid0(VALU_DEP_1) | instskip(SKIP_2) | instid1(VALU_DEP_1)
	v_rcp_f32_e32 v1, v1
	s_waitcnt_depctr 0xfff
	v_mul_f32_e32 v1, 0x5f7ffffc, v1
	v_mul_f32_e32 v2, 0x2f800000, v1
	s_delay_alu instid0(VALU_DEP_1) | instskip(NEXT) | instid1(VALU_DEP_1)
	v_trunc_f32_e32 v2, v2
	v_fmamk_f32 v1, v2, 0xcf800000, v1
	v_cvt_u32_f32_e32 v2, v2
	s_delay_alu instid0(VALU_DEP_2) | instskip(NEXT) | instid1(VALU_DEP_2)
	v_cvt_u32_f32_e32 v1, v1
	v_readfirstlane_b32 s9, v2
	s_delay_alu instid0(VALU_DEP_2) | instskip(NEXT) | instid1(VALU_DEP_2)
	v_readfirstlane_b32 s12, v1
	s_mul_i32 s23, s19, s9
	s_delay_alu instid0(VALU_DEP_1)
	s_mul_hi_u32 s25, s19, s12
	s_mul_i32 s24, s22, s12
	s_add_i32 s23, s25, s23
	s_mul_i32 s27, s19, s12
	s_add_i32 s23, s23, s24
	s_mul_hi_u32 s25, s12, s27
	s_mul_hi_u32 s33, s9, s27
	s_mul_i32 s24, s9, s27
	s_mul_hi_u32 s27, s12, s23
	s_mul_i32 s12, s12, s23
	s_mul_hi_u32 s48, s9, s23
	s_add_u32 s12, s25, s12
	s_addc_u32 s25, 0, s27
	s_add_u32 s12, s12, s24
	s_mul_i32 s23, s9, s23
	s_addc_u32 s12, s25, s33
	s_addc_u32 s24, s48, 0
	s_add_u32 s12, s12, s23
	s_addc_u32 s23, 0, s24
	v_add_co_u32 v1, s12, v1, s12
	s_delay_alu instid0(VALU_DEP_1) | instskip(SKIP_1) | instid1(VALU_DEP_1)
	s_cmp_lg_u32 s12, 0
	s_addc_u32 s9, s9, s23
	v_readfirstlane_b32 s12, v1
	s_mul_i32 s23, s19, s9
	s_delay_alu instid0(VALU_DEP_1)
	s_mul_hi_u32 s24, s19, s12
	s_mul_i32 s22, s22, s12
	s_add_i32 s23, s24, s23
	s_mul_i32 s19, s19, s12
	s_add_i32 s23, s23, s22
	s_mul_hi_u32 s24, s9, s19
	s_mul_i32 s25, s9, s19
	s_mul_hi_u32 s19, s12, s19
	s_mul_hi_u32 s27, s12, s23
	s_mul_i32 s12, s12, s23
	s_mul_hi_u32 s22, s9, s23
	s_add_u32 s12, s19, s12
	s_addc_u32 s19, 0, s27
	s_add_u32 s12, s12, s25
	s_mul_i32 s23, s9, s23
	s_addc_u32 s12, s19, s24
	s_addc_u32 s19, s22, 0
	s_add_u32 s12, s12, s23
	s_addc_u32 s19, 0, s19
	v_add_co_u32 v1, s12, v1, s12
	s_delay_alu instid0(VALU_DEP_1) | instskip(SKIP_2) | instid1(VALU_DEP_1)
	s_cmp_lg_u32 s12, 0
	s_addc_u32 s9, s9, s19
	s_ashr_i32 s22, 0, 31
	v_readfirstlane_b32 s12, v1
	s_add_u32 s24, s26, s22
	s_mov_b32 s23, s22
	s_addc_u32 s25, 0, s22
	s_delay_alu instid0(SALU_CYCLE_1) | instskip(NEXT) | instid1(SALU_CYCLE_1)
	s_xor_b64 s[24:25], s[24:25], s[22:23]
	s_mul_i32 s27, s24, s9
	s_mul_hi_u32 s33, s24, s12
	s_mul_hi_u32 s19, s24, s9
	;; [unrolled: 1-line block ×3, first 2 shown]
	s_mul_i32 s12, s25, s12
	s_add_u32 s27, s33, s27
	s_addc_u32 s19, 0, s19
	s_mul_hi_u32 s48, s25, s9
	s_add_u32 s12, s27, s12
	s_mul_i32 s9, s25, s9
	s_addc_u32 s12, s19, s49
	s_addc_u32 s19, s48, 0
	s_add_u32 s9, s12, s9
	s_addc_u32 s12, 0, s19
	s_mul_i32 s48, s20, s9
	s_mul_hi_u32 s19, s20, s9
	s_mul_i32 s33, s20, s12
	v_sub_co_u32 v1, s24, s24, s48
	s_mul_i32 s27, s21, s9
	s_add_i32 s19, s19, s33
	s_delay_alu instid0(SALU_CYCLE_1) | instskip(NEXT) | instid1(VALU_DEP_1)
	s_add_i32 s19, s19, s27
	v_sub_co_u32 v2, s33, v1, s20
	s_sub_i32 s27, s25, s19
	s_cmp_lg_u32 s24, 0
	s_subb_u32 s27, s27, s21
	s_cmp_lg_u32 s33, 0
	v_readfirstlane_b32 s33, v2
	s_subb_u32 s27, s27, 0
	s_delay_alu instid0(SALU_CYCLE_1) | instskip(SKIP_1) | instid1(VALU_DEP_1)
	s_cmp_ge_u32 s27, s21
	s_cselect_b32 s48, -1, 0
	s_cmp_ge_u32 s33, s20
	s_cselect_b32 s33, -1, 0
	s_cmp_eq_u32 s27, s21
	s_cselect_b32 s27, s33, s48
	s_add_u32 s33, s9, 1
	s_addc_u32 s48, s12, 0
	s_add_u32 s49, s9, 2
	s_addc_u32 s50, s12, 0
	s_cmp_lg_u32 s27, 0
	s_cselect_b32 s27, s49, s33
	s_cselect_b32 s33, s50, s48
	s_cmp_lg_u32 s24, 0
	v_readfirstlane_b32 s24, v1
	s_subb_u32 s19, s25, s19
	s_delay_alu instid0(SALU_CYCLE_1) | instskip(SKIP_1) | instid1(VALU_DEP_1)
	s_cmp_ge_u32 s19, s21
	s_cselect_b32 s25, -1, 0
	s_cmp_ge_u32 s24, s20
	s_cselect_b32 s20, -1, 0
	s_cmp_eq_u32 s19, s21
	s_cselect_b32 s19, s20, s25
	s_delay_alu instid0(SALU_CYCLE_1) | instskip(SKIP_3) | instid1(SALU_CYCLE_1)
	s_cmp_lg_u32 s19, 0
	s_cselect_b32 s21, s33, s12
	s_cselect_b32 s20, s27, s9
	s_xor_b64 s[10:11], s[22:23], s[10:11]
	s_xor_b64 s[20:21], s[20:21], s[10:11]
	s_delay_alu instid0(SALU_CYCLE_1)
	s_sub_u32 s56, s20, s10
	s_subb_u32 s57, s21, s11
	s_and_not1_b32 vcc_lo, exec_lo, s8
	s_cbranch_vccnz .LBB30_16
.LBB30_15:
	v_cvt_f32_u32_e32 v1, s46
	s_sub_i32 s9, 0, s46
	s_mov_b32 s57, 0
	s_delay_alu instid0(VALU_DEP_1) | instskip(SKIP_2) | instid1(VALU_DEP_1)
	v_rcp_iflag_f32_e32 v1, v1
	s_waitcnt_depctr 0xfff
	v_mul_f32_e32 v1, 0x4f7ffffe, v1
	v_cvt_u32_f32_e32 v1, v1
	s_delay_alu instid0(VALU_DEP_1) | instskip(NEXT) | instid1(VALU_DEP_1)
	v_readfirstlane_b32 s8, v1
	s_mul_i32 s9, s9, s8
	s_delay_alu instid0(SALU_CYCLE_1) | instskip(NEXT) | instid1(SALU_CYCLE_1)
	s_mul_hi_u32 s9, s8, s9
	s_add_i32 s8, s8, s9
	s_delay_alu instid0(SALU_CYCLE_1) | instskip(NEXT) | instid1(SALU_CYCLE_1)
	s_mul_hi_u32 s8, s26, s8
	s_mul_i32 s9, s8, s46
	s_add_i32 s10, s8, 1
	s_sub_i32 s9, s26, s9
	s_delay_alu instid0(SALU_CYCLE_1)
	s_sub_i32 s11, s9, s46
	s_cmp_ge_u32 s9, s46
	s_cselect_b32 s8, s10, s8
	s_cselect_b32 s9, s11, s9
	s_add_i32 s10, s8, 1
	s_cmp_ge_u32 s9, s46
	s_cselect_b32 s56, s10, s8
.LBB30_16:
	s_clause 0x1
	s_load_b64 s[20:21], s[0:1], 0xe0
	s_load_b128 s[8:11], s[0:1], 0xd0
	s_or_b64 s[24:25], s[56:57], s[44:45]
	s_mov_b32 s24, 0
	s_delay_alu instid0(SALU_CYCLE_1)
	s_cmp_lg_u64 s[24:25], 0
	s_cbranch_scc0 .LBB30_23
; %bb.17:
	s_ashr_i32 s22, s45, 31
	s_delay_alu instid0(SALU_CYCLE_1) | instskip(SKIP_2) | instid1(SALU_CYCLE_1)
	s_add_u32 s48, s44, s22
	s_mov_b32 s23, s22
	s_addc_u32 s49, s45, s22
	s_xor_b64 s[48:49], s[48:49], s[22:23]
	s_delay_alu instid0(SALU_CYCLE_1) | instskip(SKIP_3) | instid1(VALU_DEP_1)
	v_cvt_f32_u32_e32 v1, s48
	v_cvt_f32_u32_e32 v2, s49
	s_sub_u32 s25, 0, s48
	s_subb_u32 s27, 0, s49
	v_fmamk_f32 v1, v2, 0x4f800000, v1
	s_delay_alu instid0(VALU_DEP_1) | instskip(SKIP_2) | instid1(VALU_DEP_1)
	v_rcp_f32_e32 v1, v1
	s_waitcnt_depctr 0xfff
	v_mul_f32_e32 v1, 0x5f7ffffc, v1
	v_mul_f32_e32 v2, 0x2f800000, v1
	s_delay_alu instid0(VALU_DEP_1) | instskip(NEXT) | instid1(VALU_DEP_1)
	v_trunc_f32_e32 v2, v2
	v_fmamk_f32 v1, v2, 0xcf800000, v1
	v_cvt_u32_f32_e32 v2, v2
	s_delay_alu instid0(VALU_DEP_2) | instskip(NEXT) | instid1(VALU_DEP_2)
	v_cvt_u32_f32_e32 v1, v1
	v_readfirstlane_b32 s12, v2
	s_delay_alu instid0(VALU_DEP_2) | instskip(NEXT) | instid1(VALU_DEP_2)
	v_readfirstlane_b32 s19, v1
	s_mul_i32 s33, s25, s12
	s_delay_alu instid0(VALU_DEP_1)
	s_mul_hi_u32 s51, s25, s19
	s_mul_i32 s50, s27, s19
	s_add_i32 s33, s51, s33
	s_mul_i32 s52, s25, s19
	s_add_i32 s33, s33, s50
	s_mul_hi_u32 s51, s19, s52
	s_mul_hi_u32 s53, s12, s52
	s_mul_i32 s50, s12, s52
	s_mul_hi_u32 s52, s19, s33
	s_mul_i32 s19, s19, s33
	s_mul_hi_u32 s54, s12, s33
	s_add_u32 s19, s51, s19
	s_addc_u32 s51, 0, s52
	s_add_u32 s19, s19, s50
	s_mul_i32 s33, s12, s33
	s_addc_u32 s19, s51, s53
	s_addc_u32 s50, s54, 0
	s_add_u32 s19, s19, s33
	s_addc_u32 s33, 0, s50
	v_add_co_u32 v1, s19, v1, s19
	s_delay_alu instid0(VALU_DEP_1) | instskip(SKIP_1) | instid1(VALU_DEP_1)
	s_cmp_lg_u32 s19, 0
	s_addc_u32 s12, s12, s33
	v_readfirstlane_b32 s19, v1
	s_mul_i32 s33, s25, s12
	s_delay_alu instid0(VALU_DEP_1)
	s_mul_hi_u32 s50, s25, s19
	s_mul_i32 s27, s27, s19
	s_add_i32 s33, s50, s33
	s_mul_i32 s25, s25, s19
	s_add_i32 s33, s33, s27
	s_mul_hi_u32 s50, s12, s25
	s_mul_i32 s51, s12, s25
	s_mul_hi_u32 s25, s19, s25
	s_mul_hi_u32 s52, s19, s33
	s_mul_i32 s19, s19, s33
	s_mul_hi_u32 s27, s12, s33
	s_add_u32 s19, s25, s19
	s_addc_u32 s25, 0, s52
	s_add_u32 s19, s19, s51
	s_mul_i32 s33, s12, s33
	s_addc_u32 s19, s25, s50
	s_addc_u32 s25, s27, 0
	s_add_u32 s19, s19, s33
	s_addc_u32 s25, 0, s25
	v_add_co_u32 v1, s19, v1, s19
	s_delay_alu instid0(VALU_DEP_1) | instskip(SKIP_2) | instid1(VALU_DEP_1)
	s_cmp_lg_u32 s19, 0
	s_addc_u32 s12, s12, s25
	s_ashr_i32 s50, s57, 31
	v_readfirstlane_b32 s19, v1
	s_add_u32 s52, s56, s50
	s_mov_b32 s51, s50
	s_addc_u32 s53, s57, s50
	s_delay_alu instid0(SALU_CYCLE_1) | instskip(NEXT) | instid1(SALU_CYCLE_1)
	s_xor_b64 s[52:53], s[52:53], s[50:51]
	s_mul_i32 s27, s52, s12
	s_mul_hi_u32 s33, s52, s19
	s_mul_hi_u32 s25, s52, s12
	;; [unrolled: 1-line block ×3, first 2 shown]
	s_mul_i32 s19, s53, s19
	s_add_u32 s27, s33, s27
	s_addc_u32 s25, 0, s25
	s_mul_hi_u32 s54, s53, s12
	s_add_u32 s19, s27, s19
	s_mul_i32 s12, s53, s12
	s_addc_u32 s19, s25, s55
	s_addc_u32 s25, s54, 0
	s_add_u32 s12, s19, s12
	s_addc_u32 s19, 0, s25
	s_mul_hi_u32 s25, s48, s12
	s_mul_i32 s33, s48, s19
	s_mul_i32 s54, s48, s12
	s_add_i32 s25, s25, s33
	v_sub_co_u32 v1, s33, s52, s54
	s_mul_i32 s27, s49, s12
	s_delay_alu instid0(SALU_CYCLE_1) | instskip(NEXT) | instid1(VALU_DEP_1)
	s_add_i32 s25, s25, s27
	v_sub_co_u32 v2, s52, v1, s48
	s_sub_i32 s27, s53, s25
	s_cmp_lg_u32 s33, 0
	s_subb_u32 s27, s27, s49
	s_cmp_lg_u32 s52, 0
	v_readfirstlane_b32 s52, v2
	s_subb_u32 s27, s27, 0
	s_delay_alu instid0(SALU_CYCLE_1) | instskip(SKIP_1) | instid1(VALU_DEP_1)
	s_cmp_ge_u32 s27, s49
	s_cselect_b32 s54, -1, 0
	s_cmp_ge_u32 s52, s48
	s_cselect_b32 s52, -1, 0
	s_cmp_eq_u32 s27, s49
	s_cselect_b32 s27, s52, s54
	s_add_u32 s52, s12, 1
	s_addc_u32 s54, s19, 0
	s_add_u32 s55, s12, 2
	s_addc_u32 s58, s19, 0
	s_cmp_lg_u32 s27, 0
	s_cselect_b32 s27, s55, s52
	s_cselect_b32 s52, s58, s54
	s_cmp_lg_u32 s33, 0
	v_readfirstlane_b32 s33, v1
	s_subb_u32 s25, s53, s25
	s_delay_alu instid0(SALU_CYCLE_1) | instskip(SKIP_1) | instid1(VALU_DEP_1)
	s_cmp_ge_u32 s25, s49
	s_cselect_b32 s53, -1, 0
	s_cmp_ge_u32 s33, s48
	s_cselect_b32 s33, -1, 0
	s_cmp_eq_u32 s25, s49
	s_cselect_b32 s25, s33, s53
	s_delay_alu instid0(SALU_CYCLE_1) | instskip(SKIP_3) | instid1(SALU_CYCLE_1)
	s_cmp_lg_u32 s25, 0
	s_cselect_b32 s49, s52, s19
	s_cselect_b32 s48, s27, s12
	s_xor_b64 s[22:23], s[50:51], s[22:23]
	s_xor_b64 s[48:49], s[48:49], s[22:23]
	s_delay_alu instid0(SALU_CYCLE_1)
	s_sub_u32 s62, s48, s22
	s_subb_u32 s63, s49, s23
	s_branch .LBB30_24
.LBB30_18:
                                        ; implicit-def: $sgpr2_sgpr3
	s_branch .LBB30_3
.LBB30_19:
                                        ; implicit-def: $sgpr14_sgpr15
	s_load_b128 s[28:31], s[0:1], 0x1d0
	s_branch .LBB30_6
.LBB30_20:
                                        ; implicit-def: $sgpr34_sgpr35
	s_branch .LBB30_9
.LBB30_21:
                                        ; implicit-def: $sgpr40_sgpr41
	s_load_b128 s[44:47], s[0:1], 0x370
	s_branch .LBB30_12
.LBB30_22:
                                        ; implicit-def: $sgpr56_sgpr57
	s_branch .LBB30_15
.LBB30_23:
	s_mov_b32 s24, -1
                                        ; implicit-def: $sgpr62_sgpr63
.LBB30_24:
	s_clause 0x1
	s_load_b64 s[22:23], s[0:1], 0x440
	s_load_b128 s[48:51], s[0:1], 0x430
                                        ; implicit-def: $vgpr52 : SGPR spill to VGPR lane
	s_and_not1_b32 vcc_lo, exec_lo, s24
	s_waitcnt lgkmcnt(0)
	v_writelane_b32 v52, s22, 0
	v_writelane_b32 v52, s23, 1
	s_load_b64 s[22:23], s[0:1], 0x2a0
	v_writelane_b32 v52, s48, 2
	v_writelane_b32 v52, s49, 3
	;; [unrolled: 1-line block ×4, first 2 shown]
	s_waitcnt lgkmcnt(0)
	v_writelane_b32 v52, s22, 6
	v_writelane_b32 v52, s23, 7
	s_clause 0x1
	s_load_b128 s[52:55], s[0:1], 0x290
	s_load_b64 s[22:23], s[0:1], 0x0
	s_cbranch_vccnz .LBB30_26
; %bb.25:
	v_cvt_f32_u32_e32 v1, s44
	s_sub_i32 s19, 0, s44
	s_mov_b32 s63, 0
	s_delay_alu instid0(VALU_DEP_1) | instskip(SKIP_2) | instid1(VALU_DEP_1)
	v_rcp_iflag_f32_e32 v1, v1
	s_waitcnt_depctr 0xfff
	v_mul_f32_e32 v1, 0x4f7ffffe, v1
	v_cvt_u32_f32_e32 v1, v1
	s_delay_alu instid0(VALU_DEP_1) | instskip(NEXT) | instid1(VALU_DEP_1)
	v_readfirstlane_b32 s12, v1
	s_mul_i32 s19, s19, s12
	s_delay_alu instid0(SALU_CYCLE_1) | instskip(NEXT) | instid1(SALU_CYCLE_1)
	s_mul_hi_u32 s19, s12, s19
	s_add_i32 s12, s12, s19
	s_delay_alu instid0(SALU_CYCLE_1) | instskip(NEXT) | instid1(SALU_CYCLE_1)
	s_mul_hi_u32 s12, s56, s12
	s_mul_i32 s19, s12, s44
	s_add_i32 s24, s12, 1
	s_sub_i32 s19, s56, s19
	s_delay_alu instid0(SALU_CYCLE_1)
	s_sub_i32 s25, s19, s44
	s_cmp_ge_u32 s19, s44
	s_cselect_b32 s12, s24, s12
	s_cselect_b32 s19, s25, s19
	s_add_i32 s24, s12, 1
	s_cmp_ge_u32 s19, s44
	s_cselect_b32 s62, s24, s12
.LBB30_26:
	s_clause 0x1
	s_load_b64 s[24:25], s[0:1], 0x360
	s_load_b64 s[0:1], s[0:1], 0x1c0
	s_mov_b32 s69, 0
	s_waitcnt lgkmcnt(0)
	v_writelane_b32 v52, s24, 8
	v_writelane_b32 v52, s25, 9
	;; [unrolled: 1-line block ×4, first 2 shown]
	v_cmp_eq_u32_e64 s0, 0, v0
	s_delay_alu instid0(VALU_DEP_1)
	s_and_saveexec_b32 s1, s0
	s_cbranch_execz .LBB30_28
; %bb.27:
	v_dual_mov_b32 v1, 0 :: v_dual_mov_b32 v4, s37
	s_delay_alu instid0(VALU_DEP_1)
	v_dual_mov_b32 v3, s36 :: v_dual_mov_b32 v2, v1
	ds_store_b32 v1, v1 offset:5136
	ds_store_b128 v1, v[1:4] offset:5120
.LBB30_28:
	s_or_b32 exec_lo, exec_lo, s1
	s_mul_i32 s1, s14, s5
	s_mul_hi_u32 s5, s14, s4
	s_mul_i32 s9, s14, s9
	s_add_i32 s1, s5, s1
	s_mul_i32 s5, s15, s4
	s_mul_i32 s4, s14, s4
	s_add_i32 s1, s1, s5
	s_sub_u32 s4, s2, s4
	s_subb_u32 s1, s3, s1
	s_mul_i32 s5, s4, s11
	s_mul_hi_u32 s11, s4, s10
	s_mul_i32 s1, s1, s10
	s_add_i32 s5, s11, s5
	s_mul_hi_u32 s11, s14, s8
	s_add_i32 s5, s5, s1
	s_add_i32 s1, s11, s9
	s_mul_i32 s9, s15, s8
	s_mul_i32 s11, s2, s7
	s_mul_hi_u32 s12, s2, s6
	s_add_i32 s7, s1, s9
	s_add_i32 s1, s12, s11
	s_mul_i32 s3, s3, s6
	s_mul_i32 s2, s2, s6
	s_add_i32 s1, s1, s3
	s_sub_u32 s2, s26, s2
	s_subb_u32 s1, 0, s1
	s_mul_i32 s3, s2, s21
	s_mul_hi_u32 s6, s2, s20
	v_lshlrev_b32_e32 v40, 5, v0
	s_add_i32 s3, s6, s3
	s_mul_i32 s6, s14, s8
	s_mul_i32 s1, s1, s20
	s_lshl_b64 s[6:7], s[6:7], 3
	s_mul_i32 s4, s4, s10
	s_add_i32 s3, s3, s1
	s_add_u32 s1, s22, s6
	v_or_b32_e32 v12, 16, v40
	s_addc_u32 s10, s23, s7
	s_lshl_b64 s[8:9], s[4:5], 3
	s_waitcnt lgkmcnt(0)
	s_barrier
	buffer_gl0_inv
	s_load_b32 s5, s[16:17], 0xc
	v_mad_u64_u32 v[25:26], null, s42, v12, 0
	v_mbcnt_lo_u32_b32 v36, -1, 0
	v_lshrrev_b32_e32 v6, 3, v0
	v_or_b32_e32 v13, 8, v40
	s_mul_i32 s2, s2, s20
	s_add_u32 s1, s1, s8
	v_mad_u64_u32 v[2:3], null, v0, s42, 0
	s_delay_alu instid0(VALU_DEP_2)
	v_mad_u64_u32 v[27:28], null, s42, v13, 0
	v_and_b32_e32 v39, 0x7c, v6
	v_lshlrev_b64 v[6:7], v36, -1
	v_mov_b32_e32 v7, v26
	v_or_b32_e32 v11, 24, v40
	s_addc_u32 s4, s10, s9
	s_lshl_b64 s[10:11], s[2:3], 3
	v_mov_b32_e32 v8, v28
	s_add_u32 s72, s1, s10
	v_cmp_gt_u32_e32 vcc_lo, 32, v0
	v_cmp_gt_i32_e64 s1, 4, v36
	v_mad_u64_u32 v[23:24], null, s42, v11, 0
	s_addc_u32 s73, s4, s11
	s_waitcnt lgkmcnt(0)
	s_and_b32 s27, s5, 0xffff
	s_and_b32 s33, vcc_lo, s1
	s_bfe_u32 s12, s5, 0xb0005
	v_dual_mov_b32 v1, v3 :: v_dual_mov_b32 v18, 0
	s_add_u32 s97, s27, -1
	s_addc_u32 s98, 0, -1
	s_add_u32 s99, s97, s36
	v_lshlrev_b32_e32 v21, 2, v0
	s_addc_u32 s25, s98, s37
	v_not_b32_e32 v41, v6
	v_mov_b32_e32 v6, v24
	s_cmp_lt_u32 s13, s18
	v_mad_u64_u32 v[3:4], null, v0, s43, v[1:2]
	s_cselect_b32 s13, 12, 18
	s_delay_alu instid0(VALU_DEP_2)
	v_mad_u64_u32 v[9:10], null, s43, v11, v[6:7]
	s_add_u32 s74, s16, s13
	s_addc_u32 s75, s17, 0
	s_add_i32 s13, s12, -1
	s_bfe_u32 s100, s27, 0x30005
	s_cmp_gt_u32 s13, 6
	v_lshlrev_b64 v[4:5], 3, v[2:3]
	s_cselect_b32 s101, -1, 0
	s_and_b32 s102, s12, 0x7f8
	s_cmp_lg_u32 s100, 0
	v_cmp_gt_u16_e64 s103, s5, 31
	s_cselect_b32 s104, -1, 0
	s_add_u32 s5, s6, s10
	v_mad_u64_u32 v[10:11], null, s43, v12, v[7:8]
	v_mad_u64_u32 v[6:7], null, s43, v13, v[8:9]
	s_addc_u32 s6, s7, s11
	s_add_u32 s5, s5, s8
	v_dual_mov_b32 v22, v18 :: v_dual_lshlrev_b32 v37, 3, v0
	v_mov_b32_e32 v1, v18
	v_add_co_u32 v19, vcc_lo, s72, v4
	s_delay_alu instid0(VALU_DEP_3)
	v_add_nc_u32_e32 v38, 0xc00, v37
	s_addc_u32 s6, s6, s9
	s_add_u32 s76, s22, s5
	v_add_co_ci_u32_e32 v20, vcc_lo, s73, v5, vcc_lo
	s_addc_u32 s77, s23, s6
	v_add_co_u32 v43, s5, s36, v0
	v_add_co_u32 v15, vcc_lo, s76, v4
	v_cmp_lt_i64_e64 s96, 0x180, s[36:37]
	v_cmp_gt_u64_e64 s4, s[36:37], v[0:1]
	v_cmp_gt_i64_e64 s1, s[36:37], v[0:1]
	v_mov_b32_e32 v24, v9
	v_mov_b32_e32 v42, v6
	v_lshlrev_b64 v[28:29], 5, v[2:3]
	v_add_co_ci_u32_e64 v44, null, s37, 0, s5
	s_mul_i32 s5, s43, s27
	s_mul_hi_u32 s6, s42, s27
	v_add_co_ci_u32_e32 v16, vcc_lo, s77, v5, vcc_lo
	v_mov_b32_e32 v5, 0
	v_cmp_eq_u32_e64 s2, 0, v36
	v_cmp_gt_u32_e64 s3, 2, v0
	v_mov_b32_e32 v26, v10
	v_lshl_or_b32 v45, v36, 3, 0xc00
	v_mov_b32_e32 v6, 0
	v_mov_b32_e32 v2, 1
	v_cvt_f32_ubyte0_e32 v46, 0
	s_add_i32 s7, s6, s5
	s_mul_i32 s6, s42, s27
	s_lshl_b64 s[78:79], s[42:43], 3
	s_lshl_b64 s[80:81], s[42:43], 5
	s_lshl_b64 s[70:71], s[6:7], 3
	s_lshl_b32 vcc_hi, s27, 3
	s_mov_b32 s67, 62
	s_mov_b64 s[82:83], 0
	s_mov_b32 s64, 0
	s_mov_b32 s59, 0
	s_mov_b64 s[84:85], 0
                                        ; implicit-def: $sgpr65
                                        ; implicit-def: $sgpr58
                                        ; implicit-def: $sgpr66
                                        ; implicit-def: $sgpr61
                                        ; implicit-def: $sgpr48
                                        ; implicit-def: $sgpr60
	s_branch .LBB30_33
.LBB30_29:                              ;   in Loop: Header=BB30_33 Depth=1
	s_xor_b32 s59, s59, 1
	s_add_i32 s8, s67, -2
	s_cmp_eq_u32 s67, 0
	s_mov_b32 s5, 0
	s_cselect_b32 s7, -1, 0
	s_mov_b32 s67, s8
.LBB30_30:                              ;   in Loop: Header=BB30_33 Depth=1
	s_and_not1_b32 s8, s49, exec_lo
	s_and_b32 s5, s5, exec_lo
	s_and_not1_b32 s50, s50, exec_lo
	s_or_b32 s49, s8, s5
	s_and_not1_b32 s21, s21, exec_lo
	s_or_not1_b32 s20, s7, exec_lo
.LBB30_31:                              ;   in Loop: Header=BB30_33 Depth=1
	s_or_b32 exec_lo, exec_lo, s6
	s_delay_alu instid0(SALU_CYCLE_1)
	s_and_not1_b32 s5, s60, exec_lo
	s_and_b32 s6, s49, exec_lo
	s_and_not1_b32 s7, s61, exec_lo
	s_or_b32 s60, s5, s6
	s_and_not1_b32 s5, s48, exec_lo
	s_and_b32 s6, s50, exec_lo
	s_and_b32 s8, s21, exec_lo
	s_or_b32 s48, s5, s6
	s_or_b32 s61, s7, s8
	s_or_not1_b32 s49, s20, exec_lo
.LBB30_32:                              ;   in Loop: Header=BB30_33 Depth=1
	s_or_b32 exec_lo, exec_lo, s22
	s_delay_alu instid0(SALU_CYCLE_1)
	s_and_b32 s5, exec_lo, s49
	v_dual_mov_b32 v3, s82 :: v_dual_mov_b32 v4, s83
	s_or_b32 s64, s5, s64
	s_and_not1_b32 s5, s66, exec_lo
	s_and_b32 s6, s60, exec_lo
	s_and_not1_b32 s7, s65, exec_lo
	s_or_b32 s66, s5, s6
	s_and_not1_b32 s5, s58, exec_lo
	s_and_b32 s6, s48, exec_lo
	s_and_b32 s8, s61, exec_lo
	s_or_b32 s58, s5, s6
	s_or_b32 s65, s7, s8
	s_and_not1_b32 exec_lo, exec_lo, s64
	s_cbranch_execz .LBB30_302
.LBB30_33:                              ; =>This Loop Header: Depth=1
                                        ;     Child Loop BB30_41 Depth 2
                                        ;     Child Loop BB30_60 Depth 2
	;; [unrolled: 1-line block ×16, first 2 shown]
	ds_load_b128 v[7:10], v18 offset:5120
	s_waitcnt lgkmcnt(0)
	v_readfirstlane_b32 s87, v8
	v_readfirstlane_b32 s86, v7
	s_delay_alu instid0(VALU_DEP_1) | instskip(NEXT) | instid1(VALU_DEP_1)
	v_cmp_gt_i64_e64 s5, s[86:87], 0
	s_and_b32 vcc_lo, exec_lo, s5
	s_cbranch_vccnz .LBB30_67
; %bb.34:                               ;   in Loop: Header=BB30_33 Depth=1
	s_and_b32 vcc_lo, exec_lo, s96
	s_cbranch_vccz .LBB30_49
; %bb.35:                               ;   in Loop: Header=BB30_33 Depth=1
	v_cmp_gt_i64_e32 vcc_lo, 0x181, v[9:10]
	s_mov_b32 s7, 0
	s_mov_b32 s5, 0
	s_cbranch_vccz .LBB30_54
; %bb.36:                               ;   in Loop: Header=BB30_33 Depth=1
	v_mov_b32_e32 v3, 0
	v_mov_b32_e32 v4, 0
	s_and_saveexec_b32 s5, s4
	s_cbranch_execz .LBB30_38
; %bb.37:                               ;   in Loop: Header=BB30_33 Depth=1
	global_load_b64 v[3:4], v[19:20], off
.LBB30_38:                              ;   in Loop: Header=BB30_33 Depth=1
	s_or_b32 exec_lo, exec_lo, s5
	s_and_saveexec_b32 s8, s4
	s_cbranch_execz .LBB30_50
; %bb.39:                               ;   in Loop: Header=BB30_33 Depth=1
	global_load_u16 v11, v18, s[74:75]
	s_mov_b32 s11, 0
	s_waitcnt vmcnt(0)
	v_readfirstlane_b32 s5, v11
	s_delay_alu instid0(VALU_DEP_1) | instskip(NEXT) | instid1(SALU_CYCLE_1)
	s_and_b32 s5, 0xffff, s5
	v_add_nc_u32_e32 v12, s5, v0
	s_mul_i32 s6, s79, s5
	s_mul_hi_u32 s9, s78, s5
	s_mul_i32 s10, s78, s5
	s_add_i32 s9, s9, s6
	v_mad_u64_u32 v[7:8], null, s78, v12, s[76:77]
	s_delay_alu instid0(VALU_DEP_1) | instskip(NEXT) | instid1(VALU_DEP_1)
	v_mad_u64_u32 v[9:10], null, s79, v12, v[8:9]
	v_dual_mov_b32 v8, v9 :: v_dual_and_b32 v13, 0xffff, v11
	v_dual_mov_b32 v10, v1 :: v_dual_mov_b32 v9, v0
	s_branch .LBB30_41
.LBB30_40:                              ;   in Loop: Header=BB30_41 Depth=2
	s_or_b32 exec_lo, exec_lo, s6
	v_add_co_u32 v7, vcc_lo, v7, s10
	v_add_co_ci_u32_e32 v8, vcc_lo, s9, v8, vcc_lo
	s_waitcnt vmcnt(0)
	v_dual_mov_b32 v3, v11 :: v_dual_mov_b32 v4, v12
	s_and_not1_b32 exec_lo, exec_lo, s11
	s_cbranch_execz .LBB30_50
.LBB30_41:                              ;   Parent Loop BB30_33 Depth=1
                                        ; =>  This Inner Loop Header: Depth=2
	s_delay_alu instid0(VALU_DEP_1) | instskip(NEXT) | instid1(VALU_DEP_2)
	v_add_co_u32 v9, vcc_lo, v9, v13
	v_add_co_ci_u32_e32 v10, vcc_lo, 0, v10, vcc_lo
	v_mov_b32_e32 v11, 0
	v_mov_b32_e32 v12, 0
	s_mov_b32 s6, exec_lo
	s_delay_alu instid0(VALU_DEP_3)
	v_cmp_le_i64_e32 vcc_lo, s[36:37], v[9:10]
	v_cmpx_gt_i64_e64 s[36:37], v[9:10]
	s_cbranch_execz .LBB30_43
; %bb.42:                               ;   in Loop: Header=BB30_41 Depth=2
	global_load_b64 v[11:12], v[7:8], off
.LBB30_43:                              ;   in Loop: Header=BB30_41 Depth=2
	s_or_b32 exec_lo, exec_lo, s6
	s_waitcnt lgkmcnt(0)
	v_xor_b32_e32 v14, 0x80000000, v4
	v_and_b32_e32 v30, s84, v3
	s_delay_alu instid0(VALU_DEP_2) | instskip(NEXT) | instid1(VALU_DEP_1)
	v_dual_mov_b32 v14, 0 :: v_dual_and_b32 v31, s85, v14
	v_cmp_eq_u64_e64 s5, s[82:83], v[30:31]
	s_delay_alu instid0(VALU_DEP_1) | instskip(SKIP_1) | instid1(SALU_CYCLE_1)
	s_cmp_lg_u32 s5, 0
	s_cselect_b32 s6, -1, 0
	s_and_b32 s6, s2, s6
	s_delay_alu instid0(SALU_CYCLE_1)
	s_and_saveexec_b32 s12, s6
	s_cbranch_execz .LBB30_47
; %bb.44:                               ;   in Loop: Header=BB30_41 Depth=2
	s_mov_b32 s15, exec_lo
	s_bcnt1_i32_b32 s13, s5
	v_mbcnt_lo_u32_b32 v14, s15, 0
	s_mov_b32 s14, exec_lo
                                        ; implicit-def: $vgpr17
	s_delay_alu instid0(VALU_DEP_1)
	v_cmpx_eq_u32_e32 0, v14
	s_cbranch_execz .LBB30_46
; %bb.45:                               ;   in Loop: Header=BB30_41 Depth=2
	s_bcnt1_i32_b32 s6, s15
	s_delay_alu instid0(SALU_CYCLE_1) | instskip(NEXT) | instid1(SALU_CYCLE_1)
	s_mul_i32 s6, s13, s6
	v_mov_b32_e32 v17, s6
	ds_add_rtn_u32 v17, v18, v17 offset:5136
.LBB30_46:                              ;   in Loop: Header=BB30_41 Depth=2
	s_or_b32 exec_lo, exec_lo, s14
	s_waitcnt lgkmcnt(0)
	v_readfirstlane_b32 s6, v17
	s_delay_alu instid0(VALU_DEP_1)
	v_mad_u32_u24 v14, s13, v14, s6
.LBB30_47:                              ;   in Loop: Header=BB30_41 Depth=2
	s_or_b32 exec_lo, exec_lo, s12
	ds_bpermute_b32 v14, v18, v14
	s_and_b32 s6, exec_lo, vcc_lo
	s_delay_alu instid0(SALU_CYCLE_1)
	s_or_b32 s11, s6, s11
	s_and_saveexec_b32 s6, s5
	s_cbranch_execz .LBB30_40
; %bb.48:                               ;   in Loop: Header=BB30_41 Depth=2
	v_and_b32_e32 v17, s5, v41
	s_delay_alu instid0(VALU_DEP_1) | instskip(NEXT) | instid1(VALU_DEP_1)
	v_bcnt_u32_b32 v17, v17, 0
	v_lshlrev_b32_e32 v17, 3, v17
	s_waitcnt lgkmcnt(0)
	s_delay_alu instid0(VALU_DEP_1)
	v_lshl_add_u32 v14, v14, 3, v17
	ds_store_b64 v14, v[3:4]
	s_branch .LBB30_40
.LBB30_49:                              ;   in Loop: Header=BB30_33 Depth=1
	s_mov_b32 s7, -1
	s_mov_b32 s5, 0
	s_branch .LBB30_53
.LBB30_50:                              ;   in Loop: Header=BB30_33 Depth=1
	s_or_b32 exec_lo, exec_lo, s8
	s_waitcnt vmcnt(0) lgkmcnt(0)
	s_barrier
	buffer_gl0_inv
	s_and_saveexec_b32 s5, s0
	s_cbranch_execz .LBB30_52
; %bb.51:                               ;   in Loop: Header=BB30_33 Depth=1
	ds_load_b32 v3, v18 offset:5136
	s_waitcnt lgkmcnt(0)
	v_ashrrev_i32_e32 v4, 31, v3
	ds_store_b64 v18, v[3:4] offset:5120
.LBB30_52:                              ;   in Loop: Header=BB30_33 Depth=1
	s_or_b32 exec_lo, exec_lo, s5
	s_waitcnt lgkmcnt(0)
	s_mov_b32 s5, -1
	s_barrier
.LBB30_53:                              ;   in Loop: Header=BB30_33 Depth=1
                                        ; implicit-def: $sgpr86_sgpr87
.LBB30_54:                              ;   in Loop: Header=BB30_33 Depth=1
	s_and_b32 vcc_lo, exec_lo, s7
	s_cbranch_vccz .LBB30_65
; %bb.55:                               ;   in Loop: Header=BB30_33 Depth=1
	v_mov_b32_e32 v3, 0
	v_mov_b32_e32 v4, 0
	s_and_saveexec_b32 s5, s1
	s_cbranch_execz .LBB30_57
; %bb.56:                               ;   in Loop: Header=BB30_33 Depth=1
	global_load_b64 v[3:4], v[19:20], off
.LBB30_57:                              ;   in Loop: Header=BB30_33 Depth=1
	s_or_b32 exec_lo, exec_lo, s5
	s_and_saveexec_b32 s6, s1
	s_cbranch_execz .LBB30_62
; %bb.58:                               ;   in Loop: Header=BB30_33 Depth=1
	global_load_u16 v11, v18, s[74:75]
	s_mov_b32 s10, 0
	v_mov_b32_e32 v13, v37
	s_waitcnt vmcnt(0)
	v_readfirstlane_b32 s5, v11
	v_and_b32_e32 v14, 0xffff, v11
	s_delay_alu instid0(VALU_DEP_2) | instskip(NEXT) | instid1(SALU_CYCLE_1)
	s_and_b32 s5, 0xffff, s5
	v_add_nc_u32_e32 v12, s5, v0
	s_mul_i32 s8, s79, s5
	s_mul_hi_u32 s9, s78, s5
	s_lshl_b32 s7, s5, 3
	s_add_i32 s8, s9, s8
	v_mad_u64_u32 v[7:8], null, s78, v12, s[76:77]
	s_mul_i32 s9, s78, s5
	s_delay_alu instid0(VALU_DEP_1) | instskip(NEXT) | instid1(VALU_DEP_1)
	v_mad_u64_u32 v[9:10], null, s79, v12, v[8:9]
	v_mov_b32_e32 v8, v9
	v_dual_mov_b32 v10, v1 :: v_dual_mov_b32 v9, v0
	s_set_inst_prefetch_distance 0x1
	s_branch .LBB30_60
	.p2align	6
.LBB30_59:                              ;   in Loop: Header=BB30_60 Depth=2
	s_or_b32 exec_lo, exec_lo, s11
	s_delay_alu instid0(SALU_CYCLE_1)
	s_and_b32 s5, exec_lo, vcc_lo
	v_add_co_u32 v7, vcc_lo, v7, s9
	ds_store_b64 v13, v[3:4]
	s_waitcnt vmcnt(0)
	v_mov_b32_e32 v3, v11
	v_dual_mov_b32 v4, v12 :: v_dual_add_nc_u32 v13, s7, v13
	v_add_co_ci_u32_e32 v8, vcc_lo, s8, v8, vcc_lo
	s_or_b32 s10, s5, s10
	s_delay_alu instid0(SALU_CYCLE_1)
	s_and_not1_b32 exec_lo, exec_lo, s10
	s_cbranch_execz .LBB30_62
.LBB30_60:                              ;   Parent Loop BB30_33 Depth=1
                                        ; =>  This Inner Loop Header: Depth=2
	s_delay_alu instid0(VALU_DEP_1) | instskip(NEXT) | instid1(VALU_DEP_2)
	v_add_co_u32 v9, vcc_lo, v9, v14
	v_add_co_ci_u32_e32 v10, vcc_lo, 0, v10, vcc_lo
	v_mov_b32_e32 v11, 0
	v_mov_b32_e32 v12, 0
	s_mov_b32 s11, exec_lo
	s_delay_alu instid0(VALU_DEP_3)
	v_cmp_le_i64_e32 vcc_lo, s[36:37], v[9:10]
	v_cmpx_gt_i64_e64 s[36:37], v[9:10]
	s_cbranch_execz .LBB30_59
; %bb.61:                               ;   in Loop: Header=BB30_60 Depth=2
	global_load_b64 v[11:12], v[7:8], off
	s_branch .LBB30_59
.LBB30_62:                              ;   in Loop: Header=BB30_33 Depth=1
	s_set_inst_prefetch_distance 0x2
	s_or_b32 exec_lo, exec_lo, s6
	s_waitcnt vmcnt(0) lgkmcnt(0)
	s_barrier
	buffer_gl0_inv
	s_and_saveexec_b32 s5, s0
	s_cbranch_execz .LBB30_64
; %bb.63:                               ;   in Loop: Header=BB30_33 Depth=1
	v_dual_mov_b32 v3, s36 :: v_dual_mov_b32 v4, s37
	ds_store_b64 v18, v[3:4] offset:5120
.LBB30_64:                              ;   in Loop: Header=BB30_33 Depth=1
	s_or_b32 exec_lo, exec_lo, s5
	s_mov_b32 s5, -1
	s_waitcnt lgkmcnt(0)
	s_barrier
                                        ; implicit-def: $sgpr86_sgpr87
.LBB30_65:                              ;   in Loop: Header=BB30_33 Depth=1
	s_and_b32 vcc_lo, exec_lo, s5
	s_cbranch_vccz .LBB30_67
; %bb.66:                               ;   in Loop: Header=BB30_33 Depth=1
	buffer_gl0_inv
	ds_load_b64 v[3:4], v18 offset:5120
	s_waitcnt lgkmcnt(0)
	v_readfirstlane_b32 s86, v3
.LBB30_67:                              ;   in Loop: Header=BB30_33 Depth=1
	s_delay_alu instid0(VALU_DEP_1)
	s_cmp_lt_i32 s86, 1
	s_cbranch_scc0 .LBB30_82
; %bb.68:                               ;   in Loop: Header=BB30_33 Depth=1
	global_load_u16 v9, v18, s[74:75]
	s_mov_b32 s6, s69
	s_mov_b32 s7, s37
	s_waitcnt vmcnt(0)
	v_readfirstlane_b32 s5, v9
	s_delay_alu instid0(VALU_DEP_1) | instskip(NEXT) | instid1(SALU_CYCLE_1)
	s_and_b32 s5, 0xffff, s5
	s_lshl_b32 s24, s5, 2
	s_cmp_lg_u64 s[6:7], 0
	s_cbranch_scc0 .LBB30_102
; %bb.69:                               ;   in Loop: Header=BB30_33 Depth=1
	v_cvt_f32_u32_e32 v3, s24
	s_sub_u32 s7, 0, s24
	s_subb_u32 s8, 0, 0
	s_delay_alu instid0(VALU_DEP_1) | instskip(NEXT) | instid1(VALU_DEP_1)
	v_fmac_f32_e32 v3, 0x4f800000, v46
	v_rcp_f32_e32 v3, v3
	s_waitcnt_depctr 0xfff
	v_mul_f32_e32 v3, 0x5f7ffffc, v3
	s_delay_alu instid0(VALU_DEP_1) | instskip(NEXT) | instid1(VALU_DEP_1)
	v_mul_f32_e32 v4, 0x2f800000, v3
	v_trunc_f32_e32 v4, v4
	s_delay_alu instid0(VALU_DEP_1) | instskip(SKIP_1) | instid1(VALU_DEP_2)
	v_fmac_f32_e32 v3, 0xcf800000, v4
	v_cvt_u32_f32_e32 v4, v4
	v_cvt_u32_f32_e32 v3, v3
	s_delay_alu instid0(VALU_DEP_2) | instskip(NEXT) | instid1(VALU_DEP_2)
	v_readfirstlane_b32 s5, v4
	v_readfirstlane_b32 s6, v3
	s_delay_alu instid0(VALU_DEP_2) | instskip(NEXT) | instid1(VALU_DEP_1)
	s_mul_i32 s9, s7, s5
	s_mul_hi_u32 s11, s7, s6
	s_mul_i32 s10, s8, s6
	s_add_i32 s9, s11, s9
	s_mul_i32 s12, s7, s6
	s_add_i32 s9, s9, s10
	s_mul_hi_u32 s11, s6, s12
	s_mul_hi_u32 s13, s5, s12
	s_mul_i32 s10, s5, s12
	s_mul_hi_u32 s12, s6, s9
	s_mul_i32 s6, s6, s9
	s_mul_hi_u32 s14, s5, s9
	s_add_u32 s6, s11, s6
	s_addc_u32 s11, 0, s12
	s_add_u32 s6, s6, s10
	s_mul_i32 s9, s5, s9
	s_addc_u32 s6, s11, s13
	s_addc_u32 s10, s14, 0
	s_add_u32 s6, s6, s9
	s_addc_u32 s9, 0, s10
	v_add_co_u32 v3, s6, v3, s6
	s_delay_alu instid0(VALU_DEP_1) | instskip(SKIP_1) | instid1(VALU_DEP_1)
	s_cmp_lg_u32 s6, 0
	s_addc_u32 s5, s5, s9
	v_readfirstlane_b32 s6, v3
	s_mul_i32 s9, s7, s5
	s_delay_alu instid0(VALU_DEP_1)
	s_mul_hi_u32 s10, s7, s6
	s_mul_i32 s8, s8, s6
	s_add_i32 s9, s10, s9
	s_mul_i32 s7, s7, s6
	s_add_i32 s9, s9, s8
	s_mul_hi_u32 s10, s5, s7
	s_mul_i32 s11, s5, s7
	s_mul_hi_u32 s7, s6, s7
	s_mul_hi_u32 s12, s6, s9
	s_mul_i32 s6, s6, s9
	s_mul_hi_u32 s8, s5, s9
	s_add_u32 s6, s7, s6
	s_addc_u32 s7, 0, s12
	s_add_u32 s6, s6, s11
	s_mul_i32 s9, s5, s9
	s_addc_u32 s6, s7, s10
	s_addc_u32 s7, s8, 0
	s_add_u32 s6, s6, s9
	s_addc_u32 s7, 0, s7
	v_add_co_u32 v3, s6, v3, s6
	s_delay_alu instid0(VALU_DEP_1) | instskip(SKIP_2) | instid1(VALU_DEP_1)
	s_cmp_lg_u32 s6, 0
	s_addc_u32 s5, s5, s7
	s_ashr_i32 s6, s37, 31
	v_readfirstlane_b32 s10, v3
	s_add_u32 s8, s36, s6
	s_mov_b32 s7, s6
	s_addc_u32 s9, s37, s6
	s_delay_alu instid0(SALU_CYCLE_1) | instskip(NEXT) | instid1(SALU_CYCLE_1)
	s_xor_b64 s[8:9], s[8:9], s[6:7]
	s_mul_i32 s11, s8, s5
	s_mul_hi_u32 s12, s8, s10
	s_mul_hi_u32 s7, s8, s5
	;; [unrolled: 1-line block ×3, first 2 shown]
	s_mul_i32 s10, s9, s10
	s_add_u32 s11, s12, s11
	s_addc_u32 s7, 0, s7
	s_mul_hi_u32 s13, s9, s5
	s_add_u32 s10, s11, s10
	s_mul_i32 s5, s9, s5
	s_addc_u32 s7, s7, s14
	s_addc_u32 s10, s13, 0
	s_add_u32 s5, s7, s5
	s_addc_u32 s7, 0, s10
	s_mul_hi_u32 s10, s24, s5
	s_mul_i32 s5, s24, s5
	s_mul_i32 s7, s24, s7
	v_sub_co_u32 v3, s5, s8, s5
	s_add_i32 s10, s10, s7
	s_cmp_lg_u32 s5, 0
	s_delay_alu instid0(VALU_DEP_1) | instskip(SKIP_2) | instid1(VALU_DEP_1)
	v_sub_co_u32 v4, s5, v3, s24
	s_subb_u32 s7, s9, s10
	s_cmp_lg_u32 s5, 0
	v_cmp_le_u32_e32 vcc_lo, s24, v4
	v_sub_co_u32 v7, s5, v4, s24
	s_subb_u32 s8, s7, 0
	s_cmp_lg_u32 s5, 0
	v_cndmask_b32_e64 v8, 0, -1, vcc_lo
	s_subb_u32 s5, s8, 0
	s_cmp_eq_u32 s8, 0
	v_mov_b32_e32 v11, s5
	s_cselect_b32 vcc_lo, -1, 0
	s_cmp_eq_u32 s7, 0
	v_cndmask_b32_e32 v8, -1, v8, vcc_lo
	v_cmp_le_u32_e32 vcc_lo, s24, v3
	s_cselect_b32 s5, -1, 0
	v_cndmask_b32_e64 v10, 0, -1, vcc_lo
	s_delay_alu instid0(VALU_DEP_3) | instskip(NEXT) | instid1(VALU_DEP_2)
	v_cmp_ne_u32_e32 vcc_lo, 0, v8
	v_cndmask_b32_e64 v8, -1, v10, s5
	v_cndmask_b32_e32 v4, v4, v7, vcc_lo
	v_cndmask_b32_e32 v10, s8, v11, vcc_lo
	s_delay_alu instid0(VALU_DEP_3) | instskip(NEXT) | instid1(VALU_DEP_3)
	v_cmp_ne_u32_e32 vcc_lo, 0, v8
	v_cndmask_b32_e32 v3, v3, v4, vcc_lo
	s_delay_alu instid0(VALU_DEP_3) | instskip(NEXT) | instid1(VALU_DEP_2)
	v_cndmask_b32_e32 v7, s7, v10, vcc_lo
	v_xor_b32_e32 v3, s6, v3
	s_delay_alu instid0(VALU_DEP_2) | instskip(NEXT) | instid1(VALU_DEP_2)
	v_xor_b32_e32 v4, s6, v7
	v_sub_co_u32 v3, vcc_lo, v3, s6
	s_delay_alu instid0(VALU_DEP_2)
	v_subrev_co_ci_u32_e32 v4, vcc_lo, s6, v4, vcc_lo
	s_cbranch_execnz .LBB30_71
.LBB30_70:                              ;   in Loop: Header=BB30_33 Depth=1
	v_cvt_f32_u32_e32 v3, s24
	s_sub_i32 s5, 0, s24
	s_delay_alu instid0(VALU_DEP_1) | instskip(SKIP_2) | instid1(VALU_DEP_1)
	v_rcp_iflag_f32_e32 v3, v3
	s_waitcnt_depctr 0xfff
	v_mul_f32_e32 v3, 0x4f7ffffe, v3
	v_cvt_u32_f32_e32 v3, v3
	s_delay_alu instid0(VALU_DEP_1) | instskip(NEXT) | instid1(VALU_DEP_1)
	v_mul_lo_u32 v4, s5, v3
	v_mul_hi_u32 v4, v3, v4
	s_delay_alu instid0(VALU_DEP_1) | instskip(NEXT) | instid1(VALU_DEP_1)
	v_add_nc_u32_e32 v3, v3, v4
	v_mul_hi_u32 v3, s36, v3
	s_delay_alu instid0(VALU_DEP_1) | instskip(NEXT) | instid1(VALU_DEP_1)
	v_mul_lo_u32 v3, v3, s24
	v_sub_nc_u32_e32 v3, s36, v3
	s_delay_alu instid0(VALU_DEP_1) | instskip(SKIP_1) | instid1(VALU_DEP_2)
	v_subrev_nc_u32_e32 v4, s24, v3
	v_cmp_le_u32_e32 vcc_lo, s24, v3
	v_cndmask_b32_e32 v3, v3, v4, vcc_lo
	s_delay_alu instid0(VALU_DEP_1) | instskip(SKIP_1) | instid1(VALU_DEP_2)
	v_subrev_nc_u32_e32 v4, s24, v3
	v_cmp_le_u32_e32 vcc_lo, s24, v3
	v_cndmask_b32_e32 v17, v3, v4, vcc_lo
	s_delay_alu instid0(VALU_DEP_1)
	v_dual_mov_b32 v3, v17 :: v_dual_mov_b32 v4, v18
.LBB30_71:                              ;   in Loop: Header=BB30_33 Depth=1
	v_mov_b32_e32 v7, 0
	v_dual_mov_b32 v8, 0 :: v_dual_and_b32 v47, 0xffff, v9
	s_delay_alu instid0(VALU_DEP_3) | instskip(NEXT) | instid1(VALU_DEP_4)
	v_sub_co_u32 v30, vcc_lo, s36, v3
	v_sub_co_ci_u32_e32 v31, vcc_lo, s37, v4, vcc_lo
	s_delay_alu instid0(VALU_DEP_3)
	v_dual_mov_b32 v10, v8 :: v_dual_mov_b32 v9, v7
	v_dual_mov_b32 v12, v8 :: v_dual_mov_b32 v11, v7
	;; [unrolled: 1-line block ×3, first 2 shown]
	s_mov_b64 s[22:23], 0
	s_mov_b32 s49, exec_lo
	v_cmpx_gt_i64_e64 v[30:31], v[21:22]
	s_cbranch_execz .LBB30_75
; %bb.72:                               ;   in Loop: Header=BB30_33 Depth=1
	v_mul_lo_u32 v7, s81, v47
	v_mul_hi_u32 v8, s80, v47
	v_mul_lo_u32 v48, s80, v47
	v_dual_mov_b32 v35, v22 :: v_dual_mov_b32 v32, s72
	v_mov_b32_e32 v33, s73
	s_and_b32 s50, s67, 0xfe
	s_mov_b32 s51, 0
	s_delay_alu instid0(VALU_DEP_4)
	v_dual_mov_b32 v34, v21 :: v_dual_add_nc_u32 v49, v8, v7
	s_mov_b64 s[88:89], 0
	s_mov_b64 s[90:91], 0
	s_mov_b64 s[92:93], 0
.LBB30_73:                              ;   Parent Loop BB30_33 Depth=1
                                        ; =>  This Inner Loop Header: Depth=2
	v_add_co_u32 v7, vcc_lo, v32, v28
	v_add_co_ci_u32_e32 v8, vcc_lo, v33, v29, vcc_lo
	global_load_b64 v[7:8], v[7:8], off
	s_waitcnt vmcnt(0)
	v_xor_b32_e32 v8, 0x80000000, v8
	v_and_b32_e32 v9, s84, v7
	s_delay_alu instid0(VALU_DEP_2) | instskip(SKIP_1) | instid1(VALU_DEP_2)
	v_and_b32_e32 v10, s85, v8
	v_lshrrev_b64 v[7:8], s50, v[7:8]
	v_cmp_eq_u64_e32 vcc_lo, s[82:83], v[9:10]
	v_add_co_u32 v9, s5, v32, v27
	s_delay_alu instid0(VALU_DEP_1) | instskip(NEXT) | instid1(VALU_DEP_4)
	v_add_co_ci_u32_e64 v10, s5, v33, v42, s5
	v_and_b32_e32 v17, 3, v7
	global_load_b64 v[9:10], v[9:10], off
	v_cmp_eq_u64_e64 s20, 0, v[17:18]
	v_cmp_eq_u64_e64 s21, 1, v[17:18]
	s_delay_alu instid0(VALU_DEP_2) | instskip(SKIP_3) | instid1(VALU_DEP_2)
	s_and_b32 s20, vcc_lo, s20
	s_waitcnt vmcnt(0)
	v_xor_b32_e32 v10, 0x80000000, v10
	v_and_b32_e32 v11, s84, v9
	v_and_b32_e32 v12, s85, v10
	v_lshrrev_b64 v[7:8], s50, v[9:10]
	v_mov_b32_e32 v8, v18
	s_delay_alu instid0(VALU_DEP_3) | instskip(SKIP_1) | instid1(VALU_DEP_1)
	v_cmp_eq_u64_e64 s5, s[82:83], v[11:12]
	v_add_co_u32 v11, s6, v32, v25
	v_add_co_ci_u32_e64 v12, s6, v33, v26, s6
	v_and_b32_e32 v7, 3, v7
	global_load_b64 v[11:12], v[11:12], off
	v_cmp_eq_u64_e64 s8, 0, v[7:8]
	v_cmp_eq_u64_e64 s9, 1, v[7:8]
	v_cmp_eq_u64_e64 s10, 2, v[7:8]
	v_cmp_eq_u64_e64 s11, 3, v[7:8]
	s_delay_alu instid0(VALU_DEP_4) | instskip(SKIP_3) | instid1(VALU_DEP_2)
	s_and_b32 s8, s5, s8
	s_waitcnt vmcnt(0)
	v_xor_b32_e32 v12, 0x80000000, v12
	v_and_b32_e32 v13, s84, v11
	v_and_b32_e32 v14, s85, v12
	v_lshrrev_b64 v[7:8], s50, v[11:12]
	v_mov_b32_e32 v8, v18
	s_delay_alu instid0(VALU_DEP_3) | instskip(SKIP_1) | instid1(VALU_DEP_1)
	v_cmp_eq_u64_e64 s6, s[82:83], v[13:14]
	v_add_co_u32 v13, s7, v32, v23
	v_add_co_ci_u32_e64 v14, s7, v33, v24, s7
	v_and_b32_e32 v7, 3, v7
	global_load_b64 v[13:14], v[13:14], off
	v_cmp_eq_u64_e64 s12, 0, v[7:8]
	v_cmp_eq_u64_e64 s13, 1, v[7:8]
	;; [unrolled: 1-line block ×4, first 2 shown]
	s_delay_alu instid0(VALU_DEP_4) | instskip(SKIP_3) | instid1(VALU_DEP_2)
	s_and_b32 s12, s6, s12
	s_waitcnt vmcnt(0)
	v_xor_b32_e32 v14, 0x80000000, v14
	v_and_b32_e32 v50, s84, v13
	v_lshrrev_b64 v[7:8], s50, v[13:14]
	v_dual_mov_b32 v8, v18 :: v_dual_and_b32 v51, s85, v14
	s_delay_alu instid0(VALU_DEP_2) | instskip(NEXT) | instid1(VALU_DEP_2)
	v_and_b32_e32 v7, 3, v7
	v_cmp_eq_u64_e64 s7, s[82:83], v[50:51]
	s_delay_alu instid0(VALU_DEP_2)
	v_cmp_eq_u64_e64 s16, 0, v[7:8]
	v_cmp_eq_u64_e64 s17, 1, v[7:8]
	;; [unrolled: 1-line block ×4, first 2 shown]
	v_cndmask_b32_e64 v7, 0, 1, s20
	s_and_b32 s16, s7, s16
	s_delay_alu instid0(VALU_DEP_1) | instskip(SKIP_1) | instid1(VALU_DEP_2)
	v_cmp_ne_u32_e64 s20, 0, v7
	v_cndmask_b32_e64 v7, 0, 1, s8
	s_bcnt1_i32_b32 s20, s20
	s_delay_alu instid0(VALU_DEP_1) | instskip(SKIP_1) | instid1(VALU_DEP_2)
	v_cmp_ne_u32_e64 s8, 0, v7
	v_cndmask_b32_e64 v7, 0, 1, s12
	s_bcnt1_i32_b32 s8, s8
	s_delay_alu instid0(VALU_DEP_1) | instskip(SKIP_2) | instid1(VALU_DEP_2)
	v_cmp_ne_u32_e64 s12, 0, v7
	v_cndmask_b32_e64 v7, 0, 1, s16
	s_add_i32 s8, s8, s20
	s_bcnt1_i32_b32 s12, s12
	s_delay_alu instid0(VALU_DEP_1) | instskip(SKIP_1) | instid1(VALU_DEP_1)
	v_cmp_ne_u32_e64 s16, 0, v7
	s_add_i32 s8, s8, s12
	s_bcnt1_i32_b32 s16, s16
	s_delay_alu instid0(SALU_CYCLE_1) | instskip(NEXT) | instid1(SALU_CYCLE_1)
	s_add_i32 s8, s8, s16
	s_add_u32 s92, s92, s8
	s_addc_u32 s93, s93, 0
	s_and_b32 s8, vcc_lo, s21
	s_and_b32 s9, s5, s9
	v_cndmask_b32_e64 v7, 0, 1, s8
	s_and_b32 s12, s6, s13
	s_and_b32 s13, s7, s17
	s_delay_alu instid0(VALU_DEP_1) | instskip(SKIP_1) | instid1(VALU_DEP_2)
	v_cmp_ne_u32_e64 s8, 0, v7
	v_cndmask_b32_e64 v7, 0, 1, s9
	s_bcnt1_i32_b32 s8, s8
	s_delay_alu instid0(VALU_DEP_1) | instskip(SKIP_1) | instid1(VALU_DEP_2)
	v_cmp_ne_u32_e64 s9, 0, v7
	v_cndmask_b32_e64 v7, 0, 1, s12
	s_bcnt1_i32_b32 s9, s9
	s_delay_alu instid0(VALU_DEP_1) | instskip(SKIP_2) | instid1(VALU_DEP_2)
	v_cmp_ne_u32_e64 s12, 0, v7
	v_cndmask_b32_e64 v7, 0, 1, s13
	s_add_i32 s8, s9, s8
	s_bcnt1_i32_b32 s12, s12
	s_delay_alu instid0(VALU_DEP_1) | instskip(SKIP_1) | instid1(VALU_DEP_1)
	v_cmp_ne_u32_e64 s13, 0, v7
	s_add_i32 s8, s8, s12
	s_bcnt1_i32_b32 s13, s13
	s_delay_alu instid0(SALU_CYCLE_1) | instskip(NEXT) | instid1(SALU_CYCLE_1)
	s_add_i32 s8, s8, s13
	s_add_u32 s90, s90, s8
	s_addc_u32 s91, s91, 0
	s_delay_alu instid0(SALU_CYCLE_1)
	v_dual_mov_b32 v9, s90 :: v_dual_mov_b32 v10, s91
	v_cmp_eq_u64_e64 s16, 2, v[17:18]
	s_and_b32 s9, s5, s10
	s_and_b32 s10, s6, s14
	;; [unrolled: 1-line block ×3, first 2 shown]
	v_cmp_eq_u64_e64 s13, 3, v[17:18]
	s_delay_alu instid0(VALU_DEP_2) | instskip(NEXT) | instid1(SALU_CYCLE_1)
	s_and_b32 s8, vcc_lo, s16
	v_cndmask_b32_e64 v7, 0, 1, s8
	s_delay_alu instid0(VALU_DEP_1) | instskip(SKIP_1) | instid1(VALU_DEP_2)
	v_cmp_ne_u32_e64 s8, 0, v7
	v_cndmask_b32_e64 v7, 0, 1, s9
	s_bcnt1_i32_b32 s8, s8
	s_delay_alu instid0(VALU_DEP_1) | instskip(SKIP_1) | instid1(VALU_DEP_2)
	v_cmp_ne_u32_e64 s9, 0, v7
	v_cndmask_b32_e64 v7, 0, 1, s10
	s_bcnt1_i32_b32 s9, s9
	s_delay_alu instid0(VALU_DEP_1) | instskip(SKIP_3) | instid1(VALU_DEP_3)
	v_cmp_ne_u32_e64 s10, 0, v7
	v_cndmask_b32_e64 v7, 0, 1, s12
	s_add_i32 s8, s9, s8
	v_add_co_u32 v32, s9, v32, v48
	s_bcnt1_i32_b32 s10, s10
	s_delay_alu instid0(VALU_DEP_2) | instskip(SKIP_1) | instid1(VALU_DEP_1)
	v_cmp_ne_u32_e64 s12, 0, v7
	s_add_i32 s8, s8, s10
	s_bcnt1_i32_b32 s12, s12
	s_delay_alu instid0(SALU_CYCLE_1) | instskip(NEXT) | instid1(SALU_CYCLE_1)
	s_add_i32 s8, s8, s12
	s_add_u32 s88, s88, s8
	s_addc_u32 s89, s89, 0
	s_and_b32 s8, vcc_lo, s13
	s_and_b32 s5, s5, s11
	v_cndmask_b32_e64 v7, 0, 1, s8
	s_and_b32 s6, s6, s15
	s_and_b32 s7, s7, s19
	v_add_co_u32 v34, s8, v34, s24
	s_delay_alu instid0(VALU_DEP_2) | instskip(SKIP_3) | instid1(VALU_DEP_3)
	v_cmp_ne_u32_e32 vcc_lo, 0, v7
	v_cndmask_b32_e64 v7, 0, 1, s5
	v_add_co_ci_u32_e64 v35, s8, 0, v35, s8
	v_add_co_ci_u32_e64 v33, s8, v33, v49, s9
	v_cmp_ne_u32_e64 s5, 0, v7
	v_cndmask_b32_e64 v7, 0, 1, s6
	s_bcnt1_i32_b32 s9, vcc_lo
	v_cmp_ge_i64_e64 s8, v[34:35], v[30:31]
	v_mov_b32_e32 v11, s88
	s_bcnt1_i32_b32 s5, s5
	v_cmp_ne_u32_e64 s6, 0, v7
	v_cndmask_b32_e64 v7, 0, 1, s7
	s_add_i32 s5, s5, s9
	v_mov_b32_e32 v12, s89
	s_delay_alu instid0(VALU_DEP_3) | instskip(NEXT) | instid1(VALU_DEP_2)
	s_bcnt1_i32_b32 s6, s6
	v_cmp_ne_u32_e64 s7, 0, v7
	s_add_i32 s5, s5, s6
	v_dual_mov_b32 v7, s92 :: v_dual_mov_b32 v8, s93
	s_delay_alu instid0(VALU_DEP_2) | instskip(NEXT) | instid1(SALU_CYCLE_1)
	s_bcnt1_i32_b32 s7, s7
	s_add_i32 s5, s5, s7
	s_delay_alu instid0(SALU_CYCLE_1) | instskip(SKIP_1) | instid1(SALU_CYCLE_1)
	s_add_u32 s22, s22, s5
	s_addc_u32 s23, s23, 0
	v_dual_mov_b32 v13, s22 :: v_dual_mov_b32 v14, s23
	s_or_b32 s51, s8, s51
	s_delay_alu instid0(SALU_CYCLE_1)
	s_and_not1_b32 exec_lo, exec_lo, s51
	s_cbranch_execnz .LBB30_73
; %bb.74:                               ;   in Loop: Header=BB30_33 Depth=1
	s_or_b32 exec_lo, exec_lo, s51
.LBB30_75:                              ;   in Loop: Header=BB30_33 Depth=1
	s_delay_alu instid0(SALU_CYCLE_1) | instskip(SKIP_4) | instid1(VALU_DEP_3)
	s_or_b32 exec_lo, exec_lo, s49
	v_add_co_u32 v30, vcc_lo, v30, v0
	v_add_co_ci_u32_e32 v31, vcc_lo, 0, v31, vcc_lo
	v_mov_b32_e32 v32, 0
	v_mov_b32_e32 v33, 0
	v_cmp_gt_i64_e32 vcc_lo, s[36:37], v[30:31]
	s_and_saveexec_b32 s6, vcc_lo
	s_cbranch_execz .LBB30_77
; %bb.76:                               ;   in Loop: Header=BB30_33 Depth=1
	v_mul_lo_u32 v17, v31, s42
	v_mul_lo_u32 v34, v30, s43
	v_mad_u64_u32 v[32:33], null, v30, s42, 0
	s_delay_alu instid0(VALU_DEP_1) | instskip(NEXT) | instid1(VALU_DEP_1)
	v_add3_u32 v33, v33, v34, v17
	v_lshlrev_b64 v[32:33], 3, v[32:33]
	s_delay_alu instid0(VALU_DEP_1) | instskip(NEXT) | instid1(VALU_DEP_1)
	v_add_co_u32 v32, s5, s72, v32
	v_add_co_ci_u32_e64 v33, s5, s73, v33, s5
	global_load_b64 v[32:33], v[32:33], off
.LBB30_77:                              ;   in Loop: Header=BB30_33 Depth=1
	s_or_b32 exec_lo, exec_lo, s6
	s_and_saveexec_b32 s9, vcc_lo
	s_cbranch_execz .LBB30_84
; %bb.78:                               ;   in Loop: Header=BB30_33 Depth=1
	v_add_co_u32 v17, vcc_lo, v43, v47
	v_add_co_ci_u32_e32 v34, vcc_lo, 0, v44, vcc_lo
	v_mul_hi_u32 v49, s78, v47
	s_delay_alu instid0(VALU_DEP_3) | instskip(NEXT) | instid1(VALU_DEP_3)
	v_sub_co_u32 v17, vcc_lo, v17, v3
	v_sub_co_ci_u32_e32 v3, vcc_lo, v34, v4, vcc_lo
	v_mul_lo_u32 v48, s78, v47
	s_delay_alu instid0(VALU_DEP_3) | instskip(SKIP_1) | instid1(VALU_DEP_3)
	v_mul_lo_u32 v35, s79, v17
	s_and_b32 s11, s67, 0xfe
	v_mul_lo_u32 v34, s78, v3
	v_mad_u64_u32 v[3:4], null, s78, v17, s[76:77]
	v_mul_lo_u32 v17, s79, v47
	s_mov_b32 s10, 0
	s_delay_alu instid0(VALU_DEP_2) | instskip(NEXT) | instid1(VALU_DEP_2)
	v_add3_u32 v4, v35, v4, v34
	v_add_nc_u32_e32 v49, v49, v17
	s_branch .LBB30_80
.LBB30_79:                              ;   in Loop: Header=BB30_80 Depth=2
	s_or_b32 exec_lo, exec_lo, s6
	s_waitcnt vmcnt(0)
	v_xor_b32_e32 v33, 0x80000000, v33
	s_and_b32 s7, exec_lo, vcc_lo
	s_delay_alu instid0(SALU_CYCLE_1) | instskip(NEXT) | instid1(VALU_DEP_1)
	s_or_b32 s10, s7, s10
	v_lshrrev_b64 v[50:51], s11, v[32:33]
	v_and_b32_e32 v32, s84, v32
	v_and_b32_e32 v33, s85, v33
	s_delay_alu instid0(VALU_DEP_3) | instskip(NEXT) | instid1(VALU_DEP_2)
	v_and_b32_e32 v17, 3, v50
	v_cmp_eq_u64_e64 s5, s[82:83], v[32:33]
	s_delay_alu instid0(VALU_DEP_2) | instskip(SKIP_3) | instid1(VALU_DEP_4)
	v_cmp_eq_u64_e64 s6, 0, v[17:18]
	v_cmp_eq_u64_e32 vcc_lo, 1, v[17:18]
	v_cmp_eq_u64_e64 s7, 2, v[17:18]
	v_cmp_eq_u64_e64 s8, 3, v[17:18]
	s_and_b32 s6, s5, s6
	s_delay_alu instid0(SALU_CYCLE_1) | instskip(SKIP_1) | instid1(SALU_CYCLE_1)
	v_cndmask_b32_e64 v17, 0, 1, s6
	s_and_b32 s6, s5, vcc_lo
	v_cndmask_b32_e64 v32, 0, 1, s6
	s_and_b32 s6, s5, s7
	s_delay_alu instid0(VALU_DEP_2) | instskip(SKIP_2) | instid1(SALU_CYCLE_1)
	v_cmp_ne_u32_e32 vcc_lo, 0, v17
	v_cndmask_b32_e64 v33, 0, 1, s6
	s_and_b32 s5, s5, s8
	v_cndmask_b32_e64 v50, 0, 1, s5
	v_cmp_ne_u32_e64 s5, 0, v32
	s_bcnt1_i32_b32 s8, vcc_lo
	v_cmp_ne_u32_e64 s6, 0, v33
	v_mov_b32_e32 v32, v34
	v_add_co_u32 v7, vcc_lo, v7, s8
	s_bcnt1_i32_b32 s5, s5
	v_cmp_ne_u32_e64 s7, 0, v50
	v_add_co_ci_u32_e32 v8, vcc_lo, 0, v8, vcc_lo
	v_add_co_u32 v9, vcc_lo, v9, s5
	s_bcnt1_i32_b32 s6, s6
	v_add_co_ci_u32_e32 v10, vcc_lo, 0, v10, vcc_lo
	v_add_co_u32 v11, vcc_lo, v11, s6
	s_bcnt1_i32_b32 s5, s7
	v_add_co_ci_u32_e32 v12, vcc_lo, 0, v12, vcc_lo
	v_add_co_u32 v13, vcc_lo, v13, s5
	v_add_co_ci_u32_e32 v14, vcc_lo, 0, v14, vcc_lo
	v_add_co_u32 v3, vcc_lo, v3, v48
	v_add_co_ci_u32_e32 v4, vcc_lo, v4, v49, vcc_lo
	v_mov_b32_e32 v33, v35
	s_and_not1_b32 exec_lo, exec_lo, s10
	s_cbranch_execz .LBB30_83
.LBB30_80:                              ;   Parent Loop BB30_33 Depth=1
                                        ; =>  This Inner Loop Header: Depth=2
	v_add_co_u32 v30, vcc_lo, v30, v47
	v_add_co_ci_u32_e32 v31, vcc_lo, 0, v31, vcc_lo
	v_mov_b32_e32 v34, 0
	v_mov_b32_e32 v35, 0
	s_mov_b32 s6, exec_lo
	s_delay_alu instid0(VALU_DEP_3)
	v_cmp_le_i64_e32 vcc_lo, s[36:37], v[30:31]
	v_cmpx_gt_i64_e64 s[36:37], v[30:31]
	s_cbranch_execz .LBB30_79
; %bb.81:                               ;   in Loop: Header=BB30_80 Depth=2
	global_load_b64 v[34:35], v[3:4], off
	s_branch .LBB30_79
.LBB30_82:                              ;   in Loop: Header=BB30_33 Depth=1
                                        ; implicit-def: $vgpr13_vgpr14
                                        ; implicit-def: $vgpr9_vgpr10
	s_cbranch_execnz .LBB30_85
	s_branch .LBB30_94
.LBB30_83:                              ;   in Loop: Header=BB30_33 Depth=1
	s_or_b32 exec_lo, exec_lo, s10
.LBB30_84:                              ;   in Loop: Header=BB30_33 Depth=1
	s_delay_alu instid0(SALU_CYCLE_1)
	s_or_b32 exec_lo, exec_lo, s9
	s_branch .LBB30_94
.LBB30_85:                              ;   in Loop: Header=BB30_33 Depth=1
	global_load_u16 v3, v18, s[74:75]
	s_mov_b64 s[88:89], 0
	s_mov_b32 s50, exec_lo
	v_mov_b32_e32 v7, 0
	v_mov_b32_e32 v8, 0
	s_delay_alu instid0(VALU_DEP_1) | instskip(NEXT) | instid1(VALU_DEP_3)
	v_mov_b32_e32 v14, v8
	v_dual_mov_b32 v10, v8 :: v_dual_mov_b32 v9, v7
	v_dual_mov_b32 v12, v8 :: v_dual_mov_b32 v11, v7
	v_mov_b32_e32 v13, v7
	s_waitcnt vmcnt(0)
	v_readfirstlane_b32 s5, v3
	v_and_b32_e32 v30, 0xffff, v3
	s_delay_alu instid0(VALU_DEP_2) | instskip(NEXT) | instid1(SALU_CYCLE_1)
	s_and_b32 s5, 0xffff, s5
	s_lshl_b32 s49, s5, 2
	s_delay_alu instid0(SALU_CYCLE_1) | instskip(SKIP_1) | instid1(VALU_DEP_1)
	v_cvt_f32_u32_e32 v4, s49
	s_sub_i32 s6, 0, s49
	v_rcp_iflag_f32_e32 v4, v4
	s_waitcnt_depctr 0xfff
	v_mul_f32_e32 v4, 0x4f7ffffe, v4
	s_delay_alu instid0(VALU_DEP_1) | instskip(NEXT) | instid1(VALU_DEP_1)
	v_cvt_u32_f32_e32 v4, v4
	v_readfirstlane_b32 s5, v4
	s_delay_alu instid0(VALU_DEP_1) | instskip(NEXT) | instid1(SALU_CYCLE_1)
	s_mul_i32 s6, s6, s5
	s_mul_hi_u32 s6, s5, s6
	s_delay_alu instid0(SALU_CYCLE_1) | instskip(NEXT) | instid1(SALU_CYCLE_1)
	s_add_i32 s5, s5, s6
	s_mul_hi_u32 s5, s86, s5
	s_delay_alu instid0(SALU_CYCLE_1) | instskip(NEXT) | instid1(SALU_CYCLE_1)
	s_mul_i32 s5, s5, s49
	s_sub_i32 s5, s86, s5
	s_delay_alu instid0(SALU_CYCLE_1) | instskip(SKIP_2) | instid1(SALU_CYCLE_1)
	s_sub_i32 s6, s5, s49
	s_cmp_ge_u32 s5, s49
	s_cselect_b32 s5, s6, s5
	s_sub_i32 s6, s5, s49
	s_cmp_ge_u32 s5, s49
	s_cselect_b32 s5, s6, s5
	s_delay_alu instid0(SALU_CYCLE_1) | instskip(NEXT) | instid1(SALU_CYCLE_1)
	s_sub_i32 s68, s86, s5
	v_cmpx_gt_u32_e64 s68, v21
	s_cbranch_execz .LBB30_89
; %bb.86:                               ;   in Loop: Header=BB30_33 Depth=1
	v_dual_mov_b32 v32, v40 :: v_dual_lshlrev_b32 v31, 5, v30
	v_dual_mov_b32 v3, v21 :: v_dual_mov_b32 v4, v22
	s_and_b32 s51, s67, 0xfe
	s_mov_b32 s87, 0
	s_mov_b64 s[90:91], 0
	s_mov_b64 s[92:93], 0
	;; [unrolled: 1-line block ×3, first 2 shown]
.LBB30_87:                              ;   Parent Loop BB30_33 Depth=1
                                        ; =>  This Inner Loop Header: Depth=2
	ds_load_b128 v[7:10], v32
	v_add_co_u32 v3, s8, v3, s49
	s_delay_alu instid0(VALU_DEP_1) | instskip(NEXT) | instid1(VALU_DEP_1)
	v_add_co_ci_u32_e64 v4, s8, 0, v4, s8
	v_cmp_le_u64_e64 s8, s[68:69], v[3:4]
	s_waitcnt lgkmcnt(0)
	v_xor_b32_e32 v8, 0x80000000, v8
	v_xor_b32_e32 v10, 0x80000000, v10
	v_and_b32_e32 v11, s84, v7
	v_and_b32_e32 v13, s84, v9
	s_delay_alu instid0(VALU_DEP_4)
	v_lshrrev_b64 v[33:34], s51, v[7:8]
	v_and_b32_e32 v12, s85, v8
	v_and_b32_e32 v14, s85, v10
	v_lshrrev_b64 v[34:35], s51, v[9:10]
	ds_load_b128 v[7:10], v32 offset:16
	v_add_nc_u32_e32 v32, v32, v31
	v_and_b32_e32 v17, 3, v33
	s_delay_alu instid0(VALU_DEP_1)
	v_cmp_eq_u64_e64 s9, 0, v[17:18]
	v_cmp_eq_u64_e64 s13, 1, v[17:18]
	;; [unrolled: 1-line block ×3, first 2 shown]
	s_waitcnt lgkmcnt(0)
	v_xor_b32_e32 v8, 0x80000000, v8
	v_xor_b32_e32 v10, 0x80000000, v10
	v_and_b32_e32 v47, s84, v7
	v_and_b32_e32 v49, s84, v9
	s_delay_alu instid0(VALU_DEP_4)
	v_and_b32_e32 v48, s85, v8
	v_lshrrev_b64 v[7:8], s51, v[7:8]
	v_lshrrev_b64 v[8:9], s51, v[9:10]
	v_and_b32_e32 v50, s85, v10
	v_dual_mov_b32 v10, v18 :: v_dual_and_b32 v9, 3, v34
	v_cmp_eq_u64_e32 vcc_lo, s[82:83], v[11:12]
	v_dual_mov_b32 v12, v18 :: v_dual_and_b32 v11, 3, v7
	v_dual_mov_b32 v8, v18 :: v_dual_and_b32 v7, 3, v8
	v_cmp_eq_u64_e64 s5, s[82:83], v[13:14]
	v_cmp_eq_u64_e64 s10, 0, v[9:10]
	v_cmp_eq_u64_e64 s6, s[82:83], v[47:48]
	v_cmp_eq_u64_e64 s11, 0, v[11:12]
	v_cmp_eq_u64_e64 s7, s[82:83], v[49:50]
	v_cmp_eq_u64_e64 s12, 0, v[7:8]
	s_and_b32 s9, vcc_lo, s9
	s_and_b32 s10, s5, s10
	v_cmp_eq_u64_e64 s16, 1, v[7:8]
	v_cmp_eq_u64_e64 s20, 2, v[7:8]
	;; [unrolled: 1-line block ×3, first 2 shown]
	s_and_b32 s11, s6, s11
	v_cndmask_b32_e64 v7, 0, 1, s9
	v_cndmask_b32_e64 v8, 0, 1, s10
	v_cmp_eq_u64_e64 s14, 1, v[9:10]
	v_cmp_eq_u64_e64 s18, 2, v[9:10]
	;; [unrolled: 1-line block ×3, first 2 shown]
	s_and_b32 s12, s7, s12
	v_cndmask_b32_e64 v9, 0, 1, s11
	v_cndmask_b32_e64 v10, 0, 1, s12
	v_cmp_ne_u32_e64 s9, 0, v7
	v_cmp_ne_u32_e64 s10, 0, v8
	v_cmp_eq_u64_e64 s15, 1, v[11:12]
	v_cmp_ne_u32_e64 s11, 0, v9
	v_cmp_ne_u32_e64 s12, 0, v10
	s_bcnt1_i32_b32 s9, s9
	s_bcnt1_i32_b32 s10, s10
	v_cmp_eq_u64_e64 s19, 2, v[11:12]
	s_bcnt1_i32_b32 s11, s11
	s_add_i32 s9, s10, s9
	s_bcnt1_i32_b32 s12, s12
	s_add_i32 s9, s9, s11
	v_cmp_eq_u64_e64 s23, 3, v[11:12]
	s_add_i32 s9, s9, s12
	s_delay_alu instid0(SALU_CYCLE_1)
	s_add_u32 s94, s94, s9
	s_addc_u32 s95, s95, 0
	s_and_b32 s9, vcc_lo, s13
	s_and_b32 s10, s5, s14
	s_and_b32 s11, s6, s15
	v_cndmask_b32_e64 v7, 0, 1, s9
	v_cndmask_b32_e64 v8, 0, 1, s10
	s_and_b32 s12, s7, s16
	v_cndmask_b32_e64 v9, 0, 1, s11
	v_cndmask_b32_e64 v10, 0, 1, s12
	v_cmp_ne_u32_e64 s9, 0, v7
	v_cmp_ne_u32_e64 s10, 0, v8
	s_delay_alu instid0(VALU_DEP_4) | instskip(NEXT) | instid1(VALU_DEP_4)
	v_cmp_ne_u32_e64 s11, 0, v9
	v_cmp_ne_u32_e64 s12, 0, v10
	s_delay_alu instid0(VALU_DEP_4) | instskip(NEXT) | instid1(VALU_DEP_3)
	s_bcnt1_i32_b32 s9, s9
	s_bcnt1_i32_b32 s10, s10
	s_delay_alu instid0(VALU_DEP_2) | instskip(SKIP_3) | instid1(SALU_CYCLE_1)
	s_bcnt1_i32_b32 s11, s11
	s_add_i32 s9, s10, s9
	s_bcnt1_i32_b32 s12, s12
	s_add_i32 s9, s9, s11
	s_add_i32 s9, s9, s12
	s_delay_alu instid0(SALU_CYCLE_1)
	s_add_u32 s92, s92, s9
	s_addc_u32 s93, s93, 0
	s_and_b32 s9, vcc_lo, s17
	s_and_b32 s10, s5, s18
	s_and_b32 s11, s6, s19
	v_cndmask_b32_e64 v7, 0, 1, s9
	v_cndmask_b32_e64 v8, 0, 1, s10
	s_and_b32 s12, s7, s20
	v_cndmask_b32_e64 v9, 0, 1, s11
	v_cndmask_b32_e64 v10, 0, 1, s12
	v_cmp_ne_u32_e64 s9, 0, v7
	v_cmp_ne_u32_e64 s10, 0, v8
	s_delay_alu instid0(VALU_DEP_4) | instskip(NEXT) | instid1(VALU_DEP_4)
	v_cmp_ne_u32_e64 s11, 0, v9
	v_cmp_ne_u32_e64 s12, 0, v10
	s_delay_alu instid0(VALU_DEP_4) | instskip(NEXT) | instid1(VALU_DEP_3)
	s_bcnt1_i32_b32 s9, s9
	s_bcnt1_i32_b32 s10, s10
	s_delay_alu instid0(VALU_DEP_2) | instskip(SKIP_3) | instid1(SALU_CYCLE_1)
	s_bcnt1_i32_b32 s11, s11
	s_add_i32 s9, s10, s9
	s_bcnt1_i32_b32 s12, s12
	s_add_i32 s9, s9, s11
	s_add_i32 s9, s9, s12
	s_delay_alu instid0(SALU_CYCLE_1)
	s_add_u32 s90, s90, s9
	s_addc_u32 s91, s91, 0
	s_and_b32 s6, s6, s23
	s_and_b32 s7, s7, s24
	v_cndmask_b32_e64 v9, 0, 1, s6
	v_cndmask_b32_e64 v10, 0, 1, s7
	s_and_b32 s5, s5, s22
	v_mov_b32_e32 v11, s90
	v_cndmask_b32_e64 v8, 0, 1, s5
	v_cmp_ne_u32_e64 s6, 0, v9
	v_cmp_ne_u32_e64 s7, 0, v10
	v_dual_mov_b32 v9, s92 :: v_dual_mov_b32 v10, s93
	v_cmp_eq_u64_e64 s21, 3, v[17:18]
	v_cmp_ne_u32_e64 s5, 0, v8
	s_bcnt1_i32_b32 s6, s6
	s_bcnt1_i32_b32 s7, s7
	v_mov_b32_e32 v12, s91
	s_delay_alu instid0(VALU_DEP_3) | instskip(SKIP_2) | instid1(VALU_DEP_1)
	s_and_b32 s9, vcc_lo, s21
	s_bcnt1_i32_b32 s5, s5
	v_cndmask_b32_e64 v7, 0, 1, s9
	v_cmp_ne_u32_e32 vcc_lo, 0, v7
	v_dual_mov_b32 v7, s94 :: v_dual_mov_b32 v8, s95
	s_bcnt1_i32_b32 s9, vcc_lo
	s_delay_alu instid0(SALU_CYCLE_1) | instskip(NEXT) | instid1(SALU_CYCLE_1)
	s_add_i32 s5, s5, s9
	s_add_i32 s5, s5, s6
	s_delay_alu instid0(SALU_CYCLE_1) | instskip(NEXT) | instid1(SALU_CYCLE_1)
	s_add_i32 s5, s5, s7
	s_add_u32 s88, s88, s5
	s_addc_u32 s89, s89, 0
	s_delay_alu instid0(SALU_CYCLE_1) | instskip(SKIP_1) | instid1(SALU_CYCLE_1)
	v_dual_mov_b32 v13, s88 :: v_dual_mov_b32 v14, s89
	s_or_b32 s87, s8, s87
	s_and_not1_b32 exec_lo, exec_lo, s87
	s_cbranch_execnz .LBB30_87
; %bb.88:                               ;   in Loop: Header=BB30_33 Depth=1
	s_or_b32 exec_lo, exec_lo, s87
.LBB30_89:                              ;   in Loop: Header=BB30_33 Depth=1
	s_delay_alu instid0(SALU_CYCLE_1) | instskip(SKIP_2) | instid1(VALU_DEP_1)
	s_or_b32 exec_lo, exec_lo, s50
	v_add_nc_u32_e32 v17, s68, v0
	s_mov_b32 s12, exec_lo
	v_cmpx_gt_u32_e64 s86, v17
	s_cbranch_execz .LBB30_93
; %bb.90:                               ;   in Loop: Header=BB30_33 Depth=1
	v_dual_mov_b32 v3, v17 :: v_dual_lshlrev_b32 v32, 3, v30
	v_dual_mov_b32 v4, v18 :: v_dual_lshlrev_b32 v31, 3, v17
	s_mov_b32 s11, 0
	s_and_b32 s10, s86, 0x7fffffff
	s_and_b32 s14, s67, 0xfe
	s_mov_b32 s13, s11
.LBB30_91:                              ;   Parent Loop BB30_33 Depth=1
                                        ; =>  This Inner Loop Header: Depth=2
	ds_load_b64 v[33:34], v31
	v_add_co_u32 v3, vcc_lo, v3, v30
	v_add_co_ci_u32_e32 v4, vcc_lo, 0, v4, vcc_lo
	v_add_nc_u32_e32 v31, v31, v32
	s_delay_alu instid0(VALU_DEP_2) | instskip(SKIP_3) | instid1(VALU_DEP_2)
	v_cmp_le_u64_e32 vcc_lo, s[10:11], v[3:4]
	s_waitcnt lgkmcnt(0)
	v_xor_b32_e32 v34, 0x80000000, v34
	v_and_b32_e32 v47, s84, v33
	v_and_b32_e32 v48, s85, v34
	v_lshrrev_b64 v[33:34], s14, v[33:34]
	s_delay_alu instid0(VALU_DEP_2) | instskip(NEXT) | instid1(VALU_DEP_2)
	v_cmp_eq_u64_e64 s5, s[82:83], v[47:48]
	v_and_b32_e32 v17, 3, v33
	s_delay_alu instid0(VALU_DEP_1) | instskip(SKIP_3) | instid1(VALU_DEP_4)
	v_cmp_eq_u64_e64 s6, 0, v[17:18]
	v_cmp_eq_u64_e64 s7, 1, v[17:18]
	;; [unrolled: 1-line block ×4, first 2 shown]
	s_and_b32 s6, s5, s6
	s_delay_alu instid0(SALU_CYCLE_1) | instskip(NEXT) | instid1(VALU_DEP_4)
	v_cndmask_b32_e64 v17, 0, 1, s6
	s_and_b32 s6, s5, s7
	s_delay_alu instid0(SALU_CYCLE_1)
	v_cndmask_b32_e64 v33, 0, 1, s6
	s_and_b32 s6, s5, s8
	s_and_b32 s5, s5, s9
	v_cndmask_b32_e64 v34, 0, 1, s6
	v_cndmask_b32_e64 v35, 0, 1, s5
	v_cmp_ne_u32_e64 s5, 0, v17
	v_cmp_ne_u32_e64 s6, 0, v33
	s_delay_alu instid0(VALU_DEP_4) | instskip(NEXT) | instid1(VALU_DEP_4)
	v_cmp_ne_u32_e64 s7, 0, v34
	v_cmp_ne_u32_e64 s8, 0, v35
	s_delay_alu instid0(VALU_DEP_4) | instskip(NEXT) | instid1(VALU_DEP_3)
	s_bcnt1_i32_b32 s5, s5
	s_bcnt1_i32_b32 s6, s6
	v_add_co_u32 v7, s5, v7, s5
	s_delay_alu instid0(VALU_DEP_1)
	v_add_co_ci_u32_e64 v8, s5, 0, v8, s5
	v_add_co_u32 v9, s5, v9, s6
	s_bcnt1_i32_b32 s7, s7
	v_add_co_ci_u32_e64 v10, s5, 0, v10, s5
	v_add_co_u32 v11, s5, v11, s7
	s_bcnt1_i32_b32 s8, s8
	v_add_co_ci_u32_e64 v12, s5, 0, v12, s5
	v_add_co_u32 v13, s5, v13, s8
	s_delay_alu instid0(VALU_DEP_1) | instskip(SKIP_1) | instid1(SALU_CYCLE_1)
	v_add_co_ci_u32_e64 v14, s5, 0, v14, s5
	s_or_b32 s13, vcc_lo, s13
	s_and_not1_b32 exec_lo, exec_lo, s13
	s_cbranch_execnz .LBB30_91
; %bb.92:                               ;   in Loop: Header=BB30_33 Depth=1
	s_or_b32 exec_lo, exec_lo, s13
.LBB30_93:                              ;   in Loop: Header=BB30_33 Depth=1
	s_delay_alu instid0(SALU_CYCLE_1)
	s_or_b32 exec_lo, exec_lo, s12
.LBB30_94:                              ;   in Loop: Header=BB30_33 Depth=1
	s_lshl_b32 s5, s59, 7
	s_and_saveexec_b32 s6, s2
	s_cbranch_execz .LBB30_96
; %bb.95:                               ;   in Loop: Header=BB30_33 Depth=1
	v_or_b32_e32 v3, s5, v39
	s_delay_alu instid0(VALU_DEP_1)
	v_lshlrev_b32_e32 v3, 3, v3
	ds_store_b128 v3, v[7:10] offset:3072
	ds_store_b128 v3, v[11:14] offset:3088
.LBB30_96:                              ;   in Loop: Header=BB30_33 Depth=1
	s_or_b32 exec_lo, exec_lo, s6
	s_waitcnt vmcnt(0) lgkmcnt(0)
	s_barrier
	buffer_gl0_inv
	s_and_saveexec_b32 s6, s33
	s_cbranch_execz .LBB30_107
; %bb.97:                               ;   in Loop: Header=BB30_33 Depth=1
	v_mov_b32_e32 v3, 0
	v_mov_b32_e32 v4, 0
	s_and_not1_b32 vcc_lo, exec_lo, s103
	s_cbranch_vccnz .LBB30_106
; %bb.98:                               ;   in Loop: Header=BB30_33 Depth=1
	v_mov_b32_e32 v3, 0
	v_mov_b32_e32 v4, 0
	s_and_not1_b32 vcc_lo, exec_lo, s101
	s_cbranch_vccnz .LBB30_103
; %bb.99:                               ;   in Loop: Header=BB30_33 Depth=1
	v_lshl_add_u32 v7, s59, 10, v45
	s_mov_b32 s7, 0
	s_set_inst_prefetch_distance 0x1
	.p2align	6
.LBB30_100:                             ;   Parent Loop BB30_33 Depth=1
                                        ; =>  This Inner Loop Header: Depth=2
	ds_load_2addr_b64 v[8:11], v7 offset1:4
	ds_load_2addr_b64 v[30:33], v7 offset0:8 offset1:12
	ds_load_2addr_b64 v[47:50], v7 offset0:16 offset1:20
	s_add_i32 s7, s7, 8
	s_delay_alu instid0(SALU_CYCLE_1) | instskip(SKIP_3) | instid1(VALU_DEP_2)
	s_cmp_eq_u32 s102, s7
	s_waitcnt lgkmcnt(2)
	v_add_co_u32 v3, vcc_lo, v8, v3
	v_add_co_ci_u32_e32 v4, vcc_lo, v9, v4, vcc_lo
	v_add_co_u32 v3, vcc_lo, v10, v3
	s_delay_alu instid0(VALU_DEP_2)
	v_add_co_ci_u32_e32 v4, vcc_lo, v11, v4, vcc_lo
	ds_load_2addr_b64 v[8:11], v7 offset0:24 offset1:28
	s_waitcnt lgkmcnt(2)
	v_add_co_u32 v3, vcc_lo, v30, v3
	v_add_co_ci_u32_e32 v4, vcc_lo, v31, v4, vcc_lo
	v_add_nc_u32_e32 v7, 0x100, v7
	s_delay_alu instid0(VALU_DEP_3) | instskip(NEXT) | instid1(VALU_DEP_3)
	v_add_co_u32 v3, vcc_lo, v32, v3
	v_add_co_ci_u32_e32 v4, vcc_lo, v33, v4, vcc_lo
	s_waitcnt lgkmcnt(1)
	s_delay_alu instid0(VALU_DEP_2) | instskip(NEXT) | instid1(VALU_DEP_2)
	v_add_co_u32 v3, vcc_lo, v47, v3
	v_add_co_ci_u32_e32 v4, vcc_lo, v48, v4, vcc_lo
	s_delay_alu instid0(VALU_DEP_2) | instskip(NEXT) | instid1(VALU_DEP_2)
	v_add_co_u32 v3, vcc_lo, v49, v3
	v_add_co_ci_u32_e32 v4, vcc_lo, v50, v4, vcc_lo
	s_waitcnt lgkmcnt(0)
	s_delay_alu instid0(VALU_DEP_2) | instskip(NEXT) | instid1(VALU_DEP_2)
	v_add_co_u32 v3, vcc_lo, v8, v3
	v_add_co_ci_u32_e32 v4, vcc_lo, v9, v4, vcc_lo
	s_delay_alu instid0(VALU_DEP_2) | instskip(NEXT) | instid1(VALU_DEP_2)
	v_add_co_u32 v3, vcc_lo, v10, v3
	v_add_co_ci_u32_e32 v4, vcc_lo, v11, v4, vcc_lo
	s_cbranch_scc0 .LBB30_100
; %bb.101:                              ;   in Loop: Header=BB30_33 Depth=1
	s_set_inst_prefetch_distance 0x2
	s_mov_b32 s7, s102
	s_and_not1_b32 vcc_lo, exec_lo, s104
	s_cbranch_vccz .LBB30_104
	s_branch .LBB30_106
.LBB30_102:                             ;   in Loop: Header=BB30_33 Depth=1
                                        ; implicit-def: $vgpr3_vgpr4
	s_branch .LBB30_70
.LBB30_103:                             ;   in Loop: Header=BB30_33 Depth=1
	s_mov_b32 s7, 0
	s_and_not1_b32 vcc_lo, exec_lo, s104
	s_cbranch_vccnz .LBB30_106
.LBB30_104:                             ;   in Loop: Header=BB30_33 Depth=1
	s_lshl_b32 s8, s59, 10
	s_lshl_b32 s7, s7, 5
	s_delay_alu instid0(SALU_CYCLE_1)
	v_add3_u32 v7, s8, s7, v45
	s_mov_b32 s7, s100
.LBB30_105:                             ;   Parent Loop BB30_33 Depth=1
                                        ; =>  This Inner Loop Header: Depth=2
	ds_load_b64 v[8:9], v7
	v_add_nc_u32_e32 v7, 32, v7
	s_add_i32 s7, s7, -1
	s_delay_alu instid0(SALU_CYCLE_1)
	s_cmp_lg_u32 s7, 0
	s_waitcnt lgkmcnt(0)
	v_add_co_u32 v3, vcc_lo, v8, v3
	v_add_co_ci_u32_e32 v4, vcc_lo, v9, v4, vcc_lo
	s_cbranch_scc1 .LBB30_105
.LBB30_106:                             ;   in Loop: Header=BB30_33 Depth=1
	v_add_lshl_u32 v7, s5, v36, 3
	ds_store_b64 v7, v[3:4] offset:3072
.LBB30_107:                             ;   in Loop: Header=BB30_33 Depth=1
	s_or_b32 exec_lo, exec_lo, s6
	s_lshl_b32 s5, s5, 3
	s_waitcnt lgkmcnt(0)
	v_mov_b32_e32 v3, s5
	s_barrier
	buffer_gl0_inv
	s_and_b32 s23, s67, 0xfe
	s_mov_b32 s49, -1
	ds_load_b128 v[7:10], v3 offset:3072
	ds_load_b128 v[11:14], v3 offset:3088
	s_lshl_b64 s[8:9], 3, s23
	s_delay_alu instid0(SALU_CYCLE_1)
	s_not_b64 s[12:13], s[8:9]
	s_waitcnt lgkmcnt(1)
	v_readfirstlane_b32 s17, v8
	v_readfirstlane_b32 s16, v7
	;; [unrolled: 1-line block ×4, first 2 shown]
	s_waitcnt lgkmcnt(0)
	v_readfirstlane_b32 s10, v11
	v_readfirstlane_b32 s11, v12
	s_cmp_eq_u64 s[16:17], 1
	v_readfirstlane_b32 s6, v13
	s_cselect_b32 s5, -1, 0
	s_cmp_eq_u64 s[38:39], 1
	s_cselect_b32 s7, -1, 0
	s_delay_alu instid0(SALU_CYCLE_1)
	s_and_b32 s50, s5, s7
	v_readfirstlane_b32 s7, v14
	s_and_b32 vcc_lo, exec_lo, s50
	s_cbranch_vccz .LBB30_122
; %bb.108:                              ;   in Loop: Header=BB30_33 Depth=1
	ds_load_b64 v[3:4], v18 offset:5120
	s_waitcnt lgkmcnt(0)
	s_barrier
	buffer_gl0_inv
	v_readfirstlane_b32 s18, v3
	v_readfirstlane_b32 s19, v4
	s_and_saveexec_b32 s5, s3
	s_cbranch_execz .LBB30_110
; %bb.109:                              ;   in Loop: Header=BB30_33 Depth=1
	v_mov_b32_e32 v17, v18
	ds_store_b64 v38, v[17:18]
.LBB30_110:                             ;   in Loop: Header=BB30_33 Depth=1
	s_or_b32 exec_lo, exec_lo, s5
	s_delay_alu instid0(VALU_DEP_1)
	v_cmp_lt_i64_e64 s5, s[18:19], 1
	s_and_b64 s[82:83], s[82:83], s[12:13]
	s_or_b64 s[84:85], s[84:85], s[8:9]
	s_waitcnt lgkmcnt(0)
	s_barrier
	buffer_gl0_inv
	s_and_b32 vcc_lo, exec_lo, s5
	s_cbranch_vccz .LBB30_123
; %bb.111:                              ;   in Loop: Header=BB30_33 Depth=1
	s_mov_b32 s24, s69
	s_delay_alu instid0(SALU_CYCLE_1)
	s_cmp_lg_u64 s[24:25], 0
	s_cbranch_scc0 .LBB30_168
; %bb.112:                              ;   in Loop: Header=BB30_33 Depth=1
	v_cvt_f32_u32_e32 v3, s27
	s_sub_u32 s21, 0, s27
	s_subb_u32 s22, 0, 0
	s_delay_alu instid0(VALU_DEP_1) | instskip(NEXT) | instid1(VALU_DEP_1)
	v_fmac_f32_e32 v3, 0x4f800000, v46
	v_rcp_f32_e32 v3, v3
	s_waitcnt_depctr 0xfff
	v_mul_f32_e32 v3, 0x5f7ffffc, v3
	s_delay_alu instid0(VALU_DEP_1) | instskip(NEXT) | instid1(VALU_DEP_1)
	v_mul_f32_e32 v4, 0x2f800000, v3
	v_trunc_f32_e32 v4, v4
	s_delay_alu instid0(VALU_DEP_1) | instskip(SKIP_1) | instid1(VALU_DEP_2)
	v_fmac_f32_e32 v3, 0xcf800000, v4
	v_cvt_u32_f32_e32 v4, v4
	v_cvt_u32_f32_e32 v3, v3
	s_delay_alu instid0(VALU_DEP_2) | instskip(NEXT) | instid1(VALU_DEP_2)
	v_readfirstlane_b32 s5, v4
	v_readfirstlane_b32 s20, v3
	s_delay_alu instid0(VALU_DEP_2) | instskip(NEXT) | instid1(VALU_DEP_1)
	s_mul_i32 s24, s21, s5
	s_mul_hi_u32 s68, s21, s20
	s_mul_i32 s51, s22, s20
	s_add_i32 s24, s68, s24
	s_mul_i32 s86, s21, s20
	s_add_i32 s24, s24, s51
	s_mul_hi_u32 s68, s20, s86
	s_mul_hi_u32 s87, s5, s86
	s_mul_i32 s51, s5, s86
	s_mul_hi_u32 s86, s20, s24
	s_mul_i32 s20, s20, s24
	s_mul_hi_u32 s88, s5, s24
	s_add_u32 s20, s68, s20
	s_addc_u32 s68, 0, s86
	s_add_u32 s20, s20, s51
	s_mul_i32 s24, s5, s24
	s_addc_u32 s20, s68, s87
	s_addc_u32 s51, s88, 0
	s_add_u32 s20, s20, s24
	s_addc_u32 s24, 0, s51
	v_add_co_u32 v3, s20, v3, s20
	s_delay_alu instid0(VALU_DEP_1) | instskip(SKIP_1) | instid1(VALU_DEP_1)
	s_cmp_lg_u32 s20, 0
	s_addc_u32 s5, s5, s24
	v_readfirstlane_b32 s20, v3
	s_mul_i32 s24, s21, s5
	s_delay_alu instid0(VALU_DEP_1)
	s_mul_hi_u32 s51, s21, s20
	s_mul_i32 s22, s22, s20
	s_add_i32 s24, s51, s24
	s_mul_i32 s21, s21, s20
	s_add_i32 s24, s24, s22
	s_mul_hi_u32 s51, s5, s21
	s_mul_i32 s68, s5, s21
	s_mul_hi_u32 s21, s20, s21
	s_mul_hi_u32 s86, s20, s24
	s_mul_i32 s20, s20, s24
	s_mul_hi_u32 s22, s5, s24
	s_add_u32 s20, s21, s20
	s_addc_u32 s21, 0, s86
	s_add_u32 s20, s20, s68
	s_mul_i32 s24, s5, s24
	s_addc_u32 s20, s21, s51
	s_addc_u32 s21, s22, 0
	s_add_u32 s20, s20, s24
	s_addc_u32 s21, 0, s21
	v_add_co_u32 v3, s20, v3, s20
	s_delay_alu instid0(VALU_DEP_1) | instskip(SKIP_2) | instid1(VALU_DEP_1)
	s_cmp_lg_u32 s20, 0
	s_addc_u32 s5, s5, s21
	s_ashr_i32 s20, s25, 31
	v_readfirstlane_b32 s22, v3
	s_add_u32 s86, s99, s20
	s_mov_b32 s21, s20
	s_addc_u32 s87, s25, s20
	s_delay_alu instid0(SALU_CYCLE_1) | instskip(NEXT) | instid1(SALU_CYCLE_1)
	s_xor_b64 s[86:87], s[86:87], s[20:21]
	s_mul_i32 s24, s86, s5
	s_mul_hi_u32 s51, s86, s22
	s_mul_hi_u32 s21, s86, s5
	;; [unrolled: 1-line block ×3, first 2 shown]
	s_mul_i32 s22, s87, s22
	s_add_u32 s24, s51, s24
	s_addc_u32 s21, 0, s21
	s_mul_hi_u32 s68, s87, s5
	s_add_u32 s22, s24, s22
	s_mul_i32 s5, s87, s5
	s_addc_u32 s21, s21, s88
	s_addc_u32 s22, s68, 0
	s_add_u32 s5, s21, s5
	s_addc_u32 s21, 0, s22
	s_mul_hi_u32 s22, s27, s5
	s_mul_i32 s5, s27, s5
	s_mul_i32 s21, s27, s21
	v_sub_co_u32 v3, s5, s86, s5
	s_add_i32 s22, s22, s21
	s_cmp_lg_u32 s5, 0
	s_delay_alu instid0(VALU_DEP_1) | instskip(SKIP_2) | instid1(VALU_DEP_1)
	v_sub_co_u32 v4, s5, v3, s27
	s_subb_u32 s21, s87, s22
	s_cmp_lg_u32 s5, 0
	v_cmp_le_u32_e32 vcc_lo, s27, v4
	v_sub_co_u32 v5, s5, v4, s27
	s_subb_u32 s22, s21, 0
	s_cmp_lg_u32 s5, 0
	v_cmp_le_u32_e64 s5, s27, v3
	s_subb_u32 s24, s22, 0
	v_cndmask_b32_e64 v6, 0, -1, vcc_lo
	s_cmp_eq_u32 s22, 0
	s_cselect_b32 vcc_lo, -1, 0
	v_cndmask_b32_e64 v7, 0, -1, s5
	s_delay_alu instid0(VALU_DEP_2) | instskip(SKIP_2) | instid1(VALU_DEP_1)
	v_cndmask_b32_e32 v6, -1, v6, vcc_lo
	s_cmp_eq_u32 s21, 0
	s_cselect_b32 vcc_lo, -1, 0
	v_cmp_ne_u32_e64 s5, 0, v6
	v_dual_cndmask_b32 v6, -1, v7 :: v_dual_mov_b32 v7, s24
	s_delay_alu instid0(VALU_DEP_2) | instskip(NEXT) | instid1(VALU_DEP_2)
	v_cndmask_b32_e64 v4, v4, v5, s5
	v_cmp_ne_u32_e32 vcc_lo, 0, v6
	s_delay_alu instid0(VALU_DEP_3) | instskip(NEXT) | instid1(VALU_DEP_3)
	v_cndmask_b32_e64 v5, s22, v7, s5
	v_cndmask_b32_e32 v3, v3, v4, vcc_lo
	s_delay_alu instid0(VALU_DEP_2) | instskip(NEXT) | instid1(VALU_DEP_2)
	v_cndmask_b32_e32 v4, s21, v5, vcc_lo
	v_xor_b32_e32 v3, s20, v3
	s_delay_alu instid0(VALU_DEP_2) | instskip(NEXT) | instid1(VALU_DEP_2)
	v_xor_b32_e32 v4, s20, v4
	v_sub_co_u32 v3, vcc_lo, v3, s20
	s_delay_alu instid0(VALU_DEP_2)
	v_subrev_co_ci_u32_e32 v4, vcc_lo, s20, v4, vcc_lo
	s_cbranch_execnz .LBB30_114
.LBB30_113:                             ;   in Loop: Header=BB30_33 Depth=1
	v_cvt_f32_u32_e32 v3, s27
	s_sub_i32 s5, 0, s27
	s_delay_alu instid0(VALU_DEP_1) | instskip(SKIP_2) | instid1(VALU_DEP_1)
	v_rcp_iflag_f32_e32 v3, v3
	s_waitcnt_depctr 0xfff
	v_mul_f32_e32 v3, 0x4f7ffffe, v3
	v_cvt_u32_f32_e32 v3, v3
	s_delay_alu instid0(VALU_DEP_1) | instskip(NEXT) | instid1(VALU_DEP_1)
	v_mul_lo_u32 v4, s5, v3
	v_mul_hi_u32 v4, v3, v4
	s_delay_alu instid0(VALU_DEP_1) | instskip(NEXT) | instid1(VALU_DEP_1)
	v_add_nc_u32_e32 v3, v3, v4
	v_mul_hi_u32 v3, s99, v3
	s_delay_alu instid0(VALU_DEP_1) | instskip(NEXT) | instid1(VALU_DEP_1)
	v_mul_lo_u32 v3, v3, s27
	v_sub_nc_u32_e32 v3, s99, v3
	s_delay_alu instid0(VALU_DEP_1) | instskip(SKIP_1) | instid1(VALU_DEP_2)
	v_subrev_nc_u32_e32 v4, s27, v3
	v_cmp_le_u32_e32 vcc_lo, s27, v3
	v_cndmask_b32_e32 v3, v3, v4, vcc_lo
	s_delay_alu instid0(VALU_DEP_1) | instskip(SKIP_1) | instid1(VALU_DEP_2)
	v_subrev_nc_u32_e32 v4, s27, v3
	v_cmp_le_u32_e32 vcc_lo, s27, v3
	v_cndmask_b32_e32 v17, v3, v4, vcc_lo
	s_delay_alu instid0(VALU_DEP_1)
	v_dual_mov_b32 v3, v17 :: v_dual_mov_b32 v4, v18
.LBB30_114:                             ;   in Loop: Header=BB30_33 Depth=1
	s_delay_alu instid0(VALU_DEP_1) | instskip(NEXT) | instid1(VALU_DEP_2)
	v_sub_co_u32 v7, vcc_lo, s99, v3
	v_sub_co_ci_u32_e32 v8, vcc_lo, s25, v4, vcc_lo
	s_mov_b32 s5, 0
	s_mov_b32 s20, exec_lo
                                        ; implicit-def: $vgpr5_vgpr6
	s_delay_alu instid0(VALU_DEP_1)
	v_cmpx_gt_i64_e64 v[7:8], v[0:1]
	s_cbranch_execz .LBB30_125
; %bb.115:                              ;   in Loop: Header=BB30_33 Depth=1
	v_dual_mov_b32 v9, v15 :: v_dual_mov_b32 v10, v16
	v_dual_mov_b32 v12, v1 :: v_dual_mov_b32 v11, v0
	s_mov_b32 s21, 0
                                        ; implicit-def: $sgpr5
	s_set_inst_prefetch_distance 0x1
	s_branch .LBB30_117
	.p2align	6
.LBB30_116:                             ;   in Loop: Header=BB30_117 Depth=2
	s_or_b32 exec_lo, exec_lo, s22
	s_waitcnt vmcnt(0) lgkmcnt(0)
	s_barrier
	buffer_gl0_inv
	ds_load_b128 v[3:6], v18 offset:3072
	v_add_co_u32 v11, vcc_lo, v11, s27
	v_add_co_ci_u32_e32 v12, vcc_lo, 0, v12, vcc_lo
	s_waitcnt lgkmcnt(0)
	s_barrier
	buffer_gl0_inv
	v_cmp_ge_i64_e32 vcc_lo, v[11:12], v[7:8]
	v_readfirstlane_b32 s87, v4
	v_readfirstlane_b32 s86, v3
	s_delay_alu instid0(VALU_DEP_1) | instskip(SKIP_1) | instid1(SALU_CYCLE_1)
	s_cmp_lg_u64 s[86:87], 0
	s_cselect_b32 s22, -1, 0
	s_or_b32 s24, s22, vcc_lo
	v_add_co_u32 v9, vcc_lo, v9, s70
	s_and_b32 s24, exec_lo, s24
	v_add_co_ci_u32_e32 v10, vcc_lo, s71, v10, vcc_lo
	s_or_b32 s21, s24, s21
	s_and_not1_b32 s5, s5, exec_lo
	s_and_b32 s22, s22, exec_lo
	s_delay_alu instid0(SALU_CYCLE_1)
	s_or_b32 s5, s5, s22
	s_and_not1_b32 exec_lo, exec_lo, s21
	s_cbranch_execz .LBB30_124
.LBB30_117:                             ;   Parent Loop BB30_33 Depth=1
                                        ; =>  This Inner Loop Header: Depth=2
	s_delay_alu instid0(VALU_DEP_1)
	v_cmp_gt_i64_e32 vcc_lo, s[36:37], v[11:12]
	v_mov_b32_e32 v4, 0
	v_mov_b32_e32 v5, 0
	s_and_saveexec_b32 s22, vcc_lo
	s_cbranch_execz .LBB30_119
; %bb.118:                              ;   in Loop: Header=BB30_117 Depth=2
	global_load_b64 v[4:5], v[9:10], off
.LBB30_119:                             ;   in Loop: Header=BB30_117 Depth=2
	s_or_b32 exec_lo, exec_lo, s22
	s_and_saveexec_b32 s22, vcc_lo
	s_cbranch_execz .LBB30_116
; %bb.120:                              ;   in Loop: Header=BB30_117 Depth=2
	s_waitcnt vmcnt(0)
	v_xor_b32_e32 v3, 0x80000000, v5
	v_and_b32_e32 v13, s84, v4
	s_delay_alu instid0(VALU_DEP_2) | instskip(NEXT) | instid1(VALU_DEP_1)
	v_and_b32_e32 v14, s85, v3
	v_cmp_eq_u64_e32 vcc_lo, s[82:83], v[13:14]
	s_and_b32 exec_lo, exec_lo, vcc_lo
	s_cbranch_execz .LBB30_116
; %bb.121:                              ;   in Loop: Header=BB30_117 Depth=2
	v_mov_b32_e32 v3, v18
	ds_store_b128 v18, v[2:5] offset:3072
	s_branch .LBB30_116
.LBB30_122:                             ;   in Loop: Header=BB30_33 Depth=1
	s_mov_b32 s5, -1
                                        ; implicit-def: $sgpr20
                                        ; implicit-def: $sgpr22
                                        ; implicit-def: $sgpr21
	s_branch .LBB30_139
.LBB30_123:                             ;   in Loop: Header=BB30_33 Depth=1
	s_mov_b32 s20, -1
	s_mov_b32 s5, 0
                                        ; implicit-def: $sgpr21
                                        ; implicit-def: $vgpr5_vgpr6
	s_mov_b32 s22, s20
	s_cbranch_execnz .LBB30_126
	s_branch .LBB30_139
.LBB30_124:                             ;   in Loop: Header=BB30_33 Depth=1
	s_set_inst_prefetch_distance 0x2
	s_or_b32 exec_lo, exec_lo, s21
	s_delay_alu instid0(SALU_CYCLE_1)
	s_and_b32 s5, s5, exec_lo
.LBB30_125:                             ;   in Loop: Header=BB30_33 Depth=1
	s_or_b32 exec_lo, exec_lo, s20
	s_mov_b32 s21, -1
	s_mov_b32 s20, 0
	s_delay_alu instid0(SALU_CYCLE_1)
	s_mov_b32 s22, s20
	s_branch .LBB30_139
.LBB30_126:                             ;   in Loop: Header=BB30_33 Depth=1
	s_add_u32 s22, s97, s18
	s_addc_u32 s21, s98, s19
	s_mov_b32 s20, s69
	s_delay_alu instid0(SALU_CYCLE_1)
	s_cmp_lg_u64 s[20:21], 0
	s_cbranch_scc0 .LBB30_169
; %bb.127:                              ;   in Loop: Header=BB30_33 Depth=1
	v_cvt_f32_u32_e32 v3, s27
	s_sub_u32 s24, 0, s27
	s_subb_u32 s51, 0, 0
	s_delay_alu instid0(VALU_DEP_1) | instskip(NEXT) | instid1(VALU_DEP_1)
	v_fmac_f32_e32 v3, 0x4f800000, v46
	v_rcp_f32_e32 v3, v3
	s_waitcnt_depctr 0xfff
	v_mul_f32_e32 v3, 0x5f7ffffc, v3
	s_delay_alu instid0(VALU_DEP_1) | instskip(NEXT) | instid1(VALU_DEP_1)
	v_mul_f32_e32 v4, 0x2f800000, v3
	v_trunc_f32_e32 v4, v4
	s_delay_alu instid0(VALU_DEP_1) | instskip(SKIP_1) | instid1(VALU_DEP_2)
	v_fmac_f32_e32 v3, 0xcf800000, v4
	v_cvt_u32_f32_e32 v4, v4
	v_cvt_u32_f32_e32 v3, v3
	s_delay_alu instid0(VALU_DEP_2) | instskip(NEXT) | instid1(VALU_DEP_2)
	v_readfirstlane_b32 s5, v4
	v_readfirstlane_b32 s20, v3
	s_delay_alu instid0(VALU_DEP_2) | instskip(NEXT) | instid1(VALU_DEP_1)
	s_mul_i32 s68, s24, s5
	s_mul_hi_u32 s87, s24, s20
	s_mul_i32 s86, s51, s20
	s_add_i32 s68, s87, s68
	s_mul_i32 s88, s24, s20
	s_add_i32 s68, s68, s86
	s_mul_hi_u32 s87, s20, s88
	s_mul_hi_u32 s89, s5, s88
	s_mul_i32 s86, s5, s88
	s_mul_hi_u32 s88, s20, s68
	s_mul_i32 s20, s20, s68
	s_mul_hi_u32 s90, s5, s68
	s_add_u32 s20, s87, s20
	s_addc_u32 s87, 0, s88
	s_add_u32 s20, s20, s86
	s_mul_i32 s68, s5, s68
	s_addc_u32 s20, s87, s89
	s_addc_u32 s86, s90, 0
	s_add_u32 s20, s20, s68
	s_addc_u32 s68, 0, s86
	v_add_co_u32 v3, s20, v3, s20
	s_delay_alu instid0(VALU_DEP_1) | instskip(SKIP_1) | instid1(VALU_DEP_1)
	s_cmp_lg_u32 s20, 0
	s_addc_u32 s5, s5, s68
	v_readfirstlane_b32 s20, v3
	s_mul_i32 s68, s24, s5
	s_delay_alu instid0(VALU_DEP_1)
	s_mul_hi_u32 s86, s24, s20
	s_mul_i32 s51, s51, s20
	s_add_i32 s68, s86, s68
	s_mul_i32 s24, s24, s20
	s_add_i32 s68, s68, s51
	s_mul_hi_u32 s86, s5, s24
	s_mul_i32 s87, s5, s24
	s_mul_hi_u32 s24, s20, s24
	s_mul_hi_u32 s88, s20, s68
	s_mul_i32 s20, s20, s68
	s_mul_hi_u32 s51, s5, s68
	s_add_u32 s20, s24, s20
	s_addc_u32 s24, 0, s88
	s_add_u32 s20, s20, s87
	s_mul_i32 s68, s5, s68
	s_addc_u32 s20, s24, s86
	s_addc_u32 s24, s51, 0
	s_add_u32 s20, s20, s68
	s_addc_u32 s24, 0, s24
	v_add_co_u32 v3, s20, v3, s20
	s_delay_alu instid0(VALU_DEP_1) | instskip(SKIP_2) | instid1(VALU_DEP_1)
	s_cmp_lg_u32 s20, 0
	s_addc_u32 s5, s5, s24
	s_ashr_i32 s86, s21, 31
	v_readfirstlane_b32 s20, v3
	s_add_u32 s88, s22, s86
	s_mov_b32 s87, s86
	s_addc_u32 s89, s21, s86
	s_delay_alu instid0(SALU_CYCLE_1) | instskip(NEXT) | instid1(SALU_CYCLE_1)
	s_xor_b64 s[88:89], s[88:89], s[86:87]
	s_mul_i32 s51, s88, s5
	s_mul_hi_u32 s68, s88, s20
	s_mul_hi_u32 s24, s88, s5
	;; [unrolled: 1-line block ×3, first 2 shown]
	s_mul_i32 s20, s89, s20
	s_add_u32 s51, s68, s51
	s_addc_u32 s24, 0, s24
	s_mul_hi_u32 s87, s89, s5
	s_add_u32 s20, s51, s20
	s_mul_i32 s5, s89, s5
	s_addc_u32 s20, s24, s90
	s_addc_u32 s24, s87, 0
	s_add_u32 s5, s20, s5
	s_addc_u32 s20, 0, s24
	s_mul_hi_u32 s24, s27, s5
	s_mul_i32 s5, s27, s5
	s_mul_i32 s20, s27, s20
	v_sub_co_u32 v3, s5, s88, s5
	s_add_i32 s24, s24, s20
	s_cmp_lg_u32 s5, 0
	s_delay_alu instid0(VALU_DEP_1) | instskip(SKIP_2) | instid1(VALU_DEP_1)
	v_sub_co_u32 v4, s5, v3, s27
	s_subb_u32 s20, s89, s24
	s_cmp_lg_u32 s5, 0
	v_cmp_le_u32_e32 vcc_lo, s27, v4
	v_sub_co_u32 v5, s5, v4, s27
	s_subb_u32 s24, s20, 0
	s_cmp_lg_u32 s5, 0
	v_cmp_le_u32_e64 s5, s27, v3
	s_subb_u32 s51, s24, 0
	v_cndmask_b32_e64 v6, 0, -1, vcc_lo
	s_cmp_eq_u32 s24, 0
	s_cselect_b32 vcc_lo, -1, 0
	v_cndmask_b32_e64 v7, 0, -1, s5
	s_delay_alu instid0(VALU_DEP_2) | instskip(SKIP_2) | instid1(VALU_DEP_1)
	v_cndmask_b32_e32 v6, -1, v6, vcc_lo
	s_cmp_eq_u32 s20, 0
	s_cselect_b32 vcc_lo, -1, 0
	v_cmp_ne_u32_e64 s5, 0, v6
	v_dual_cndmask_b32 v6, -1, v7 :: v_dual_mov_b32 v7, s51
	s_delay_alu instid0(VALU_DEP_2) | instskip(NEXT) | instid1(VALU_DEP_2)
	v_cndmask_b32_e64 v4, v4, v5, s5
	v_cmp_ne_u32_e32 vcc_lo, 0, v6
	s_delay_alu instid0(VALU_DEP_3) | instskip(NEXT) | instid1(VALU_DEP_3)
	v_cndmask_b32_e64 v5, s24, v7, s5
	v_cndmask_b32_e32 v3, v3, v4, vcc_lo
	s_delay_alu instid0(VALU_DEP_2) | instskip(NEXT) | instid1(VALU_DEP_2)
	v_cndmask_b32_e32 v4, s20, v5, vcc_lo
	v_xor_b32_e32 v3, s86, v3
	s_delay_alu instid0(VALU_DEP_2) | instskip(NEXT) | instid1(VALU_DEP_2)
	v_xor_b32_e32 v4, s86, v4
	v_sub_co_u32 v3, vcc_lo, v3, s86
	s_delay_alu instid0(VALU_DEP_2)
	v_subrev_co_ci_u32_e32 v4, vcc_lo, s86, v4, vcc_lo
	s_cbranch_execnz .LBB30_129
.LBB30_128:                             ;   in Loop: Header=BB30_33 Depth=1
	v_cvt_f32_u32_e32 v3, s27
	s_sub_i32 s5, 0, s27
	s_delay_alu instid0(VALU_DEP_1) | instskip(SKIP_2) | instid1(VALU_DEP_1)
	v_rcp_iflag_f32_e32 v3, v3
	s_waitcnt_depctr 0xfff
	v_mul_f32_e32 v3, 0x4f7ffffe, v3
	v_cvt_u32_f32_e32 v3, v3
	s_delay_alu instid0(VALU_DEP_1) | instskip(NEXT) | instid1(VALU_DEP_1)
	v_mul_lo_u32 v4, s5, v3
	v_mul_hi_u32 v4, v3, v4
	s_delay_alu instid0(VALU_DEP_1) | instskip(NEXT) | instid1(VALU_DEP_1)
	v_add_nc_u32_e32 v3, v3, v4
	v_mul_hi_u32 v3, s22, v3
	s_delay_alu instid0(VALU_DEP_1) | instskip(NEXT) | instid1(VALU_DEP_1)
	v_mul_lo_u32 v3, v3, s27
	v_sub_nc_u32_e32 v3, s22, v3
	s_delay_alu instid0(VALU_DEP_1) | instskip(SKIP_1) | instid1(VALU_DEP_2)
	v_subrev_nc_u32_e32 v4, s27, v3
	v_cmp_le_u32_e32 vcc_lo, s27, v3
	v_cndmask_b32_e32 v3, v3, v4, vcc_lo
	s_delay_alu instid0(VALU_DEP_1) | instskip(SKIP_1) | instid1(VALU_DEP_2)
	v_subrev_nc_u32_e32 v4, s27, v3
	v_cmp_le_u32_e32 vcc_lo, s27, v3
	v_cndmask_b32_e32 v17, v3, v4, vcc_lo
	s_delay_alu instid0(VALU_DEP_1)
	v_dual_mov_b32 v3, v17 :: v_dual_mov_b32 v4, v18
.LBB30_129:                             ;   in Loop: Header=BB30_33 Depth=1
	s_delay_alu instid0(VALU_DEP_1) | instskip(NEXT) | instid1(VALU_DEP_2)
	v_sub_co_u32 v7, vcc_lo, s22, v3
	v_sub_co_ci_u32_e32 v8, vcc_lo, s21, v4, vcc_lo
	s_mov_b32 s5, 0
	s_mov_b32 s20, exec_lo
                                        ; implicit-def: $vgpr5_vgpr6
	s_delay_alu instid0(VALU_DEP_1)
	v_cmpx_gt_i64_e64 v[7:8], v[0:1]
	s_cbranch_execz .LBB30_138
; %bb.130:                              ;   in Loop: Header=BB30_33 Depth=1
	v_mov_b32_e32 v11, v37
	v_dual_mov_b32 v10, v1 :: v_dual_mov_b32 v9, v0
	s_mov_b32 s21, 0
                                        ; implicit-def: $sgpr5
	s_set_inst_prefetch_distance 0x1
	s_branch .LBB30_132
	.p2align	6
.LBB30_131:                             ;   in Loop: Header=BB30_132 Depth=2
	s_or_b32 exec_lo, exec_lo, s22
	s_waitcnt lgkmcnt(0)
	s_barrier
	buffer_gl0_inv
	ds_load_b128 v[3:6], v18 offset:3072
	v_add_co_u32 v9, vcc_lo, v9, s27
	v_add_co_ci_u32_e32 v10, vcc_lo, 0, v10, vcc_lo
	s_waitcnt lgkmcnt(0)
	s_barrier
	buffer_gl0_inv
	v_cmp_ge_i64_e32 vcc_lo, v[9:10], v[7:8]
	v_add_nc_u32_e32 v11, vcc_hi, v11
	v_readfirstlane_b32 s87, v4
	v_readfirstlane_b32 s86, v3
	s_delay_alu instid0(VALU_DEP_1) | instskip(SKIP_1) | instid1(SALU_CYCLE_1)
	s_cmp_lg_u64 s[86:87], 0
	s_cselect_b32 s22, -1, 0
	s_or_b32 s24, s22, vcc_lo
	s_delay_alu instid0(SALU_CYCLE_1) | instskip(NEXT) | instid1(SALU_CYCLE_1)
	s_and_b32 s24, exec_lo, s24
	s_or_b32 s21, s24, s21
	s_and_not1_b32 s5, s5, exec_lo
	s_and_b32 s22, s22, exec_lo
	s_delay_alu instid0(SALU_CYCLE_1)
	s_or_b32 s5, s5, s22
	s_and_not1_b32 exec_lo, exec_lo, s21
	s_cbranch_execz .LBB30_137
.LBB30_132:                             ;   Parent Loop BB30_33 Depth=1
                                        ; =>  This Inner Loop Header: Depth=2
	s_delay_alu instid0(VALU_DEP_1)
	v_cmp_gt_i64_e32 vcc_lo, s[18:19], v[9:10]
	v_mov_b32_e32 v4, 0
	v_mov_b32_e32 v5, 0
	s_and_saveexec_b32 s22, vcc_lo
	s_cbranch_execz .LBB30_134
; %bb.133:                              ;   in Loop: Header=BB30_132 Depth=2
	ds_load_b64 v[4:5], v11
.LBB30_134:                             ;   in Loop: Header=BB30_132 Depth=2
	s_or_b32 exec_lo, exec_lo, s22
	s_and_saveexec_b32 s22, vcc_lo
	s_cbranch_execz .LBB30_131
; %bb.135:                              ;   in Loop: Header=BB30_132 Depth=2
	s_waitcnt lgkmcnt(0)
	v_xor_b32_e32 v3, 0x80000000, v5
	v_and_b32_e32 v12, s84, v4
	s_delay_alu instid0(VALU_DEP_2) | instskip(NEXT) | instid1(VALU_DEP_1)
	v_and_b32_e32 v13, s85, v3
	v_cmp_eq_u64_e32 vcc_lo, s[82:83], v[12:13]
	s_and_b32 exec_lo, exec_lo, vcc_lo
	s_cbranch_execz .LBB30_131
; %bb.136:                              ;   in Loop: Header=BB30_132 Depth=2
	v_mov_b32_e32 v3, v18
	ds_store_b128 v18, v[2:5] offset:3072
	s_branch .LBB30_131
.LBB30_137:                             ;   in Loop: Header=BB30_33 Depth=1
	s_set_inst_prefetch_distance 0x2
	s_or_b32 exec_lo, exec_lo, s21
	s_delay_alu instid0(SALU_CYCLE_1)
	s_and_b32 s5, s5, exec_lo
.LBB30_138:                             ;   in Loop: Header=BB30_33 Depth=1
	s_or_b32 exec_lo, exec_lo, s20
	s_mov_b32 s22, -1
	s_mov_b32 s20, 0
	s_mov_b32 s21, 0
.LBB30_139:                             ;   in Loop: Header=BB30_33 Depth=1
	s_and_not1_b32 s18, s60, exec_lo
	s_and_b32 s19, s20, exec_lo
	s_and_not1_b32 s20, s61, exec_lo
	s_or_b32 s60, s18, s19
	s_and_not1_b32 s18, s48, exec_lo
	s_and_b32 s19, s22, exec_lo
	s_and_b32 s21, s21, exec_lo
	s_or_b32 s48, s18, s19
	s_or_b32 s61, s20, s21
	s_and_saveexec_b32 s22, s5
	s_cbranch_execz .LBB30_32
; %bb.140:                              ;   in Loop: Header=BB30_33 Depth=1
	s_xor_b32 s5, s50, -1
	s_delay_alu instid0(SALU_CYCLE_1)
	s_and_not1_b32 vcc_lo, exec_lo, s5
	s_mov_b32 s5, 1
	s_cbranch_vccnz .LBB30_151
; %bb.141:                              ;   in Loop: Header=BB30_33 Depth=1
	v_cmp_gt_i64_e64 s5, s[38:39], s[16:17]
	s_mov_b32 s24, -1
                                        ; implicit-def: $sgpr18_sgpr19
                                        ; implicit-def: $sgpr20_sgpr21
	s_delay_alu instid0(VALU_DEP_1)
	s_and_b32 vcc_lo, exec_lo, s5
                                        ; implicit-def: $sgpr5
	s_cbranch_vccnz .LBB30_147
; %bb.142:                              ;   in Loop: Header=BB30_33 Depth=1
	ds_load_b64 v[3:4], v18 offset:5120
	s_waitcnt lgkmcnt(0)
	v_cmp_ne_u64_e32 vcc_lo, 0, v[3:4]
	s_cbranch_vccnz .LBB30_146
; %bb.143:                              ;   in Loop: Header=BB30_33 Depth=1
	s_and_saveexec_b32 s5, s0
	s_cbranch_execz .LBB30_145
; %bb.144:                              ;   in Loop: Header=BB30_33 Depth=1
	v_dual_mov_b32 v3, s16 :: v_dual_mov_b32 v4, s17
	ds_store_b64 v18, v[3:4] offset:5128
.LBB30_145:                             ;   in Loop: Header=BB30_33 Depth=1
	s_or_b32 exec_lo, exec_lo, s5
	s_waitcnt lgkmcnt(0)
	s_barrier
	buffer_gl0_inv
.LBB30_146:                             ;   in Loop: Header=BB30_33 Depth=1
	s_and_b64 s[18:19], s[82:83], s[12:13]
	s_or_b64 s[20:21], s[84:85], s[8:9]
	s_mov_b32 s24, 0
	s_mov_b32 s5, 8
.LBB30_147:                             ;   in Loop: Header=BB30_33 Depth=1
	s_and_not1_b32 vcc_lo, exec_lo, s24
	s_cbranch_vccnz .LBB30_149
; %bb.148:                              ;   in Loop: Header=BB30_33 Depth=1
	s_sub_u32 s38, s38, s16
	s_subb_u32 s39, s39, s17
	s_mov_b32 s24, -1
	s_mov_b32 s5, 0
	s_mov_b64 s[18:19], s[82:83]
	s_mov_b64 s[20:21], s[84:85]
.LBB30_149:                             ;   in Loop: Header=BB30_33 Depth=1
	s_delay_alu instid0(SALU_CYCLE_1)
	s_mov_b64 s[84:85], s[20:21]
	s_mov_b64 s[82:83], s[18:19]
	s_and_b32 vcc_lo, exec_lo, s24
	s_mov_b32 s20, -1
	s_cbranch_vccnz .LBB30_152
.LBB30_150:                             ;   in Loop: Header=BB30_33 Depth=1
	s_mov_b32 s16, -1
                                        ; implicit-def: $sgpr21
                                        ; implicit-def: $sgpr50
                                        ; implicit-def: $sgpr49
	s_delay_alu instid0(SALU_CYCLE_1) | instskip(NEXT) | instid1(SALU_CYCLE_1)
	s_and_saveexec_b32 s6, s16
	s_xor_b32 s6, exec_lo, s6
	s_cbranch_execz .LBB30_31
	s_branch .LBB30_298
.LBB30_151:                             ;   in Loop: Header=BB30_33 Depth=1
	s_mov_b64 s[38:39], 1
	s_mov_b32 s20, -1
	s_branch .LBB30_150
.LBB30_152:                             ;   in Loop: Header=BB30_33 Depth=1
	s_cmp_eq_u64 s[14:15], 1
	s_mov_b32 s18, -1
	s_cselect_b32 s5, -1, 0
	s_cmp_eq_u64 s[38:39], 1
	s_cselect_b32 s16, -1, 0
	s_delay_alu instid0(SALU_CYCLE_1) | instskip(NEXT) | instid1(SALU_CYCLE_1)
	s_and_b32 s68, s5, s16
	s_and_b32 vcc_lo, exec_lo, s68
	s_cbranch_vccz .LBB30_167
; %bb.153:                              ;   in Loop: Header=BB30_33 Depth=1
	ds_load_b64 v[3:4], v18 offset:5120
	s_waitcnt lgkmcnt(0)
	s_barrier
	buffer_gl0_inv
	v_readfirstlane_b32 s16, v3
	v_readfirstlane_b32 s17, v4
	s_and_saveexec_b32 s5, s3
	s_cbranch_execz .LBB30_155
; %bb.154:                              ;   in Loop: Header=BB30_33 Depth=1
	v_mov_b32_e32 v17, v18
	ds_store_b64 v38, v[17:18]
.LBB30_155:                             ;   in Loop: Header=BB30_33 Depth=1
	s_or_b32 exec_lo, exec_lo, s5
	s_delay_alu instid0(VALU_DEP_1)
	v_cmp_gt_i64_e64 s5, s[16:17], 0
	s_lshl_b64 s[18:19], 1, s23
	s_and_b64 s[50:51], s[82:83], s[12:13]
	s_or_b64 s[84:85], s[84:85], s[8:9]
	s_or_b64 s[82:83], s[50:51], s[18:19]
	s_waitcnt lgkmcnt(0)
	s_and_b32 vcc_lo, exec_lo, s5
	s_barrier
	buffer_gl0_inv
	s_cbranch_vccnz .LBB30_170
; %bb.156:                              ;   in Loop: Header=BB30_33 Depth=1
	s_mov_b32 s24, s69
	s_delay_alu instid0(SALU_CYCLE_1)
	s_cmp_lg_u64 s[24:25], 0
	s_cbranch_scc0 .LBB30_215
; %bb.157:                              ;   in Loop: Header=BB30_33 Depth=1
	v_cvt_f32_u32_e32 v3, s27
	s_sub_u32 s19, 0, s27
	s_subb_u32 s21, 0, 0
	s_delay_alu instid0(VALU_DEP_1) | instskip(NEXT) | instid1(VALU_DEP_1)
	v_fmac_f32_e32 v3, 0x4f800000, v46
	v_rcp_f32_e32 v3, v3
	s_waitcnt_depctr 0xfff
	v_mul_f32_e32 v3, 0x5f7ffffc, v3
	s_delay_alu instid0(VALU_DEP_1) | instskip(NEXT) | instid1(VALU_DEP_1)
	v_mul_f32_e32 v4, 0x2f800000, v3
	v_trunc_f32_e32 v4, v4
	s_delay_alu instid0(VALU_DEP_1) | instskip(SKIP_1) | instid1(VALU_DEP_2)
	v_fmac_f32_e32 v3, 0xcf800000, v4
	v_cvt_u32_f32_e32 v4, v4
	v_cvt_u32_f32_e32 v3, v3
	s_delay_alu instid0(VALU_DEP_2) | instskip(NEXT) | instid1(VALU_DEP_2)
	v_readfirstlane_b32 s5, v4
	v_readfirstlane_b32 s18, v3
	s_delay_alu instid0(VALU_DEP_2) | instskip(NEXT) | instid1(VALU_DEP_1)
	s_mul_i32 s24, s19, s5
	s_mul_hi_u32 s50, s19, s18
	s_mul_i32 s49, s21, s18
	s_add_i32 s24, s50, s24
	s_mul_i32 s51, s19, s18
	s_add_i32 s24, s24, s49
	s_mul_hi_u32 s50, s18, s51
	s_mul_hi_u32 s86, s5, s51
	s_mul_i32 s49, s5, s51
	s_mul_hi_u32 s51, s18, s24
	s_mul_i32 s18, s18, s24
	s_mul_hi_u32 s87, s5, s24
	s_add_u32 s18, s50, s18
	s_addc_u32 s50, 0, s51
	s_add_u32 s18, s18, s49
	s_mul_i32 s24, s5, s24
	s_addc_u32 s18, s50, s86
	s_addc_u32 s49, s87, 0
	s_add_u32 s18, s18, s24
	s_addc_u32 s24, 0, s49
	v_add_co_u32 v3, s18, v3, s18
	s_delay_alu instid0(VALU_DEP_1) | instskip(SKIP_1) | instid1(VALU_DEP_1)
	s_cmp_lg_u32 s18, 0
	s_addc_u32 s5, s5, s24
	v_readfirstlane_b32 s18, v3
	s_mul_i32 s24, s19, s5
	s_delay_alu instid0(VALU_DEP_1)
	s_mul_hi_u32 s49, s19, s18
	s_mul_i32 s21, s21, s18
	s_add_i32 s24, s49, s24
	s_mul_i32 s19, s19, s18
	s_add_i32 s24, s24, s21
	s_mul_hi_u32 s49, s5, s19
	s_mul_i32 s50, s5, s19
	s_mul_hi_u32 s19, s18, s19
	s_mul_hi_u32 s51, s18, s24
	s_mul_i32 s18, s18, s24
	s_mul_hi_u32 s21, s5, s24
	s_add_u32 s18, s19, s18
	s_addc_u32 s19, 0, s51
	s_add_u32 s18, s18, s50
	s_mul_i32 s24, s5, s24
	s_addc_u32 s18, s19, s49
	s_addc_u32 s19, s21, 0
	s_add_u32 s18, s18, s24
	s_addc_u32 s19, 0, s19
	v_add_co_u32 v3, s18, v3, s18
	s_delay_alu instid0(VALU_DEP_1) | instskip(SKIP_2) | instid1(VALU_DEP_1)
	s_cmp_lg_u32 s18, 0
	s_addc_u32 s5, s5, s19
	s_ashr_i32 s18, s25, 31
	v_readfirstlane_b32 s21, v3
	s_add_u32 s50, s99, s18
	s_mov_b32 s19, s18
	s_addc_u32 s51, s25, s18
	s_delay_alu instid0(SALU_CYCLE_1) | instskip(NEXT) | instid1(SALU_CYCLE_1)
	s_xor_b64 s[50:51], s[50:51], s[18:19]
	s_mul_i32 s24, s50, s5
	s_mul_hi_u32 s49, s50, s21
	s_mul_hi_u32 s19, s50, s5
	;; [unrolled: 1-line block ×3, first 2 shown]
	s_mul_i32 s21, s51, s21
	s_add_u32 s24, s49, s24
	s_addc_u32 s19, 0, s19
	s_mul_hi_u32 s86, s51, s5
	s_add_u32 s21, s24, s21
	s_mul_i32 s5, s51, s5
	s_addc_u32 s19, s19, s87
	s_addc_u32 s21, s86, 0
	s_add_u32 s5, s19, s5
	s_addc_u32 s19, 0, s21
	s_mul_hi_u32 s21, s27, s5
	s_mul_i32 s5, s27, s5
	s_mul_i32 s19, s27, s19
	v_sub_co_u32 v3, s5, s50, s5
	s_add_i32 s21, s21, s19
	s_cmp_lg_u32 s5, 0
	s_delay_alu instid0(VALU_DEP_1) | instskip(SKIP_2) | instid1(VALU_DEP_1)
	v_sub_co_u32 v4, s5, v3, s27
	s_subb_u32 s19, s51, s21
	s_cmp_lg_u32 s5, 0
	v_cmp_le_u32_e32 vcc_lo, s27, v4
	v_sub_co_u32 v5, s5, v4, s27
	s_subb_u32 s21, s19, 0
	s_cmp_lg_u32 s5, 0
	v_cmp_le_u32_e64 s5, s27, v3
	s_subb_u32 s24, s21, 0
	v_cndmask_b32_e64 v6, 0, -1, vcc_lo
	s_cmp_eq_u32 s21, 0
	s_cselect_b32 vcc_lo, -1, 0
	v_cndmask_b32_e64 v7, 0, -1, s5
	s_delay_alu instid0(VALU_DEP_2) | instskip(SKIP_2) | instid1(VALU_DEP_1)
	v_cndmask_b32_e32 v6, -1, v6, vcc_lo
	s_cmp_eq_u32 s19, 0
	s_cselect_b32 vcc_lo, -1, 0
	v_cmp_ne_u32_e64 s5, 0, v6
	v_dual_cndmask_b32 v6, -1, v7 :: v_dual_mov_b32 v7, s24
	s_delay_alu instid0(VALU_DEP_2) | instskip(NEXT) | instid1(VALU_DEP_2)
	v_cndmask_b32_e64 v4, v4, v5, s5
	v_cmp_ne_u32_e32 vcc_lo, 0, v6
	s_delay_alu instid0(VALU_DEP_3) | instskip(NEXT) | instid1(VALU_DEP_3)
	v_cndmask_b32_e64 v5, s21, v7, s5
	v_cndmask_b32_e32 v3, v3, v4, vcc_lo
	s_delay_alu instid0(VALU_DEP_2) | instskip(NEXT) | instid1(VALU_DEP_2)
	v_cndmask_b32_e32 v4, s19, v5, vcc_lo
	v_xor_b32_e32 v3, s18, v3
	s_delay_alu instid0(VALU_DEP_2) | instskip(NEXT) | instid1(VALU_DEP_2)
	v_xor_b32_e32 v4, s18, v4
	v_sub_co_u32 v3, vcc_lo, v3, s18
	s_delay_alu instid0(VALU_DEP_2)
	v_subrev_co_ci_u32_e32 v4, vcc_lo, s18, v4, vcc_lo
	s_cbranch_execnz .LBB30_159
.LBB30_158:                             ;   in Loop: Header=BB30_33 Depth=1
	v_cvt_f32_u32_e32 v3, s27
	s_sub_i32 s5, 0, s27
	s_delay_alu instid0(VALU_DEP_1) | instskip(SKIP_2) | instid1(VALU_DEP_1)
	v_rcp_iflag_f32_e32 v3, v3
	s_waitcnt_depctr 0xfff
	v_mul_f32_e32 v3, 0x4f7ffffe, v3
	v_cvt_u32_f32_e32 v3, v3
	s_delay_alu instid0(VALU_DEP_1) | instskip(NEXT) | instid1(VALU_DEP_1)
	v_mul_lo_u32 v4, s5, v3
	v_mul_hi_u32 v4, v3, v4
	s_delay_alu instid0(VALU_DEP_1) | instskip(NEXT) | instid1(VALU_DEP_1)
	v_add_nc_u32_e32 v3, v3, v4
	v_mul_hi_u32 v3, s99, v3
	s_delay_alu instid0(VALU_DEP_1) | instskip(NEXT) | instid1(VALU_DEP_1)
	v_mul_lo_u32 v3, v3, s27
	v_sub_nc_u32_e32 v3, s99, v3
	s_delay_alu instid0(VALU_DEP_1) | instskip(SKIP_1) | instid1(VALU_DEP_2)
	v_subrev_nc_u32_e32 v4, s27, v3
	v_cmp_le_u32_e32 vcc_lo, s27, v3
	v_cndmask_b32_e32 v3, v3, v4, vcc_lo
	s_delay_alu instid0(VALU_DEP_1) | instskip(SKIP_1) | instid1(VALU_DEP_2)
	v_subrev_nc_u32_e32 v4, s27, v3
	v_cmp_le_u32_e32 vcc_lo, s27, v3
	v_cndmask_b32_e32 v17, v3, v4, vcc_lo
	s_delay_alu instid0(VALU_DEP_1)
	v_dual_mov_b32 v3, v17 :: v_dual_mov_b32 v4, v18
.LBB30_159:                             ;   in Loop: Header=BB30_33 Depth=1
	s_delay_alu instid0(VALU_DEP_1) | instskip(NEXT) | instid1(VALU_DEP_2)
	v_sub_co_u32 v7, vcc_lo, s99, v3
	v_sub_co_ci_u32_e32 v8, vcc_lo, s25, v4, vcc_lo
	s_mov_b32 s18, 0
	s_mov_b32 s5, exec_lo
                                        ; implicit-def: $vgpr5_vgpr6
	s_delay_alu instid0(VALU_DEP_1)
	v_cmpx_gt_i64_e64 v[7:8], v[0:1]
	s_cbranch_execz .LBB30_172
; %bb.160:                              ;   in Loop: Header=BB30_33 Depth=1
	v_dual_mov_b32 v9, v15 :: v_dual_mov_b32 v10, v16
	v_dual_mov_b32 v12, v1 :: v_dual_mov_b32 v11, v0
	s_mov_b32 s19, 0
                                        ; implicit-def: $sgpr18
	s_set_inst_prefetch_distance 0x1
	s_branch .LBB30_162
	.p2align	6
.LBB30_161:                             ;   in Loop: Header=BB30_162 Depth=2
	s_or_b32 exec_lo, exec_lo, s21
	s_waitcnt vmcnt(0) lgkmcnt(0)
	s_barrier
	buffer_gl0_inv
	ds_load_b128 v[3:6], v18 offset:3072
	v_add_co_u32 v11, vcc_lo, v11, s27
	v_add_co_ci_u32_e32 v12, vcc_lo, 0, v12, vcc_lo
	s_waitcnt lgkmcnt(0)
	s_barrier
	buffer_gl0_inv
	v_cmp_ge_i64_e32 vcc_lo, v[11:12], v[7:8]
	v_readfirstlane_b32 s51, v4
	v_readfirstlane_b32 s50, v3
	s_delay_alu instid0(VALU_DEP_1) | instskip(SKIP_1) | instid1(SALU_CYCLE_1)
	s_cmp_lg_u64 s[50:51], 0
	s_cselect_b32 s21, -1, 0
	s_or_b32 s24, s21, vcc_lo
	v_add_co_u32 v9, vcc_lo, v9, s70
	s_and_b32 s24, exec_lo, s24
	v_add_co_ci_u32_e32 v10, vcc_lo, s71, v10, vcc_lo
	s_or_b32 s19, s24, s19
	s_and_not1_b32 s18, s18, exec_lo
	s_and_b32 s21, s21, exec_lo
	s_delay_alu instid0(SALU_CYCLE_1)
	s_or_b32 s18, s18, s21
	s_and_not1_b32 exec_lo, exec_lo, s19
	s_cbranch_execz .LBB30_171
.LBB30_162:                             ;   Parent Loop BB30_33 Depth=1
                                        ; =>  This Inner Loop Header: Depth=2
	s_delay_alu instid0(VALU_DEP_1)
	v_cmp_gt_i64_e32 vcc_lo, s[36:37], v[11:12]
	v_mov_b32_e32 v4, 0
	v_mov_b32_e32 v5, 0
	s_and_saveexec_b32 s21, vcc_lo
	s_cbranch_execz .LBB30_164
; %bb.163:                              ;   in Loop: Header=BB30_162 Depth=2
	global_load_b64 v[4:5], v[9:10], off
.LBB30_164:                             ;   in Loop: Header=BB30_162 Depth=2
	s_or_b32 exec_lo, exec_lo, s21
	s_and_saveexec_b32 s21, vcc_lo
	s_cbranch_execz .LBB30_161
; %bb.165:                              ;   in Loop: Header=BB30_162 Depth=2
	s_waitcnt vmcnt(0)
	v_xor_b32_e32 v3, 0x80000000, v5
	v_and_b32_e32 v13, s84, v4
	s_delay_alu instid0(VALU_DEP_2) | instskip(NEXT) | instid1(VALU_DEP_1)
	v_and_b32_e32 v14, s85, v3
	v_cmp_eq_u64_e32 vcc_lo, s[82:83], v[13:14]
	s_and_b32 exec_lo, exec_lo, vcc_lo
	s_cbranch_execz .LBB30_161
; %bb.166:                              ;   in Loop: Header=BB30_162 Depth=2
	v_mov_b32_e32 v3, v18
	ds_store_b128 v18, v[2:5] offset:3072
	s_branch .LBB30_161
.LBB30_167:                             ;   in Loop: Header=BB30_33 Depth=1
                                        ; implicit-def: $sgpr49
                                        ; implicit-def: $sgpr50
                                        ; implicit-def: $sgpr21
	s_branch .LBB30_186
.LBB30_168:                             ;   in Loop: Header=BB30_33 Depth=1
                                        ; implicit-def: $vgpr3_vgpr4
	s_branch .LBB30_113
.LBB30_169:                             ;   in Loop: Header=BB30_33 Depth=1
                                        ; implicit-def: $vgpr3_vgpr4
	s_branch .LBB30_128
.LBB30_170:                             ;   in Loop: Header=BB30_33 Depth=1
	s_mov_b32 s49, -1
	s_mov_b32 s18, 0
                                        ; implicit-def: $sgpr21
                                        ; implicit-def: $vgpr5_vgpr6
	s_mov_b32 s50, s49
	s_cbranch_execnz .LBB30_173
	s_branch .LBB30_186
.LBB30_171:                             ;   in Loop: Header=BB30_33 Depth=1
	s_set_inst_prefetch_distance 0x2
	s_or_b32 exec_lo, exec_lo, s19
	s_delay_alu instid0(SALU_CYCLE_1)
	s_and_b32 s18, s18, exec_lo
.LBB30_172:                             ;   in Loop: Header=BB30_33 Depth=1
	s_or_b32 exec_lo, exec_lo, s5
	s_mov_b32 s21, -1
	s_mov_b32 s49, 0
	s_delay_alu instid0(SALU_CYCLE_1)
	s_mov_b32 s50, s49
	s_branch .LBB30_186
.LBB30_173:                             ;   in Loop: Header=BB30_33 Depth=1
	s_add_u32 s21, s97, s16
	s_addc_u32 s19, s98, s17
	s_mov_b32 s18, s69
	s_delay_alu instid0(SALU_CYCLE_1)
	s_cmp_lg_u64 s[18:19], 0
	s_cbranch_scc0 .LBB30_216
; %bb.174:                              ;   in Loop: Header=BB30_33 Depth=1
	v_cvt_f32_u32_e32 v3, s27
	s_sub_u32 s24, 0, s27
	s_subb_u32 s49, 0, 0
	s_delay_alu instid0(VALU_DEP_1) | instskip(NEXT) | instid1(VALU_DEP_1)
	v_fmac_f32_e32 v3, 0x4f800000, v46
	v_rcp_f32_e32 v3, v3
	s_waitcnt_depctr 0xfff
	v_mul_f32_e32 v3, 0x5f7ffffc, v3
	s_delay_alu instid0(VALU_DEP_1) | instskip(NEXT) | instid1(VALU_DEP_1)
	v_mul_f32_e32 v4, 0x2f800000, v3
	v_trunc_f32_e32 v4, v4
	s_delay_alu instid0(VALU_DEP_1) | instskip(SKIP_1) | instid1(VALU_DEP_2)
	v_fmac_f32_e32 v3, 0xcf800000, v4
	v_cvt_u32_f32_e32 v4, v4
	v_cvt_u32_f32_e32 v3, v3
	s_delay_alu instid0(VALU_DEP_2) | instskip(NEXT) | instid1(VALU_DEP_2)
	v_readfirstlane_b32 s5, v4
	v_readfirstlane_b32 s18, v3
	s_delay_alu instid0(VALU_DEP_2) | instskip(NEXT) | instid1(VALU_DEP_1)
	s_mul_i32 s50, s24, s5
	s_mul_hi_u32 s86, s24, s18
	s_mul_i32 s51, s49, s18
	s_add_i32 s50, s86, s50
	s_mul_i32 s87, s24, s18
	s_add_i32 s50, s50, s51
	s_mul_hi_u32 s86, s18, s87
	s_mul_hi_u32 s88, s5, s87
	s_mul_i32 s51, s5, s87
	s_mul_hi_u32 s87, s18, s50
	s_mul_i32 s18, s18, s50
	s_mul_hi_u32 s89, s5, s50
	s_add_u32 s18, s86, s18
	s_addc_u32 s86, 0, s87
	s_add_u32 s18, s18, s51
	s_mul_i32 s50, s5, s50
	s_addc_u32 s18, s86, s88
	s_addc_u32 s51, s89, 0
	s_add_u32 s18, s18, s50
	s_addc_u32 s50, 0, s51
	v_add_co_u32 v3, s18, v3, s18
	s_delay_alu instid0(VALU_DEP_1) | instskip(SKIP_1) | instid1(VALU_DEP_1)
	s_cmp_lg_u32 s18, 0
	s_addc_u32 s5, s5, s50
	v_readfirstlane_b32 s18, v3
	s_mul_i32 s50, s24, s5
	s_delay_alu instid0(VALU_DEP_1)
	s_mul_hi_u32 s51, s24, s18
	s_mul_i32 s49, s49, s18
	s_add_i32 s50, s51, s50
	s_mul_i32 s24, s24, s18
	s_add_i32 s50, s50, s49
	s_mul_hi_u32 s51, s5, s24
	s_mul_i32 s86, s5, s24
	s_mul_hi_u32 s24, s18, s24
	s_mul_hi_u32 s87, s18, s50
	s_mul_i32 s18, s18, s50
	s_mul_hi_u32 s49, s5, s50
	s_add_u32 s18, s24, s18
	s_addc_u32 s24, 0, s87
	s_add_u32 s18, s18, s86
	s_mul_i32 s50, s5, s50
	s_addc_u32 s18, s24, s51
	s_addc_u32 s24, s49, 0
	s_add_u32 s18, s18, s50
	s_addc_u32 s24, 0, s24
	v_add_co_u32 v3, s18, v3, s18
	s_delay_alu instid0(VALU_DEP_1) | instskip(SKIP_2) | instid1(VALU_DEP_1)
	s_cmp_lg_u32 s18, 0
	s_addc_u32 s5, s5, s24
	s_ashr_i32 s50, s19, 31
	v_readfirstlane_b32 s18, v3
	s_add_u32 s86, s21, s50
	s_mov_b32 s51, s50
	s_addc_u32 s87, s19, s50
	s_delay_alu instid0(SALU_CYCLE_1) | instskip(NEXT) | instid1(SALU_CYCLE_1)
	s_xor_b64 s[86:87], s[86:87], s[50:51]
	s_mul_i32 s49, s86, s5
	s_mul_hi_u32 s51, s86, s18
	s_mul_hi_u32 s24, s86, s5
	;; [unrolled: 1-line block ×3, first 2 shown]
	s_mul_i32 s18, s87, s18
	s_add_u32 s49, s51, s49
	s_addc_u32 s24, 0, s24
	s_mul_hi_u32 s88, s87, s5
	s_add_u32 s18, s49, s18
	s_mul_i32 s5, s87, s5
	s_addc_u32 s18, s24, s89
	s_addc_u32 s24, s88, 0
	s_add_u32 s5, s18, s5
	s_addc_u32 s18, 0, s24
	s_mul_hi_u32 s24, s27, s5
	s_mul_i32 s5, s27, s5
	s_mul_i32 s18, s27, s18
	v_sub_co_u32 v3, s5, s86, s5
	s_add_i32 s24, s24, s18
	s_cmp_lg_u32 s5, 0
	s_delay_alu instid0(VALU_DEP_1) | instskip(SKIP_2) | instid1(VALU_DEP_1)
	v_sub_co_u32 v4, s5, v3, s27
	s_subb_u32 s18, s87, s24
	s_cmp_lg_u32 s5, 0
	v_cmp_le_u32_e32 vcc_lo, s27, v4
	v_sub_co_u32 v5, s5, v4, s27
	s_subb_u32 s24, s18, 0
	s_cmp_lg_u32 s5, 0
	v_cmp_le_u32_e64 s5, s27, v3
	s_subb_u32 s49, s24, 0
	v_cndmask_b32_e64 v6, 0, -1, vcc_lo
	s_cmp_eq_u32 s24, 0
	s_cselect_b32 vcc_lo, -1, 0
	v_cndmask_b32_e64 v7, 0, -1, s5
	s_delay_alu instid0(VALU_DEP_2) | instskip(SKIP_2) | instid1(VALU_DEP_1)
	v_cndmask_b32_e32 v6, -1, v6, vcc_lo
	s_cmp_eq_u32 s18, 0
	s_cselect_b32 vcc_lo, -1, 0
	v_cmp_ne_u32_e64 s5, 0, v6
	v_dual_cndmask_b32 v6, -1, v7 :: v_dual_mov_b32 v7, s49
	s_delay_alu instid0(VALU_DEP_2) | instskip(NEXT) | instid1(VALU_DEP_2)
	v_cndmask_b32_e64 v4, v4, v5, s5
	v_cmp_ne_u32_e32 vcc_lo, 0, v6
	s_delay_alu instid0(VALU_DEP_3) | instskip(NEXT) | instid1(VALU_DEP_3)
	v_cndmask_b32_e64 v5, s24, v7, s5
	v_cndmask_b32_e32 v3, v3, v4, vcc_lo
	s_delay_alu instid0(VALU_DEP_2) | instskip(NEXT) | instid1(VALU_DEP_2)
	v_cndmask_b32_e32 v4, s18, v5, vcc_lo
	v_xor_b32_e32 v3, s50, v3
	s_delay_alu instid0(VALU_DEP_2) | instskip(NEXT) | instid1(VALU_DEP_2)
	v_xor_b32_e32 v4, s50, v4
	v_sub_co_u32 v3, vcc_lo, v3, s50
	s_delay_alu instid0(VALU_DEP_2)
	v_subrev_co_ci_u32_e32 v4, vcc_lo, s50, v4, vcc_lo
	s_cbranch_execnz .LBB30_176
.LBB30_175:                             ;   in Loop: Header=BB30_33 Depth=1
	v_cvt_f32_u32_e32 v3, s27
	s_sub_i32 s5, 0, s27
	s_delay_alu instid0(VALU_DEP_1) | instskip(SKIP_2) | instid1(VALU_DEP_1)
	v_rcp_iflag_f32_e32 v3, v3
	s_waitcnt_depctr 0xfff
	v_mul_f32_e32 v3, 0x4f7ffffe, v3
	v_cvt_u32_f32_e32 v3, v3
	s_delay_alu instid0(VALU_DEP_1) | instskip(NEXT) | instid1(VALU_DEP_1)
	v_mul_lo_u32 v4, s5, v3
	v_mul_hi_u32 v4, v3, v4
	s_delay_alu instid0(VALU_DEP_1) | instskip(NEXT) | instid1(VALU_DEP_1)
	v_add_nc_u32_e32 v3, v3, v4
	v_mul_hi_u32 v3, s21, v3
	s_delay_alu instid0(VALU_DEP_1) | instskip(NEXT) | instid1(VALU_DEP_1)
	v_mul_lo_u32 v3, v3, s27
	v_sub_nc_u32_e32 v3, s21, v3
	s_delay_alu instid0(VALU_DEP_1) | instskip(SKIP_1) | instid1(VALU_DEP_2)
	v_subrev_nc_u32_e32 v4, s27, v3
	v_cmp_le_u32_e32 vcc_lo, s27, v3
	v_cndmask_b32_e32 v3, v3, v4, vcc_lo
	s_delay_alu instid0(VALU_DEP_1) | instskip(SKIP_1) | instid1(VALU_DEP_2)
	v_subrev_nc_u32_e32 v4, s27, v3
	v_cmp_le_u32_e32 vcc_lo, s27, v3
	v_cndmask_b32_e32 v17, v3, v4, vcc_lo
	s_delay_alu instid0(VALU_DEP_1)
	v_dual_mov_b32 v3, v17 :: v_dual_mov_b32 v4, v18
.LBB30_176:                             ;   in Loop: Header=BB30_33 Depth=1
	s_delay_alu instid0(VALU_DEP_1) | instskip(NEXT) | instid1(VALU_DEP_2)
	v_sub_co_u32 v7, vcc_lo, s21, v3
	v_sub_co_ci_u32_e32 v8, vcc_lo, s19, v4, vcc_lo
	s_mov_b32 s18, 0
	s_mov_b32 s5, exec_lo
                                        ; implicit-def: $vgpr5_vgpr6
	s_delay_alu instid0(VALU_DEP_1)
	v_cmpx_gt_i64_e64 v[7:8], v[0:1]
	s_cbranch_execz .LBB30_185
; %bb.177:                              ;   in Loop: Header=BB30_33 Depth=1
	v_mov_b32_e32 v11, v37
	v_dual_mov_b32 v10, v1 :: v_dual_mov_b32 v9, v0
	s_mov_b32 s19, 0
                                        ; implicit-def: $sgpr18
	s_set_inst_prefetch_distance 0x1
	s_branch .LBB30_179
	.p2align	6
.LBB30_178:                             ;   in Loop: Header=BB30_179 Depth=2
	s_or_b32 exec_lo, exec_lo, s21
	s_waitcnt lgkmcnt(0)
	s_barrier
	buffer_gl0_inv
	ds_load_b128 v[3:6], v18 offset:3072
	v_add_co_u32 v9, vcc_lo, v9, s27
	v_add_co_ci_u32_e32 v10, vcc_lo, 0, v10, vcc_lo
	s_waitcnt lgkmcnt(0)
	s_barrier
	buffer_gl0_inv
	v_cmp_ge_i64_e32 vcc_lo, v[9:10], v[7:8]
	v_add_nc_u32_e32 v11, vcc_hi, v11
	v_readfirstlane_b32 s51, v4
	v_readfirstlane_b32 s50, v3
	s_delay_alu instid0(VALU_DEP_1) | instskip(SKIP_1) | instid1(SALU_CYCLE_1)
	s_cmp_lg_u64 s[50:51], 0
	s_cselect_b32 s21, -1, 0
	s_or_b32 s24, s21, vcc_lo
	s_delay_alu instid0(SALU_CYCLE_1) | instskip(NEXT) | instid1(SALU_CYCLE_1)
	s_and_b32 s24, exec_lo, s24
	s_or_b32 s19, s24, s19
	s_and_not1_b32 s18, s18, exec_lo
	s_and_b32 s21, s21, exec_lo
	s_delay_alu instid0(SALU_CYCLE_1)
	s_or_b32 s18, s18, s21
	s_and_not1_b32 exec_lo, exec_lo, s19
	s_cbranch_execz .LBB30_184
.LBB30_179:                             ;   Parent Loop BB30_33 Depth=1
                                        ; =>  This Inner Loop Header: Depth=2
	s_delay_alu instid0(VALU_DEP_1)
	v_cmp_gt_i64_e32 vcc_lo, s[16:17], v[9:10]
	v_mov_b32_e32 v4, 0
	v_mov_b32_e32 v5, 0
	s_and_saveexec_b32 s21, vcc_lo
	s_cbranch_execz .LBB30_181
; %bb.180:                              ;   in Loop: Header=BB30_179 Depth=2
	ds_load_b64 v[4:5], v11
.LBB30_181:                             ;   in Loop: Header=BB30_179 Depth=2
	s_or_b32 exec_lo, exec_lo, s21
	s_and_saveexec_b32 s21, vcc_lo
	s_cbranch_execz .LBB30_178
; %bb.182:                              ;   in Loop: Header=BB30_179 Depth=2
	s_waitcnt lgkmcnt(0)
	v_xor_b32_e32 v3, 0x80000000, v5
	v_and_b32_e32 v12, s84, v4
	s_delay_alu instid0(VALU_DEP_2) | instskip(NEXT) | instid1(VALU_DEP_1)
	v_and_b32_e32 v13, s85, v3
	v_cmp_eq_u64_e32 vcc_lo, s[82:83], v[12:13]
	s_and_b32 exec_lo, exec_lo, vcc_lo
	s_cbranch_execz .LBB30_178
; %bb.183:                              ;   in Loop: Header=BB30_179 Depth=2
	v_mov_b32_e32 v3, v18
	ds_store_b128 v18, v[2:5] offset:3072
	s_branch .LBB30_178
.LBB30_184:                             ;   in Loop: Header=BB30_33 Depth=1
	s_set_inst_prefetch_distance 0x2
	s_or_b32 exec_lo, exec_lo, s19
	s_delay_alu instid0(SALU_CYCLE_1)
	s_and_b32 s18, s18, exec_lo
.LBB30_185:                             ;   in Loop: Header=BB30_33 Depth=1
	s_or_b32 exec_lo, exec_lo, s5
	s_mov_b32 s50, -1
	s_mov_b32 s49, 0
	s_mov_b32 s21, 0
.LBB30_186:                             ;   in Loop: Header=BB30_33 Depth=1
	s_mov_b32 s16, 0
                                        ; implicit-def: $sgpr5
	s_and_saveexec_b32 s51, s18
	s_cbranch_execz .LBB30_297
; %bb.187:                              ;   in Loop: Header=BB30_33 Depth=1
	s_xor_b32 s5, s68, -1
	s_delay_alu instid0(SALU_CYCLE_1)
	s_and_not1_b32 vcc_lo, exec_lo, s5
	s_mov_b32 s5, 1
	s_cbranch_vccnz .LBB30_198
; %bb.188:                              ;   in Loop: Header=BB30_33 Depth=1
	v_cmp_gt_i64_e64 s5, s[38:39], s[14:15]
	s_mov_b32 s24, -1
                                        ; implicit-def: $sgpr16_sgpr17
                                        ; implicit-def: $sgpr18_sgpr19
	s_delay_alu instid0(VALU_DEP_1)
	s_and_b32 vcc_lo, exec_lo, s5
                                        ; implicit-def: $sgpr5
	s_cbranch_vccnz .LBB30_194
; %bb.189:                              ;   in Loop: Header=BB30_33 Depth=1
	ds_load_b64 v[3:4], v18 offset:5120
	s_waitcnt lgkmcnt(0)
	v_cmp_ne_u64_e32 vcc_lo, 0, v[3:4]
	s_cbranch_vccnz .LBB30_193
; %bb.190:                              ;   in Loop: Header=BB30_33 Depth=1
	s_and_saveexec_b32 s5, s0
	s_cbranch_execz .LBB30_192
; %bb.191:                              ;   in Loop: Header=BB30_33 Depth=1
	v_dual_mov_b32 v3, s14 :: v_dual_mov_b32 v4, s15
	ds_store_b64 v18, v[3:4] offset:5128
.LBB30_192:                             ;   in Loop: Header=BB30_33 Depth=1
	s_or_b32 exec_lo, exec_lo, s5
	s_waitcnt lgkmcnt(0)
	s_barrier
	buffer_gl0_inv
.LBB30_193:                             ;   in Loop: Header=BB30_33 Depth=1
	s_lshl_b64 s[16:17], 1, s23
	s_and_b64 s[18:19], s[82:83], s[12:13]
	s_mov_b32 s24, 0
	s_or_b64 s[16:17], s[18:19], s[16:17]
	s_or_b64 s[18:19], s[84:85], s[8:9]
	s_mov_b32 s5, 8
.LBB30_194:                             ;   in Loop: Header=BB30_33 Depth=1
	s_and_not1_b32 vcc_lo, exec_lo, s24
	s_cbranch_vccnz .LBB30_196
; %bb.195:                              ;   in Loop: Header=BB30_33 Depth=1
	s_sub_u32 s38, s38, s14
	s_subb_u32 s39, s39, s15
	s_mov_b32 s24, -1
	s_mov_b32 s5, 0
	s_mov_b64 s[16:17], s[82:83]
	s_mov_b64 s[18:19], s[84:85]
.LBB30_196:                             ;   in Loop: Header=BB30_33 Depth=1
	s_delay_alu instid0(SALU_CYCLE_1)
	s_mov_b64 s[84:85], s[18:19]
	s_mov_b64 s[82:83], s[16:17]
	s_and_not1_b32 vcc_lo, exec_lo, s24
	s_mov_b32 s14, -1
	s_cbranch_vccz .LBB30_199
.LBB30_197:                             ;   in Loop: Header=BB30_33 Depth=1
                                        ; implicit-def: $sgpr19
                                        ; implicit-def: $sgpr68
                                        ; implicit-def: $sgpr18
	s_branch .LBB30_296
.LBB30_198:                             ;   in Loop: Header=BB30_33 Depth=1
	s_mov_b64 s[38:39], 1
	s_mov_b32 s14, -1
	s_cbranch_execnz .LBB30_197
.LBB30_199:                             ;   in Loop: Header=BB30_33 Depth=1
	s_cmp_eq_u64 s[10:11], 1
	s_mov_b32 s16, -1
	s_cselect_b32 s5, -1, 0
	s_cmp_eq_u64 s[38:39], 1
	s_cselect_b32 s14, -1, 0
	s_delay_alu instid0(SALU_CYCLE_1) | instskip(NEXT) | instid1(SALU_CYCLE_1)
	s_and_b32 s87, s5, s14
	s_and_b32 vcc_lo, exec_lo, s87
	s_cbranch_vccz .LBB30_214
; %bb.200:                              ;   in Loop: Header=BB30_33 Depth=1
	ds_load_b64 v[3:4], v18 offset:5120
	s_waitcnt lgkmcnt(0)
	s_barrier
	buffer_gl0_inv
	v_readfirstlane_b32 s14, v3
	v_readfirstlane_b32 s15, v4
	s_and_saveexec_b32 s5, s3
	s_cbranch_execz .LBB30_202
; %bb.201:                              ;   in Loop: Header=BB30_33 Depth=1
	v_mov_b32_e32 v17, v18
	ds_store_b64 v38, v[17:18]
.LBB30_202:                             ;   in Loop: Header=BB30_33 Depth=1
	s_or_b32 exec_lo, exec_lo, s5
	s_delay_alu instid0(VALU_DEP_1)
	v_cmp_gt_i64_e64 s5, s[14:15], 0
	s_lshl_b64 s[16:17], 2, s23
	s_and_b64 s[18:19], s[82:83], s[12:13]
	s_or_b64 s[84:85], s[84:85], s[8:9]
	s_or_b64 s[82:83], s[18:19], s[16:17]
	s_waitcnt lgkmcnt(0)
	s_and_b32 vcc_lo, exec_lo, s5
	s_barrier
	buffer_gl0_inv
	s_cbranch_vccnz .LBB30_217
; %bb.203:                              ;   in Loop: Header=BB30_33 Depth=1
	s_mov_b32 s24, s69
	s_delay_alu instid0(SALU_CYCLE_1)
	s_cmp_lg_u64 s[24:25], 0
	s_cbranch_scc0 .LBB30_262
; %bb.204:                              ;   in Loop: Header=BB30_33 Depth=1
	v_cvt_f32_u32_e32 v3, s27
	s_sub_u32 s17, 0, s27
	s_subb_u32 s18, 0, 0
	s_delay_alu instid0(VALU_DEP_1) | instskip(NEXT) | instid1(VALU_DEP_1)
	v_fmac_f32_e32 v3, 0x4f800000, v46
	v_rcp_f32_e32 v3, v3
	s_waitcnt_depctr 0xfff
	v_mul_f32_e32 v3, 0x5f7ffffc, v3
	s_delay_alu instid0(VALU_DEP_1) | instskip(NEXT) | instid1(VALU_DEP_1)
	v_mul_f32_e32 v4, 0x2f800000, v3
	v_trunc_f32_e32 v4, v4
	s_delay_alu instid0(VALU_DEP_1) | instskip(SKIP_1) | instid1(VALU_DEP_2)
	v_fmac_f32_e32 v3, 0xcf800000, v4
	v_cvt_u32_f32_e32 v4, v4
	v_cvt_u32_f32_e32 v3, v3
	s_delay_alu instid0(VALU_DEP_2) | instskip(NEXT) | instid1(VALU_DEP_2)
	v_readfirstlane_b32 s5, v4
	v_readfirstlane_b32 s16, v3
	s_delay_alu instid0(VALU_DEP_2) | instskip(NEXT) | instid1(VALU_DEP_1)
	s_mul_i32 s19, s17, s5
	s_mul_hi_u32 s68, s17, s16
	s_mul_i32 s24, s18, s16
	s_add_i32 s19, s68, s19
	s_mul_i32 s86, s17, s16
	s_add_i32 s19, s19, s24
	s_mul_hi_u32 s68, s16, s86
	s_mul_hi_u32 s88, s5, s86
	s_mul_i32 s24, s5, s86
	s_mul_hi_u32 s86, s16, s19
	s_mul_i32 s16, s16, s19
	s_mul_hi_u32 s89, s5, s19
	s_add_u32 s16, s68, s16
	s_addc_u32 s68, 0, s86
	s_add_u32 s16, s16, s24
	s_mul_i32 s19, s5, s19
	s_addc_u32 s16, s68, s88
	s_addc_u32 s24, s89, 0
	s_add_u32 s16, s16, s19
	s_addc_u32 s19, 0, s24
	v_add_co_u32 v3, s16, v3, s16
	s_delay_alu instid0(VALU_DEP_1) | instskip(SKIP_1) | instid1(VALU_DEP_1)
	s_cmp_lg_u32 s16, 0
	s_addc_u32 s5, s5, s19
	v_readfirstlane_b32 s16, v3
	s_mul_i32 s19, s17, s5
	s_delay_alu instid0(VALU_DEP_1)
	s_mul_hi_u32 s24, s17, s16
	s_mul_i32 s18, s18, s16
	s_add_i32 s19, s24, s19
	s_mul_i32 s17, s17, s16
	s_add_i32 s19, s19, s18
	s_mul_hi_u32 s24, s5, s17
	s_mul_i32 s68, s5, s17
	s_mul_hi_u32 s17, s16, s17
	s_mul_hi_u32 s86, s16, s19
	s_mul_i32 s16, s16, s19
	s_mul_hi_u32 s18, s5, s19
	s_add_u32 s16, s17, s16
	s_addc_u32 s17, 0, s86
	s_add_u32 s16, s16, s68
	s_mul_i32 s19, s5, s19
	s_addc_u32 s16, s17, s24
	s_addc_u32 s17, s18, 0
	s_add_u32 s16, s16, s19
	s_addc_u32 s17, 0, s17
	v_add_co_u32 v3, s16, v3, s16
	s_delay_alu instid0(VALU_DEP_1) | instskip(SKIP_2) | instid1(VALU_DEP_1)
	s_cmp_lg_u32 s16, 0
	s_addc_u32 s5, s5, s17
	s_ashr_i32 s16, s25, 31
	v_readfirstlane_b32 s24, v3
	s_add_u32 s18, s99, s16
	s_mov_b32 s17, s16
	s_addc_u32 s19, s25, s16
	s_delay_alu instid0(SALU_CYCLE_1) | instskip(NEXT) | instid1(SALU_CYCLE_1)
	s_xor_b64 s[18:19], s[18:19], s[16:17]
	s_mul_i32 s68, s18, s5
	s_mul_hi_u32 s86, s18, s24
	s_mul_hi_u32 s17, s18, s5
	;; [unrolled: 1-line block ×3, first 2 shown]
	s_mul_i32 s24, s19, s24
	s_add_u32 s68, s86, s68
	s_addc_u32 s17, 0, s17
	s_mul_hi_u32 s88, s19, s5
	s_add_u32 s24, s68, s24
	s_mul_i32 s5, s19, s5
	s_addc_u32 s17, s17, s89
	s_addc_u32 s24, s88, 0
	s_add_u32 s5, s17, s5
	s_addc_u32 s17, 0, s24
	s_mul_hi_u32 s24, s27, s5
	s_mul_i32 s5, s27, s5
	s_mul_i32 s17, s27, s17
	v_sub_co_u32 v3, s5, s18, s5
	s_add_i32 s24, s24, s17
	s_cmp_lg_u32 s5, 0
	s_delay_alu instid0(VALU_DEP_1) | instskip(SKIP_2) | instid1(VALU_DEP_1)
	v_sub_co_u32 v4, s5, v3, s27
	s_subb_u32 s17, s19, s24
	s_cmp_lg_u32 s5, 0
	v_cmp_le_u32_e32 vcc_lo, s27, v4
	v_sub_co_u32 v5, s5, v4, s27
	s_subb_u32 s18, s17, 0
	s_cmp_lg_u32 s5, 0
	v_cmp_le_u32_e64 s5, s27, v3
	s_subb_u32 s19, s18, 0
	v_cndmask_b32_e64 v6, 0, -1, vcc_lo
	s_cmp_eq_u32 s18, 0
	s_cselect_b32 vcc_lo, -1, 0
	v_cndmask_b32_e64 v7, 0, -1, s5
	s_delay_alu instid0(VALU_DEP_2) | instskip(SKIP_2) | instid1(VALU_DEP_1)
	v_cndmask_b32_e32 v6, -1, v6, vcc_lo
	s_cmp_eq_u32 s17, 0
	s_cselect_b32 vcc_lo, -1, 0
	v_cmp_ne_u32_e64 s5, 0, v6
	v_dual_cndmask_b32 v6, -1, v7 :: v_dual_mov_b32 v7, s19
	s_delay_alu instid0(VALU_DEP_2) | instskip(NEXT) | instid1(VALU_DEP_2)
	v_cndmask_b32_e64 v4, v4, v5, s5
	v_cmp_ne_u32_e32 vcc_lo, 0, v6
	s_delay_alu instid0(VALU_DEP_3) | instskip(NEXT) | instid1(VALU_DEP_3)
	v_cndmask_b32_e64 v5, s18, v7, s5
	v_cndmask_b32_e32 v3, v3, v4, vcc_lo
	s_delay_alu instid0(VALU_DEP_2) | instskip(NEXT) | instid1(VALU_DEP_2)
	v_cndmask_b32_e32 v4, s17, v5, vcc_lo
	v_xor_b32_e32 v3, s16, v3
	s_delay_alu instid0(VALU_DEP_2) | instskip(NEXT) | instid1(VALU_DEP_2)
	v_xor_b32_e32 v4, s16, v4
	v_sub_co_u32 v3, vcc_lo, v3, s16
	s_delay_alu instid0(VALU_DEP_2)
	v_subrev_co_ci_u32_e32 v4, vcc_lo, s16, v4, vcc_lo
	s_cbranch_execnz .LBB30_206
.LBB30_205:                             ;   in Loop: Header=BB30_33 Depth=1
	v_cvt_f32_u32_e32 v3, s27
	s_sub_i32 s5, 0, s27
	s_delay_alu instid0(VALU_DEP_1) | instskip(SKIP_2) | instid1(VALU_DEP_1)
	v_rcp_iflag_f32_e32 v3, v3
	s_waitcnt_depctr 0xfff
	v_mul_f32_e32 v3, 0x4f7ffffe, v3
	v_cvt_u32_f32_e32 v3, v3
	s_delay_alu instid0(VALU_DEP_1) | instskip(NEXT) | instid1(VALU_DEP_1)
	v_mul_lo_u32 v4, s5, v3
	v_mul_hi_u32 v4, v3, v4
	s_delay_alu instid0(VALU_DEP_1) | instskip(NEXT) | instid1(VALU_DEP_1)
	v_add_nc_u32_e32 v3, v3, v4
	v_mul_hi_u32 v3, s99, v3
	s_delay_alu instid0(VALU_DEP_1) | instskip(NEXT) | instid1(VALU_DEP_1)
	v_mul_lo_u32 v3, v3, s27
	v_sub_nc_u32_e32 v3, s99, v3
	s_delay_alu instid0(VALU_DEP_1) | instskip(SKIP_1) | instid1(VALU_DEP_2)
	v_subrev_nc_u32_e32 v4, s27, v3
	v_cmp_le_u32_e32 vcc_lo, s27, v3
	v_cndmask_b32_e32 v3, v3, v4, vcc_lo
	s_delay_alu instid0(VALU_DEP_1) | instskip(SKIP_1) | instid1(VALU_DEP_2)
	v_subrev_nc_u32_e32 v4, s27, v3
	v_cmp_le_u32_e32 vcc_lo, s27, v3
	v_cndmask_b32_e32 v17, v3, v4, vcc_lo
	s_delay_alu instid0(VALU_DEP_1)
	v_dual_mov_b32 v3, v17 :: v_dual_mov_b32 v4, v18
.LBB30_206:                             ;   in Loop: Header=BB30_33 Depth=1
	s_delay_alu instid0(VALU_DEP_1) | instskip(NEXT) | instid1(VALU_DEP_2)
	v_sub_co_u32 v7, vcc_lo, s99, v3
	v_sub_co_ci_u32_e32 v8, vcc_lo, s25, v4, vcc_lo
	s_mov_b32 s16, 0
	s_mov_b32 s5, exec_lo
                                        ; implicit-def: $vgpr5_vgpr6
	s_delay_alu instid0(VALU_DEP_1)
	v_cmpx_gt_i64_e64 v[7:8], v[0:1]
	s_cbranch_execz .LBB30_219
; %bb.207:                              ;   in Loop: Header=BB30_33 Depth=1
	v_dual_mov_b32 v9, v15 :: v_dual_mov_b32 v10, v16
	v_dual_mov_b32 v12, v1 :: v_dual_mov_b32 v11, v0
	s_mov_b32 s17, 0
                                        ; implicit-def: $sgpr16
	s_set_inst_prefetch_distance 0x1
	s_branch .LBB30_209
	.p2align	6
.LBB30_208:                             ;   in Loop: Header=BB30_209 Depth=2
	s_or_b32 exec_lo, exec_lo, s18
	s_waitcnt vmcnt(0) lgkmcnt(0)
	s_barrier
	buffer_gl0_inv
	ds_load_b128 v[3:6], v18 offset:3072
	v_add_co_u32 v11, vcc_lo, v11, s27
	v_add_co_ci_u32_e32 v12, vcc_lo, 0, v12, vcc_lo
	s_waitcnt lgkmcnt(0)
	s_barrier
	buffer_gl0_inv
	v_cmp_ge_i64_e32 vcc_lo, v[11:12], v[7:8]
	v_readfirstlane_b32 s19, v4
	v_readfirstlane_b32 s18, v3
	s_delay_alu instid0(VALU_DEP_1) | instskip(SKIP_1) | instid1(SALU_CYCLE_1)
	s_cmp_lg_u64 s[18:19], 0
	s_cselect_b32 s18, -1, 0
	s_or_b32 s19, s18, vcc_lo
	v_add_co_u32 v9, vcc_lo, v9, s70
	s_and_b32 s19, exec_lo, s19
	v_add_co_ci_u32_e32 v10, vcc_lo, s71, v10, vcc_lo
	s_or_b32 s17, s19, s17
	s_and_not1_b32 s16, s16, exec_lo
	s_and_b32 s18, s18, exec_lo
	s_delay_alu instid0(SALU_CYCLE_1)
	s_or_b32 s16, s16, s18
	s_and_not1_b32 exec_lo, exec_lo, s17
	s_cbranch_execz .LBB30_218
.LBB30_209:                             ;   Parent Loop BB30_33 Depth=1
                                        ; =>  This Inner Loop Header: Depth=2
	s_delay_alu instid0(VALU_DEP_1)
	v_cmp_gt_i64_e32 vcc_lo, s[36:37], v[11:12]
	v_mov_b32_e32 v4, 0
	v_mov_b32_e32 v5, 0
	s_and_saveexec_b32 s18, vcc_lo
	s_cbranch_execz .LBB30_211
; %bb.210:                              ;   in Loop: Header=BB30_209 Depth=2
	global_load_b64 v[4:5], v[9:10], off
.LBB30_211:                             ;   in Loop: Header=BB30_209 Depth=2
	s_or_b32 exec_lo, exec_lo, s18
	s_and_saveexec_b32 s18, vcc_lo
	s_cbranch_execz .LBB30_208
; %bb.212:                              ;   in Loop: Header=BB30_209 Depth=2
	s_waitcnt vmcnt(0)
	v_xor_b32_e32 v3, 0x80000000, v5
	v_and_b32_e32 v13, s84, v4
	s_delay_alu instid0(VALU_DEP_2) | instskip(NEXT) | instid1(VALU_DEP_1)
	v_and_b32_e32 v14, s85, v3
	v_cmp_eq_u64_e32 vcc_lo, s[82:83], v[13:14]
	s_and_b32 exec_lo, exec_lo, vcc_lo
	s_cbranch_execz .LBB30_208
; %bb.213:                              ;   in Loop: Header=BB30_209 Depth=2
	v_mov_b32_e32 v3, v18
	ds_store_b128 v18, v[2:5] offset:3072
	s_branch .LBB30_208
.LBB30_214:                             ;   in Loop: Header=BB30_33 Depth=1
                                        ; implicit-def: $sgpr18
                                        ; implicit-def: $sgpr68
                                        ; implicit-def: $sgpr19
	s_branch .LBB30_233
.LBB30_215:                             ;   in Loop: Header=BB30_33 Depth=1
                                        ; implicit-def: $vgpr3_vgpr4
	s_branch .LBB30_158
.LBB30_216:                             ;   in Loop: Header=BB30_33 Depth=1
                                        ; implicit-def: $vgpr3_vgpr4
	s_branch .LBB30_175
.LBB30_217:                             ;   in Loop: Header=BB30_33 Depth=1
	s_mov_b32 s18, -1
	s_mov_b32 s16, 0
                                        ; implicit-def: $sgpr19
                                        ; implicit-def: $vgpr5_vgpr6
	s_mov_b32 s68, s18
	s_cbranch_execnz .LBB30_220
	s_branch .LBB30_233
.LBB30_218:                             ;   in Loop: Header=BB30_33 Depth=1
	s_set_inst_prefetch_distance 0x2
	s_or_b32 exec_lo, exec_lo, s17
	s_delay_alu instid0(SALU_CYCLE_1)
	s_and_b32 s16, s16, exec_lo
.LBB30_219:                             ;   in Loop: Header=BB30_33 Depth=1
	s_or_b32 exec_lo, exec_lo, s5
	s_mov_b32 s19, -1
	s_mov_b32 s18, 0
	s_delay_alu instid0(SALU_CYCLE_1)
	s_mov_b32 s68, s18
	s_branch .LBB30_233
.LBB30_220:                             ;   in Loop: Header=BB30_33 Depth=1
	s_add_u32 s18, s97, s14
	s_addc_u32 s17, s98, s15
	s_mov_b32 s16, s69
	s_delay_alu instid0(SALU_CYCLE_1)
	s_cmp_lg_u64 s[16:17], 0
	s_cbranch_scc0 .LBB30_263
; %bb.221:                              ;   in Loop: Header=BB30_33 Depth=1
	v_cvt_f32_u32_e32 v3, s27
	s_sub_u32 s19, 0, s27
	s_subb_u32 s24, 0, 0
	s_delay_alu instid0(VALU_DEP_1) | instskip(NEXT) | instid1(VALU_DEP_1)
	v_fmac_f32_e32 v3, 0x4f800000, v46
	v_rcp_f32_e32 v3, v3
	s_waitcnt_depctr 0xfff
	v_mul_f32_e32 v3, 0x5f7ffffc, v3
	s_delay_alu instid0(VALU_DEP_1) | instskip(NEXT) | instid1(VALU_DEP_1)
	v_mul_f32_e32 v4, 0x2f800000, v3
	v_trunc_f32_e32 v4, v4
	s_delay_alu instid0(VALU_DEP_1) | instskip(SKIP_1) | instid1(VALU_DEP_2)
	v_fmac_f32_e32 v3, 0xcf800000, v4
	v_cvt_u32_f32_e32 v4, v4
	v_cvt_u32_f32_e32 v3, v3
	s_delay_alu instid0(VALU_DEP_2) | instskip(NEXT) | instid1(VALU_DEP_2)
	v_readfirstlane_b32 s5, v4
	v_readfirstlane_b32 s16, v3
	s_delay_alu instid0(VALU_DEP_2) | instskip(NEXT) | instid1(VALU_DEP_1)
	s_mul_i32 s68, s19, s5
	s_mul_hi_u32 s88, s19, s16
	s_mul_i32 s86, s24, s16
	s_add_i32 s68, s88, s68
	s_mul_i32 s89, s19, s16
	s_add_i32 s68, s68, s86
	s_mul_hi_u32 s88, s16, s89
	s_mul_hi_u32 s90, s5, s89
	s_mul_i32 s86, s5, s89
	s_mul_hi_u32 s89, s16, s68
	s_mul_i32 s16, s16, s68
	s_mul_hi_u32 s91, s5, s68
	s_add_u32 s16, s88, s16
	s_addc_u32 s88, 0, s89
	s_add_u32 s16, s16, s86
	s_mul_i32 s68, s5, s68
	s_addc_u32 s16, s88, s90
	s_addc_u32 s86, s91, 0
	s_add_u32 s16, s16, s68
	s_addc_u32 s68, 0, s86
	v_add_co_u32 v3, s16, v3, s16
	s_delay_alu instid0(VALU_DEP_1) | instskip(SKIP_1) | instid1(VALU_DEP_1)
	s_cmp_lg_u32 s16, 0
	s_addc_u32 s5, s5, s68
	v_readfirstlane_b32 s16, v3
	s_mul_i32 s68, s19, s5
	s_delay_alu instid0(VALU_DEP_1)
	s_mul_hi_u32 s86, s19, s16
	s_mul_i32 s24, s24, s16
	s_add_i32 s68, s86, s68
	s_mul_i32 s19, s19, s16
	s_add_i32 s68, s68, s24
	s_mul_hi_u32 s86, s5, s19
	s_mul_i32 s88, s5, s19
	s_mul_hi_u32 s19, s16, s19
	s_mul_hi_u32 s89, s16, s68
	s_mul_i32 s16, s16, s68
	s_mul_hi_u32 s24, s5, s68
	s_add_u32 s16, s19, s16
	s_addc_u32 s19, 0, s89
	s_add_u32 s16, s16, s88
	s_mul_i32 s68, s5, s68
	s_addc_u32 s16, s19, s86
	s_addc_u32 s19, s24, 0
	s_add_u32 s16, s16, s68
	s_addc_u32 s19, 0, s19
	v_add_co_u32 v3, s16, v3, s16
	s_delay_alu instid0(VALU_DEP_1) | instskip(SKIP_2) | instid1(VALU_DEP_1)
	s_cmp_lg_u32 s16, 0
	s_addc_u32 s5, s5, s19
	s_ashr_i32 s88, s17, 31
	v_readfirstlane_b32 s16, v3
	s_add_u32 s90, s18, s88
	s_mov_b32 s89, s88
	s_addc_u32 s91, s17, s88
	s_delay_alu instid0(SALU_CYCLE_1) | instskip(NEXT) | instid1(SALU_CYCLE_1)
	s_xor_b64 s[90:91], s[90:91], s[88:89]
	s_mul_i32 s24, s90, s5
	s_mul_hi_u32 s68, s90, s16
	s_mul_hi_u32 s19, s90, s5
	;; [unrolled: 1-line block ×3, first 2 shown]
	s_mul_i32 s16, s91, s16
	s_add_u32 s24, s68, s24
	s_addc_u32 s19, 0, s19
	s_mul_hi_u32 s86, s91, s5
	s_add_u32 s16, s24, s16
	s_mul_i32 s5, s91, s5
	s_addc_u32 s16, s19, s89
	s_addc_u32 s19, s86, 0
	s_add_u32 s5, s16, s5
	s_addc_u32 s16, 0, s19
	s_mul_hi_u32 s19, s27, s5
	s_mul_i32 s5, s27, s5
	s_mul_i32 s16, s27, s16
	v_sub_co_u32 v3, s5, s90, s5
	s_add_i32 s19, s19, s16
	s_cmp_lg_u32 s5, 0
	s_delay_alu instid0(VALU_DEP_1) | instskip(SKIP_2) | instid1(VALU_DEP_1)
	v_sub_co_u32 v4, s5, v3, s27
	s_subb_u32 s16, s91, s19
	s_cmp_lg_u32 s5, 0
	v_cmp_le_u32_e32 vcc_lo, s27, v4
	v_sub_co_u32 v5, s5, v4, s27
	s_subb_u32 s19, s16, 0
	s_cmp_lg_u32 s5, 0
	v_cmp_le_u32_e64 s5, s27, v3
	s_subb_u32 s24, s19, 0
	v_cndmask_b32_e64 v6, 0, -1, vcc_lo
	s_cmp_eq_u32 s19, 0
	s_cselect_b32 vcc_lo, -1, 0
	v_cndmask_b32_e64 v7, 0, -1, s5
	s_delay_alu instid0(VALU_DEP_2) | instskip(SKIP_2) | instid1(VALU_DEP_1)
	v_cndmask_b32_e32 v6, -1, v6, vcc_lo
	s_cmp_eq_u32 s16, 0
	s_cselect_b32 vcc_lo, -1, 0
	v_cmp_ne_u32_e64 s5, 0, v6
	v_dual_cndmask_b32 v6, -1, v7 :: v_dual_mov_b32 v7, s24
	s_delay_alu instid0(VALU_DEP_2) | instskip(NEXT) | instid1(VALU_DEP_2)
	v_cndmask_b32_e64 v4, v4, v5, s5
	v_cmp_ne_u32_e32 vcc_lo, 0, v6
	s_delay_alu instid0(VALU_DEP_3) | instskip(NEXT) | instid1(VALU_DEP_3)
	v_cndmask_b32_e64 v5, s19, v7, s5
	v_cndmask_b32_e32 v3, v3, v4, vcc_lo
	s_delay_alu instid0(VALU_DEP_2) | instskip(NEXT) | instid1(VALU_DEP_2)
	v_cndmask_b32_e32 v4, s16, v5, vcc_lo
	v_xor_b32_e32 v3, s88, v3
	s_delay_alu instid0(VALU_DEP_2) | instskip(NEXT) | instid1(VALU_DEP_2)
	v_xor_b32_e32 v4, s88, v4
	v_sub_co_u32 v3, vcc_lo, v3, s88
	s_delay_alu instid0(VALU_DEP_2)
	v_subrev_co_ci_u32_e32 v4, vcc_lo, s88, v4, vcc_lo
	s_cbranch_execnz .LBB30_223
.LBB30_222:                             ;   in Loop: Header=BB30_33 Depth=1
	v_cvt_f32_u32_e32 v3, s27
	s_sub_i32 s5, 0, s27
	s_delay_alu instid0(VALU_DEP_1) | instskip(SKIP_2) | instid1(VALU_DEP_1)
	v_rcp_iflag_f32_e32 v3, v3
	s_waitcnt_depctr 0xfff
	v_mul_f32_e32 v3, 0x4f7ffffe, v3
	v_cvt_u32_f32_e32 v3, v3
	s_delay_alu instid0(VALU_DEP_1) | instskip(NEXT) | instid1(VALU_DEP_1)
	v_mul_lo_u32 v4, s5, v3
	v_mul_hi_u32 v4, v3, v4
	s_delay_alu instid0(VALU_DEP_1) | instskip(NEXT) | instid1(VALU_DEP_1)
	v_add_nc_u32_e32 v3, v3, v4
	v_mul_hi_u32 v3, s18, v3
	s_delay_alu instid0(VALU_DEP_1) | instskip(NEXT) | instid1(VALU_DEP_1)
	v_mul_lo_u32 v3, v3, s27
	v_sub_nc_u32_e32 v3, s18, v3
	s_delay_alu instid0(VALU_DEP_1) | instskip(SKIP_1) | instid1(VALU_DEP_2)
	v_subrev_nc_u32_e32 v4, s27, v3
	v_cmp_le_u32_e32 vcc_lo, s27, v3
	v_cndmask_b32_e32 v3, v3, v4, vcc_lo
	s_delay_alu instid0(VALU_DEP_1) | instskip(SKIP_1) | instid1(VALU_DEP_2)
	v_subrev_nc_u32_e32 v4, s27, v3
	v_cmp_le_u32_e32 vcc_lo, s27, v3
	v_cndmask_b32_e32 v17, v3, v4, vcc_lo
	s_delay_alu instid0(VALU_DEP_1)
	v_dual_mov_b32 v3, v17 :: v_dual_mov_b32 v4, v18
.LBB30_223:                             ;   in Loop: Header=BB30_33 Depth=1
	s_delay_alu instid0(VALU_DEP_1) | instskip(NEXT) | instid1(VALU_DEP_2)
	v_sub_co_u32 v7, vcc_lo, s18, v3
	v_sub_co_ci_u32_e32 v8, vcc_lo, s17, v4, vcc_lo
	s_mov_b32 s16, 0
	s_mov_b32 s5, exec_lo
                                        ; implicit-def: $vgpr5_vgpr6
	s_delay_alu instid0(VALU_DEP_1)
	v_cmpx_gt_i64_e64 v[7:8], v[0:1]
	s_cbranch_execz .LBB30_232
; %bb.224:                              ;   in Loop: Header=BB30_33 Depth=1
	v_mov_b32_e32 v11, v37
	v_dual_mov_b32 v10, v1 :: v_dual_mov_b32 v9, v0
	s_mov_b32 s17, 0
                                        ; implicit-def: $sgpr16
	s_set_inst_prefetch_distance 0x1
	s_branch .LBB30_226
	.p2align	6
.LBB30_225:                             ;   in Loop: Header=BB30_226 Depth=2
	s_or_b32 exec_lo, exec_lo, s18
	s_waitcnt lgkmcnt(0)
	s_barrier
	buffer_gl0_inv
	ds_load_b128 v[3:6], v18 offset:3072
	v_add_co_u32 v9, vcc_lo, v9, s27
	v_add_co_ci_u32_e32 v10, vcc_lo, 0, v10, vcc_lo
	s_waitcnt lgkmcnt(0)
	s_barrier
	buffer_gl0_inv
	v_cmp_ge_i64_e32 vcc_lo, v[9:10], v[7:8]
	v_add_nc_u32_e32 v11, vcc_hi, v11
	v_readfirstlane_b32 s19, v4
	v_readfirstlane_b32 s18, v3
	s_delay_alu instid0(VALU_DEP_1) | instskip(SKIP_1) | instid1(SALU_CYCLE_1)
	s_cmp_lg_u64 s[18:19], 0
	s_cselect_b32 s18, -1, 0
	s_or_b32 s19, s18, vcc_lo
	s_delay_alu instid0(SALU_CYCLE_1) | instskip(NEXT) | instid1(SALU_CYCLE_1)
	s_and_b32 s19, exec_lo, s19
	s_or_b32 s17, s19, s17
	s_and_not1_b32 s16, s16, exec_lo
	s_and_b32 s18, s18, exec_lo
	s_delay_alu instid0(SALU_CYCLE_1)
	s_or_b32 s16, s16, s18
	s_and_not1_b32 exec_lo, exec_lo, s17
	s_cbranch_execz .LBB30_231
.LBB30_226:                             ;   Parent Loop BB30_33 Depth=1
                                        ; =>  This Inner Loop Header: Depth=2
	s_delay_alu instid0(VALU_DEP_1)
	v_cmp_gt_i64_e32 vcc_lo, s[14:15], v[9:10]
	v_mov_b32_e32 v4, 0
	v_mov_b32_e32 v5, 0
	s_and_saveexec_b32 s18, vcc_lo
	s_cbranch_execz .LBB30_228
; %bb.227:                              ;   in Loop: Header=BB30_226 Depth=2
	ds_load_b64 v[4:5], v11
.LBB30_228:                             ;   in Loop: Header=BB30_226 Depth=2
	s_or_b32 exec_lo, exec_lo, s18
	s_and_saveexec_b32 s18, vcc_lo
	s_cbranch_execz .LBB30_225
; %bb.229:                              ;   in Loop: Header=BB30_226 Depth=2
	s_waitcnt lgkmcnt(0)
	v_xor_b32_e32 v3, 0x80000000, v5
	v_and_b32_e32 v12, s84, v4
	s_delay_alu instid0(VALU_DEP_2) | instskip(NEXT) | instid1(VALU_DEP_1)
	v_and_b32_e32 v13, s85, v3
	v_cmp_eq_u64_e32 vcc_lo, s[82:83], v[12:13]
	s_and_b32 exec_lo, exec_lo, vcc_lo
	s_cbranch_execz .LBB30_225
; %bb.230:                              ;   in Loop: Header=BB30_226 Depth=2
	v_mov_b32_e32 v3, v18
	ds_store_b128 v18, v[2:5] offset:3072
	s_branch .LBB30_225
.LBB30_231:                             ;   in Loop: Header=BB30_33 Depth=1
	s_set_inst_prefetch_distance 0x2
	s_or_b32 exec_lo, exec_lo, s17
	s_delay_alu instid0(SALU_CYCLE_1)
	s_and_b32 s16, s16, exec_lo
.LBB30_232:                             ;   in Loop: Header=BB30_33 Depth=1
	s_or_b32 exec_lo, exec_lo, s5
	s_mov_b32 s68, -1
	s_mov_b32 s18, 0
	s_mov_b32 s19, 0
.LBB30_233:                             ;   in Loop: Header=BB30_33 Depth=1
	s_mov_b32 s14, 0
                                        ; implicit-def: $sgpr5
	s_and_saveexec_b32 s86, s16
	s_cbranch_execz .LBB30_295
; %bb.234:                              ;   in Loop: Header=BB30_33 Depth=1
	s_xor_b32 s5, s87, -1
	s_delay_alu instid0(SALU_CYCLE_1)
	s_and_not1_b32 vcc_lo, exec_lo, s5
	s_mov_b32 s5, 1
	s_cbranch_vccnz .LBB30_245
; %bb.235:                              ;   in Loop: Header=BB30_33 Depth=1
	v_cmp_gt_i64_e64 s5, s[38:39], s[10:11]
	s_mov_b32 s24, -1
                                        ; implicit-def: $sgpr14_sgpr15
                                        ; implicit-def: $sgpr16_sgpr17
	s_delay_alu instid0(VALU_DEP_1)
	s_and_b32 vcc_lo, exec_lo, s5
                                        ; implicit-def: $sgpr5
	s_cbranch_vccnz .LBB30_241
; %bb.236:                              ;   in Loop: Header=BB30_33 Depth=1
	ds_load_b64 v[3:4], v18 offset:5120
	s_waitcnt lgkmcnt(0)
	v_cmp_ne_u64_e32 vcc_lo, 0, v[3:4]
	s_cbranch_vccnz .LBB30_240
; %bb.237:                              ;   in Loop: Header=BB30_33 Depth=1
	s_and_saveexec_b32 s5, s0
	s_cbranch_execz .LBB30_239
; %bb.238:                              ;   in Loop: Header=BB30_33 Depth=1
	v_dual_mov_b32 v3, s10 :: v_dual_mov_b32 v4, s11
	ds_store_b64 v18, v[3:4] offset:5128
.LBB30_239:                             ;   in Loop: Header=BB30_33 Depth=1
	s_or_b32 exec_lo, exec_lo, s5
	s_waitcnt lgkmcnt(0)
	s_barrier
	buffer_gl0_inv
.LBB30_240:                             ;   in Loop: Header=BB30_33 Depth=1
	s_lshl_b64 s[14:15], 2, s23
	s_and_b64 s[12:13], s[82:83], s[12:13]
	s_or_b64 s[16:17], s[84:85], s[8:9]
	s_or_b64 s[14:15], s[12:13], s[14:15]
	s_mov_b32 s24, 0
	s_mov_b32 s5, 8
.LBB30_241:                             ;   in Loop: Header=BB30_33 Depth=1
	s_and_not1_b32 vcc_lo, exec_lo, s24
	s_cbranch_vccnz .LBB30_243
; %bb.242:                              ;   in Loop: Header=BB30_33 Depth=1
	s_sub_u32 s38, s38, s10
	s_subb_u32 s39, s39, s11
	s_mov_b32 s24, -1
	s_mov_b32 s5, 0
	s_mov_b64 s[14:15], s[82:83]
	s_mov_b64 s[16:17], s[84:85]
.LBB30_243:                             ;   in Loop: Header=BB30_33 Depth=1
	s_delay_alu instid0(SALU_CYCLE_1)
	s_mov_b64 s[84:85], s[16:17]
	s_mov_b64 s[82:83], s[14:15]
	s_and_not1_b32 vcc_lo, exec_lo, s24
	s_mov_b32 s13, -1
	s_cbranch_vccz .LBB30_246
.LBB30_244:                             ;   in Loop: Header=BB30_33 Depth=1
                                        ; implicit-def: $sgpr15
                                        ; implicit-def: $sgpr17
                                        ; implicit-def: $sgpr16
	s_branch .LBB30_294
.LBB30_245:                             ;   in Loop: Header=BB30_33 Depth=1
	s_mov_b64 s[38:39], 1
	s_mov_b32 s13, -1
	s_cbranch_execnz .LBB30_244
.LBB30_246:                             ;   in Loop: Header=BB30_33 Depth=1
	s_cmp_eq_u64 s[6:7], 1
	s_mov_b32 s12, -1
	s_cselect_b32 s5, -1, 0
	s_cmp_eq_u64 s[38:39], 1
	s_cselect_b32 s10, -1, 0
	s_delay_alu instid0(SALU_CYCLE_1) | instskip(NEXT) | instid1(SALU_CYCLE_1)
	s_and_b32 s14, s5, s10
	s_and_b32 vcc_lo, exec_lo, s14
	s_cbranch_vccz .LBB30_261
; %bb.247:                              ;   in Loop: Header=BB30_33 Depth=1
	ds_load_b64 v[3:4], v18 offset:5120
	s_waitcnt lgkmcnt(0)
	s_barrier
	buffer_gl0_inv
	v_readfirstlane_b32 s10, v3
	v_readfirstlane_b32 s11, v4
	s_and_saveexec_b32 s5, s3
	s_cbranch_execz .LBB30_249
; %bb.248:                              ;   in Loop: Header=BB30_33 Depth=1
	v_mov_b32_e32 v17, v18
	ds_store_b64 v38, v[17:18]
.LBB30_249:                             ;   in Loop: Header=BB30_33 Depth=1
	s_or_b32 exec_lo, exec_lo, s5
	s_delay_alu instid0(VALU_DEP_1)
	v_cmp_gt_i64_e64 s5, s[10:11], 0
	s_or_b64 s[82:83], s[82:83], s[8:9]
	s_or_b64 s[84:85], s[84:85], s[8:9]
	s_waitcnt lgkmcnt(0)
	s_barrier
	buffer_gl0_inv
	s_and_b32 vcc_lo, exec_lo, s5
	s_cbranch_vccnz .LBB30_264
; %bb.250:                              ;   in Loop: Header=BB30_33 Depth=1
	s_mov_b32 s24, s69
	s_delay_alu instid0(SALU_CYCLE_1)
	s_cmp_lg_u64 s[24:25], 0
	s_cbranch_scc0 .LBB30_300
; %bb.251:                              ;   in Loop: Header=BB30_33 Depth=1
	v_cvt_f32_u32_e32 v3, s27
	s_sub_u32 s13, 0, s27
	s_subb_u32 s15, 0, 0
	s_delay_alu instid0(VALU_DEP_1) | instskip(NEXT) | instid1(VALU_DEP_1)
	v_fmac_f32_e32 v3, 0x4f800000, v46
	v_rcp_f32_e32 v3, v3
	s_waitcnt_depctr 0xfff
	v_mul_f32_e32 v3, 0x5f7ffffc, v3
	s_delay_alu instid0(VALU_DEP_1) | instskip(NEXT) | instid1(VALU_DEP_1)
	v_mul_f32_e32 v4, 0x2f800000, v3
	v_trunc_f32_e32 v4, v4
	s_delay_alu instid0(VALU_DEP_1) | instskip(SKIP_1) | instid1(VALU_DEP_2)
	v_fmac_f32_e32 v3, 0xcf800000, v4
	v_cvt_u32_f32_e32 v4, v4
	v_cvt_u32_f32_e32 v3, v3
	s_delay_alu instid0(VALU_DEP_2) | instskip(NEXT) | instid1(VALU_DEP_2)
	v_readfirstlane_b32 s5, v4
	v_readfirstlane_b32 s12, v3
	s_delay_alu instid0(VALU_DEP_2) | instskip(NEXT) | instid1(VALU_DEP_1)
	s_mul_i32 s16, s13, s5
	s_mul_hi_u32 s23, s13, s12
	s_mul_i32 s17, s15, s12
	s_add_i32 s16, s23, s16
	s_mul_i32 s24, s13, s12
	s_add_i32 s16, s16, s17
	s_mul_hi_u32 s23, s12, s24
	s_mul_hi_u32 s87, s5, s24
	s_mul_i32 s17, s5, s24
	s_mul_hi_u32 s24, s12, s16
	s_mul_i32 s12, s12, s16
	s_mul_hi_u32 s88, s5, s16
	s_add_u32 s12, s23, s12
	s_addc_u32 s23, 0, s24
	s_add_u32 s12, s12, s17
	s_mul_i32 s16, s5, s16
	s_addc_u32 s12, s23, s87
	s_addc_u32 s17, s88, 0
	s_add_u32 s12, s12, s16
	s_addc_u32 s16, 0, s17
	v_add_co_u32 v3, s12, v3, s12
	s_delay_alu instid0(VALU_DEP_1) | instskip(SKIP_1) | instid1(VALU_DEP_1)
	s_cmp_lg_u32 s12, 0
	s_addc_u32 s5, s5, s16
	v_readfirstlane_b32 s12, v3
	s_mul_i32 s16, s13, s5
	s_delay_alu instid0(VALU_DEP_1)
	s_mul_hi_u32 s17, s13, s12
	s_mul_i32 s15, s15, s12
	s_add_i32 s16, s17, s16
	s_mul_i32 s13, s13, s12
	s_add_i32 s16, s16, s15
	s_mul_hi_u32 s17, s5, s13
	s_mul_i32 s23, s5, s13
	s_mul_hi_u32 s13, s12, s13
	s_mul_hi_u32 s24, s12, s16
	s_mul_i32 s12, s12, s16
	s_mul_hi_u32 s15, s5, s16
	s_add_u32 s12, s13, s12
	s_addc_u32 s13, 0, s24
	s_add_u32 s12, s12, s23
	s_mul_i32 s16, s5, s16
	s_addc_u32 s12, s13, s17
	s_addc_u32 s13, s15, 0
	s_add_u32 s12, s12, s16
	s_addc_u32 s13, 0, s13
	v_add_co_u32 v3, s12, v3, s12
	s_delay_alu instid0(VALU_DEP_1) | instskip(SKIP_2) | instid1(VALU_DEP_1)
	s_cmp_lg_u32 s12, 0
	s_addc_u32 s5, s5, s13
	s_ashr_i32 s12, s25, 31
	v_readfirstlane_b32 s15, v3
	s_add_u32 s16, s99, s12
	s_mov_b32 s13, s12
	s_addc_u32 s17, s25, s12
	s_delay_alu instid0(SALU_CYCLE_1) | instskip(NEXT) | instid1(SALU_CYCLE_1)
	s_xor_b64 s[16:17], s[16:17], s[12:13]
	s_mul_i32 s23, s16, s5
	s_mul_hi_u32 s24, s16, s15
	s_mul_hi_u32 s13, s16, s5
	s_mul_hi_u32 s88, s17, s15
	s_mul_i32 s15, s17, s15
	s_add_u32 s23, s24, s23
	s_addc_u32 s13, 0, s13
	s_mul_hi_u32 s87, s17, s5
	s_add_u32 s15, s23, s15
	s_mul_i32 s5, s17, s5
	s_addc_u32 s13, s13, s88
	s_addc_u32 s15, s87, 0
	s_add_u32 s5, s13, s5
	s_addc_u32 s13, 0, s15
	s_mul_hi_u32 s15, s27, s5
	s_mul_i32 s5, s27, s5
	s_mul_i32 s13, s27, s13
	v_sub_co_u32 v3, s5, s16, s5
	s_add_i32 s15, s15, s13
	s_cmp_lg_u32 s5, 0
	s_delay_alu instid0(VALU_DEP_1) | instskip(SKIP_2) | instid1(VALU_DEP_1)
	v_sub_co_u32 v4, s5, v3, s27
	s_subb_u32 s13, s17, s15
	s_cmp_lg_u32 s5, 0
	v_cmp_le_u32_e32 vcc_lo, s27, v4
	v_sub_co_u32 v5, s5, v4, s27
	s_subb_u32 s15, s13, 0
	s_cmp_lg_u32 s5, 0
	v_cmp_le_u32_e64 s5, s27, v3
	s_subb_u32 s16, s15, 0
	v_cndmask_b32_e64 v6, 0, -1, vcc_lo
	s_cmp_eq_u32 s15, 0
	s_cselect_b32 vcc_lo, -1, 0
	v_cndmask_b32_e64 v7, 0, -1, s5
	s_delay_alu instid0(VALU_DEP_2) | instskip(SKIP_2) | instid1(VALU_DEP_1)
	v_cndmask_b32_e32 v6, -1, v6, vcc_lo
	s_cmp_eq_u32 s13, 0
	s_cselect_b32 vcc_lo, -1, 0
	v_cmp_ne_u32_e64 s5, 0, v6
	v_dual_cndmask_b32 v6, -1, v7 :: v_dual_mov_b32 v7, s16
	s_delay_alu instid0(VALU_DEP_2) | instskip(NEXT) | instid1(VALU_DEP_2)
	v_cndmask_b32_e64 v4, v4, v5, s5
	v_cmp_ne_u32_e32 vcc_lo, 0, v6
	s_delay_alu instid0(VALU_DEP_3) | instskip(NEXT) | instid1(VALU_DEP_3)
	v_cndmask_b32_e64 v5, s15, v7, s5
	v_cndmask_b32_e32 v3, v3, v4, vcc_lo
	s_delay_alu instid0(VALU_DEP_2) | instskip(NEXT) | instid1(VALU_DEP_2)
	v_cndmask_b32_e32 v4, s13, v5, vcc_lo
	v_xor_b32_e32 v3, s12, v3
	s_delay_alu instid0(VALU_DEP_2) | instskip(NEXT) | instid1(VALU_DEP_2)
	v_xor_b32_e32 v4, s12, v4
	v_sub_co_u32 v3, vcc_lo, v3, s12
	s_delay_alu instid0(VALU_DEP_2)
	v_subrev_co_ci_u32_e32 v4, vcc_lo, s12, v4, vcc_lo
	s_cbranch_execnz .LBB30_253
.LBB30_252:                             ;   in Loop: Header=BB30_33 Depth=1
	v_cvt_f32_u32_e32 v3, s27
	s_sub_i32 s5, 0, s27
	s_delay_alu instid0(VALU_DEP_1) | instskip(SKIP_2) | instid1(VALU_DEP_1)
	v_rcp_iflag_f32_e32 v3, v3
	s_waitcnt_depctr 0xfff
	v_mul_f32_e32 v3, 0x4f7ffffe, v3
	v_cvt_u32_f32_e32 v3, v3
	s_delay_alu instid0(VALU_DEP_1) | instskip(NEXT) | instid1(VALU_DEP_1)
	v_mul_lo_u32 v4, s5, v3
	v_mul_hi_u32 v4, v3, v4
	s_delay_alu instid0(VALU_DEP_1) | instskip(NEXT) | instid1(VALU_DEP_1)
	v_add_nc_u32_e32 v3, v3, v4
	v_mul_hi_u32 v3, s99, v3
	s_delay_alu instid0(VALU_DEP_1) | instskip(NEXT) | instid1(VALU_DEP_1)
	v_mul_lo_u32 v3, v3, s27
	v_sub_nc_u32_e32 v3, s99, v3
	s_delay_alu instid0(VALU_DEP_1) | instskip(SKIP_1) | instid1(VALU_DEP_2)
	v_subrev_nc_u32_e32 v4, s27, v3
	v_cmp_le_u32_e32 vcc_lo, s27, v3
	v_cndmask_b32_e32 v3, v3, v4, vcc_lo
	s_delay_alu instid0(VALU_DEP_1) | instskip(SKIP_1) | instid1(VALU_DEP_2)
	v_subrev_nc_u32_e32 v4, s27, v3
	v_cmp_le_u32_e32 vcc_lo, s27, v3
	v_cndmask_b32_e32 v17, v3, v4, vcc_lo
	s_delay_alu instid0(VALU_DEP_1)
	v_dual_mov_b32 v3, v17 :: v_dual_mov_b32 v4, v18
.LBB30_253:                             ;   in Loop: Header=BB30_33 Depth=1
	s_delay_alu instid0(VALU_DEP_1) | instskip(NEXT) | instid1(VALU_DEP_2)
	v_sub_co_u32 v7, vcc_lo, s99, v3
	v_sub_co_ci_u32_e32 v8, vcc_lo, s25, v4, vcc_lo
	s_mov_b32 s12, 0
	s_mov_b32 s5, exec_lo
                                        ; implicit-def: $vgpr5_vgpr6
	s_delay_alu instid0(VALU_DEP_1)
	v_cmpx_gt_i64_e64 v[7:8], v[0:1]
	s_cbranch_execz .LBB30_266
; %bb.254:                              ;   in Loop: Header=BB30_33 Depth=1
	v_dual_mov_b32 v9, v15 :: v_dual_mov_b32 v10, v16
	v_dual_mov_b32 v12, v1 :: v_dual_mov_b32 v11, v0
	s_mov_b32 s13, 0
                                        ; implicit-def: $sgpr12
	s_set_inst_prefetch_distance 0x1
	s_branch .LBB30_256
	.p2align	6
.LBB30_255:                             ;   in Loop: Header=BB30_256 Depth=2
	s_or_b32 exec_lo, exec_lo, s15
	s_waitcnt vmcnt(0) lgkmcnt(0)
	s_barrier
	buffer_gl0_inv
	ds_load_b128 v[3:6], v18 offset:3072
	v_add_co_u32 v11, vcc_lo, v11, s27
	v_add_co_ci_u32_e32 v12, vcc_lo, 0, v12, vcc_lo
	s_waitcnt lgkmcnt(0)
	s_barrier
	buffer_gl0_inv
	v_cmp_ge_i64_e32 vcc_lo, v[11:12], v[7:8]
	v_readfirstlane_b32 s17, v4
	v_readfirstlane_b32 s16, v3
	s_delay_alu instid0(VALU_DEP_1) | instskip(SKIP_1) | instid1(SALU_CYCLE_1)
	s_cmp_lg_u64 s[16:17], 0
	s_cselect_b32 s15, -1, 0
	s_or_b32 s16, s15, vcc_lo
	v_add_co_u32 v9, vcc_lo, v9, s70
	s_and_b32 s16, exec_lo, s16
	v_add_co_ci_u32_e32 v10, vcc_lo, s71, v10, vcc_lo
	s_or_b32 s13, s16, s13
	s_and_not1_b32 s12, s12, exec_lo
	s_and_b32 s15, s15, exec_lo
	s_delay_alu instid0(SALU_CYCLE_1)
	s_or_b32 s12, s12, s15
	s_and_not1_b32 exec_lo, exec_lo, s13
	s_cbranch_execz .LBB30_265
.LBB30_256:                             ;   Parent Loop BB30_33 Depth=1
                                        ; =>  This Inner Loop Header: Depth=2
	s_delay_alu instid0(VALU_DEP_1)
	v_cmp_gt_i64_e32 vcc_lo, s[36:37], v[11:12]
	v_mov_b32_e32 v4, 0
	v_mov_b32_e32 v5, 0
	s_and_saveexec_b32 s15, vcc_lo
	s_cbranch_execz .LBB30_258
; %bb.257:                              ;   in Loop: Header=BB30_256 Depth=2
	global_load_b64 v[4:5], v[9:10], off
.LBB30_258:                             ;   in Loop: Header=BB30_256 Depth=2
	s_or_b32 exec_lo, exec_lo, s15
	s_and_saveexec_b32 s15, vcc_lo
	s_cbranch_execz .LBB30_255
; %bb.259:                              ;   in Loop: Header=BB30_256 Depth=2
	s_waitcnt vmcnt(0)
	v_xor_b32_e32 v3, 0x80000000, v5
	v_and_b32_e32 v13, s84, v4
	s_delay_alu instid0(VALU_DEP_2) | instskip(NEXT) | instid1(VALU_DEP_1)
	v_and_b32_e32 v14, s85, v3
	v_cmp_eq_u64_e32 vcc_lo, s[82:83], v[13:14]
	s_and_b32 exec_lo, exec_lo, vcc_lo
	s_cbranch_execz .LBB30_255
; %bb.260:                              ;   in Loop: Header=BB30_256 Depth=2
	v_mov_b32_e32 v3, v18
	ds_store_b128 v18, v[2:5] offset:3072
	s_branch .LBB30_255
.LBB30_261:                             ;   in Loop: Header=BB30_33 Depth=1
                                        ; implicit-def: $sgpr15
                                        ; implicit-def: $sgpr17
                                        ; implicit-def: $sgpr16
	s_branch .LBB30_280
.LBB30_262:                             ;   in Loop: Header=BB30_33 Depth=1
                                        ; implicit-def: $vgpr3_vgpr4
	s_branch .LBB30_205
.LBB30_263:                             ;   in Loop: Header=BB30_33 Depth=1
                                        ; implicit-def: $vgpr3_vgpr4
	s_branch .LBB30_222
.LBB30_264:                             ;   in Loop: Header=BB30_33 Depth=1
	s_mov_b32 s15, -1
	s_mov_b32 s12, 0
                                        ; implicit-def: $sgpr16
                                        ; implicit-def: $vgpr5_vgpr6
	s_mov_b32 s17, s15
	s_cbranch_execnz .LBB30_267
	s_branch .LBB30_280
.LBB30_265:                             ;   in Loop: Header=BB30_33 Depth=1
	s_set_inst_prefetch_distance 0x2
	s_or_b32 exec_lo, exec_lo, s13
	s_delay_alu instid0(SALU_CYCLE_1)
	s_and_b32 s12, s12, exec_lo
.LBB30_266:                             ;   in Loop: Header=BB30_33 Depth=1
	s_or_b32 exec_lo, exec_lo, s5
	s_mov_b32 s16, -1
	s_mov_b32 s15, 0
	s_delay_alu instid0(SALU_CYCLE_1)
	s_mov_b32 s17, s15
	s_branch .LBB30_280
.LBB30_267:                             ;   in Loop: Header=BB30_33 Depth=1
	s_add_u32 s15, s97, s10
	s_addc_u32 s13, s98, s11
	s_mov_b32 s12, s69
	s_delay_alu instid0(SALU_CYCLE_1)
	s_cmp_lg_u64 s[12:13], 0
	s_cbranch_scc0 .LBB30_301
; %bb.268:                              ;   in Loop: Header=BB30_33 Depth=1
	v_cvt_f32_u32_e32 v3, s27
	s_sub_u32 s16, 0, s27
	s_subb_u32 s17, 0, 0
	s_delay_alu instid0(VALU_DEP_1) | instskip(NEXT) | instid1(VALU_DEP_1)
	v_fmac_f32_e32 v3, 0x4f800000, v46
	v_rcp_f32_e32 v3, v3
	s_waitcnt_depctr 0xfff
	v_mul_f32_e32 v3, 0x5f7ffffc, v3
	s_delay_alu instid0(VALU_DEP_1) | instskip(NEXT) | instid1(VALU_DEP_1)
	v_mul_f32_e32 v4, 0x2f800000, v3
	v_trunc_f32_e32 v4, v4
	s_delay_alu instid0(VALU_DEP_1) | instskip(SKIP_1) | instid1(VALU_DEP_2)
	v_fmac_f32_e32 v3, 0xcf800000, v4
	v_cvt_u32_f32_e32 v4, v4
	v_cvt_u32_f32_e32 v3, v3
	s_delay_alu instid0(VALU_DEP_2) | instskip(NEXT) | instid1(VALU_DEP_2)
	v_readfirstlane_b32 s5, v4
	v_readfirstlane_b32 s12, v3
	s_delay_alu instid0(VALU_DEP_2) | instskip(NEXT) | instid1(VALU_DEP_1)
	s_mul_i32 s23, s16, s5
	s_mul_hi_u32 s87, s16, s12
	s_mul_i32 s24, s17, s12
	s_add_i32 s23, s87, s23
	s_mul_i32 s88, s16, s12
	s_add_i32 s23, s23, s24
	s_mul_hi_u32 s87, s12, s88
	s_mul_hi_u32 s89, s5, s88
	s_mul_i32 s24, s5, s88
	s_mul_hi_u32 s88, s12, s23
	s_mul_i32 s12, s12, s23
	s_mul_hi_u32 s90, s5, s23
	s_add_u32 s12, s87, s12
	s_addc_u32 s87, 0, s88
	s_add_u32 s12, s12, s24
	s_mul_i32 s23, s5, s23
	s_addc_u32 s12, s87, s89
	s_addc_u32 s24, s90, 0
	s_add_u32 s12, s12, s23
	s_addc_u32 s23, 0, s24
	v_add_co_u32 v3, s12, v3, s12
	s_delay_alu instid0(VALU_DEP_1) | instskip(SKIP_1) | instid1(VALU_DEP_1)
	s_cmp_lg_u32 s12, 0
	s_addc_u32 s5, s5, s23
	v_readfirstlane_b32 s12, v3
	s_mul_i32 s23, s16, s5
	s_delay_alu instid0(VALU_DEP_1)
	s_mul_hi_u32 s24, s16, s12
	s_mul_i32 s17, s17, s12
	s_add_i32 s23, s24, s23
	s_mul_i32 s16, s16, s12
	s_add_i32 s23, s23, s17
	s_mul_hi_u32 s24, s5, s16
	s_mul_i32 s87, s5, s16
	s_mul_hi_u32 s16, s12, s16
	s_mul_hi_u32 s88, s12, s23
	s_mul_i32 s12, s12, s23
	s_mul_hi_u32 s17, s5, s23
	s_add_u32 s12, s16, s12
	s_addc_u32 s16, 0, s88
	s_add_u32 s12, s12, s87
	s_mul_i32 s23, s5, s23
	s_addc_u32 s12, s16, s24
	s_addc_u32 s16, s17, 0
	s_add_u32 s12, s12, s23
	s_addc_u32 s16, 0, s16
	v_add_co_u32 v3, s12, v3, s12
	s_delay_alu instid0(VALU_DEP_1) | instskip(SKIP_2) | instid1(VALU_DEP_1)
	s_cmp_lg_u32 s12, 0
	s_addc_u32 s5, s5, s16
	s_ashr_i32 s16, s13, 31
	v_readfirstlane_b32 s12, v3
	s_add_u32 s88, s15, s16
	s_mov_b32 s17, s16
	s_addc_u32 s89, s13, s16
	s_delay_alu instid0(SALU_CYCLE_1) | instskip(NEXT) | instid1(SALU_CYCLE_1)
	s_xor_b64 s[88:89], s[88:89], s[16:17]
	s_mul_i32 s23, s88, s5
	s_mul_hi_u32 s24, s88, s12
	s_mul_hi_u32 s17, s88, s5
	;; [unrolled: 1-line block ×3, first 2 shown]
	s_mul_i32 s12, s89, s12
	s_add_u32 s23, s24, s23
	s_addc_u32 s17, 0, s17
	s_mul_hi_u32 s87, s89, s5
	s_add_u32 s12, s23, s12
	s_mul_i32 s5, s89, s5
	s_addc_u32 s12, s17, s90
	s_addc_u32 s17, s87, 0
	s_add_u32 s5, s12, s5
	s_addc_u32 s12, 0, s17
	s_mul_hi_u32 s17, s27, s5
	s_mul_i32 s5, s27, s5
	s_mul_i32 s12, s27, s12
	v_sub_co_u32 v3, s5, s88, s5
	s_add_i32 s17, s17, s12
	s_cmp_lg_u32 s5, 0
	s_delay_alu instid0(VALU_DEP_1) | instskip(SKIP_2) | instid1(VALU_DEP_1)
	v_sub_co_u32 v4, s5, v3, s27
	s_subb_u32 s12, s89, s17
	s_cmp_lg_u32 s5, 0
	v_cmp_le_u32_e32 vcc_lo, s27, v4
	v_sub_co_u32 v5, s5, v4, s27
	s_subb_u32 s17, s12, 0
	s_cmp_lg_u32 s5, 0
	v_cmp_le_u32_e64 s5, s27, v3
	s_subb_u32 s23, s17, 0
	v_cndmask_b32_e64 v6, 0, -1, vcc_lo
	s_cmp_eq_u32 s17, 0
	s_cselect_b32 vcc_lo, -1, 0
	v_cndmask_b32_e64 v7, 0, -1, s5
	s_delay_alu instid0(VALU_DEP_2) | instskip(SKIP_2) | instid1(VALU_DEP_1)
	v_cndmask_b32_e32 v6, -1, v6, vcc_lo
	s_cmp_eq_u32 s12, 0
	s_cselect_b32 vcc_lo, -1, 0
	v_cmp_ne_u32_e64 s5, 0, v6
	v_dual_cndmask_b32 v6, -1, v7 :: v_dual_mov_b32 v7, s23
	s_delay_alu instid0(VALU_DEP_2) | instskip(NEXT) | instid1(VALU_DEP_2)
	v_cndmask_b32_e64 v4, v4, v5, s5
	v_cmp_ne_u32_e32 vcc_lo, 0, v6
	s_delay_alu instid0(VALU_DEP_3) | instskip(NEXT) | instid1(VALU_DEP_3)
	v_cndmask_b32_e64 v5, s17, v7, s5
	v_cndmask_b32_e32 v3, v3, v4, vcc_lo
	s_delay_alu instid0(VALU_DEP_2) | instskip(NEXT) | instid1(VALU_DEP_2)
	v_cndmask_b32_e32 v4, s12, v5, vcc_lo
	v_xor_b32_e32 v3, s16, v3
	s_delay_alu instid0(VALU_DEP_2) | instskip(NEXT) | instid1(VALU_DEP_2)
	v_xor_b32_e32 v4, s16, v4
	v_sub_co_u32 v3, vcc_lo, v3, s16
	s_delay_alu instid0(VALU_DEP_2)
	v_subrev_co_ci_u32_e32 v4, vcc_lo, s16, v4, vcc_lo
	s_cbranch_execnz .LBB30_270
.LBB30_269:                             ;   in Loop: Header=BB30_33 Depth=1
	v_cvt_f32_u32_e32 v3, s27
	s_sub_i32 s5, 0, s27
	s_delay_alu instid0(VALU_DEP_1) | instskip(SKIP_2) | instid1(VALU_DEP_1)
	v_rcp_iflag_f32_e32 v3, v3
	s_waitcnt_depctr 0xfff
	v_mul_f32_e32 v3, 0x4f7ffffe, v3
	v_cvt_u32_f32_e32 v3, v3
	s_delay_alu instid0(VALU_DEP_1) | instskip(NEXT) | instid1(VALU_DEP_1)
	v_mul_lo_u32 v4, s5, v3
	v_mul_hi_u32 v4, v3, v4
	s_delay_alu instid0(VALU_DEP_1) | instskip(NEXT) | instid1(VALU_DEP_1)
	v_add_nc_u32_e32 v3, v3, v4
	v_mul_hi_u32 v3, s15, v3
	s_delay_alu instid0(VALU_DEP_1) | instskip(NEXT) | instid1(VALU_DEP_1)
	v_mul_lo_u32 v3, v3, s27
	v_sub_nc_u32_e32 v3, s15, v3
	s_delay_alu instid0(VALU_DEP_1) | instskip(SKIP_1) | instid1(VALU_DEP_2)
	v_subrev_nc_u32_e32 v4, s27, v3
	v_cmp_le_u32_e32 vcc_lo, s27, v3
	v_cndmask_b32_e32 v3, v3, v4, vcc_lo
	s_delay_alu instid0(VALU_DEP_1) | instskip(SKIP_1) | instid1(VALU_DEP_2)
	v_subrev_nc_u32_e32 v4, s27, v3
	v_cmp_le_u32_e32 vcc_lo, s27, v3
	v_cndmask_b32_e32 v17, v3, v4, vcc_lo
	s_delay_alu instid0(VALU_DEP_1)
	v_dual_mov_b32 v3, v17 :: v_dual_mov_b32 v4, v18
.LBB30_270:                             ;   in Loop: Header=BB30_33 Depth=1
	s_delay_alu instid0(VALU_DEP_1) | instskip(NEXT) | instid1(VALU_DEP_2)
	v_sub_co_u32 v7, vcc_lo, s15, v3
	v_sub_co_ci_u32_e32 v8, vcc_lo, s13, v4, vcc_lo
	s_mov_b32 s12, 0
	s_mov_b32 s5, exec_lo
                                        ; implicit-def: $vgpr5_vgpr6
	s_delay_alu instid0(VALU_DEP_1)
	v_cmpx_gt_i64_e64 v[7:8], v[0:1]
	s_cbranch_execz .LBB30_279
; %bb.271:                              ;   in Loop: Header=BB30_33 Depth=1
	v_mov_b32_e32 v11, v37
	v_dual_mov_b32 v10, v1 :: v_dual_mov_b32 v9, v0
	s_mov_b32 s13, 0
                                        ; implicit-def: $sgpr12
	s_set_inst_prefetch_distance 0x1
	s_branch .LBB30_273
	.p2align	6
.LBB30_272:                             ;   in Loop: Header=BB30_273 Depth=2
	s_or_b32 exec_lo, exec_lo, s15
	s_waitcnt lgkmcnt(0)
	s_barrier
	buffer_gl0_inv
	ds_load_b128 v[3:6], v18 offset:3072
	v_add_co_u32 v9, vcc_lo, v9, s27
	v_add_co_ci_u32_e32 v10, vcc_lo, 0, v10, vcc_lo
	s_waitcnt lgkmcnt(0)
	s_barrier
	buffer_gl0_inv
	v_cmp_ge_i64_e32 vcc_lo, v[9:10], v[7:8]
	v_add_nc_u32_e32 v11, vcc_hi, v11
	v_readfirstlane_b32 s17, v4
	v_readfirstlane_b32 s16, v3
	s_delay_alu instid0(VALU_DEP_1) | instskip(SKIP_1) | instid1(SALU_CYCLE_1)
	s_cmp_lg_u64 s[16:17], 0
	s_cselect_b32 s15, -1, 0
	s_or_b32 s16, s15, vcc_lo
	s_delay_alu instid0(SALU_CYCLE_1) | instskip(NEXT) | instid1(SALU_CYCLE_1)
	s_and_b32 s16, exec_lo, s16
	s_or_b32 s13, s16, s13
	s_and_not1_b32 s12, s12, exec_lo
	s_and_b32 s15, s15, exec_lo
	s_delay_alu instid0(SALU_CYCLE_1)
	s_or_b32 s12, s12, s15
	s_and_not1_b32 exec_lo, exec_lo, s13
	s_cbranch_execz .LBB30_278
.LBB30_273:                             ;   Parent Loop BB30_33 Depth=1
                                        ; =>  This Inner Loop Header: Depth=2
	s_delay_alu instid0(VALU_DEP_1)
	v_cmp_gt_i64_e32 vcc_lo, s[10:11], v[9:10]
	v_mov_b32_e32 v4, 0
	v_mov_b32_e32 v5, 0
	s_and_saveexec_b32 s15, vcc_lo
	s_cbranch_execz .LBB30_275
; %bb.274:                              ;   in Loop: Header=BB30_273 Depth=2
	ds_load_b64 v[4:5], v11
.LBB30_275:                             ;   in Loop: Header=BB30_273 Depth=2
	s_or_b32 exec_lo, exec_lo, s15
	s_and_saveexec_b32 s15, vcc_lo
	s_cbranch_execz .LBB30_272
; %bb.276:                              ;   in Loop: Header=BB30_273 Depth=2
	s_waitcnt lgkmcnt(0)
	v_xor_b32_e32 v3, 0x80000000, v5
	v_and_b32_e32 v12, s84, v4
	s_delay_alu instid0(VALU_DEP_2) | instskip(NEXT) | instid1(VALU_DEP_1)
	v_and_b32_e32 v13, s85, v3
	v_cmp_eq_u64_e32 vcc_lo, s[82:83], v[12:13]
	s_and_b32 exec_lo, exec_lo, vcc_lo
	s_cbranch_execz .LBB30_272
; %bb.277:                              ;   in Loop: Header=BB30_273 Depth=2
	v_mov_b32_e32 v3, v18
	ds_store_b128 v18, v[2:5] offset:3072
	s_branch .LBB30_272
.LBB30_278:                             ;   in Loop: Header=BB30_33 Depth=1
	s_set_inst_prefetch_distance 0x2
	s_or_b32 exec_lo, exec_lo, s13
	s_delay_alu instid0(SALU_CYCLE_1)
	s_and_b32 s12, s12, exec_lo
.LBB30_279:                             ;   in Loop: Header=BB30_33 Depth=1
	s_or_b32 exec_lo, exec_lo, s5
	s_mov_b32 s17, -1
	s_mov_b32 s15, 0
	s_mov_b32 s16, 0
.LBB30_280:                             ;   in Loop: Header=BB30_33 Depth=1
	s_mov_b32 s13, 0
                                        ; implicit-def: $sgpr5
                                        ; implicit-def: $sgpr10_sgpr11
	s_and_saveexec_b32 s23, s12
	s_cbranch_execz .LBB30_293
; %bb.281:                              ;   in Loop: Header=BB30_33 Depth=1
	s_xor_b32 s5, s14, -1
	s_mov_b64 s[10:11], 1
	s_and_not1_b32 vcc_lo, exec_lo, s5
	s_mov_b32 s5, 1
	s_cbranch_vccnz .LBB30_292
; %bb.282:                              ;   in Loop: Header=BB30_33 Depth=1
	v_cmp_gt_i64_e64 s5, s[38:39], s[6:7]
	s_delay_alu instid0(VALU_DEP_1)
	s_and_b32 vcc_lo, exec_lo, s5
	s_cbranch_vccnz .LBB30_288
; %bb.283:                              ;   in Loop: Header=BB30_33 Depth=1
	ds_load_b64 v[3:4], v18 offset:5120
	s_waitcnt lgkmcnt(0)
	v_cmp_ne_u64_e32 vcc_lo, 0, v[3:4]
	s_cbranch_vccnz .LBB30_287
; %bb.284:                              ;   in Loop: Header=BB30_33 Depth=1
	s_and_saveexec_b32 s5, s0
	s_cbranch_execz .LBB30_286
; %bb.285:                              ;   in Loop: Header=BB30_33 Depth=1
	v_dual_mov_b32 v3, s6 :: v_dual_mov_b32 v4, s7
	ds_store_b64 v18, v[3:4] offset:5128
.LBB30_286:                             ;   in Loop: Header=BB30_33 Depth=1
	s_or_b32 exec_lo, exec_lo, s5
	s_waitcnt lgkmcnt(0)
	s_barrier
	buffer_gl0_inv
.LBB30_287:                             ;   in Loop: Header=BB30_33 Depth=1
	s_or_b64 s[12:13], s[82:83], s[8:9]
	s_or_b64 s[8:9], s[84:85], s[8:9]
	s_mov_b32 s10, 0
	s_mov_b32 s5, 8
	s_branch .LBB30_289
.LBB30_288:                             ;   in Loop: Header=BB30_33 Depth=1
	s_mov_b32 s10, -1
                                        ; implicit-def: $sgpr5
                                        ; implicit-def: $sgpr12_sgpr13
                                        ; implicit-def: $sgpr8_sgpr9
.LBB30_289:                             ;   in Loop: Header=BB30_33 Depth=1
	s_delay_alu instid0(SALU_CYCLE_1)
	s_and_not1_b32 vcc_lo, exec_lo, s10
	s_cbranch_vccnz .LBB30_291
; %bb.290:                              ;   in Loop: Header=BB30_33 Depth=1
	s_sub_u32 s38, s38, s6
	s_subb_u32 s39, s39, s7
	s_mov_b32 s5, 8
	s_mov_b64 s[12:13], s[82:83]
	s_mov_b64 s[8:9], s[84:85]
.LBB30_291:                             ;   in Loop: Header=BB30_33 Depth=1
	s_mov_b64 s[10:11], s[38:39]
	s_mov_b64 s[82:83], s[12:13]
	;; [unrolled: 1-line block ×3, first 2 shown]
.LBB30_292:                             ;   in Loop: Header=BB30_33 Depth=1
	s_mov_b32 s13, exec_lo
.LBB30_293:                             ;   in Loop: Header=BB30_33 Depth=1
	s_or_b32 exec_lo, exec_lo, s23
	s_mov_b64 s[38:39], s[10:11]
.LBB30_294:                             ;   in Loop: Header=BB30_33 Depth=1
	s_and_not1_b32 s6, s18, exec_lo
	s_and_b32 s7, s15, exec_lo
	s_and_not1_b32 s8, s19, exec_lo
	s_or_b32 s18, s6, s7
	s_and_not1_b32 s6, s68, exec_lo
	s_and_b32 s7, s17, exec_lo
	s_and_b32 s9, s16, exec_lo
	s_or_b32 s68, s6, s7
	s_or_b32 s19, s8, s9
	s_and_b32 s14, s13, exec_lo
.LBB30_295:                             ;   in Loop: Header=BB30_33 Depth=1
	s_or_b32 exec_lo, exec_lo, s86
.LBB30_296:                             ;   in Loop: Header=BB30_33 Depth=1
	s_delay_alu instid0(SALU_CYCLE_1)
	s_and_not1_b32 s6, s49, exec_lo
	s_and_b32 s7, s18, exec_lo
	s_and_not1_b32 s8, s21, exec_lo
	s_or_b32 s49, s6, s7
	s_and_not1_b32 s6, s50, exec_lo
	s_and_b32 s7, s68, exec_lo
	s_and_b32 s9, s19, exec_lo
	s_or_b32 s50, s6, s7
	s_or_b32 s21, s8, s9
	s_and_b32 s16, s14, exec_lo
.LBB30_297:                             ;   in Loop: Header=BB30_33 Depth=1
	s_or_b32 exec_lo, exec_lo, s51
	s_and_saveexec_b32 s6, s16
	s_delay_alu instid0(SALU_CYCLE_1)
	s_xor_b32 s6, exec_lo, s6
	s_cbranch_execz .LBB30_31
.LBB30_298:                             ;   in Loop: Header=BB30_33 Depth=1
	s_and_b32 s5, s5, -9
	s_delay_alu instid0(SALU_CYCLE_1)
	s_cmp_eq_u32 s5, 0
	s_cbranch_scc1 .LBB30_29
; %bb.299:                              ;   in Loop: Header=BB30_33 Depth=1
	s_mov_b32 s5, -1
	s_mov_b32 s7, -1
                                        ; implicit-def: $sgpr84_sgpr85
                                        ; implicit-def: $sgpr67
                                        ; implicit-def: $sgpr59
	s_branch .LBB30_30
.LBB30_300:                             ;   in Loop: Header=BB30_33 Depth=1
                                        ; implicit-def: $vgpr3_vgpr4
	s_branch .LBB30_252
.LBB30_301:                             ;   in Loop: Header=BB30_33 Depth=1
                                        ; implicit-def: $vgpr3_vgpr4
	s_branch .LBB30_269
.LBB30_302:
	s_or_b32 exec_lo, exec_lo, s64
	s_xor_b32 s5, s58, -1
	s_xor_b32 s2, s65, -1
	s_xor_b32 s4, s66, -1
	s_mov_b32 s3, 0
	s_and_saveexec_b32 s6, s2
	s_delay_alu instid0(SALU_CYCLE_1)
	s_xor_b32 s2, exec_lo, s6
	s_cbranch_execz .LBB30_325
; %bb.303:
	s_and_saveexec_b32 s3, s5
	s_delay_alu instid0(SALU_CYCLE_1)
	s_xor_b32 s3, exec_lo, s3
	s_cbranch_execz .LBB30_323
; %bb.304:
	s_and_saveexec_b32 s5, s4
	s_delay_alu instid0(SALU_CYCLE_1)
	s_xor_b32 s4, exec_lo, s5
; %bb.305:
	v_xor_b32_e32 v4, 0x80000000, v4
	s_delay_alu instid0(VALU_DEP_1)
	v_dual_mov_b32 v6, v4 :: v_dual_mov_b32 v5, v3
; %bb.306:
	s_or_b32 exec_lo, exec_lo, s4
	s_and_saveexec_b32 s4, s0
	s_cbranch_execz .LBB30_308
; %bb.307:
	v_dual_mov_b32 v2, 0 :: v_dual_mov_b32 v3, s36
	ds_store_b32 v2, v3 offset:5140
.LBB30_308:
	s_or_b32 exec_lo, exec_lo, s4
	s_waitcnt lgkmcnt(0)
	s_barrier
	buffer_gl0_inv
	s_and_saveexec_b32 s4, s1
	s_cbranch_execz .LBB30_320
; %bb.309:
	v_mov_b32_e32 v2, 0
	s_mov_b32 s5, 0
                                        ; implicit-def: $sgpr6
                                        ; implicit-def: $sgpr7
                                        ; implicit-def: $sgpr8
	ds_load_b32 v7, v2 offset:5140
	s_waitcnt lgkmcnt(0)
	v_ashrrev_i32_e32 v8, 31, v7
	s_set_inst_prefetch_distance 0x1
	s_branch .LBB30_312
	.p2align	6
.LBB30_310:                             ;   in Loop: Header=BB30_312 Depth=1
	s_or_b32 exec_lo, exec_lo, s11
	s_delay_alu instid0(SALU_CYCLE_1)
	s_and_not1_b32 s8, s8, exec_lo
	s_and_b32 s10, s10, exec_lo
	s_and_not1_b32 s7, s7, exec_lo
	s_and_b32 s1, s1, exec_lo
	s_or_b32 s8, s8, s10
	s_or_b32 s7, s7, s1
.LBB30_311:                             ;   in Loop: Header=BB30_312 Depth=1
	s_or_b32 exec_lo, exec_lo, s9
	s_delay_alu instid0(SALU_CYCLE_1) | instskip(NEXT) | instid1(SALU_CYCLE_1)
	s_and_b32 s1, exec_lo, s7
	s_or_b32 s5, s1, s5
	s_and_not1_b32 s1, s6, exec_lo
	s_and_b32 s6, s8, exec_lo
	s_delay_alu instid0(SALU_CYCLE_1)
	s_or_b32 s6, s1, s6
	s_and_not1_b32 exec_lo, exec_lo, s5
	s_cbranch_execz .LBB30_315
.LBB30_312:                             ; =>This Inner Loop Header: Depth=1
	v_dual_mov_b32 v3, v1 :: v_dual_mov_b32 v2, v0
	s_or_b32 s8, s8, exec_lo
	s_or_b32 s7, s7, exec_lo
	s_mov_b32 s9, exec_lo
                                        ; implicit-def: $vgpr0_vgpr1
	s_delay_alu instid0(VALU_DEP_1)
	v_cmpx_lt_i64_e64 v[2:3], v[7:8]
	s_cbranch_execz .LBB30_311
; %bb.313:                              ;   in Loop: Header=BB30_312 Depth=1
	global_load_b64 v[0:1], v[15:16], off
	s_mov_b32 s1, -1
	s_mov_b32 s10, 0
	s_waitcnt vmcnt(0)
	v_cmp_ne_u64_e32 vcc_lo, v[0:1], v[5:6]
                                        ; implicit-def: $vgpr0_vgpr1
	s_and_saveexec_b32 s11, vcc_lo
	s_cbranch_execz .LBB30_310
; %bb.314:                              ;   in Loop: Header=BB30_312 Depth=1
	v_add_co_u32 v0, vcc_lo, v2, s27
	v_add_co_ci_u32_e32 v1, vcc_lo, 0, v3, vcc_lo
	v_add_co_u32 v15, s1, v15, s70
	s_delay_alu instid0(VALU_DEP_1) | instskip(NEXT) | instid1(VALU_DEP_3)
	v_add_co_ci_u32_e64 v16, s1, s71, v16, s1
	v_cmp_le_i64_e32 vcc_lo, s[36:37], v[0:1]
	s_mov_b32 s10, exec_lo
	s_or_not1_b32 s1, vcc_lo, exec_lo
	s_branch .LBB30_310
.LBB30_315:
	s_set_inst_prefetch_distance 0x2
	s_or_b32 exec_lo, exec_lo, s5
	s_xor_b32 s1, s6, -1
	s_delay_alu instid0(SALU_CYCLE_1) | instskip(NEXT) | instid1(SALU_CYCLE_1)
	s_and_saveexec_b32 s5, s1
	s_xor_b32 s5, exec_lo, s5
	s_cbranch_execz .LBB30_320
; %bb.316:
	s_mov_b32 s5, exec_lo
	s_brev_b32 s1, -2
.LBB30_317:                             ; =>This Inner Loop Header: Depth=1
	s_ctz_i32_b32 s6, s5
	s_delay_alu instid0(SALU_CYCLE_1) | instskip(SKIP_1) | instid1(SALU_CYCLE_1)
	v_readlane_b32 s7, v2, s6
	s_lshl_b32 s6, 1, s6
	s_and_not1_b32 s5, s5, s6
	s_delay_alu instid0(VALU_DEP_1)
	s_min_i32 s1, s1, s7
	s_cmp_lg_u32 s5, 0
	s_cbranch_scc1 .LBB30_317
; %bb.318:
	v_mbcnt_lo_u32_b32 v0, exec_lo, 0
	s_mov_b32 s5, exec_lo
	s_delay_alu instid0(VALU_DEP_1)
	v_cmpx_eq_u32_e32 0, v0
	s_xor_b32 s5, exec_lo, s5
	s_cbranch_execz .LBB30_320
; %bb.319:
	v_dual_mov_b32 v0, 0 :: v_dual_mov_b32 v1, s1
	ds_min_i32 v0, v1 offset:5140
.LBB30_320:
	s_or_b32 exec_lo, exec_lo, s4
	s_waitcnt lgkmcnt(0)
	s_barrier
	buffer_gl0_inv
	s_and_saveexec_b32 s4, s0
	s_cbranch_execz .LBB30_322
; %bb.321:
	s_mul_i32 s0, s56, s47
	s_mul_hi_u32 s1, s56, s46
	v_readlane_b32 s16, v52, 0
	s_add_i32 s0, s1, s0
	s_mul_i32 s1, s57, s46
	v_readlane_b32 s17, v52, 1
	s_mul_i32 s5, s56, s46
	s_add_i32 s0, s0, s1
	s_sub_u32 s5, s26, s5
	s_subb_u32 s0, 0, s0
	s_mul_i32 s1, s5, s17
	s_mul_hi_u32 s6, s5, s16
	s_mul_i32 s0, s0, s16
	s_add_i32 s1, s6, s1
	s_mul_i32 s6, s40, s29
	s_mul_hi_u32 s7, s40, s28
	s_add_i32 s1, s1, s0
	s_add_i32 s0, s7, s6
	s_mul_i32 s6, s41, s28
	s_mul_i32 s7, s40, s28
	s_add_i32 s0, s0, s6
	s_sub_u32 s6, s34, s7
	s_subb_u32 s0, s35, s0
	s_mul_i32 s7, s6, s55
	s_mul_hi_u32 s8, s6, s54
	s_mul_i32 s0, s0, s54
	s_add_i32 s7, s8, s7
	s_mul_i32 s8, s40, s53
	s_mul_hi_u32 s9, s40, s52
	s_add_i32 s7, s7, s0
	s_add_i32 s0, s9, s8
	s_mul_i32 s8, s41, s52
	s_mul_i32 s10, s34, s31
	s_mul_hi_u32 s11, s34, s30
	v_readlane_b32 s18, v52, 6
	s_add_i32 s9, s0, s8
	s_add_i32 s0, s11, s10
	s_mul_i32 s8, s35, s30
	v_readlane_b32 s19, v52, 7
	s_mul_i32 s10, s34, s30
	s_add_i32 s0, s0, s8
	s_sub_u32 s10, s26, s10
	s_subb_u32 s0, 0, s0
	s_mul_i32 s8, s10, s19
	s_mul_hi_u32 s11, s10, s18
	s_mul_i32 s0, s0, s18
	s_add_i32 s8, s11, s8
	s_mul_i32 s12, s62, s45
	s_mul_hi_u32 s13, s62, s44
	v_readlane_b32 s20, v52, 2
	s_add_i32 s11, s8, s0
	s_add_i32 s0, s13, s12
	s_mul_i32 s8, s63, s44
	v_readlane_b32 s22, v52, 4
	v_readlane_b32 s23, v52, 5
	v_mov_b32_e32 v2, 0
	s_mul_i32 s12, s62, s44
	s_add_i32 s0, s0, s8
	v_readlane_b32 s21, v52, 3
	s_sub_u32 s12, s56, s12
	ds_load_b32 v0, v2 offset:5140
	s_mul_i32 s13, s12, s23
	s_mul_hi_u32 s14, s12, s22
	s_subb_u32 s0, s57, s0
	s_add_i32 s13, s14, s13
	s_mul_i32 s14, s62, s21
	s_mul_hi_u32 s15, s62, s20
	v_readlane_b32 s24, v52, 10
	s_mul_i32 s8, s40, s52
	v_readlane_b32 s25, v52, 11
	s_mul_i32 s0, s0, s22
	s_add_i32 s14, s15, s14
	s_mul_i32 s15, s63, s20
	s_lshl_b64 s[8:9], s[8:9], 3
	s_mul_i32 s6, s6, s54
	s_add_i32 s13, s13, s0
	s_add_i32 s15, s14, s15
	s_add_u32 s0, s24, s8
	s_addc_u32 s8, s25, s9
	s_lshl_b64 s[6:7], s[6:7], 3
	s_mul_i32 s10, s10, s18
	s_add_u32 s0, s0, s6
	s_addc_u32 s8, s8, s7
	s_lshl_b64 s[6:7], s[10:11], 3
	v_readlane_b32 s10, v52, 8
	s_mul_i32 s14, s62, s20
	v_readlane_b32 s11, v52, 9
	s_add_u32 s6, s0, s6
	s_addc_u32 s7, s8, s7
	s_lshl_b64 s[8:9], s[14:15], 3
	s_mul_i32 s12, s12, s22
	s_add_u32 s10, s10, s8
	s_addc_u32 s11, s11, s9
	s_lshl_b64 s[8:9], s[12:13], 3
	s_mul_i32 s0, s5, s16
	s_add_u32 s5, s10, s8
	s_addc_u32 s8, s11, s9
	s_lshl_b64 s[0:1], s[0:1], 3
	s_waitcnt lgkmcnt(0)
	v_ashrrev_i32_e32 v1, 31, v0
	s_add_u32 s0, s5, s0
	s_addc_u32 s1, s8, s1
	s_clause 0x1
	global_store_b64 v2, v[0:1], s[0:1]
	global_store_b64 v2, v[5:6], s[6:7]
.LBB30_322:
	s_or_b32 exec_lo, exec_lo, s4
.LBB30_323:
	s_or_saveexec_b32 s0, s3
	s_mov_b32 s1, 0
	s_xor_b32 exec_lo, exec_lo, s0
	s_cbranch_execnz .LBB30_331
.LBB30_324:
	s_or_b32 exec_lo, exec_lo, s0
	s_delay_alu instid0(SALU_CYCLE_1)
	s_and_b32 s3, s1, exec_lo
.LBB30_325:
	s_and_not1_saveexec_b32 s0, s2
	s_cbranch_execnz .LBB30_329
; %bb.326:
	s_or_b32 exec_lo, exec_lo, s0
	s_and_saveexec_b32 s0, s3
.LBB30_327:
	; divergent unreachable
.LBB30_328:
	s_nop 0
	s_sendmsg sendmsg(MSG_DEALLOC_VGPRS)
	s_endpgm
.LBB30_329:
	s_cbranch_execnz .LBB30_333
; %bb.330:
	s_or_b32 s3, s3, exec_lo
	s_or_b32 exec_lo, exec_lo, s0
	s_and_saveexec_b32 s0, s3
	s_cbranch_execnz .LBB30_327
	s_branch .LBB30_328
.LBB30_331:
	s_cbranch_execnz .LBB30_335
; %bb.332:
	s_mov_b32 s1, exec_lo
	s_branch .LBB30_324
.LBB30_333:
	s_trap 2
	s_sendmsg_rtn_b32 s0, sendmsg(MSG_RTN_GET_DOORBELL)
	s_mov_b32 ttmp2, m0
	s_waitcnt lgkmcnt(0)
	s_and_b32 s0, s0, 0x3ff
	s_delay_alu instid0(SALU_CYCLE_1) | instskip(NEXT) | instid1(SALU_CYCLE_1)
	s_bitset1_b32 s0, 10
	s_mov_b32 m0, s0
	s_sendmsg sendmsg(MSG_INTERRUPT)
	s_mov_b32 m0, ttmp2
.LBB30_334:                             ; =>This Inner Loop Header: Depth=1
	s_sethalt 5
	s_branch .LBB30_334
.LBB30_335:
	s_trap 2
	s_sendmsg_rtn_b32 s0, sendmsg(MSG_RTN_GET_DOORBELL)
	s_mov_b32 ttmp2, m0
	s_waitcnt lgkmcnt(0)
	s_and_b32 s0, s0, 0x3ff
	s_delay_alu instid0(SALU_CYCLE_1) | instskip(NEXT) | instid1(SALU_CYCLE_1)
	s_bitset1_b32 s0, 10
	s_mov_b32 m0, s0
	s_sendmsg sendmsg(MSG_INTERRUPT)
	s_mov_b32 m0, ttmp2
.LBB30_336:                             ; =>This Inner Loop Header: Depth=1
	s_sethalt 5
	s_branch .LBB30_336
	.section	.rodata,"a",@progbits
	.p2align	6, 0x0
	.amdhsa_kernel _ZN2at6native12_GLOBAL__N_114gatherKthValueIllLi3EEEvNS_4cuda6detail10TensorInfoIKT_T0_EES8_S8_S8_S8_NS5_IS6_S8_EENS5_IlS8_EE
		.amdhsa_group_segment_fixed_size 5144
		.amdhsa_private_segment_fixed_size 0
		.amdhsa_kernarg_size 1536
		.amdhsa_user_sgpr_count 13
		.amdhsa_user_sgpr_dispatch_ptr 0
		.amdhsa_user_sgpr_queue_ptr 0
		.amdhsa_user_sgpr_kernarg_segment_ptr 1
		.amdhsa_user_sgpr_dispatch_id 0
		.amdhsa_user_sgpr_private_segment_size 0
		.amdhsa_wavefront_size32 1
		.amdhsa_uses_dynamic_stack 0
		.amdhsa_enable_private_segment 0
		.amdhsa_system_sgpr_workgroup_id_x 1
		.amdhsa_system_sgpr_workgroup_id_y 1
		.amdhsa_system_sgpr_workgroup_id_z 1
		.amdhsa_system_sgpr_workgroup_info 0
		.amdhsa_system_vgpr_workitem_id 0
		.amdhsa_next_free_vgpr 53
		.amdhsa_next_free_sgpr 105
		.amdhsa_reserve_vcc 1
		.amdhsa_float_round_mode_32 0
		.amdhsa_float_round_mode_16_64 0
		.amdhsa_float_denorm_mode_32 3
		.amdhsa_float_denorm_mode_16_64 3
		.amdhsa_dx10_clamp 1
		.amdhsa_ieee_mode 1
		.amdhsa_fp16_overflow 0
		.amdhsa_workgroup_processor_mode 1
		.amdhsa_memory_ordered 1
		.amdhsa_forward_progress 0
		.amdhsa_shared_vgpr_count 0
		.amdhsa_exception_fp_ieee_invalid_op 0
		.amdhsa_exception_fp_denorm_src 0
		.amdhsa_exception_fp_ieee_div_zero 0
		.amdhsa_exception_fp_ieee_overflow 0
		.amdhsa_exception_fp_ieee_underflow 0
		.amdhsa_exception_fp_ieee_inexact 0
		.amdhsa_exception_int_div_zero 0
	.end_amdhsa_kernel
	.section	.text._ZN2at6native12_GLOBAL__N_114gatherKthValueIllLi3EEEvNS_4cuda6detail10TensorInfoIKT_T0_EES8_S8_S8_S8_NS5_IS6_S8_EENS5_IlS8_EE,"axG",@progbits,_ZN2at6native12_GLOBAL__N_114gatherKthValueIllLi3EEEvNS_4cuda6detail10TensorInfoIKT_T0_EES8_S8_S8_S8_NS5_IS6_S8_EENS5_IlS8_EE,comdat
.Lfunc_end30:
	.size	_ZN2at6native12_GLOBAL__N_114gatherKthValueIllLi3EEEvNS_4cuda6detail10TensorInfoIKT_T0_EES8_S8_S8_S8_NS5_IS6_S8_EENS5_IlS8_EE, .Lfunc_end30-_ZN2at6native12_GLOBAL__N_114gatherKthValueIllLi3EEEvNS_4cuda6detail10TensorInfoIKT_T0_EES8_S8_S8_S8_NS5_IS6_S8_EENS5_IlS8_EE
                                        ; -- End function
	.section	.AMDGPU.csdata,"",@progbits
; Kernel info:
; codeLenInByte = 22840
; NumSgprs: 107
; NumVgprs: 53
; ScratchSize: 0
; MemoryBound: 0
; FloatMode: 240
; IeeeMode: 1
; LDSByteSize: 5144 bytes/workgroup (compile time only)
; SGPRBlocks: 13
; VGPRBlocks: 6
; NumSGPRsForWavesPerEU: 107
; NumVGPRsForWavesPerEU: 53
; Occupancy: 16
; WaveLimiterHint : 1
; COMPUTE_PGM_RSRC2:SCRATCH_EN: 0
; COMPUTE_PGM_RSRC2:USER_SGPR: 13
; COMPUTE_PGM_RSRC2:TRAP_HANDLER: 0
; COMPUTE_PGM_RSRC2:TGID_X_EN: 1
; COMPUTE_PGM_RSRC2:TGID_Y_EN: 1
; COMPUTE_PGM_RSRC2:TGID_Z_EN: 1
; COMPUTE_PGM_RSRC2:TIDIG_COMP_CNT: 0
	.section	.text._ZN2at6native12_GLOBAL__N_114gatherKthValueIllLin1EEEvNS_4cuda6detail10TensorInfoIKT_T0_EES8_S8_S8_S8_NS5_IS6_S8_EENS5_IlS8_EE,"axG",@progbits,_ZN2at6native12_GLOBAL__N_114gatherKthValueIllLin1EEEvNS_4cuda6detail10TensorInfoIKT_T0_EES8_S8_S8_S8_NS5_IS6_S8_EENS5_IlS8_EE,comdat
	.globl	_ZN2at6native12_GLOBAL__N_114gatherKthValueIllLin1EEEvNS_4cuda6detail10TensorInfoIKT_T0_EES8_S8_S8_S8_NS5_IS6_S8_EENS5_IlS8_EE ; -- Begin function _ZN2at6native12_GLOBAL__N_114gatherKthValueIllLin1EEEvNS_4cuda6detail10TensorInfoIKT_T0_EES8_S8_S8_S8_NS5_IS6_S8_EENS5_IlS8_EE
	.p2align	8
	.type	_ZN2at6native12_GLOBAL__N_114gatherKthValueIllLin1EEEvNS_4cuda6detail10TensorInfoIKT_T0_EES8_S8_S8_S8_NS5_IS6_S8_EENS5_IlS8_EE,@function
_ZN2at6native12_GLOBAL__N_114gatherKthValueIllLin1EEEvNS_4cuda6detail10TensorInfoIKT_T0_EES8_S8_S8_S8_NS5_IS6_S8_EENS5_IlS8_EE: ; @_ZN2at6native12_GLOBAL__N_114gatherKthValueIllLin1EEEvNS_4cuda6detail10TensorInfoIKT_T0_EES8_S8_S8_S8_NS5_IS6_S8_EENS5_IlS8_EE
; %bb.0:
	s_clause 0x1
	s_load_b64 s[8:9], s[0:1], 0x500
	s_load_b256 s[36:43], s[0:1], 0x1a0
	s_add_u32 s6, s0, 0x500
	s_addc_u32 s7, s1, 0
	s_mov_b32 s5, 0
	s_waitcnt lgkmcnt(0)
	s_mul_i32 s2, s9, s15
	s_delay_alu instid0(SALU_CYCLE_1) | instskip(NEXT) | instid1(SALU_CYCLE_1)
	s_add_i32 s2, s2, s14
	s_mul_i32 s2, s2, s8
	s_delay_alu instid0(SALU_CYCLE_1) | instskip(NEXT) | instid1(SALU_CYCLE_1)
	s_add_i32 s4, s2, s13
	v_cmp_ge_i64_e64 s2, s[4:5], s[40:41]
	s_delay_alu instid0(VALU_DEP_1)
	s_and_b32 vcc_lo, exec_lo, s2
	s_cbranch_vccnz .LBB31_328
; %bb.1:
	s_load_b32 s9, s[0:1], 0x198
	s_mov_b64 s[2:3], 0
	s_mov_b64 s[10:11], s[4:5]
	s_waitcnt lgkmcnt(0)
	s_cmp_lt_i32 s9, 2
	s_cbranch_scc1 .LBB31_9
; %bb.2:
	s_mov_b32 s14, 0
	s_add_i32 s2, s9, -1
	s_mov_b32 s3, s14
	s_add_i32 s9, s9, 1
	s_lshl_b64 s[10:11], s[2:3], 3
	s_mov_b64 s[2:3], 0
	s_add_u32 s10, s10, s0
	s_addc_u32 s11, s11, s1
	s_add_u32 s16, s10, 8
	s_addc_u32 s17, s11, 0
	s_mov_b64 s[18:19], s[4:5]
.LBB31_3:                               ; =>This Inner Loop Header: Depth=1
	s_load_b64 s[20:21], s[16:17], 0x0
	s_mov_b32 s12, -1
	s_waitcnt lgkmcnt(0)
	s_or_b64 s[10:11], s[18:19], s[20:21]
	s_delay_alu instid0(SALU_CYCLE_1) | instskip(NEXT) | instid1(SALU_CYCLE_1)
	s_mov_b32 s15, s11
                                        ; implicit-def: $sgpr10_sgpr11
	s_cmp_lg_u64 s[14:15], 0
	s_cbranch_scc0 .LBB31_5
; %bb.4:                                ;   in Loop: Header=BB31_3 Depth=1
	s_ashr_i32 s10, s21, 31
	s_delay_alu instid0(SALU_CYCLE_1) | instskip(SKIP_2) | instid1(SALU_CYCLE_1)
	s_add_u32 s22, s20, s10
	s_mov_b32 s11, s10
	s_addc_u32 s23, s21, s10
	s_xor_b64 s[22:23], s[22:23], s[10:11]
	s_delay_alu instid0(SALU_CYCLE_1)
	v_cvt_f32_u32_e32 v1, s22
	v_cvt_f32_u32_e32 v2, s23
	s_sub_u32 s24, 0, s22
	s_subb_u32 s25, 0, s23
	s_waitcnt_depctr 0xfff
	v_fmac_f32_e32 v1, 0x4f800000, v2
	s_delay_alu instid0(VALU_DEP_1) | instskip(SKIP_2) | instid1(VALU_DEP_1)
	v_rcp_f32_e32 v1, v1
	s_waitcnt_depctr 0xfff
	v_mul_f32_e32 v1, 0x5f7ffffc, v1
	v_mul_f32_e32 v2, 0x2f800000, v1
	s_delay_alu instid0(VALU_DEP_1) | instskip(NEXT) | instid1(VALU_DEP_1)
	v_trunc_f32_e32 v2, v2
	v_fmac_f32_e32 v1, 0xcf800000, v2
	v_cvt_u32_f32_e32 v2, v2
	s_delay_alu instid0(VALU_DEP_2) | instskip(NEXT) | instid1(VALU_DEP_2)
	v_cvt_u32_f32_e32 v1, v1
	v_readfirstlane_b32 s12, v2
	s_delay_alu instid0(VALU_DEP_2) | instskip(NEXT) | instid1(VALU_DEP_2)
	v_readfirstlane_b32 s15, v1
	s_mul_i32 s26, s24, s12
	s_delay_alu instid0(VALU_DEP_1)
	s_mul_hi_u32 s28, s24, s15
	s_mul_i32 s27, s25, s15
	s_add_i32 s26, s28, s26
	s_mul_i32 s29, s24, s15
	s_add_i32 s26, s26, s27
	s_mul_hi_u32 s28, s15, s29
	s_mul_hi_u32 s30, s12, s29
	s_mul_i32 s27, s12, s29
	s_mul_hi_u32 s29, s15, s26
	s_mul_i32 s15, s15, s26
	s_mul_hi_u32 s31, s12, s26
	s_add_u32 s15, s28, s15
	s_addc_u32 s28, 0, s29
	s_add_u32 s15, s15, s27
	s_mul_i32 s26, s12, s26
	s_addc_u32 s15, s28, s30
	s_addc_u32 s27, s31, 0
	s_add_u32 s15, s15, s26
	s_addc_u32 s26, 0, s27
	v_add_co_u32 v1, s15, v1, s15
	s_delay_alu instid0(VALU_DEP_1) | instskip(SKIP_1) | instid1(VALU_DEP_1)
	s_cmp_lg_u32 s15, 0
	s_addc_u32 s12, s12, s26
	v_readfirstlane_b32 s15, v1
	s_mul_i32 s26, s24, s12
	s_delay_alu instid0(VALU_DEP_1)
	s_mul_hi_u32 s27, s24, s15
	s_mul_i32 s25, s25, s15
	s_add_i32 s26, s27, s26
	s_mul_i32 s24, s24, s15
	s_add_i32 s26, s26, s25
	s_mul_hi_u32 s27, s12, s24
	s_mul_i32 s28, s12, s24
	s_mul_hi_u32 s24, s15, s24
	s_mul_hi_u32 s29, s15, s26
	s_mul_i32 s15, s15, s26
	s_mul_hi_u32 s25, s12, s26
	s_add_u32 s15, s24, s15
	s_addc_u32 s24, 0, s29
	s_add_u32 s15, s15, s28
	s_mul_i32 s26, s12, s26
	s_addc_u32 s15, s24, s27
	s_addc_u32 s24, s25, 0
	s_add_u32 s15, s15, s26
	s_addc_u32 s24, 0, s24
	v_add_co_u32 v1, s15, v1, s15
	s_delay_alu instid0(VALU_DEP_1) | instskip(SKIP_2) | instid1(VALU_DEP_1)
	s_cmp_lg_u32 s15, 0
	s_addc_u32 s12, s12, s24
	s_ashr_i32 s24, s19, 31
	v_readfirstlane_b32 s15, v1
	s_add_u32 s26, s18, s24
	s_mov_b32 s25, s24
	s_addc_u32 s27, s19, s24
	s_delay_alu instid0(SALU_CYCLE_1) | instskip(NEXT) | instid1(SALU_CYCLE_1)
	s_xor_b64 s[26:27], s[26:27], s[24:25]
	s_mul_i32 s29, s26, s12
	s_mul_hi_u32 s30, s26, s15
	s_mul_hi_u32 s28, s26, s12
	;; [unrolled: 1-line block ×3, first 2 shown]
	s_mul_i32 s15, s27, s15
	s_add_u32 s29, s30, s29
	s_addc_u32 s28, 0, s28
	s_mul_hi_u32 s31, s27, s12
	s_add_u32 s15, s29, s15
	s_mul_i32 s12, s27, s12
	s_addc_u32 s15, s28, s33
	s_addc_u32 s28, s31, 0
	s_add_u32 s12, s15, s12
	s_addc_u32 s15, 0, s28
	s_mul_i32 s31, s22, s12
	s_mul_hi_u32 s28, s22, s12
	s_mul_i32 s30, s22, s15
	v_sub_co_u32 v1, s26, s26, s31
	s_mul_i32 s29, s23, s12
	s_add_i32 s28, s28, s30
	s_delay_alu instid0(SALU_CYCLE_1) | instskip(NEXT) | instid1(VALU_DEP_1)
	s_add_i32 s28, s28, s29
	v_sub_co_u32 v2, s30, v1, s22
	s_sub_i32 s29, s27, s28
	s_cmp_lg_u32 s26, 0
	s_subb_u32 s29, s29, s23
	s_cmp_lg_u32 s30, 0
	v_readfirstlane_b32 s30, v2
	s_subb_u32 s29, s29, 0
	s_delay_alu instid0(SALU_CYCLE_1) | instskip(SKIP_1) | instid1(VALU_DEP_1)
	s_cmp_ge_u32 s29, s23
	s_cselect_b32 s31, -1, 0
	s_cmp_ge_u32 s30, s22
	s_cselect_b32 s30, -1, 0
	s_cmp_eq_u32 s29, s23
	s_cselect_b32 s29, s30, s31
	s_add_u32 s30, s12, 1
	s_addc_u32 s31, s15, 0
	s_add_u32 s33, s12, 2
	s_addc_u32 s34, s15, 0
	s_cmp_lg_u32 s29, 0
	s_cselect_b32 s29, s33, s30
	s_cselect_b32 s30, s34, s31
	s_cmp_lg_u32 s26, 0
	v_readfirstlane_b32 s26, v1
	s_subb_u32 s27, s27, s28
	s_delay_alu instid0(SALU_CYCLE_1) | instskip(SKIP_1) | instid1(VALU_DEP_1)
	s_cmp_ge_u32 s27, s23
	s_cselect_b32 s28, -1, 0
	s_cmp_ge_u32 s26, s22
	s_cselect_b32 s22, -1, 0
	s_cmp_eq_u32 s27, s23
	s_cselect_b32 s22, s22, s28
	s_delay_alu instid0(SALU_CYCLE_1)
	s_cmp_lg_u32 s22, 0
	s_cselect_b32 s23, s30, s15
	s_cselect_b32 s22, s29, s12
	s_xor_b64 s[10:11], s[24:25], s[10:11]
	s_mov_b32 s12, 0
	s_xor_b64 s[22:23], s[22:23], s[10:11]
	s_delay_alu instid0(SALU_CYCLE_1)
	s_sub_u32 s10, s22, s10
	s_subb_u32 s11, s23, s11
.LBB31_5:                               ;   in Loop: Header=BB31_3 Depth=1
	s_and_not1_b32 vcc_lo, exec_lo, s12
	s_cbranch_vccnz .LBB31_7
; %bb.6:                                ;   in Loop: Header=BB31_3 Depth=1
	v_cvt_f32_u32_e32 v1, s20
	s_sub_i32 s11, 0, s20
	s_waitcnt_depctr 0xfff
	v_rcp_iflag_f32_e32 v1, v1
	s_waitcnt_depctr 0xfff
	v_mul_f32_e32 v1, 0x4f7ffffe, v1
	s_delay_alu instid0(VALU_DEP_1) | instskip(NEXT) | instid1(VALU_DEP_1)
	v_cvt_u32_f32_e32 v1, v1
	v_readfirstlane_b32 s10, v1
	s_delay_alu instid0(VALU_DEP_1) | instskip(NEXT) | instid1(SALU_CYCLE_1)
	s_mul_i32 s11, s11, s10
	s_mul_hi_u32 s11, s10, s11
	s_delay_alu instid0(SALU_CYCLE_1) | instskip(NEXT) | instid1(SALU_CYCLE_1)
	s_add_i32 s10, s10, s11
	s_mul_hi_u32 s10, s18, s10
	s_delay_alu instid0(SALU_CYCLE_1) | instskip(SKIP_2) | instid1(SALU_CYCLE_1)
	s_mul_i32 s11, s10, s20
	s_add_i32 s12, s10, 1
	s_sub_i32 s11, s18, s11
	s_sub_i32 s15, s11, s20
	s_cmp_ge_u32 s11, s20
	s_cselect_b32 s10, s12, s10
	s_cselect_b32 s11, s15, s11
	s_add_i32 s12, s10, 1
	s_cmp_ge_u32 s11, s20
	s_mov_b32 s11, s14
	s_cselect_b32 s10, s12, s10
.LBB31_7:                               ;   in Loop: Header=BB31_3 Depth=1
	s_load_b64 s[22:23], s[16:17], 0xc8
	s_mul_i32 s12, s10, s21
	s_mul_hi_u32 s15, s10, s20
	s_mul_i32 s21, s11, s20
	s_add_i32 s12, s15, s12
	s_mul_i32 s15, s10, s20
	s_add_i32 s12, s12, s21
	s_sub_u32 s15, s18, s15
	s_subb_u32 s12, s19, s12
	s_waitcnt lgkmcnt(0)
	s_mul_i32 s12, s22, s12
	s_mul_hi_u32 s18, s22, s15
	s_mul_i32 s19, s23, s15
	s_add_i32 s12, s18, s12
	s_mul_i32 s15, s22, s15
	s_add_i32 s12, s12, s19
	s_add_u32 s2, s15, s2
	s_addc_u32 s3, s12, s3
	s_add_i32 s9, s9, -1
	s_add_u32 s16, s16, -8
	s_addc_u32 s17, s17, -1
	s_cmp_gt_u32 s9, 2
	s_cbranch_scc0 .LBB31_9
; %bb.8:                                ;   in Loop: Header=BB31_3 Depth=1
	s_mov_b64 s[18:19], s[10:11]
	s_branch .LBB31_3
.LBB31_9:
	s_clause 0x1
	s_load_b32 s9, s[0:1], 0x358
	s_load_b64 s[14:15], s[0:1], 0xd0
	s_add_u32 s16, s0, 0x1c0
	s_addc_u32 s17, s1, 0
	s_mov_b64 s[26:27], 0
	s_mov_b64 s[28:29], s[4:5]
	s_waitcnt lgkmcnt(0)
	s_cmp_lt_i32 s9, 2
	s_cbranch_scc1 .LBB31_17
; %bb.10:
	s_mov_b32 s18, 0
	s_add_i32 s20, s9, -1
	s_mov_b32 s21, s18
	s_add_i32 s9, s9, 1
	s_lshl_b64 s[20:21], s[20:21], 3
	s_mov_b64 s[22:23], s[4:5]
	s_add_u32 s12, s20, s16
	s_addc_u32 s19, s21, s17
	s_add_u32 s20, s12, 8
	s_addc_u32 s21, s19, 0
.LBB31_11:                              ; =>This Inner Loop Header: Depth=1
	s_load_b64 s[24:25], s[20:21], 0x0
	s_mov_b32 s12, -1
	s_waitcnt lgkmcnt(0)
	s_or_b64 s[28:29], s[22:23], s[24:25]
	s_delay_alu instid0(SALU_CYCLE_1) | instskip(NEXT) | instid1(SALU_CYCLE_1)
	s_mov_b32 s19, s29
                                        ; implicit-def: $sgpr28_sgpr29
	s_cmp_lg_u64 s[18:19], 0
	s_cbranch_scc0 .LBB31_13
; %bb.12:                               ;   in Loop: Header=BB31_11 Depth=1
	s_ashr_i32 s28, s25, 31
	s_delay_alu instid0(SALU_CYCLE_1) | instskip(SKIP_2) | instid1(SALU_CYCLE_1)
	s_add_u32 s30, s24, s28
	s_mov_b32 s29, s28
	s_addc_u32 s31, s25, s28
	s_xor_b64 s[30:31], s[30:31], s[28:29]
	s_delay_alu instid0(SALU_CYCLE_1)
	v_cvt_f32_u32_e32 v1, s30
	v_cvt_f32_u32_e32 v2, s31
	s_sub_u32 s33, 0, s30
	s_subb_u32 s34, 0, s31
	s_waitcnt_depctr 0xfff
	v_fmac_f32_e32 v1, 0x4f800000, v2
	s_delay_alu instid0(VALU_DEP_1) | instskip(SKIP_2) | instid1(VALU_DEP_1)
	v_rcp_f32_e32 v1, v1
	s_waitcnt_depctr 0xfff
	v_mul_f32_e32 v1, 0x5f7ffffc, v1
	v_mul_f32_e32 v2, 0x2f800000, v1
	s_delay_alu instid0(VALU_DEP_1) | instskip(NEXT) | instid1(VALU_DEP_1)
	v_trunc_f32_e32 v2, v2
	v_fmac_f32_e32 v1, 0xcf800000, v2
	v_cvt_u32_f32_e32 v2, v2
	s_delay_alu instid0(VALU_DEP_2) | instskip(NEXT) | instid1(VALU_DEP_2)
	v_cvt_u32_f32_e32 v1, v1
	v_readfirstlane_b32 s12, v2
	s_delay_alu instid0(VALU_DEP_2) | instskip(NEXT) | instid1(VALU_DEP_2)
	v_readfirstlane_b32 s19, v1
	s_mul_i32 s35, s33, s12
	s_delay_alu instid0(VALU_DEP_1)
	s_mul_hi_u32 s41, s33, s19
	s_mul_i32 s40, s34, s19
	s_add_i32 s35, s41, s35
	s_mul_i32 s44, s33, s19
	s_add_i32 s35, s35, s40
	s_mul_hi_u32 s41, s19, s44
	s_mul_hi_u32 s45, s12, s44
	s_mul_i32 s40, s12, s44
	s_mul_hi_u32 s44, s19, s35
	s_mul_i32 s19, s19, s35
	s_mul_hi_u32 s46, s12, s35
	s_add_u32 s19, s41, s19
	s_addc_u32 s41, 0, s44
	s_add_u32 s19, s19, s40
	s_mul_i32 s35, s12, s35
	s_addc_u32 s19, s41, s45
	s_addc_u32 s40, s46, 0
	s_add_u32 s19, s19, s35
	s_addc_u32 s35, 0, s40
	v_add_co_u32 v1, s19, v1, s19
	s_delay_alu instid0(VALU_DEP_1) | instskip(SKIP_1) | instid1(VALU_DEP_1)
	s_cmp_lg_u32 s19, 0
	s_addc_u32 s12, s12, s35
	v_readfirstlane_b32 s19, v1
	s_mul_i32 s35, s33, s12
	s_delay_alu instid0(VALU_DEP_1)
	s_mul_hi_u32 s40, s33, s19
	s_mul_i32 s34, s34, s19
	s_add_i32 s35, s40, s35
	s_mul_i32 s33, s33, s19
	s_add_i32 s35, s35, s34
	s_mul_hi_u32 s40, s12, s33
	s_mul_i32 s41, s12, s33
	s_mul_hi_u32 s33, s19, s33
	s_mul_hi_u32 s44, s19, s35
	s_mul_i32 s19, s19, s35
	s_mul_hi_u32 s34, s12, s35
	s_add_u32 s19, s33, s19
	s_addc_u32 s33, 0, s44
	s_add_u32 s19, s19, s41
	s_mul_i32 s35, s12, s35
	s_addc_u32 s19, s33, s40
	s_addc_u32 s33, s34, 0
	s_add_u32 s19, s19, s35
	s_addc_u32 s33, 0, s33
	v_add_co_u32 v1, s19, v1, s19
	s_delay_alu instid0(VALU_DEP_1) | instskip(SKIP_2) | instid1(VALU_DEP_1)
	s_cmp_lg_u32 s19, 0
	s_addc_u32 s12, s12, s33
	s_ashr_i32 s34, s23, 31
	v_readfirstlane_b32 s19, v1
	s_add_u32 s40, s22, s34
	s_mov_b32 s35, s34
	s_addc_u32 s41, s23, s34
	s_delay_alu instid0(SALU_CYCLE_1) | instskip(NEXT) | instid1(SALU_CYCLE_1)
	s_xor_b64 s[40:41], s[40:41], s[34:35]
	s_mul_i32 s44, s40, s12
	s_mul_hi_u32 s45, s40, s19
	s_mul_hi_u32 s33, s40, s12
	;; [unrolled: 1-line block ×3, first 2 shown]
	s_mul_i32 s19, s41, s19
	s_add_u32 s44, s45, s44
	s_addc_u32 s33, 0, s33
	s_mul_hi_u32 s46, s41, s12
	s_add_u32 s19, s44, s19
	s_mul_i32 s12, s41, s12
	s_addc_u32 s19, s33, s47
	s_addc_u32 s33, s46, 0
	s_add_u32 s12, s19, s12
	s_addc_u32 s19, 0, s33
	s_mul_i32 s46, s30, s12
	s_mul_hi_u32 s33, s30, s12
	s_mul_i32 s45, s30, s19
	v_sub_co_u32 v1, s40, s40, s46
	s_mul_i32 s44, s31, s12
	s_add_i32 s33, s33, s45
	s_delay_alu instid0(SALU_CYCLE_1) | instskip(NEXT) | instid1(VALU_DEP_1)
	s_add_i32 s33, s33, s44
	v_sub_co_u32 v2, s45, v1, s30
	s_sub_i32 s44, s41, s33
	s_cmp_lg_u32 s40, 0
	s_subb_u32 s44, s44, s31
	s_cmp_lg_u32 s45, 0
	v_readfirstlane_b32 s45, v2
	s_subb_u32 s44, s44, 0
	s_delay_alu instid0(SALU_CYCLE_1) | instskip(SKIP_1) | instid1(VALU_DEP_1)
	s_cmp_ge_u32 s44, s31
	s_cselect_b32 s46, -1, 0
	s_cmp_ge_u32 s45, s30
	s_cselect_b32 s45, -1, 0
	s_cmp_eq_u32 s44, s31
	s_cselect_b32 s44, s45, s46
	s_add_u32 s45, s12, 1
	s_addc_u32 s46, s19, 0
	s_add_u32 s47, s12, 2
	s_addc_u32 s48, s19, 0
	s_cmp_lg_u32 s44, 0
	s_cselect_b32 s44, s47, s45
	s_cselect_b32 s45, s48, s46
	s_cmp_lg_u32 s40, 0
	v_readfirstlane_b32 s40, v1
	s_subb_u32 s33, s41, s33
	s_delay_alu instid0(SALU_CYCLE_1) | instskip(SKIP_1) | instid1(VALU_DEP_1)
	s_cmp_ge_u32 s33, s31
	s_cselect_b32 s41, -1, 0
	s_cmp_ge_u32 s40, s30
	s_cselect_b32 s30, -1, 0
	s_cmp_eq_u32 s33, s31
	s_cselect_b32 s30, s30, s41
	s_delay_alu instid0(SALU_CYCLE_1)
	s_cmp_lg_u32 s30, 0
	s_cselect_b32 s31, s45, s19
	s_cselect_b32 s30, s44, s12
	s_xor_b64 s[28:29], s[34:35], s[28:29]
	s_mov_b32 s12, 0
	s_xor_b64 s[30:31], s[30:31], s[28:29]
	s_delay_alu instid0(SALU_CYCLE_1)
	s_sub_u32 s28, s30, s28
	s_subb_u32 s29, s31, s29
.LBB31_13:                              ;   in Loop: Header=BB31_11 Depth=1
	s_and_not1_b32 vcc_lo, exec_lo, s12
	s_cbranch_vccnz .LBB31_15
; %bb.14:                               ;   in Loop: Header=BB31_11 Depth=1
	v_cvt_f32_u32_e32 v1, s24
	s_sub_i32 s19, 0, s24
	s_waitcnt_depctr 0xfff
	v_rcp_iflag_f32_e32 v1, v1
	s_waitcnt_depctr 0xfff
	v_mul_f32_e32 v1, 0x4f7ffffe, v1
	s_delay_alu instid0(VALU_DEP_1) | instskip(NEXT) | instid1(VALU_DEP_1)
	v_cvt_u32_f32_e32 v1, v1
	v_readfirstlane_b32 s12, v1
	s_delay_alu instid0(VALU_DEP_1) | instskip(NEXT) | instid1(SALU_CYCLE_1)
	s_mul_i32 s19, s19, s12
	s_mul_hi_u32 s19, s12, s19
	s_delay_alu instid0(SALU_CYCLE_1) | instskip(NEXT) | instid1(SALU_CYCLE_1)
	s_add_i32 s12, s12, s19
	s_mul_hi_u32 s12, s22, s12
	s_delay_alu instid0(SALU_CYCLE_1) | instskip(SKIP_2) | instid1(SALU_CYCLE_1)
	s_mul_i32 s19, s12, s24
	s_add_i32 s28, s12, 1
	s_sub_i32 s19, s22, s19
	s_sub_i32 s29, s19, s24
	s_cmp_ge_u32 s19, s24
	s_cselect_b32 s12, s28, s12
	s_cselect_b32 s19, s29, s19
	s_add_i32 s28, s12, 1
	s_cmp_ge_u32 s19, s24
	s_mov_b32 s29, s18
	s_cselect_b32 s28, s28, s12
.LBB31_15:                              ;   in Loop: Header=BB31_11 Depth=1
	s_load_b64 s[30:31], s[20:21], 0xc8
	s_mul_i32 s12, s28, s25
	s_mul_hi_u32 s19, s28, s24
	s_mul_i32 s25, s29, s24
	s_add_i32 s12, s19, s12
	s_mul_i32 s19, s28, s24
	s_add_i32 s12, s12, s25
	s_sub_u32 s19, s22, s19
	s_subb_u32 s12, s23, s12
	s_waitcnt lgkmcnt(0)
	s_mul_i32 s12, s30, s12
	s_mul_hi_u32 s22, s30, s19
	s_mul_i32 s23, s31, s19
	s_add_i32 s12, s22, s12
	s_mul_i32 s19, s30, s19
	s_add_i32 s12, s12, s23
	s_add_u32 s26, s19, s26
	s_addc_u32 s27, s12, s27
	s_add_i32 s9, s9, -1
	s_add_u32 s20, s20, -8
	s_addc_u32 s21, s21, -1
	s_cmp_gt_u32 s9, 2
	s_cbranch_scc0 .LBB31_17
; %bb.16:                               ;   in Loop: Header=BB31_11 Depth=1
	s_mov_b64 s[22:23], s[28:29]
	s_branch .LBB31_11
.LBB31_17:
	s_clause 0x1
	s_load_b32 s9, s[0:1], 0x4f8
	s_load_b64 s[30:31], s[16:17], 0xd0
	s_add_u32 s12, s0, 0x360
	s_addc_u32 s17, s1, 0
	s_mov_b64 s[34:35], 0
	s_waitcnt lgkmcnt(0)
	s_cmp_lt_i32 s9, 2
	s_cbranch_scc1 .LBB31_25
; %bb.18:
	s_mov_b32 s16, 0
	s_add_i32 s18, s9, -1
	s_mov_b32 s19, s16
	s_add_i32 s9, s9, 1
	s_lshl_b64 s[18:19], s[18:19], 3
	s_delay_alu instid0(SALU_CYCLE_1)
	s_add_u32 s12, s18, s12
	s_addc_u32 s17, s19, s17
	s_add_u32 s18, s12, 8
	s_addc_u32 s19, s17, 0
.LBB31_19:                              ; =>This Inner Loop Header: Depth=1
	s_load_b64 s[20:21], s[18:19], 0x0
	s_mov_b32 s12, -1
                                        ; implicit-def: $sgpr40_sgpr41
	s_waitcnt lgkmcnt(0)
	s_or_b64 s[22:23], s[4:5], s[20:21]
	s_delay_alu instid0(SALU_CYCLE_1) | instskip(NEXT) | instid1(SALU_CYCLE_1)
	s_mov_b32 s17, s23
	s_cmp_lg_u64 s[16:17], 0
	s_cbranch_scc0 .LBB31_21
; %bb.20:                               ;   in Loop: Header=BB31_19 Depth=1
	s_ashr_i32 s22, s21, 31
	s_delay_alu instid0(SALU_CYCLE_1) | instskip(SKIP_2) | instid1(SALU_CYCLE_1)
	s_add_u32 s24, s20, s22
	s_mov_b32 s23, s22
	s_addc_u32 s25, s21, s22
	s_xor_b64 s[24:25], s[24:25], s[22:23]
	s_delay_alu instid0(SALU_CYCLE_1)
	v_cvt_f32_u32_e32 v1, s24
	v_cvt_f32_u32_e32 v2, s25
	s_sub_u32 s33, 0, s24
	s_subb_u32 s40, 0, s25
	s_waitcnt_depctr 0xfff
	v_fmac_f32_e32 v1, 0x4f800000, v2
	s_delay_alu instid0(VALU_DEP_1) | instskip(SKIP_2) | instid1(VALU_DEP_1)
	v_rcp_f32_e32 v1, v1
	s_waitcnt_depctr 0xfff
	v_mul_f32_e32 v1, 0x5f7ffffc, v1
	v_mul_f32_e32 v2, 0x2f800000, v1
	s_delay_alu instid0(VALU_DEP_1) | instskip(NEXT) | instid1(VALU_DEP_1)
	v_trunc_f32_e32 v2, v2
	v_fmac_f32_e32 v1, 0xcf800000, v2
	v_cvt_u32_f32_e32 v2, v2
	s_delay_alu instid0(VALU_DEP_2) | instskip(NEXT) | instid1(VALU_DEP_2)
	v_cvt_u32_f32_e32 v1, v1
	v_readfirstlane_b32 s12, v2
	s_delay_alu instid0(VALU_DEP_2) | instskip(NEXT) | instid1(VALU_DEP_2)
	v_readfirstlane_b32 s17, v1
	s_mul_i32 s41, s33, s12
	s_delay_alu instid0(VALU_DEP_1)
	s_mul_hi_u32 s45, s33, s17
	s_mul_i32 s44, s40, s17
	s_add_i32 s41, s45, s41
	s_mul_i32 s46, s33, s17
	s_add_i32 s41, s41, s44
	s_mul_hi_u32 s45, s17, s46
	s_mul_hi_u32 s47, s12, s46
	s_mul_i32 s44, s12, s46
	s_mul_hi_u32 s46, s17, s41
	s_mul_i32 s17, s17, s41
	s_mul_hi_u32 s48, s12, s41
	s_add_u32 s17, s45, s17
	s_addc_u32 s45, 0, s46
	s_add_u32 s17, s17, s44
	s_mul_i32 s41, s12, s41
	s_addc_u32 s17, s45, s47
	s_addc_u32 s44, s48, 0
	s_add_u32 s17, s17, s41
	s_addc_u32 s41, 0, s44
	v_add_co_u32 v1, s17, v1, s17
	s_delay_alu instid0(VALU_DEP_1) | instskip(SKIP_1) | instid1(VALU_DEP_1)
	s_cmp_lg_u32 s17, 0
	s_addc_u32 s12, s12, s41
	v_readfirstlane_b32 s17, v1
	s_mul_i32 s41, s33, s12
	s_delay_alu instid0(VALU_DEP_1)
	s_mul_hi_u32 s44, s33, s17
	s_mul_i32 s40, s40, s17
	s_add_i32 s41, s44, s41
	s_mul_i32 s33, s33, s17
	s_add_i32 s41, s41, s40
	s_mul_hi_u32 s44, s12, s33
	s_mul_i32 s45, s12, s33
	s_mul_hi_u32 s33, s17, s33
	s_mul_hi_u32 s46, s17, s41
	s_mul_i32 s17, s17, s41
	s_mul_hi_u32 s40, s12, s41
	s_add_u32 s17, s33, s17
	s_addc_u32 s33, 0, s46
	s_add_u32 s17, s17, s45
	s_mul_i32 s41, s12, s41
	s_addc_u32 s17, s33, s44
	s_addc_u32 s33, s40, 0
	s_add_u32 s17, s17, s41
	s_addc_u32 s33, 0, s33
	v_add_co_u32 v1, s17, v1, s17
	s_delay_alu instid0(VALU_DEP_1) | instskip(SKIP_2) | instid1(VALU_DEP_1)
	s_cmp_lg_u32 s17, 0
	s_addc_u32 s12, s12, s33
	s_ashr_i32 s40, s5, 31
	v_readfirstlane_b32 s17, v1
	s_add_u32 s44, s4, s40
	s_mov_b32 s41, s40
	s_addc_u32 s45, s5, s40
	s_delay_alu instid0(SALU_CYCLE_1) | instskip(NEXT) | instid1(SALU_CYCLE_1)
	s_xor_b64 s[44:45], s[44:45], s[40:41]
	s_mul_i32 s46, s44, s12
	s_mul_hi_u32 s47, s44, s17
	s_mul_hi_u32 s33, s44, s12
	s_mul_hi_u32 s49, s45, s17
	s_mul_i32 s17, s45, s17
	s_add_u32 s46, s47, s46
	s_addc_u32 s33, 0, s33
	s_mul_hi_u32 s48, s45, s12
	s_add_u32 s17, s46, s17
	s_mul_i32 s12, s45, s12
	s_addc_u32 s17, s33, s49
	s_addc_u32 s33, s48, 0
	s_add_u32 s12, s17, s12
	s_addc_u32 s17, 0, s33
	s_mul_i32 s48, s24, s12
	s_mul_hi_u32 s33, s24, s12
	s_mul_i32 s47, s24, s17
	v_sub_co_u32 v1, s44, s44, s48
	s_mul_i32 s46, s25, s12
	s_add_i32 s33, s33, s47
	s_delay_alu instid0(SALU_CYCLE_1) | instskip(NEXT) | instid1(VALU_DEP_1)
	s_add_i32 s33, s33, s46
	v_sub_co_u32 v2, s47, v1, s24
	s_sub_i32 s46, s45, s33
	s_cmp_lg_u32 s44, 0
	s_subb_u32 s46, s46, s25
	s_cmp_lg_u32 s47, 0
	v_readfirstlane_b32 s47, v2
	s_subb_u32 s46, s46, 0
	s_delay_alu instid0(SALU_CYCLE_1) | instskip(SKIP_1) | instid1(VALU_DEP_1)
	s_cmp_ge_u32 s46, s25
	s_cselect_b32 s48, -1, 0
	s_cmp_ge_u32 s47, s24
	s_cselect_b32 s47, -1, 0
	s_cmp_eq_u32 s46, s25
	s_cselect_b32 s46, s47, s48
	s_add_u32 s47, s12, 1
	s_addc_u32 s48, s17, 0
	s_add_u32 s49, s12, 2
	s_addc_u32 s50, s17, 0
	s_cmp_lg_u32 s46, 0
	s_cselect_b32 s46, s49, s47
	s_cselect_b32 s47, s50, s48
	s_cmp_lg_u32 s44, 0
	v_readfirstlane_b32 s44, v1
	s_subb_u32 s33, s45, s33
	s_delay_alu instid0(SALU_CYCLE_1) | instskip(SKIP_1) | instid1(VALU_DEP_1)
	s_cmp_ge_u32 s33, s25
	s_cselect_b32 s45, -1, 0
	s_cmp_ge_u32 s44, s24
	s_cselect_b32 s24, -1, 0
	s_cmp_eq_u32 s33, s25
	s_cselect_b32 s24, s24, s45
	s_delay_alu instid0(SALU_CYCLE_1)
	s_cmp_lg_u32 s24, 0
	s_cselect_b32 s25, s47, s17
	s_cselect_b32 s24, s46, s12
	s_xor_b64 s[22:23], s[40:41], s[22:23]
	s_mov_b32 s12, 0
	s_xor_b64 s[24:25], s[24:25], s[22:23]
	s_delay_alu instid0(SALU_CYCLE_1)
	s_sub_u32 s40, s24, s22
	s_subb_u32 s41, s25, s23
.LBB31_21:                              ;   in Loop: Header=BB31_19 Depth=1
	s_and_not1_b32 vcc_lo, exec_lo, s12
	s_cbranch_vccnz .LBB31_23
; %bb.22:                               ;   in Loop: Header=BB31_19 Depth=1
	v_cvt_f32_u32_e32 v1, s20
	s_sub_i32 s17, 0, s20
	s_mov_b32 s41, s16
	s_waitcnt_depctr 0xfff
	v_rcp_iflag_f32_e32 v1, v1
	s_waitcnt_depctr 0xfff
	v_mul_f32_e32 v1, 0x4f7ffffe, v1
	s_delay_alu instid0(VALU_DEP_1) | instskip(NEXT) | instid1(VALU_DEP_1)
	v_cvt_u32_f32_e32 v1, v1
	v_readfirstlane_b32 s12, v1
	s_delay_alu instid0(VALU_DEP_1) | instskip(NEXT) | instid1(SALU_CYCLE_1)
	s_mul_i32 s17, s17, s12
	s_mul_hi_u32 s17, s12, s17
	s_delay_alu instid0(SALU_CYCLE_1) | instskip(NEXT) | instid1(SALU_CYCLE_1)
	s_add_i32 s12, s12, s17
	s_mul_hi_u32 s12, s4, s12
	s_delay_alu instid0(SALU_CYCLE_1) | instskip(SKIP_2) | instid1(SALU_CYCLE_1)
	s_mul_i32 s17, s12, s20
	s_add_i32 s22, s12, 1
	s_sub_i32 s17, s4, s17
	s_sub_i32 s23, s17, s20
	s_cmp_ge_u32 s17, s20
	s_cselect_b32 s12, s22, s12
	s_cselect_b32 s17, s23, s17
	s_add_i32 s22, s12, 1
	s_cmp_ge_u32 s17, s20
	s_cselect_b32 s40, s22, s12
.LBB31_23:                              ;   in Loop: Header=BB31_19 Depth=1
	s_load_b64 s[22:23], s[18:19], 0xc8
	s_mul_i32 s12, s40, s21
	s_mul_hi_u32 s17, s40, s20
	s_mul_i32 s21, s41, s20
	s_add_i32 s12, s17, s12
	s_mul_i32 s17, s40, s20
	s_add_i32 s12, s12, s21
	s_sub_u32 s4, s4, s17
	s_subb_u32 s5, s5, s12
	s_waitcnt lgkmcnt(0)
	s_mul_i32 s5, s22, s5
	s_mul_hi_u32 s12, s22, s4
	s_mul_i32 s17, s23, s4
	s_add_i32 s5, s12, s5
	s_mul_i32 s4, s22, s4
	s_add_i32 s5, s5, s17
	s_add_u32 s34, s4, s34
	s_addc_u32 s35, s5, s35
	s_add_i32 s9, s9, -1
	s_add_u32 s18, s18, -8
	s_addc_u32 s19, s19, -1
	s_cmp_gt_u32 s9, 2
	s_cbranch_scc0 .LBB31_26
; %bb.24:                               ;   in Loop: Header=BB31_19 Depth=1
	s_mov_b64 s[4:5], s[40:41]
	s_branch .LBB31_19
.LBB31_25:
	s_mov_b64 s[40:41], s[4:5]
.LBB31_26:
	s_clause 0x3
	s_load_b64 s[16:17], s[0:1], 0x0
	s_load_b64 s[48:49], s[0:1], 0x1c0
	;; [unrolled: 1-line block ×4, first 2 shown]
	v_cmp_eq_u32_e64 s0, 0, v0
	s_mov_b32 s51, 0
	s_delay_alu instid0(VALU_DEP_1)
	s_and_saveexec_b32 s1, s0
	s_cbranch_execz .LBB31_28
; %bb.27:
	v_dual_mov_b32 v1, 0 :: v_dual_mov_b32 v4, s37
	s_delay_alu instid0(VALU_DEP_1)
	v_dual_mov_b32 v3, s36 :: v_dual_mov_b32 v2, v1
	ds_store_b32 v1, v1 offset:5136
	ds_store_b128 v1, v[1:4] offset:5120
.LBB31_28:
	s_or_b32 exec_lo, exec_lo, s1
	s_mul_i32 s1, s14, s11
	s_mul_hi_u32 s4, s14, s10
	v_lshlrev_b32_e32 v47, 5, v0
	s_add_i32 s1, s4, s1
	s_mul_i32 s4, s15, s10
	s_waitcnt lgkmcnt(0)
	s_add_i32 s5, s1, s4
	s_mul_i32 s4, s14, s10
	s_barrier
	s_lshl_b64 s[10:11], s[4:5], 3
	buffer_gl0_inv
	s_load_b32 s5, s[6:7], 0xc
	v_or_b32_e32 v13, 8, v47
	s_lshl_b64 s[54:55], s[2:3], 3
	s_add_u32 s14, s16, s10
	s_addc_u32 s15, s17, s11
	v_mbcnt_lo_u32_b32 v43, -1, 0
	v_mad_u64_u32 v[27:28], null, s42, v13, s[14:15]
	v_mad_u64_u32 v[2:3], null, v0, s42, 0
	v_cmp_gt_u32_e32 vcc_lo, 32, v0
	s_delay_alu instid0(VALU_DEP_4)
	v_cmp_gt_i32_e64 s1, 4, v43
	v_lshrrev_b32_e32 v6, 3, v0
	s_add_u32 s78, s14, s54
	v_mov_b32_e32 v8, v28
	v_or_b32_e32 v11, 24, v47
	v_or_b32_e32 v12, 16, v47
	s_addc_u32 s79, s15, s55
	v_dual_mov_b32 v1, v3 :: v_dual_mov_b32 v18, 0
	s_delay_alu instid0(VALU_DEP_3) | instskip(NEXT) | instid1(VALU_DEP_3)
	v_mad_u64_u32 v[23:24], null, s42, v11, s[14:15]
	v_mad_u64_u32 v[25:26], null, s42, v12, s[14:15]
	s_waitcnt lgkmcnt(0)
	s_and_b32 s33, s5, 0xffff
	s_and_b32 s80, vcc_lo, s1
	s_bfe_u32 s9, s5, 0xb0005
	v_and_b32_e32 v46, 0x7c, v6
	v_lshlrev_b64 v[6:7], v43, -1
	s_add_u32 s82, s33, -1
	v_mov_b32_e32 v7, v26
	s_addc_u32 s83, 0, -1
	s_add_u32 s84, s82, s36
	s_addc_u32 s25, s83, s37
	v_mad_u64_u32 v[3:4], null, v0, s43, v[1:2]
	s_cmp_lt_u32 s13, s8
	v_lshlrev_b32_e32 v21, 2, v0
	v_not_b32_e32 v48, v6
	v_mov_b32_e32 v6, v24
	s_cselect_b32 s8, 12, 18
	v_cmp_gt_u16_e64 s88, s5, 31
	s_add_u32 s56, s6, s8
	s_addc_u32 s57, s7, 0
	s_add_i32 s6, s9, -1
	s_bfe_u32 s85, s33, 0x30005
	v_mad_u64_u32 v[9:10], null, s43, v11, v[6:7]
	s_cmp_gt_u32 s6, 6
	v_lshlrev_b64 v[4:5], 3, v[2:3]
	s_cselect_b32 s86, -1, 0
	s_and_b32 s87, s9, 0x7f8
	s_cmp_lg_u32 s85, 0
	v_lshlrev_b64 v[2:3], 5, v[2:3]
	s_cselect_b32 s89, -1, 0
	s_add_u32 s5, s10, s54
	s_addc_u32 s6, s11, s55
	v_add_co_u32 v19, vcc_lo, s78, v4
	v_mad_u64_u32 v[10:11], null, s43, v12, v[7:8]
	v_mad_u64_u32 v[6:7], null, s43, v13, v[8:9]
	s_add_u32 s58, s16, s5
	v_add_co_u32 v49, s5, s36, v0
	s_addc_u32 s59, s17, s6
	s_lshl_b64 s[60:61], s[42:43], 3
	s_lshl_b64 s[62:63], s[42:43], 5
	v_add_co_ci_u32_e32 v20, vcc_lo, s79, v5, vcc_lo
	v_add_co_ci_u32_e64 v50, null, s37, 0, s5
	s_add_u32 s5, s16, s54
	v_dual_mov_b32 v1, v18 :: v_dual_lshlrev_b32 v44, 3, v0
	v_add_co_u32 v29, vcc_lo, s14, v2
	s_addc_u32 s6, s17, s55
	s_add_u32 s5, s5, s10
	v_add_co_ci_u32_e32 v30, vcc_lo, s15, v3, vcc_lo
	s_addc_u32 s9, s6, s11
	v_add_co_u32 v15, vcc_lo, s5, v4
	v_cmp_lt_i64_e64 s81, 0x180, s[36:37]
	v_cmp_gt_u64_e64 s4, s[36:37], v[0:1]
	v_cmp_gt_i64_e64 s1, s[36:37], v[0:1]
	v_mov_b32_e32 v24, v9
	v_mov_b32_e32 v28, v6
	s_mul_i32 s7, s43, s33
	s_mul_hi_u32 s8, s42, s33
	v_add_co_ci_u32_e32 v16, vcc_lo, s9, v5, vcc_lo
	v_mov_b32_e32 v5, 0
	v_cmp_eq_u32_e64 s2, 0, v43
	v_cmp_gt_u32_e64 s3, 2, v0
	v_dual_mov_b32 v22, v18 :: v_dual_add_nc_u32 v45, 0xc00, v44
	v_mov_b32_e32 v26, v10
	v_lshl_or_b32 v51, v43, 3, 0xc00
	v_mov_b32_e32 v6, 0
	v_mov_b32_e32 v2, 1
	v_cvt_f32_ubyte0_e32 v52, 0
	s_add_i32 s7, s8, s7
	s_mul_i32 s6, s42, s33
	s_lshl_b32 s90, s33, 3
	s_lshl_b64 s[52:53], s[6:7], 3
	s_mov_b32 s94, 62
	s_mov_b64 s[64:65], 0
	s_mov_b32 s91, 0
	s_mov_b32 s96, 0
	s_mov_b64 s[66:67], 0
                                        ; implicit-def: $sgpr92
                                        ; implicit-def: $sgpr95
                                        ; implicit-def: $sgpr93
                                        ; implicit-def: $sgpr98
                                        ; implicit-def: $sgpr99
                                        ; implicit-def: $sgpr97
	s_branch .LBB31_33
.LBB31_29:                              ;   in Loop: Header=BB31_33 Depth=1
	s_xor_b32 s96, s96, 1
	s_add_i32 s8, s94, -2
	s_cmp_eq_u32 s94, 0
	s_mov_b32 s5, 0
	s_cselect_b32 s7, -1, 0
	s_mov_b32 s94, s8
.LBB31_30:                              ;   in Loop: Header=BB31_33 Depth=1
	s_and_not1_b32 s8, s50, exec_lo
	s_and_b32 s5, s5, exec_lo
	s_and_not1_b32 s68, s68, exec_lo
	s_or_b32 s50, s8, s5
	s_and_not1_b32 s21, s21, exec_lo
	s_or_not1_b32 s20, s7, exec_lo
.LBB31_31:                              ;   in Loop: Header=BB31_33 Depth=1
	s_or_b32 exec_lo, exec_lo, s6
	s_delay_alu instid0(SALU_CYCLE_1)
	s_and_not1_b32 s5, s97, exec_lo
	s_and_b32 s6, s50, exec_lo
	s_and_not1_b32 s7, s98, exec_lo
	s_or_b32 s97, s5, s6
	s_and_not1_b32 s5, s99, exec_lo
	s_and_b32 s6, s68, exec_lo
	s_and_b32 s8, s21, exec_lo
	s_or_b32 s99, s5, s6
	s_or_b32 s98, s7, s8
	s_or_not1_b32 s50, s20, exec_lo
.LBB31_32:                              ;   in Loop: Header=BB31_33 Depth=1
	s_or_b32 exec_lo, exec_lo, s22
	s_delay_alu instid0(SALU_CYCLE_1)
	s_and_b32 s5, exec_lo, s50
	v_dual_mov_b32 v3, s64 :: v_dual_mov_b32 v4, s65
	s_or_b32 s91, s5, s91
	s_and_not1_b32 s5, s93, exec_lo
	s_and_b32 s6, s97, exec_lo
	s_and_not1_b32 s7, s92, exec_lo
	s_or_b32 s93, s5, s6
	s_and_not1_b32 s5, s95, exec_lo
	s_and_b32 s6, s99, exec_lo
	s_and_b32 s8, s98, exec_lo
	s_or_b32 s95, s5, s6
	s_or_b32 s92, s7, s8
	s_and_not1_b32 exec_lo, exec_lo, s91
	s_cbranch_execz .LBB31_302
.LBB31_33:                              ; =>This Loop Header: Depth=1
                                        ;     Child Loop BB31_41 Depth 2
                                        ;     Child Loop BB31_60 Depth 2
	;; [unrolled: 1-line block ×16, first 2 shown]
	ds_load_b128 v[7:10], v18 offset:5120
	s_waitcnt lgkmcnt(0)
	v_readfirstlane_b32 s69, v8
	v_readfirstlane_b32 s68, v7
	s_delay_alu instid0(VALU_DEP_1) | instskip(NEXT) | instid1(VALU_DEP_1)
	v_cmp_gt_i64_e64 s5, s[68:69], 0
	s_and_b32 vcc_lo, exec_lo, s5
	s_cbranch_vccnz .LBB31_67
; %bb.34:                               ;   in Loop: Header=BB31_33 Depth=1
	s_and_b32 vcc_lo, exec_lo, s81
	s_cbranch_vccz .LBB31_49
; %bb.35:                               ;   in Loop: Header=BB31_33 Depth=1
	v_cmp_gt_i64_e32 vcc_lo, 0x181, v[9:10]
	s_mov_b32 s7, 0
	s_mov_b32 s5, 0
	s_cbranch_vccz .LBB31_54
; %bb.36:                               ;   in Loop: Header=BB31_33 Depth=1
	v_mov_b32_e32 v3, 0
	v_mov_b32_e32 v4, 0
	s_and_saveexec_b32 s5, s4
	s_cbranch_execz .LBB31_38
; %bb.37:                               ;   in Loop: Header=BB31_33 Depth=1
	global_load_b64 v[3:4], v[19:20], off
.LBB31_38:                              ;   in Loop: Header=BB31_33 Depth=1
	s_or_b32 exec_lo, exec_lo, s5
	s_and_saveexec_b32 s8, s4
	s_cbranch_execz .LBB31_50
; %bb.39:                               ;   in Loop: Header=BB31_33 Depth=1
	global_load_u16 v11, v18, s[56:57]
	s_mov_b32 s11, 0
	s_waitcnt vmcnt(0)
	v_readfirstlane_b32 s5, v11
	s_delay_alu instid0(VALU_DEP_1) | instskip(NEXT) | instid1(SALU_CYCLE_1)
	s_and_b32 s5, 0xffff, s5
	v_add_nc_u32_e32 v12, s5, v0
	s_mul_i32 s6, s61, s5
	s_mul_hi_u32 s9, s60, s5
	s_mul_i32 s10, s60, s5
	s_add_i32 s9, s9, s6
	v_mad_u64_u32 v[7:8], null, s60, v12, s[58:59]
	s_delay_alu instid0(VALU_DEP_1) | instskip(NEXT) | instid1(VALU_DEP_1)
	v_mad_u64_u32 v[9:10], null, s61, v12, v[8:9]
	v_dual_mov_b32 v8, v9 :: v_dual_and_b32 v13, 0xffff, v11
	v_dual_mov_b32 v10, v1 :: v_dual_mov_b32 v9, v0
	s_branch .LBB31_41
.LBB31_40:                              ;   in Loop: Header=BB31_41 Depth=2
	s_or_b32 exec_lo, exec_lo, s6
	v_add_co_u32 v7, vcc_lo, v7, s10
	v_add_co_ci_u32_e32 v8, vcc_lo, s9, v8, vcc_lo
	s_waitcnt vmcnt(0)
	v_dual_mov_b32 v3, v11 :: v_dual_mov_b32 v4, v12
	s_and_not1_b32 exec_lo, exec_lo, s11
	s_cbranch_execz .LBB31_50
.LBB31_41:                              ;   Parent Loop BB31_33 Depth=1
                                        ; =>  This Inner Loop Header: Depth=2
	s_delay_alu instid0(VALU_DEP_1) | instskip(NEXT) | instid1(VALU_DEP_2)
	v_add_co_u32 v9, vcc_lo, v9, v13
	v_add_co_ci_u32_e32 v10, vcc_lo, 0, v10, vcc_lo
	v_mov_b32_e32 v11, 0
	v_mov_b32_e32 v12, 0
	s_mov_b32 s6, exec_lo
	s_delay_alu instid0(VALU_DEP_3)
	v_cmp_le_i64_e32 vcc_lo, s[36:37], v[9:10]
	v_cmpx_gt_i64_e64 s[36:37], v[9:10]
	s_cbranch_execz .LBB31_43
; %bb.42:                               ;   in Loop: Header=BB31_41 Depth=2
	global_load_b64 v[11:12], v[7:8], off
.LBB31_43:                              ;   in Loop: Header=BB31_41 Depth=2
	s_or_b32 exec_lo, exec_lo, s6
	s_waitcnt lgkmcnt(0)
	v_xor_b32_e32 v14, 0x80000000, v4
	v_and_b32_e32 v31, s66, v3
	s_delay_alu instid0(VALU_DEP_2) | instskip(SKIP_1) | instid1(VALU_DEP_2)
	v_and_b32_e32 v32, s67, v14
	v_mov_b32_e32 v14, 0
	v_cmp_eq_u64_e64 s5, s[64:65], v[31:32]
	s_delay_alu instid0(VALU_DEP_1) | instskip(SKIP_1) | instid1(SALU_CYCLE_1)
	s_cmp_lg_u32 s5, 0
	s_cselect_b32 s6, -1, 0
	s_and_b32 s6, s2, s6
	s_delay_alu instid0(SALU_CYCLE_1)
	s_and_saveexec_b32 s12, s6
	s_cbranch_execz .LBB31_47
; %bb.44:                               ;   in Loop: Header=BB31_41 Depth=2
	s_mov_b32 s15, exec_lo
	s_bcnt1_i32_b32 s13, s5
	v_mbcnt_lo_u32_b32 v14, s15, 0
	s_mov_b32 s14, exec_lo
                                        ; implicit-def: $vgpr17
	s_delay_alu instid0(VALU_DEP_1)
	v_cmpx_eq_u32_e32 0, v14
	s_cbranch_execz .LBB31_46
; %bb.45:                               ;   in Loop: Header=BB31_41 Depth=2
	s_bcnt1_i32_b32 s6, s15
	s_delay_alu instid0(SALU_CYCLE_1) | instskip(NEXT) | instid1(SALU_CYCLE_1)
	s_mul_i32 s6, s13, s6
	v_mov_b32_e32 v17, s6
	ds_add_rtn_u32 v17, v18, v17 offset:5136
.LBB31_46:                              ;   in Loop: Header=BB31_41 Depth=2
	s_or_b32 exec_lo, exec_lo, s14
	s_waitcnt lgkmcnt(0)
	v_readfirstlane_b32 s6, v17
	s_delay_alu instid0(VALU_DEP_1)
	v_mad_u32_u24 v14, s13, v14, s6
.LBB31_47:                              ;   in Loop: Header=BB31_41 Depth=2
	s_or_b32 exec_lo, exec_lo, s12
	ds_bpermute_b32 v14, v18, v14
	s_and_b32 s6, exec_lo, vcc_lo
	s_delay_alu instid0(SALU_CYCLE_1)
	s_or_b32 s11, s6, s11
	s_and_saveexec_b32 s6, s5
	s_cbranch_execz .LBB31_40
; %bb.48:                               ;   in Loop: Header=BB31_41 Depth=2
	v_and_b32_e32 v17, s5, v48
	s_delay_alu instid0(VALU_DEP_1) | instskip(NEXT) | instid1(VALU_DEP_1)
	v_bcnt_u32_b32 v17, v17, 0
	v_lshlrev_b32_e32 v17, 3, v17
	s_waitcnt lgkmcnt(0)
	s_delay_alu instid0(VALU_DEP_1)
	v_lshl_add_u32 v14, v14, 3, v17
	ds_store_b64 v14, v[3:4]
	s_branch .LBB31_40
.LBB31_49:                              ;   in Loop: Header=BB31_33 Depth=1
	s_mov_b32 s7, -1
	s_mov_b32 s5, 0
	s_branch .LBB31_53
.LBB31_50:                              ;   in Loop: Header=BB31_33 Depth=1
	s_or_b32 exec_lo, exec_lo, s8
	s_waitcnt vmcnt(0) lgkmcnt(0)
	s_barrier
	buffer_gl0_inv
	s_and_saveexec_b32 s5, s0
	s_cbranch_execz .LBB31_52
; %bb.51:                               ;   in Loop: Header=BB31_33 Depth=1
	ds_load_b32 v3, v18 offset:5136
	s_waitcnt lgkmcnt(0)
	v_ashrrev_i32_e32 v4, 31, v3
	ds_store_b64 v18, v[3:4] offset:5120
.LBB31_52:                              ;   in Loop: Header=BB31_33 Depth=1
	s_or_b32 exec_lo, exec_lo, s5
	s_waitcnt lgkmcnt(0)
	s_mov_b32 s5, -1
	s_barrier
.LBB31_53:                              ;   in Loop: Header=BB31_33 Depth=1
                                        ; implicit-def: $sgpr68_sgpr69
.LBB31_54:                              ;   in Loop: Header=BB31_33 Depth=1
	s_and_b32 vcc_lo, exec_lo, s7
	s_cbranch_vccz .LBB31_65
; %bb.55:                               ;   in Loop: Header=BB31_33 Depth=1
	v_mov_b32_e32 v3, 0
	v_mov_b32_e32 v4, 0
	s_and_saveexec_b32 s5, s1
	s_cbranch_execz .LBB31_57
; %bb.56:                               ;   in Loop: Header=BB31_33 Depth=1
	global_load_b64 v[3:4], v[19:20], off
.LBB31_57:                              ;   in Loop: Header=BB31_33 Depth=1
	s_or_b32 exec_lo, exec_lo, s5
	s_and_saveexec_b32 s6, s1
	s_cbranch_execz .LBB31_62
; %bb.58:                               ;   in Loop: Header=BB31_33 Depth=1
	global_load_u16 v11, v18, s[56:57]
	s_mov_b32 s10, 0
	v_mov_b32_e32 v13, v44
	s_waitcnt vmcnt(0)
	v_readfirstlane_b32 s5, v11
	v_and_b32_e32 v14, 0xffff, v11
	s_delay_alu instid0(VALU_DEP_2) | instskip(NEXT) | instid1(SALU_CYCLE_1)
	s_and_b32 s5, 0xffff, s5
	v_add_nc_u32_e32 v12, s5, v0
	s_mul_i32 s8, s61, s5
	s_mul_hi_u32 s9, s60, s5
	s_lshl_b32 s7, s5, 3
	s_add_i32 s8, s9, s8
	v_mad_u64_u32 v[7:8], null, s60, v12, s[58:59]
	s_mul_i32 s9, s60, s5
	s_delay_alu instid0(VALU_DEP_1) | instskip(NEXT) | instid1(VALU_DEP_1)
	v_mad_u64_u32 v[9:10], null, s61, v12, v[8:9]
	v_mov_b32_e32 v8, v9
	v_dual_mov_b32 v10, v1 :: v_dual_mov_b32 v9, v0
	s_set_inst_prefetch_distance 0x1
	s_branch .LBB31_60
	.p2align	6
.LBB31_59:                              ;   in Loop: Header=BB31_60 Depth=2
	s_or_b32 exec_lo, exec_lo, s11
	s_delay_alu instid0(SALU_CYCLE_1)
	s_and_b32 s5, exec_lo, vcc_lo
	v_add_co_u32 v7, vcc_lo, v7, s9
	ds_store_b64 v13, v[3:4]
	s_waitcnt vmcnt(0)
	v_mov_b32_e32 v3, v11
	v_dual_mov_b32 v4, v12 :: v_dual_add_nc_u32 v13, s7, v13
	v_add_co_ci_u32_e32 v8, vcc_lo, s8, v8, vcc_lo
	s_or_b32 s10, s5, s10
	s_delay_alu instid0(SALU_CYCLE_1)
	s_and_not1_b32 exec_lo, exec_lo, s10
	s_cbranch_execz .LBB31_62
.LBB31_60:                              ;   Parent Loop BB31_33 Depth=1
                                        ; =>  This Inner Loop Header: Depth=2
	s_delay_alu instid0(VALU_DEP_1) | instskip(NEXT) | instid1(VALU_DEP_2)
	v_add_co_u32 v9, vcc_lo, v9, v14
	v_add_co_ci_u32_e32 v10, vcc_lo, 0, v10, vcc_lo
	v_mov_b32_e32 v11, 0
	v_mov_b32_e32 v12, 0
	s_mov_b32 s11, exec_lo
	s_delay_alu instid0(VALU_DEP_3)
	v_cmp_le_i64_e32 vcc_lo, s[36:37], v[9:10]
	v_cmpx_gt_i64_e64 s[36:37], v[9:10]
	s_cbranch_execz .LBB31_59
; %bb.61:                               ;   in Loop: Header=BB31_60 Depth=2
	global_load_b64 v[11:12], v[7:8], off
	s_branch .LBB31_59
.LBB31_62:                              ;   in Loop: Header=BB31_33 Depth=1
	s_set_inst_prefetch_distance 0x2
	s_or_b32 exec_lo, exec_lo, s6
	s_waitcnt vmcnt(0) lgkmcnt(0)
	s_barrier
	buffer_gl0_inv
	s_and_saveexec_b32 s5, s0
	s_cbranch_execz .LBB31_64
; %bb.63:                               ;   in Loop: Header=BB31_33 Depth=1
	v_dual_mov_b32 v3, s36 :: v_dual_mov_b32 v4, s37
	ds_store_b64 v18, v[3:4] offset:5120
.LBB31_64:                              ;   in Loop: Header=BB31_33 Depth=1
	s_or_b32 exec_lo, exec_lo, s5
	s_mov_b32 s5, -1
	s_waitcnt lgkmcnt(0)
	s_barrier
                                        ; implicit-def: $sgpr68_sgpr69
.LBB31_65:                              ;   in Loop: Header=BB31_33 Depth=1
	s_and_b32 vcc_lo, exec_lo, s5
	s_cbranch_vccz .LBB31_67
; %bb.66:                               ;   in Loop: Header=BB31_33 Depth=1
	buffer_gl0_inv
	ds_load_b64 v[3:4], v18 offset:5120
	s_waitcnt lgkmcnt(0)
	v_readfirstlane_b32 s68, v3
.LBB31_67:                              ;   in Loop: Header=BB31_33 Depth=1
	s_delay_alu instid0(VALU_DEP_1)
	s_cmp_lt_i32 s68, 1
	s_cbranch_scc0 .LBB31_82
; %bb.68:                               ;   in Loop: Header=BB31_33 Depth=1
	global_load_u16 v3, v18, s[56:57]
	s_mov_b32 s6, s51
	s_mov_b32 s7, s37
	s_waitcnt vmcnt(0)
	v_readfirstlane_b32 s5, v3
	s_delay_alu instid0(VALU_DEP_1) | instskip(NEXT) | instid1(SALU_CYCLE_1)
	s_and_b32 s50, s5, 0xffff
	s_lshl_b32 s69, s50, 2
	s_cmp_lg_u64 s[6:7], 0
	s_cbranch_scc0 .LBB31_102
; %bb.69:                               ;   in Loop: Header=BB31_33 Depth=1
	v_cvt_f32_u32_e32 v3, s69
	s_sub_u32 s7, 0, s69
	s_subb_u32 s8, 0, 0
	s_delay_alu instid0(VALU_DEP_1) | instskip(NEXT) | instid1(VALU_DEP_1)
	v_fmac_f32_e32 v3, 0x4f800000, v52
	v_rcp_f32_e32 v3, v3
	s_waitcnt_depctr 0xfff
	v_mul_f32_e32 v3, 0x5f7ffffc, v3
	s_delay_alu instid0(VALU_DEP_1) | instskip(NEXT) | instid1(VALU_DEP_1)
	v_mul_f32_e32 v4, 0x2f800000, v3
	v_trunc_f32_e32 v4, v4
	s_delay_alu instid0(VALU_DEP_1) | instskip(SKIP_1) | instid1(VALU_DEP_2)
	v_fmac_f32_e32 v3, 0xcf800000, v4
	v_cvt_u32_f32_e32 v4, v4
	v_cvt_u32_f32_e32 v3, v3
	s_delay_alu instid0(VALU_DEP_2) | instskip(NEXT) | instid1(VALU_DEP_2)
	v_readfirstlane_b32 s5, v4
	v_readfirstlane_b32 s6, v3
	s_delay_alu instid0(VALU_DEP_2) | instskip(NEXT) | instid1(VALU_DEP_1)
	s_mul_i32 s9, s7, s5
	s_mul_hi_u32 s11, s7, s6
	s_mul_i32 s10, s8, s6
	s_add_i32 s9, s11, s9
	s_mul_i32 s12, s7, s6
	s_add_i32 s9, s9, s10
	s_mul_hi_u32 s11, s6, s12
	s_mul_hi_u32 s13, s5, s12
	s_mul_i32 s10, s5, s12
	s_mul_hi_u32 s12, s6, s9
	s_mul_i32 s6, s6, s9
	s_mul_hi_u32 s14, s5, s9
	s_add_u32 s6, s11, s6
	s_addc_u32 s11, 0, s12
	s_add_u32 s6, s6, s10
	s_mul_i32 s9, s5, s9
	s_addc_u32 s6, s11, s13
	s_addc_u32 s10, s14, 0
	s_add_u32 s6, s6, s9
	s_addc_u32 s9, 0, s10
	v_add_co_u32 v3, s6, v3, s6
	s_delay_alu instid0(VALU_DEP_1) | instskip(SKIP_1) | instid1(VALU_DEP_1)
	s_cmp_lg_u32 s6, 0
	s_addc_u32 s5, s5, s9
	v_readfirstlane_b32 s6, v3
	s_mul_i32 s9, s7, s5
	s_delay_alu instid0(VALU_DEP_1)
	s_mul_hi_u32 s10, s7, s6
	s_mul_i32 s8, s8, s6
	s_add_i32 s9, s10, s9
	s_mul_i32 s7, s7, s6
	s_add_i32 s9, s9, s8
	s_mul_hi_u32 s10, s5, s7
	s_mul_i32 s11, s5, s7
	s_mul_hi_u32 s7, s6, s7
	s_mul_hi_u32 s12, s6, s9
	s_mul_i32 s6, s6, s9
	s_mul_hi_u32 s8, s5, s9
	s_add_u32 s6, s7, s6
	s_addc_u32 s7, 0, s12
	s_add_u32 s6, s6, s11
	s_mul_i32 s9, s5, s9
	s_addc_u32 s6, s7, s10
	s_addc_u32 s7, s8, 0
	s_add_u32 s6, s6, s9
	s_addc_u32 s7, 0, s7
	v_add_co_u32 v3, s6, v3, s6
	s_delay_alu instid0(VALU_DEP_1) | instskip(SKIP_2) | instid1(VALU_DEP_1)
	s_cmp_lg_u32 s6, 0
	s_addc_u32 s5, s5, s7
	s_ashr_i32 s6, s37, 31
	v_readfirstlane_b32 s10, v3
	s_add_u32 s8, s36, s6
	s_mov_b32 s7, s6
	s_addc_u32 s9, s37, s6
	s_delay_alu instid0(SALU_CYCLE_1) | instskip(NEXT) | instid1(SALU_CYCLE_1)
	s_xor_b64 s[8:9], s[8:9], s[6:7]
	s_mul_i32 s11, s8, s5
	s_mul_hi_u32 s12, s8, s10
	s_mul_hi_u32 s7, s8, s5
	;; [unrolled: 1-line block ×3, first 2 shown]
	s_mul_i32 s10, s9, s10
	s_add_u32 s11, s12, s11
	s_addc_u32 s7, 0, s7
	s_mul_hi_u32 s13, s9, s5
	s_add_u32 s10, s11, s10
	s_mul_i32 s5, s9, s5
	s_addc_u32 s7, s7, s14
	s_addc_u32 s10, s13, 0
	s_add_u32 s5, s7, s5
	s_addc_u32 s7, 0, s10
	s_mul_hi_u32 s10, s69, s5
	s_mul_i32 s5, s69, s5
	s_mul_i32 s7, s69, s7
	v_sub_co_u32 v3, s5, s8, s5
	s_add_i32 s10, s10, s7
	s_cmp_lg_u32 s5, 0
	s_delay_alu instid0(VALU_DEP_1) | instskip(SKIP_2) | instid1(VALU_DEP_1)
	v_sub_co_u32 v4, s5, v3, s69
	s_subb_u32 s7, s9, s10
	s_cmp_lg_u32 s5, 0
	v_cmp_le_u32_e32 vcc_lo, s69, v4
	v_sub_co_u32 v7, s5, v4, s69
	s_subb_u32 s8, s7, 0
	s_cmp_lg_u32 s5, 0
	v_cndmask_b32_e64 v8, 0, -1, vcc_lo
	s_subb_u32 s5, s8, 0
	s_cmp_eq_u32 s8, 0
	v_mov_b32_e32 v10, s5
	s_cselect_b32 vcc_lo, -1, 0
	s_cmp_eq_u32 s7, 0
	v_cndmask_b32_e32 v8, -1, v8, vcc_lo
	v_cmp_le_u32_e32 vcc_lo, s69, v3
	s_cselect_b32 s5, -1, 0
	v_cndmask_b32_e64 v9, 0, -1, vcc_lo
	s_delay_alu instid0(VALU_DEP_3) | instskip(NEXT) | instid1(VALU_DEP_2)
	v_cmp_ne_u32_e32 vcc_lo, 0, v8
	v_cndmask_b32_e64 v8, -1, v9, s5
	v_cndmask_b32_e32 v4, v4, v7, vcc_lo
	v_cndmask_b32_e32 v9, s8, v10, vcc_lo
	s_delay_alu instid0(VALU_DEP_3) | instskip(NEXT) | instid1(VALU_DEP_3)
	v_cmp_ne_u32_e32 vcc_lo, 0, v8
	v_cndmask_b32_e32 v3, v3, v4, vcc_lo
	s_delay_alu instid0(VALU_DEP_3) | instskip(NEXT) | instid1(VALU_DEP_2)
	v_cndmask_b32_e32 v7, s7, v9, vcc_lo
	v_xor_b32_e32 v3, s6, v3
	s_delay_alu instid0(VALU_DEP_2) | instskip(NEXT) | instid1(VALU_DEP_2)
	v_xor_b32_e32 v4, s6, v7
	v_sub_co_u32 v3, vcc_lo, v3, s6
	s_delay_alu instid0(VALU_DEP_2)
	v_subrev_co_ci_u32_e32 v4, vcc_lo, s6, v4, vcc_lo
	s_cbranch_execnz .LBB31_71
.LBB31_70:                              ;   in Loop: Header=BB31_33 Depth=1
	v_cvt_f32_u32_e32 v3, s69
	s_sub_i32 s5, 0, s69
	s_delay_alu instid0(VALU_DEP_1) | instskip(SKIP_2) | instid1(VALU_DEP_1)
	v_rcp_iflag_f32_e32 v3, v3
	s_waitcnt_depctr 0xfff
	v_mul_f32_e32 v3, 0x4f7ffffe, v3
	v_cvt_u32_f32_e32 v3, v3
	s_delay_alu instid0(VALU_DEP_1) | instskip(NEXT) | instid1(VALU_DEP_1)
	v_mul_lo_u32 v4, s5, v3
	v_mul_hi_u32 v4, v3, v4
	s_delay_alu instid0(VALU_DEP_1) | instskip(NEXT) | instid1(VALU_DEP_1)
	v_add_nc_u32_e32 v3, v3, v4
	v_mul_hi_u32 v3, s36, v3
	s_delay_alu instid0(VALU_DEP_1) | instskip(NEXT) | instid1(VALU_DEP_1)
	v_mul_lo_u32 v3, v3, s69
	v_sub_nc_u32_e32 v3, s36, v3
	s_delay_alu instid0(VALU_DEP_1) | instskip(SKIP_1) | instid1(VALU_DEP_2)
	v_subrev_nc_u32_e32 v4, s69, v3
	v_cmp_le_u32_e32 vcc_lo, s69, v3
	v_cndmask_b32_e32 v3, v3, v4, vcc_lo
	s_delay_alu instid0(VALU_DEP_1) | instskip(SKIP_1) | instid1(VALU_DEP_2)
	v_subrev_nc_u32_e32 v4, s69, v3
	v_cmp_le_u32_e32 vcc_lo, s69, v3
	v_cndmask_b32_e32 v17, v3, v4, vcc_lo
	s_delay_alu instid0(VALU_DEP_1)
	v_dual_mov_b32 v3, v17 :: v_dual_mov_b32 v4, v18
.LBB31_71:                              ;   in Loop: Header=BB31_33 Depth=1
	v_mov_b32_e32 v7, 0
	v_mov_b32_e32 v8, 0
	s_delay_alu instid0(VALU_DEP_3) | instskip(NEXT) | instid1(VALU_DEP_4)
	v_sub_co_u32 v31, vcc_lo, s36, v3
	v_sub_co_ci_u32_e32 v32, vcc_lo, s37, v4, vcc_lo
	s_delay_alu instid0(VALU_DEP_3)
	v_dual_mov_b32 v10, v8 :: v_dual_mov_b32 v9, v7
	v_dual_mov_b32 v12, v8 :: v_dual_mov_b32 v11, v7
	;; [unrolled: 1-line block ×3, first 2 shown]
	s_mov_b64 s[70:71], 0
	s_mov_b32 s100, exec_lo
	v_cmpx_gt_i64_e64 v[31:32], v[21:22]
	s_cbranch_execz .LBB31_75
; %bb.72:                               ;   in Loop: Header=BB31_33 Depth=1
	v_dual_mov_b32 v34, v30 :: v_dual_mov_b32 v33, v29
	v_dual_mov_b32 v36, v28 :: v_dual_mov_b32 v35, v27
	v_dual_mov_b32 v38, v26 :: v_dual_mov_b32 v37, v25
	v_dual_mov_b32 v40, v24 :: v_dual_mov_b32 v39, v23
	v_dual_mov_b32 v42, v22 :: v_dual_mov_b32 v41, v21
	s_mul_i32 s5, s63, s50
	s_mul_hi_u32 s6, s62, s50
	s_and_b32 s101, s94, 0xfe
	s_add_i32 s102, s6, s5
	s_mul_i32 s103, s62, s50
	s_mov_b32 s104, 0
	s_mov_b64 s[72:73], 0
	s_mov_b64 s[74:75], 0
	;; [unrolled: 1-line block ×3, first 2 shown]
.LBB31_73:                              ;   Parent Loop BB31_33 Depth=1
                                        ; =>  This Inner Loop Header: Depth=2
	v_add_co_u32 v7, vcc_lo, v33, s54
	v_add_co_ci_u32_e32 v8, vcc_lo, s55, v34, vcc_lo
	v_add_co_u32 v9, vcc_lo, v35, s54
	v_add_co_ci_u32_e32 v10, vcc_lo, s55, v36, vcc_lo
	;; [unrolled: 2-line block ×4, first 2 shown]
	global_load_b64 v[7:8], v[7:8], off
	global_load_b64 v[9:10], v[9:10], off
	;; [unrolled: 1-line block ×4, first 2 shown]
	v_mov_b32_e32 v54, v18
	v_mov_b32_e32 v56, v18
	;; [unrolled: 1-line block ×3, first 2 shown]
	v_add_co_u32 v41, vcc_lo, v41, s69
	v_add_co_ci_u32_e32 v42, vcc_lo, 0, v42, vcc_lo
	v_add_co_u32 v39, vcc_lo, v39, s103
	v_add_co_ci_u32_e32 v40, vcc_lo, s102, v40, vcc_lo
	;; [unrolled: 2-line block ×5, first 2 shown]
	v_cmp_ge_i64_e32 vcc_lo, v[41:42], v[31:32]
	s_waitcnt vmcnt(3)
	v_xor_b32_e32 v8, 0x80000000, v8
	s_waitcnt vmcnt(2)
	v_xor_b32_e32 v10, 0x80000000, v10
	s_waitcnt vmcnt(1)
	v_and_b32_e32 v63, s66, v11
	v_xor_b32_e32 v12, 0x80000000, v12
	v_and_b32_e32 v59, s66, v7
	v_and_b32_e32 v60, s67, v8
	v_lshrrev_b64 v[7:8], s101, v[7:8]
	s_waitcnt vmcnt(0)
	v_xor_b32_e32 v14, 0x80000000, v14
	v_and_b32_e32 v61, s66, v9
	v_lshrrev_b64 v[8:9], s101, v[9:10]
	v_and_b32_e32 v62, s67, v10
	v_lshrrev_b64 v[9:10], s101, v[11:12]
	v_lshrrev_b64 v[10:11], s101, v[13:14]
	v_and_b32_e32 v17, 3, v7
	v_and_b32_e32 v64, s67, v12
	v_and_b32_e32 v53, 3, v8
	v_cmp_eq_u64_e64 s5, s[64:65], v[59:60]
	v_and_b32_e32 v55, 3, v9
	v_cmp_eq_u64_e64 s9, 0, v[17:18]
	v_and_b32_e32 v65, s66, v13
	v_and_b32_e32 v66, s67, v14
	;; [unrolled: 1-line block ×3, first 2 shown]
	v_cmp_eq_u64_e64 s6, s[64:65], v[61:62]
	v_cmp_eq_u64_e64 s10, 0, v[53:54]
	;; [unrolled: 1-line block ×6, first 2 shown]
	s_and_b32 s9, s5, s9
	v_cmp_eq_u64_e64 s13, 1, v[17:18]
	v_cndmask_b32_e64 v7, 0, 1, s9
	s_and_b32 s9, s6, s10
	v_cmp_eq_u64_e64 s14, 1, v[53:54]
	v_cndmask_b32_e64 v8, 0, 1, s9
	;; [unrolled: 3-line block ×3, first 2 shown]
	s_and_b32 s9, s8, s12
	v_cmp_ne_u32_e64 s10, 0, v8
	v_cndmask_b32_e64 v10, 0, 1, s9
	v_cmp_ne_u32_e64 s9, 0, v7
	v_cmp_ne_u32_e64 s11, 0, v9
	v_cmp_eq_u64_e64 s16, 1, v[57:58]
	s_bcnt1_i32_b32 s10, s10
	v_cmp_ne_u32_e64 s12, 0, v10
	s_bcnt1_i32_b32 s9, s9
	s_bcnt1_i32_b32 s11, s11
	s_add_i32 s9, s10, s9
	v_cmp_eq_u64_e64 s17, 2, v[17:18]
	s_bcnt1_i32_b32 s12, s12
	s_add_i32 s9, s9, s11
	v_cmp_eq_u64_e64 s18, 2, v[53:54]
	s_add_i32 s9, s9, s12
	v_cmp_eq_u64_e64 s19, 2, v[55:56]
	s_add_u32 s76, s76, s9
	s_addc_u32 s77, s77, 0
	s_and_b32 s9, s5, s13
	v_cmp_eq_u64_e64 s20, 2, v[57:58]
	v_cndmask_b32_e64 v7, 0, 1, s9
	s_and_b32 s9, s6, s14
	v_cmp_eq_u64_e64 s21, 3, v[17:18]
	v_cndmask_b32_e64 v8, 0, 1, s9
	s_and_b32 s9, s7, s15
	v_cmp_eq_u64_e64 s23, 3, v[55:56]
	v_cndmask_b32_e64 v9, 0, 1, s9
	s_and_b32 s9, s8, s16
	v_cmp_ne_u32_e64 s10, 0, v8
	v_cndmask_b32_e64 v10, 0, 1, s9
	v_cmp_ne_u32_e64 s9, 0, v7
	v_cmp_ne_u32_e64 s11, 0, v9
	v_cmp_eq_u64_e64 s24, 3, v[57:58]
	s_bcnt1_i32_b32 s10, s10
	v_cmp_ne_u32_e64 s12, 0, v10
	s_bcnt1_i32_b32 s9, s9
	s_bcnt1_i32_b32 s11, s11
	s_add_i32 s9, s10, s9
	s_delay_alu instid0(VALU_DEP_1) | instskip(SKIP_1) | instid1(SALU_CYCLE_1)
	s_bcnt1_i32_b32 s12, s12
	s_add_i32 s9, s9, s11
	s_add_i32 s9, s9, s12
	s_delay_alu instid0(SALU_CYCLE_1) | instskip(SKIP_2) | instid1(SALU_CYCLE_1)
	s_add_u32 s74, s74, s9
	s_addc_u32 s75, s75, 0
	s_and_b32 s9, s5, s17
	v_cndmask_b32_e64 v7, 0, 1, s9
	s_and_b32 s9, s6, s18
	s_delay_alu instid0(SALU_CYCLE_1) | instskip(SKIP_1) | instid1(SALU_CYCLE_1)
	v_cndmask_b32_e64 v8, 0, 1, s9
	s_and_b32 s9, s7, s19
	v_cndmask_b32_e64 v9, 0, 1, s9
	s_and_b32 s9, s8, s20
	s_delay_alu instid0(VALU_DEP_2) | instskip(SKIP_3) | instid1(VALU_DEP_4)
	v_cmp_ne_u32_e64 s10, 0, v8
	v_cndmask_b32_e64 v10, 0, 1, s9
	v_cmp_ne_u32_e64 s9, 0, v7
	v_cmp_ne_u32_e64 s11, 0, v9
	s_bcnt1_i32_b32 s10, s10
	s_delay_alu instid0(VALU_DEP_3) | instskip(NEXT) | instid1(VALU_DEP_3)
	v_cmp_ne_u32_e64 s12, 0, v10
	s_bcnt1_i32_b32 s9, s9
	s_delay_alu instid0(VALU_DEP_2) | instskip(SKIP_1) | instid1(VALU_DEP_1)
	s_bcnt1_i32_b32 s11, s11
	s_add_i32 s9, s10, s9
	s_bcnt1_i32_b32 s12, s12
	s_add_i32 s9, s9, s11
	s_delay_alu instid0(SALU_CYCLE_1) | instskip(NEXT) | instid1(SALU_CYCLE_1)
	s_add_i32 s9, s9, s12
	s_add_u32 s72, s72, s9
	s_addc_u32 s73, s73, 0
	s_delay_alu instid0(SALU_CYCLE_1) | instskip(SKIP_2) | instid1(SALU_CYCLE_1)
	v_dual_mov_b32 v11, s72 :: v_dual_mov_b32 v12, s73
	v_cmp_eq_u64_e64 s22, 3, v[53:54]
	s_and_b32 s5, s5, s21
	v_cndmask_b32_e64 v7, 0, 1, s5
	s_delay_alu instid0(VALU_DEP_2) | instskip(NEXT) | instid1(SALU_CYCLE_1)
	s_and_b32 s5, s6, s22
	v_cndmask_b32_e64 v8, 0, 1, s5
	s_and_b32 s5, s7, s23
	s_delay_alu instid0(SALU_CYCLE_1) | instskip(SKIP_1) | instid1(VALU_DEP_2)
	v_cndmask_b32_e64 v9, 0, 1, s5
	s_and_b32 s5, s8, s24
	v_cmp_ne_u32_e64 s6, 0, v8
	v_cndmask_b32_e64 v10, 0, 1, s5
	v_cmp_ne_u32_e64 s5, 0, v7
	v_cmp_ne_u32_e64 s7, 0, v9
	v_mov_b32_e32 v7, s76
	s_bcnt1_i32_b32 s6, s6
	v_cmp_ne_u32_e64 s8, 0, v10
	s_bcnt1_i32_b32 s5, s5
	s_bcnt1_i32_b32 s7, s7
	s_add_i32 s5, s6, s5
	v_mov_b32_e32 v9, s74
	s_bcnt1_i32_b32 s6, s8
	s_add_i32 s5, s5, s7
	v_mov_b32_e32 v8, s77
	s_add_i32 s5, s5, s6
	v_mov_b32_e32 v10, s75
	s_add_u32 s70, s70, s5
	s_addc_u32 s71, s71, 0
	s_delay_alu instid0(SALU_CYCLE_1) | instskip(SKIP_1) | instid1(SALU_CYCLE_1)
	v_dual_mov_b32 v13, s70 :: v_dual_mov_b32 v14, s71
	s_or_b32 s104, vcc_lo, s104
	s_and_not1_b32 exec_lo, exec_lo, s104
	s_cbranch_execnz .LBB31_73
; %bb.74:                               ;   in Loop: Header=BB31_33 Depth=1
	s_or_b32 exec_lo, exec_lo, s104
.LBB31_75:                              ;   in Loop: Header=BB31_33 Depth=1
	s_delay_alu instid0(SALU_CYCLE_1) | instskip(SKIP_4) | instid1(VALU_DEP_3)
	s_or_b32 exec_lo, exec_lo, s100
	v_add_co_u32 v31, vcc_lo, v31, v0
	v_add_co_ci_u32_e32 v32, vcc_lo, 0, v32, vcc_lo
	v_mov_b32_e32 v33, 0
	v_mov_b32_e32 v34, 0
	v_cmp_gt_i64_e32 vcc_lo, s[36:37], v[31:32]
	s_and_saveexec_b32 s6, vcc_lo
	s_cbranch_execz .LBB31_77
; %bb.76:                               ;   in Loop: Header=BB31_33 Depth=1
	v_mul_lo_u32 v17, v32, s42
	v_mul_lo_u32 v35, v31, s43
	v_mad_u64_u32 v[33:34], null, v31, s42, 0
	s_delay_alu instid0(VALU_DEP_1) | instskip(NEXT) | instid1(VALU_DEP_1)
	v_add3_u32 v34, v34, v35, v17
	v_lshlrev_b64 v[33:34], 3, v[33:34]
	s_delay_alu instid0(VALU_DEP_1) | instskip(NEXT) | instid1(VALU_DEP_1)
	v_add_co_u32 v33, s5, s78, v33
	v_add_co_ci_u32_e64 v34, s5, s79, v34, s5
	global_load_b64 v[33:34], v[33:34], off
.LBB31_77:                              ;   in Loop: Header=BB31_33 Depth=1
	s_or_b32 exec_lo, exec_lo, s6
	s_and_saveexec_b32 s9, vcc_lo
	s_cbranch_execz .LBB31_84
; %bb.78:                               ;   in Loop: Header=BB31_33 Depth=1
	v_add_co_u32 v17, vcc_lo, v49, s50
	v_add_co_ci_u32_e32 v35, vcc_lo, 0, v50, vcc_lo
	s_mul_i32 s5, s61, s50
	s_delay_alu instid0(VALU_DEP_2) | instskip(NEXT) | instid1(VALU_DEP_2)
	v_sub_co_u32 v17, vcc_lo, v17, v3
	v_sub_co_ci_u32_e32 v3, vcc_lo, v35, v4, vcc_lo
	s_mul_hi_u32 s6, s60, s50
	s_delay_alu instid0(VALU_DEP_2) | instskip(SKIP_1) | instid1(VALU_DEP_2)
	v_mul_lo_u32 v36, s61, v17
	s_and_b32 s10, s94, 0xfe
	v_mul_lo_u32 v35, s60, v3
	v_mad_u64_u32 v[3:4], null, s60, v17, s[58:59]
	s_add_i32 s11, s6, s5
	s_mul_i32 s12, s60, s50
	s_mov_b32 s13, 0
	s_delay_alu instid0(VALU_DEP_1)
	v_add3_u32 v4, v36, v4, v35
	s_branch .LBB31_80
.LBB31_79:                              ;   in Loop: Header=BB31_80 Depth=2
	s_or_b32 exec_lo, exec_lo, s6
	s_waitcnt vmcnt(0)
	v_xor_b32_e32 v34, 0x80000000, v34
	s_and_b32 s7, exec_lo, vcc_lo
	s_delay_alu instid0(SALU_CYCLE_1) | instskip(NEXT) | instid1(VALU_DEP_1)
	s_or_b32 s13, s7, s13
	v_lshrrev_b64 v[37:38], s10, v[33:34]
	v_and_b32_e32 v33, s66, v33
	v_and_b32_e32 v34, s67, v34
	s_delay_alu instid0(VALU_DEP_3) | instskip(NEXT) | instid1(VALU_DEP_2)
	v_and_b32_e32 v17, 3, v37
	v_cmp_eq_u64_e64 s5, s[64:65], v[33:34]
	s_delay_alu instid0(VALU_DEP_2) | instskip(SKIP_3) | instid1(VALU_DEP_4)
	v_cmp_eq_u64_e64 s6, 0, v[17:18]
	v_cmp_eq_u64_e32 vcc_lo, 1, v[17:18]
	v_cmp_eq_u64_e64 s7, 2, v[17:18]
	v_cmp_eq_u64_e64 s8, 3, v[17:18]
	s_and_b32 s6, s5, s6
	s_delay_alu instid0(SALU_CYCLE_1) | instskip(SKIP_1) | instid1(SALU_CYCLE_1)
	v_cndmask_b32_e64 v17, 0, 1, s6
	s_and_b32 s6, s5, vcc_lo
	v_cndmask_b32_e64 v33, 0, 1, s6
	s_and_b32 s6, s5, s7
	s_delay_alu instid0(VALU_DEP_2) | instskip(SKIP_2) | instid1(SALU_CYCLE_1)
	v_cmp_ne_u32_e32 vcc_lo, 0, v17
	v_cndmask_b32_e64 v34, 0, 1, s6
	s_and_b32 s5, s5, s8
	v_cndmask_b32_e64 v37, 0, 1, s5
	v_cmp_ne_u32_e64 s5, 0, v33
	s_bcnt1_i32_b32 s8, vcc_lo
	v_cmp_ne_u32_e64 s6, 0, v34
	v_add_co_u32 v7, vcc_lo, v7, s8
	s_delay_alu instid0(VALU_DEP_3)
	s_bcnt1_i32_b32 s5, s5
	v_cmp_ne_u32_e64 s7, 0, v37
	v_add_co_ci_u32_e32 v8, vcc_lo, 0, v8, vcc_lo
	v_add_co_u32 v9, vcc_lo, v9, s5
	s_bcnt1_i32_b32 s6, s6
	v_add_co_ci_u32_e32 v10, vcc_lo, 0, v10, vcc_lo
	v_add_co_u32 v11, vcc_lo, v11, s6
	s_bcnt1_i32_b32 s5, s7
	v_add_co_ci_u32_e32 v12, vcc_lo, 0, v12, vcc_lo
	v_add_co_u32 v13, vcc_lo, v13, s5
	v_add_co_ci_u32_e32 v14, vcc_lo, 0, v14, vcc_lo
	v_add_co_u32 v3, vcc_lo, v3, s12
	v_dual_mov_b32 v33, v35 :: v_dual_mov_b32 v34, v36
	v_add_co_ci_u32_e32 v4, vcc_lo, s11, v4, vcc_lo
	s_and_not1_b32 exec_lo, exec_lo, s13
	s_cbranch_execz .LBB31_83
.LBB31_80:                              ;   Parent Loop BB31_33 Depth=1
                                        ; =>  This Inner Loop Header: Depth=2
	v_add_co_u32 v31, vcc_lo, v31, s50
	v_add_co_ci_u32_e32 v32, vcc_lo, 0, v32, vcc_lo
	v_mov_b32_e32 v35, 0
	v_mov_b32_e32 v36, 0
	s_mov_b32 s6, exec_lo
	s_delay_alu instid0(VALU_DEP_3)
	v_cmp_le_i64_e32 vcc_lo, s[36:37], v[31:32]
	v_cmpx_gt_i64_e64 s[36:37], v[31:32]
	s_cbranch_execz .LBB31_79
; %bb.81:                               ;   in Loop: Header=BB31_80 Depth=2
	global_load_b64 v[35:36], v[3:4], off
	s_branch .LBB31_79
.LBB31_82:                              ;   in Loop: Header=BB31_33 Depth=1
                                        ; implicit-def: $vgpr13_vgpr14
                                        ; implicit-def: $vgpr9_vgpr10
	s_cbranch_execnz .LBB31_85
	s_branch .LBB31_94
.LBB31_83:                              ;   in Loop: Header=BB31_33 Depth=1
	s_or_b32 exec_lo, exec_lo, s13
.LBB31_84:                              ;   in Loop: Header=BB31_33 Depth=1
	s_delay_alu instid0(SALU_CYCLE_1)
	s_or_b32 exec_lo, exec_lo, s9
	s_branch .LBB31_94
.LBB31_85:                              ;   in Loop: Header=BB31_33 Depth=1
	global_load_u16 v3, v18, s[56:57]
	s_mov_b64 s[70:71], 0
	s_mov_b32 s100, exec_lo
	v_mov_b32_e32 v7, 0
	s_waitcnt vmcnt(0)
	v_dual_mov_b32 v8, 0 :: v_dual_and_b32 v31, 0xffff, v3
	v_readfirstlane_b32 s5, v3
	s_delay_alu instid0(VALU_DEP_2) | instskip(SKIP_1) | instid1(VALU_DEP_3)
	v_dual_mov_b32 v10, v8 :: v_dual_mov_b32 v9, v7
	v_dual_mov_b32 v12, v8 :: v_dual_mov_b32 v11, v7
	s_and_b32 s5, 0xffff, s5
	v_dual_mov_b32 v14, v8 :: v_dual_mov_b32 v13, v7
	s_lshl_b32 s69, s5, 2
	s_delay_alu instid0(SALU_CYCLE_1) | instskip(SKIP_1) | instid1(VALU_DEP_1)
	v_cvt_f32_u32_e32 v4, s69
	s_sub_i32 s6, 0, s69
	v_rcp_iflag_f32_e32 v4, v4
	s_waitcnt_depctr 0xfff
	v_mul_f32_e32 v4, 0x4f7ffffe, v4
	s_delay_alu instid0(VALU_DEP_1) | instskip(NEXT) | instid1(VALU_DEP_1)
	v_cvt_u32_f32_e32 v4, v4
	v_readfirstlane_b32 s5, v4
	s_delay_alu instid0(VALU_DEP_1) | instskip(NEXT) | instid1(SALU_CYCLE_1)
	s_mul_i32 s6, s6, s5
	s_mul_hi_u32 s6, s5, s6
	s_delay_alu instid0(SALU_CYCLE_1) | instskip(NEXT) | instid1(SALU_CYCLE_1)
	s_add_i32 s5, s5, s6
	s_mul_hi_u32 s5, s68, s5
	s_delay_alu instid0(SALU_CYCLE_1) | instskip(NEXT) | instid1(SALU_CYCLE_1)
	s_mul_i32 s5, s5, s69
	s_sub_i32 s5, s68, s5
	s_delay_alu instid0(SALU_CYCLE_1) | instskip(SKIP_2) | instid1(SALU_CYCLE_1)
	s_sub_i32 s6, s5, s69
	s_cmp_ge_u32 s5, s69
	s_cselect_b32 s5, s6, s5
	s_sub_i32 s6, s5, s69
	s_cmp_ge_u32 s5, s69
	s_cselect_b32 s5, s6, s5
	s_delay_alu instid0(SALU_CYCLE_1) | instskip(NEXT) | instid1(SALU_CYCLE_1)
	s_sub_i32 s50, s68, s5
	v_cmpx_gt_u32_e64 s50, v21
	s_cbranch_execz .LBB31_89
; %bb.86:                               ;   in Loop: Header=BB31_33 Depth=1
	v_dual_mov_b32 v33, v47 :: v_dual_lshlrev_b32 v32, 5, v31
	v_dual_mov_b32 v3, v21 :: v_dual_mov_b32 v4, v22
	s_and_b32 s101, s94, 0xfe
	s_mov_b32 s102, 0
	s_mov_b64 s[72:73], 0
	s_mov_b64 s[74:75], 0
	;; [unrolled: 1-line block ×3, first 2 shown]
.LBB31_87:                              ;   Parent Loop BB31_33 Depth=1
                                        ; =>  This Inner Loop Header: Depth=2
	ds_load_b128 v[7:10], v33
	ds_load_b128 v[11:14], v33 offset:16
	v_mov_b32_e32 v35, v18
	v_add_co_u32 v3, vcc_lo, v3, s69
	v_add_co_ci_u32_e32 v4, vcc_lo, 0, v4, vcc_lo
	s_delay_alu instid0(VALU_DEP_1)
	v_cmp_le_u64_e32 vcc_lo, s[50:51], v[3:4]
	s_waitcnt lgkmcnt(1)
	v_and_b32_e32 v40, s66, v7
	v_xor_b32_e32 v8, 0x80000000, v8
	v_xor_b32_e32 v10, 0x80000000, v10
	s_waitcnt lgkmcnt(0)
	v_xor_b32_e32 v12, 0x80000000, v12
	v_xor_b32_e32 v14, 0x80000000, v14
	v_and_b32_e32 v53, s66, v9
	v_and_b32_e32 v41, s67, v8
	v_lshrrev_b64 v[7:8], s101, v[7:8]
	v_lshrrev_b64 v[8:9], s101, v[9:10]
	v_dual_mov_b32 v37, v18 :: v_dual_and_b32 v54, s67, v10
	v_lshrrev_b64 v[9:10], s101, v[11:12]
	v_and_b32_e32 v55, s66, v11
	v_lshrrev_b64 v[10:11], s101, v[13:14]
	v_and_b32_e32 v17, 3, v7
	v_dual_mov_b32 v39, v18 :: v_dual_and_b32 v34, 3, v8
	v_and_b32_e32 v56, s67, v12
	v_and_b32_e32 v36, 3, v9
	v_cmp_eq_u64_e64 s5, s[64:65], v[40:41]
	v_cmp_eq_u64_e64 s9, 0, v[17:18]
	v_and_b32_e32 v57, s66, v13
	v_and_b32_e32 v58, s67, v14
	;; [unrolled: 1-line block ×3, first 2 shown]
	v_cmp_eq_u64_e64 s6, s[64:65], v[53:54]
	v_cmp_eq_u64_e64 s10, 0, v[34:35]
	;; [unrolled: 1-line block ×6, first 2 shown]
	s_and_b32 s9, s5, s9
	v_cmp_eq_u64_e64 s13, 1, v[17:18]
	v_cndmask_b32_e64 v7, 0, 1, s9
	s_and_b32 s9, s6, s10
	v_cmp_eq_u64_e64 s14, 1, v[34:35]
	v_cndmask_b32_e64 v8, 0, 1, s9
	;; [unrolled: 3-line block ×3, first 2 shown]
	s_and_b32 s9, s8, s12
	v_cmp_ne_u32_e64 s10, 0, v8
	v_cndmask_b32_e64 v10, 0, 1, s9
	v_cmp_ne_u32_e64 s9, 0, v7
	v_cmp_ne_u32_e64 s11, 0, v9
	v_cmp_eq_u64_e64 s16, 1, v[38:39]
	s_bcnt1_i32_b32 s10, s10
	v_cmp_ne_u32_e64 s12, 0, v10
	s_bcnt1_i32_b32 s9, s9
	s_bcnt1_i32_b32 s11, s11
	s_add_i32 s9, s10, s9
	v_cmp_eq_u64_e64 s17, 2, v[17:18]
	s_bcnt1_i32_b32 s12, s12
	s_add_i32 s9, s9, s11
	v_cmp_eq_u64_e64 s18, 2, v[34:35]
	s_add_i32 s9, s9, s12
	v_cmp_eq_u64_e64 s19, 2, v[36:37]
	s_add_u32 s76, s76, s9
	s_addc_u32 s77, s77, 0
	s_and_b32 s9, s5, s13
	v_cmp_eq_u64_e64 s20, 2, v[38:39]
	v_cndmask_b32_e64 v7, 0, 1, s9
	s_and_b32 s9, s6, s14
	v_cmp_eq_u64_e64 s21, 3, v[17:18]
	v_cndmask_b32_e64 v8, 0, 1, s9
	;; [unrolled: 3-line block ×3, first 2 shown]
	s_and_b32 s9, s8, s16
	v_cmp_ne_u32_e64 s10, 0, v8
	v_cndmask_b32_e64 v10, 0, 1, s9
	v_cmp_ne_u32_e64 s9, 0, v7
	v_cmp_ne_u32_e64 s11, 0, v9
	v_cmp_eq_u64_e64 s24, 3, v[38:39]
	s_bcnt1_i32_b32 s10, s10
	v_cmp_ne_u32_e64 s12, 0, v10
	s_bcnt1_i32_b32 s9, s9
	s_bcnt1_i32_b32 s11, s11
	s_add_i32 s9, s10, s9
	v_add_nc_u32_e32 v33, v33, v32
	s_bcnt1_i32_b32 s12, s12
	s_add_i32 s9, s9, s11
	s_delay_alu instid0(SALU_CYCLE_1) | instskip(NEXT) | instid1(SALU_CYCLE_1)
	s_add_i32 s9, s9, s12
	s_add_u32 s74, s74, s9
	s_addc_u32 s75, s75, 0
	s_and_b32 s9, s5, s17
	s_delay_alu instid0(SALU_CYCLE_1) | instskip(SKIP_1) | instid1(SALU_CYCLE_1)
	v_cndmask_b32_e64 v7, 0, 1, s9
	s_and_b32 s9, s6, s18
	v_cndmask_b32_e64 v8, 0, 1, s9
	s_and_b32 s9, s7, s19
	s_delay_alu instid0(SALU_CYCLE_1) | instskip(SKIP_1) | instid1(VALU_DEP_2)
	v_cndmask_b32_e64 v9, 0, 1, s9
	s_and_b32 s9, s8, s20
	v_cmp_ne_u32_e64 s10, 0, v8
	v_cndmask_b32_e64 v10, 0, 1, s9
	v_cmp_ne_u32_e64 s9, 0, v7
	v_cmp_ne_u32_e64 s11, 0, v9
	s_delay_alu instid0(VALU_DEP_4) | instskip(NEXT) | instid1(VALU_DEP_3)
	s_bcnt1_i32_b32 s10, s10
	v_cmp_ne_u32_e64 s12, 0, v10
	s_delay_alu instid0(VALU_DEP_3) | instskip(NEXT) | instid1(VALU_DEP_2)
	s_bcnt1_i32_b32 s9, s9
	s_bcnt1_i32_b32 s11, s11
	s_add_i32 s9, s10, s9
	s_delay_alu instid0(VALU_DEP_1) | instskip(SKIP_1) | instid1(SALU_CYCLE_1)
	s_bcnt1_i32_b32 s12, s12
	s_add_i32 s9, s9, s11
	s_add_i32 s9, s9, s12
	s_delay_alu instid0(SALU_CYCLE_1)
	s_add_u32 s72, s72, s9
	s_addc_u32 s73, s73, 0
	v_mov_b32_e32 v11, s72
	v_cmp_eq_u64_e64 s23, 3, v[36:37]
	s_and_b32 s5, s5, s21
	v_mov_b32_e32 v12, s73
	v_cndmask_b32_e64 v7, 0, 1, s5
	s_and_b32 s5, s6, s22
	s_delay_alu instid0(SALU_CYCLE_1) | instskip(SKIP_1) | instid1(SALU_CYCLE_1)
	v_cndmask_b32_e64 v8, 0, 1, s5
	s_and_b32 s5, s7, s23
	v_cndmask_b32_e64 v9, 0, 1, s5
	s_and_b32 s5, s8, s24
	s_delay_alu instid0(VALU_DEP_2) | instskip(SKIP_4) | instid1(VALU_DEP_4)
	v_cmp_ne_u32_e64 s6, 0, v8
	v_cndmask_b32_e64 v10, 0, 1, s5
	v_cmp_ne_u32_e64 s5, 0, v7
	v_cmp_ne_u32_e64 s7, 0, v9
	v_dual_mov_b32 v7, s76 :: v_dual_mov_b32 v8, s77
	v_cmp_ne_u32_e64 s8, 0, v10
	s_delay_alu instid0(VALU_DEP_4)
	s_bcnt1_i32_b32 s5, s5
	s_bcnt1_i32_b32 s6, s6
	;; [unrolled: 1-line block ×3, first 2 shown]
	s_add_i32 s5, s6, s5
	s_bcnt1_i32_b32 s6, s8
	s_add_i32 s5, s5, s7
	v_mov_b32_e32 v9, s74
	s_add_i32 s5, s5, s6
	v_mov_b32_e32 v10, s75
	s_add_u32 s70, s70, s5
	s_addc_u32 s71, s71, 0
	s_delay_alu instid0(SALU_CYCLE_1) | instskip(SKIP_1) | instid1(SALU_CYCLE_1)
	v_dual_mov_b32 v13, s70 :: v_dual_mov_b32 v14, s71
	s_or_b32 s102, vcc_lo, s102
	s_and_not1_b32 exec_lo, exec_lo, s102
	s_cbranch_execnz .LBB31_87
; %bb.88:                               ;   in Loop: Header=BB31_33 Depth=1
	s_or_b32 exec_lo, exec_lo, s102
.LBB31_89:                              ;   in Loop: Header=BB31_33 Depth=1
	s_delay_alu instid0(SALU_CYCLE_1) | instskip(SKIP_2) | instid1(VALU_DEP_1)
	s_or_b32 exec_lo, exec_lo, s100
	v_add_nc_u32_e32 v17, s50, v0
	s_mov_b32 s12, exec_lo
	v_cmpx_gt_u32_e64 s68, v17
	s_cbranch_execz .LBB31_93
; %bb.90:                               ;   in Loop: Header=BB31_33 Depth=1
	v_dual_mov_b32 v3, v17 :: v_dual_lshlrev_b32 v32, 3, v17
	v_dual_mov_b32 v4, v18 :: v_dual_lshlrev_b32 v33, 3, v31
	s_mov_b32 s11, 0
	s_and_b32 s10, s68, 0x7fffffff
	s_and_b32 s14, s94, 0xfe
	s_mov_b32 s13, s11
.LBB31_91:                              ;   Parent Loop BB31_33 Depth=1
                                        ; =>  This Inner Loop Header: Depth=2
	ds_load_b64 v[34:35], v32
	v_add_co_u32 v3, vcc_lo, v3, v31
	v_add_co_ci_u32_e32 v4, vcc_lo, 0, v4, vcc_lo
	v_add_nc_u32_e32 v32, v32, v33
	s_delay_alu instid0(VALU_DEP_2) | instskip(SKIP_3) | instid1(VALU_DEP_2)
	v_cmp_le_u64_e32 vcc_lo, s[10:11], v[3:4]
	s_waitcnt lgkmcnt(0)
	v_xor_b32_e32 v35, 0x80000000, v35
	v_and_b32_e32 v36, s66, v34
	v_and_b32_e32 v37, s67, v35
	v_lshrrev_b64 v[34:35], s14, v[34:35]
	s_delay_alu instid0(VALU_DEP_2) | instskip(NEXT) | instid1(VALU_DEP_2)
	v_cmp_eq_u64_e64 s5, s[64:65], v[36:37]
	v_and_b32_e32 v17, 3, v34
	s_delay_alu instid0(VALU_DEP_1) | instskip(SKIP_3) | instid1(VALU_DEP_4)
	v_cmp_eq_u64_e64 s6, 0, v[17:18]
	v_cmp_eq_u64_e64 s7, 1, v[17:18]
	;; [unrolled: 1-line block ×4, first 2 shown]
	s_and_b32 s6, s5, s6
	s_delay_alu instid0(SALU_CYCLE_1) | instskip(NEXT) | instid1(VALU_DEP_4)
	v_cndmask_b32_e64 v17, 0, 1, s6
	s_and_b32 s6, s5, s7
	s_delay_alu instid0(SALU_CYCLE_1)
	v_cndmask_b32_e64 v34, 0, 1, s6
	s_and_b32 s6, s5, s8
	s_and_b32 s5, s5, s9
	v_cndmask_b32_e64 v35, 0, 1, s6
	v_cndmask_b32_e64 v36, 0, 1, s5
	v_cmp_ne_u32_e64 s5, 0, v17
	v_cmp_ne_u32_e64 s6, 0, v34
	s_delay_alu instid0(VALU_DEP_4) | instskip(NEXT) | instid1(VALU_DEP_4)
	v_cmp_ne_u32_e64 s7, 0, v35
	v_cmp_ne_u32_e64 s8, 0, v36
	s_delay_alu instid0(VALU_DEP_4) | instskip(NEXT) | instid1(VALU_DEP_3)
	s_bcnt1_i32_b32 s5, s5
	s_bcnt1_i32_b32 s6, s6
	v_add_co_u32 v7, s5, v7, s5
	s_delay_alu instid0(VALU_DEP_1)
	v_add_co_ci_u32_e64 v8, s5, 0, v8, s5
	v_add_co_u32 v9, s5, v9, s6
	s_bcnt1_i32_b32 s7, s7
	v_add_co_ci_u32_e64 v10, s5, 0, v10, s5
	v_add_co_u32 v11, s5, v11, s7
	s_bcnt1_i32_b32 s8, s8
	v_add_co_ci_u32_e64 v12, s5, 0, v12, s5
	v_add_co_u32 v13, s5, v13, s8
	s_delay_alu instid0(VALU_DEP_1) | instskip(SKIP_1) | instid1(SALU_CYCLE_1)
	v_add_co_ci_u32_e64 v14, s5, 0, v14, s5
	s_or_b32 s13, vcc_lo, s13
	s_and_not1_b32 exec_lo, exec_lo, s13
	s_cbranch_execnz .LBB31_91
; %bb.92:                               ;   in Loop: Header=BB31_33 Depth=1
	s_or_b32 exec_lo, exec_lo, s13
.LBB31_93:                              ;   in Loop: Header=BB31_33 Depth=1
	s_delay_alu instid0(SALU_CYCLE_1)
	s_or_b32 exec_lo, exec_lo, s12
.LBB31_94:                              ;   in Loop: Header=BB31_33 Depth=1
	s_lshl_b32 s5, s96, 7
	s_and_saveexec_b32 s6, s2
	s_cbranch_execz .LBB31_96
; %bb.95:                               ;   in Loop: Header=BB31_33 Depth=1
	v_or_b32_e32 v3, s5, v46
	s_delay_alu instid0(VALU_DEP_1)
	v_lshlrev_b32_e32 v3, 3, v3
	ds_store_b128 v3, v[7:10] offset:3072
	ds_store_b128 v3, v[11:14] offset:3088
.LBB31_96:                              ;   in Loop: Header=BB31_33 Depth=1
	s_or_b32 exec_lo, exec_lo, s6
	s_waitcnt vmcnt(0) lgkmcnt(0)
	s_barrier
	buffer_gl0_inv
	s_and_saveexec_b32 s6, s80
	s_cbranch_execz .LBB31_107
; %bb.97:                               ;   in Loop: Header=BB31_33 Depth=1
	v_mov_b32_e32 v3, 0
	v_mov_b32_e32 v4, 0
	s_and_not1_b32 vcc_lo, exec_lo, s88
	s_cbranch_vccnz .LBB31_106
; %bb.98:                               ;   in Loop: Header=BB31_33 Depth=1
	v_mov_b32_e32 v3, 0
	v_mov_b32_e32 v4, 0
	s_and_not1_b32 vcc_lo, exec_lo, s86
	s_cbranch_vccnz .LBB31_103
; %bb.99:                               ;   in Loop: Header=BB31_33 Depth=1
	v_lshl_add_u32 v7, s96, 10, v51
	s_mov_b32 s7, 0
	s_set_inst_prefetch_distance 0x1
	.p2align	6
.LBB31_100:                             ;   Parent Loop BB31_33 Depth=1
                                        ; =>  This Inner Loop Header: Depth=2
	ds_load_2addr_b64 v[8:11], v7 offset1:4
	ds_load_2addr_b64 v[31:34], v7 offset0:8 offset1:12
	ds_load_2addr_b64 v[35:38], v7 offset0:16 offset1:20
	s_add_i32 s7, s7, 8
	s_delay_alu instid0(SALU_CYCLE_1) | instskip(SKIP_3) | instid1(VALU_DEP_2)
	s_cmp_eq_u32 s87, s7
	s_waitcnt lgkmcnt(2)
	v_add_co_u32 v3, vcc_lo, v8, v3
	v_add_co_ci_u32_e32 v4, vcc_lo, v9, v4, vcc_lo
	v_add_co_u32 v3, vcc_lo, v10, v3
	s_delay_alu instid0(VALU_DEP_2)
	v_add_co_ci_u32_e32 v4, vcc_lo, v11, v4, vcc_lo
	ds_load_2addr_b64 v[8:11], v7 offset0:24 offset1:28
	s_waitcnt lgkmcnt(2)
	v_add_co_u32 v3, vcc_lo, v31, v3
	v_add_co_ci_u32_e32 v4, vcc_lo, v32, v4, vcc_lo
	v_add_nc_u32_e32 v7, 0x100, v7
	s_delay_alu instid0(VALU_DEP_3) | instskip(NEXT) | instid1(VALU_DEP_3)
	v_add_co_u32 v3, vcc_lo, v33, v3
	v_add_co_ci_u32_e32 v4, vcc_lo, v34, v4, vcc_lo
	s_waitcnt lgkmcnt(1)
	s_delay_alu instid0(VALU_DEP_2) | instskip(NEXT) | instid1(VALU_DEP_2)
	v_add_co_u32 v3, vcc_lo, v35, v3
	v_add_co_ci_u32_e32 v4, vcc_lo, v36, v4, vcc_lo
	s_delay_alu instid0(VALU_DEP_2) | instskip(NEXT) | instid1(VALU_DEP_2)
	v_add_co_u32 v3, vcc_lo, v37, v3
	v_add_co_ci_u32_e32 v4, vcc_lo, v38, v4, vcc_lo
	s_waitcnt lgkmcnt(0)
	s_delay_alu instid0(VALU_DEP_2) | instskip(NEXT) | instid1(VALU_DEP_2)
	v_add_co_u32 v3, vcc_lo, v8, v3
	v_add_co_ci_u32_e32 v4, vcc_lo, v9, v4, vcc_lo
	s_delay_alu instid0(VALU_DEP_2) | instskip(NEXT) | instid1(VALU_DEP_2)
	v_add_co_u32 v3, vcc_lo, v10, v3
	v_add_co_ci_u32_e32 v4, vcc_lo, v11, v4, vcc_lo
	s_cbranch_scc0 .LBB31_100
; %bb.101:                              ;   in Loop: Header=BB31_33 Depth=1
	s_set_inst_prefetch_distance 0x2
	s_mov_b32 s7, s87
	s_and_not1_b32 vcc_lo, exec_lo, s89
	s_cbranch_vccz .LBB31_104
	s_branch .LBB31_106
.LBB31_102:                             ;   in Loop: Header=BB31_33 Depth=1
                                        ; implicit-def: $vgpr3_vgpr4
	s_branch .LBB31_70
.LBB31_103:                             ;   in Loop: Header=BB31_33 Depth=1
	s_mov_b32 s7, 0
	s_and_not1_b32 vcc_lo, exec_lo, s89
	s_cbranch_vccnz .LBB31_106
.LBB31_104:                             ;   in Loop: Header=BB31_33 Depth=1
	s_lshl_b32 s8, s96, 10
	s_lshl_b32 s7, s7, 5
	s_delay_alu instid0(SALU_CYCLE_1)
	v_add3_u32 v7, s8, s7, v51
	s_mov_b32 s7, s85
.LBB31_105:                             ;   Parent Loop BB31_33 Depth=1
                                        ; =>  This Inner Loop Header: Depth=2
	ds_load_b64 v[8:9], v7
	v_add_nc_u32_e32 v7, 32, v7
	s_add_i32 s7, s7, -1
	s_delay_alu instid0(SALU_CYCLE_1)
	s_cmp_lg_u32 s7, 0
	s_waitcnt lgkmcnt(0)
	v_add_co_u32 v3, vcc_lo, v8, v3
	v_add_co_ci_u32_e32 v4, vcc_lo, v9, v4, vcc_lo
	s_cbranch_scc1 .LBB31_105
.LBB31_106:                             ;   in Loop: Header=BB31_33 Depth=1
	v_add_lshl_u32 v7, s5, v43, 3
	ds_store_b64 v7, v[3:4] offset:3072
.LBB31_107:                             ;   in Loop: Header=BB31_33 Depth=1
	s_or_b32 exec_lo, exec_lo, s6
	s_lshl_b32 s5, s5, 3
	s_waitcnt lgkmcnt(0)
	v_mov_b32_e32 v3, s5
	s_barrier
	buffer_gl0_inv
	s_and_b32 s23, s94, 0xfe
	s_mov_b32 s50, -1
	ds_load_b128 v[7:10], v3 offset:3072
	ds_load_b128 v[11:14], v3 offset:3088
	s_lshl_b64 s[8:9], 3, s23
	s_delay_alu instid0(SALU_CYCLE_1)
	s_not_b64 s[12:13], s[8:9]
	s_waitcnt lgkmcnt(1)
	v_readfirstlane_b32 s17, v8
	v_readfirstlane_b32 s16, v7
	;; [unrolled: 1-line block ×4, first 2 shown]
	s_waitcnt lgkmcnt(0)
	v_readfirstlane_b32 s10, v11
	v_readfirstlane_b32 s11, v12
	s_cmp_eq_u64 s[16:17], 1
	v_readfirstlane_b32 s6, v13
	s_cselect_b32 s5, -1, 0
	s_cmp_eq_u64 s[38:39], 1
	s_cselect_b32 s7, -1, 0
	s_delay_alu instid0(SALU_CYCLE_1)
	s_and_b32 s68, s5, s7
	v_readfirstlane_b32 s7, v14
	s_and_b32 vcc_lo, exec_lo, s68
	s_cbranch_vccz .LBB31_122
; %bb.108:                              ;   in Loop: Header=BB31_33 Depth=1
	ds_load_b64 v[3:4], v18 offset:5120
	s_waitcnt lgkmcnt(0)
	s_barrier
	buffer_gl0_inv
	v_readfirstlane_b32 s18, v3
	v_readfirstlane_b32 s19, v4
	s_and_saveexec_b32 s5, s3
	s_cbranch_execz .LBB31_110
; %bb.109:                              ;   in Loop: Header=BB31_33 Depth=1
	v_mov_b32_e32 v17, v18
	ds_store_b64 v45, v[17:18]
.LBB31_110:                             ;   in Loop: Header=BB31_33 Depth=1
	s_or_b32 exec_lo, exec_lo, s5
	s_delay_alu instid0(VALU_DEP_1)
	v_cmp_lt_i64_e64 s5, s[18:19], 1
	s_and_b64 s[64:65], s[64:65], s[12:13]
	s_or_b64 s[66:67], s[66:67], s[8:9]
	s_waitcnt lgkmcnt(0)
	s_barrier
	buffer_gl0_inv
	s_and_b32 vcc_lo, exec_lo, s5
	s_cbranch_vccz .LBB31_123
; %bb.111:                              ;   in Loop: Header=BB31_33 Depth=1
	s_mov_b32 s24, s51
	s_delay_alu instid0(SALU_CYCLE_1)
	s_cmp_lg_u64 s[24:25], 0
	s_cbranch_scc0 .LBB31_168
; %bb.112:                              ;   in Loop: Header=BB31_33 Depth=1
	v_cvt_f32_u32_e32 v3, s33
	s_sub_u32 s21, 0, s33
	s_subb_u32 s22, 0, 0
	s_delay_alu instid0(VALU_DEP_1) | instskip(NEXT) | instid1(VALU_DEP_1)
	v_fmac_f32_e32 v3, 0x4f800000, v52
	v_rcp_f32_e32 v3, v3
	s_waitcnt_depctr 0xfff
	v_mul_f32_e32 v3, 0x5f7ffffc, v3
	s_delay_alu instid0(VALU_DEP_1) | instskip(NEXT) | instid1(VALU_DEP_1)
	v_mul_f32_e32 v4, 0x2f800000, v3
	v_trunc_f32_e32 v4, v4
	s_delay_alu instid0(VALU_DEP_1) | instskip(SKIP_1) | instid1(VALU_DEP_2)
	v_fmac_f32_e32 v3, 0xcf800000, v4
	v_cvt_u32_f32_e32 v4, v4
	v_cvt_u32_f32_e32 v3, v3
	s_delay_alu instid0(VALU_DEP_2) | instskip(NEXT) | instid1(VALU_DEP_2)
	v_readfirstlane_b32 s5, v4
	v_readfirstlane_b32 s20, v3
	s_delay_alu instid0(VALU_DEP_2) | instskip(NEXT) | instid1(VALU_DEP_1)
	s_mul_i32 s24, s21, s5
	s_mul_hi_u32 s70, s21, s20
	s_mul_i32 s69, s22, s20
	s_add_i32 s24, s70, s24
	s_mul_i32 s71, s21, s20
	s_add_i32 s24, s24, s69
	s_mul_hi_u32 s70, s20, s71
	s_mul_hi_u32 s72, s5, s71
	s_mul_i32 s69, s5, s71
	s_mul_hi_u32 s71, s20, s24
	s_mul_i32 s20, s20, s24
	s_mul_hi_u32 s73, s5, s24
	s_add_u32 s20, s70, s20
	s_addc_u32 s70, 0, s71
	s_add_u32 s20, s20, s69
	s_mul_i32 s24, s5, s24
	s_addc_u32 s20, s70, s72
	s_addc_u32 s69, s73, 0
	s_add_u32 s20, s20, s24
	s_addc_u32 s24, 0, s69
	v_add_co_u32 v3, s20, v3, s20
	s_delay_alu instid0(VALU_DEP_1) | instskip(SKIP_1) | instid1(VALU_DEP_1)
	s_cmp_lg_u32 s20, 0
	s_addc_u32 s5, s5, s24
	v_readfirstlane_b32 s20, v3
	s_mul_i32 s24, s21, s5
	s_delay_alu instid0(VALU_DEP_1)
	s_mul_hi_u32 s69, s21, s20
	s_mul_i32 s22, s22, s20
	s_add_i32 s24, s69, s24
	s_mul_i32 s21, s21, s20
	s_add_i32 s24, s24, s22
	s_mul_hi_u32 s69, s5, s21
	s_mul_i32 s70, s5, s21
	s_mul_hi_u32 s21, s20, s21
	s_mul_hi_u32 s71, s20, s24
	s_mul_i32 s20, s20, s24
	s_mul_hi_u32 s22, s5, s24
	s_add_u32 s20, s21, s20
	s_addc_u32 s21, 0, s71
	s_add_u32 s20, s20, s70
	s_mul_i32 s24, s5, s24
	s_addc_u32 s20, s21, s69
	s_addc_u32 s21, s22, 0
	s_add_u32 s20, s20, s24
	s_addc_u32 s21, 0, s21
	v_add_co_u32 v3, s20, v3, s20
	s_delay_alu instid0(VALU_DEP_1) | instskip(SKIP_2) | instid1(VALU_DEP_1)
	s_cmp_lg_u32 s20, 0
	s_addc_u32 s5, s5, s21
	s_ashr_i32 s20, s25, 31
	v_readfirstlane_b32 s22, v3
	s_add_u32 s70, s84, s20
	s_mov_b32 s21, s20
	s_addc_u32 s71, s25, s20
	s_delay_alu instid0(SALU_CYCLE_1) | instskip(NEXT) | instid1(SALU_CYCLE_1)
	s_xor_b64 s[70:71], s[70:71], s[20:21]
	s_mul_i32 s24, s70, s5
	s_mul_hi_u32 s69, s70, s22
	s_mul_hi_u32 s21, s70, s5
	;; [unrolled: 1-line block ×3, first 2 shown]
	s_mul_i32 s22, s71, s22
	s_add_u32 s24, s69, s24
	s_addc_u32 s21, 0, s21
	s_mul_hi_u32 s72, s71, s5
	s_add_u32 s22, s24, s22
	s_mul_i32 s5, s71, s5
	s_addc_u32 s21, s21, s73
	s_addc_u32 s22, s72, 0
	s_add_u32 s5, s21, s5
	s_addc_u32 s21, 0, s22
	s_mul_hi_u32 s22, s33, s5
	s_mul_i32 s5, s33, s5
	s_mul_i32 s21, s33, s21
	v_sub_co_u32 v3, s5, s70, s5
	s_add_i32 s22, s22, s21
	s_cmp_lg_u32 s5, 0
	s_delay_alu instid0(VALU_DEP_1) | instskip(SKIP_2) | instid1(VALU_DEP_1)
	v_sub_co_u32 v4, s5, v3, s33
	s_subb_u32 s21, s71, s22
	s_cmp_lg_u32 s5, 0
	v_cmp_le_u32_e32 vcc_lo, s33, v4
	v_sub_co_u32 v5, s5, v4, s33
	s_subb_u32 s22, s21, 0
	s_cmp_lg_u32 s5, 0
	v_cndmask_b32_e64 v6, 0, -1, vcc_lo
	s_subb_u32 s5, s22, 0
	s_cmp_eq_u32 s22, 0
	v_mov_b32_e32 v8, s5
	s_cselect_b32 vcc_lo, -1, 0
	s_cmp_eq_u32 s21, 0
	v_cndmask_b32_e32 v6, -1, v6, vcc_lo
	v_cmp_le_u32_e32 vcc_lo, s33, v3
	s_cselect_b32 s5, -1, 0
	v_cndmask_b32_e64 v7, 0, -1, vcc_lo
	s_delay_alu instid0(VALU_DEP_3) | instskip(NEXT) | instid1(VALU_DEP_2)
	v_cmp_ne_u32_e32 vcc_lo, 0, v6
	v_cndmask_b32_e64 v6, -1, v7, s5
	v_cndmask_b32_e32 v4, v4, v5, vcc_lo
	v_cndmask_b32_e32 v7, s22, v8, vcc_lo
	s_delay_alu instid0(VALU_DEP_3) | instskip(NEXT) | instid1(VALU_DEP_3)
	v_cmp_ne_u32_e32 vcc_lo, 0, v6
	v_cndmask_b32_e32 v3, v3, v4, vcc_lo
	s_delay_alu instid0(VALU_DEP_3) | instskip(NEXT) | instid1(VALU_DEP_2)
	v_cndmask_b32_e32 v5, s21, v7, vcc_lo
	v_xor_b32_e32 v3, s20, v3
	s_delay_alu instid0(VALU_DEP_2) | instskip(NEXT) | instid1(VALU_DEP_2)
	v_xor_b32_e32 v4, s20, v5
	v_sub_co_u32 v3, vcc_lo, v3, s20
	s_delay_alu instid0(VALU_DEP_2)
	v_subrev_co_ci_u32_e32 v4, vcc_lo, s20, v4, vcc_lo
	s_cbranch_execnz .LBB31_114
.LBB31_113:                             ;   in Loop: Header=BB31_33 Depth=1
	v_cvt_f32_u32_e32 v3, s33
	s_sub_i32 s5, 0, s33
	s_delay_alu instid0(VALU_DEP_1) | instskip(SKIP_2) | instid1(VALU_DEP_1)
	v_rcp_iflag_f32_e32 v3, v3
	s_waitcnt_depctr 0xfff
	v_mul_f32_e32 v3, 0x4f7ffffe, v3
	v_cvt_u32_f32_e32 v3, v3
	s_delay_alu instid0(VALU_DEP_1) | instskip(NEXT) | instid1(VALU_DEP_1)
	v_mul_lo_u32 v4, s5, v3
	v_mul_hi_u32 v4, v3, v4
	s_delay_alu instid0(VALU_DEP_1) | instskip(NEXT) | instid1(VALU_DEP_1)
	v_add_nc_u32_e32 v3, v3, v4
	v_mul_hi_u32 v3, s84, v3
	s_delay_alu instid0(VALU_DEP_1) | instskip(NEXT) | instid1(VALU_DEP_1)
	v_mul_lo_u32 v3, v3, s33
	v_sub_nc_u32_e32 v3, s84, v3
	s_delay_alu instid0(VALU_DEP_1) | instskip(SKIP_1) | instid1(VALU_DEP_2)
	v_subrev_nc_u32_e32 v4, s33, v3
	v_cmp_le_u32_e32 vcc_lo, s33, v3
	v_cndmask_b32_e32 v3, v3, v4, vcc_lo
	s_delay_alu instid0(VALU_DEP_1) | instskip(SKIP_1) | instid1(VALU_DEP_2)
	v_subrev_nc_u32_e32 v4, s33, v3
	v_cmp_le_u32_e32 vcc_lo, s33, v3
	v_cndmask_b32_e32 v17, v3, v4, vcc_lo
	s_delay_alu instid0(VALU_DEP_1)
	v_dual_mov_b32 v3, v17 :: v_dual_mov_b32 v4, v18
.LBB31_114:                             ;   in Loop: Header=BB31_33 Depth=1
	s_delay_alu instid0(VALU_DEP_1) | instskip(NEXT) | instid1(VALU_DEP_2)
	v_sub_co_u32 v7, vcc_lo, s84, v3
	v_sub_co_ci_u32_e32 v8, vcc_lo, s25, v4, vcc_lo
	s_mov_b32 s5, 0
	s_mov_b32 s20, exec_lo
                                        ; implicit-def: $vgpr5_vgpr6
	s_delay_alu instid0(VALU_DEP_1)
	v_cmpx_gt_i64_e64 v[7:8], v[0:1]
	s_cbranch_execz .LBB31_125
; %bb.115:                              ;   in Loop: Header=BB31_33 Depth=1
	v_dual_mov_b32 v9, v15 :: v_dual_mov_b32 v10, v16
	v_dual_mov_b32 v12, v1 :: v_dual_mov_b32 v11, v0
	s_mov_b32 s21, 0
                                        ; implicit-def: $sgpr5
	s_set_inst_prefetch_distance 0x1
	s_branch .LBB31_117
	.p2align	6
.LBB31_116:                             ;   in Loop: Header=BB31_117 Depth=2
	s_or_b32 exec_lo, exec_lo, s22
	s_waitcnt vmcnt(0) lgkmcnt(0)
	s_barrier
	buffer_gl0_inv
	ds_load_b128 v[3:6], v18 offset:3072
	v_add_co_u32 v11, vcc_lo, v11, s33
	v_add_co_ci_u32_e32 v12, vcc_lo, 0, v12, vcc_lo
	s_waitcnt lgkmcnt(0)
	s_barrier
	buffer_gl0_inv
	v_cmp_ge_i64_e32 vcc_lo, v[11:12], v[7:8]
	v_readfirstlane_b32 s71, v4
	v_readfirstlane_b32 s70, v3
	s_delay_alu instid0(VALU_DEP_1) | instskip(SKIP_1) | instid1(SALU_CYCLE_1)
	s_cmp_lg_u64 s[70:71], 0
	s_cselect_b32 s22, -1, 0
	s_or_b32 s24, s22, vcc_lo
	v_add_co_u32 v9, vcc_lo, v9, s52
	s_and_b32 s24, exec_lo, s24
	v_add_co_ci_u32_e32 v10, vcc_lo, s53, v10, vcc_lo
	s_or_b32 s21, s24, s21
	s_and_not1_b32 s5, s5, exec_lo
	s_and_b32 s22, s22, exec_lo
	s_delay_alu instid0(SALU_CYCLE_1)
	s_or_b32 s5, s5, s22
	s_and_not1_b32 exec_lo, exec_lo, s21
	s_cbranch_execz .LBB31_124
.LBB31_117:                             ;   Parent Loop BB31_33 Depth=1
                                        ; =>  This Inner Loop Header: Depth=2
	s_delay_alu instid0(VALU_DEP_1)
	v_cmp_gt_i64_e32 vcc_lo, s[36:37], v[11:12]
	v_mov_b32_e32 v4, 0
	v_mov_b32_e32 v5, 0
	s_and_saveexec_b32 s22, vcc_lo
	s_cbranch_execz .LBB31_119
; %bb.118:                              ;   in Loop: Header=BB31_117 Depth=2
	global_load_b64 v[4:5], v[9:10], off
.LBB31_119:                             ;   in Loop: Header=BB31_117 Depth=2
	s_or_b32 exec_lo, exec_lo, s22
	s_and_saveexec_b32 s22, vcc_lo
	s_cbranch_execz .LBB31_116
; %bb.120:                              ;   in Loop: Header=BB31_117 Depth=2
	s_waitcnt vmcnt(0)
	v_xor_b32_e32 v3, 0x80000000, v5
	v_and_b32_e32 v13, s66, v4
	s_delay_alu instid0(VALU_DEP_2) | instskip(NEXT) | instid1(VALU_DEP_1)
	v_and_b32_e32 v14, s67, v3
	v_cmp_eq_u64_e32 vcc_lo, s[64:65], v[13:14]
	s_and_b32 exec_lo, exec_lo, vcc_lo
	s_cbranch_execz .LBB31_116
; %bb.121:                              ;   in Loop: Header=BB31_117 Depth=2
	v_mov_b32_e32 v3, v18
	ds_store_b128 v18, v[2:5] offset:3072
	s_branch .LBB31_116
.LBB31_122:                             ;   in Loop: Header=BB31_33 Depth=1
	s_mov_b32 s5, -1
                                        ; implicit-def: $sgpr20
                                        ; implicit-def: $sgpr22
                                        ; implicit-def: $sgpr21
	s_branch .LBB31_139
.LBB31_123:                             ;   in Loop: Header=BB31_33 Depth=1
	s_mov_b32 s20, -1
	s_mov_b32 s5, 0
                                        ; implicit-def: $sgpr21
                                        ; implicit-def: $vgpr5_vgpr6
	s_mov_b32 s22, s20
	s_cbranch_execnz .LBB31_126
	s_branch .LBB31_139
.LBB31_124:                             ;   in Loop: Header=BB31_33 Depth=1
	s_set_inst_prefetch_distance 0x2
	s_or_b32 exec_lo, exec_lo, s21
	s_delay_alu instid0(SALU_CYCLE_1)
	s_and_b32 s5, s5, exec_lo
.LBB31_125:                             ;   in Loop: Header=BB31_33 Depth=1
	s_or_b32 exec_lo, exec_lo, s20
	s_mov_b32 s21, -1
	s_mov_b32 s20, 0
	s_delay_alu instid0(SALU_CYCLE_1)
	s_mov_b32 s22, s20
	s_branch .LBB31_139
.LBB31_126:                             ;   in Loop: Header=BB31_33 Depth=1
	s_add_u32 s22, s82, s18
	s_addc_u32 s21, s83, s19
	s_mov_b32 s20, s51
	s_delay_alu instid0(SALU_CYCLE_1)
	s_cmp_lg_u64 s[20:21], 0
	s_cbranch_scc0 .LBB31_169
; %bb.127:                              ;   in Loop: Header=BB31_33 Depth=1
	v_cvt_f32_u32_e32 v3, s33
	s_sub_u32 s24, 0, s33
	s_subb_u32 s69, 0, 0
	s_delay_alu instid0(VALU_DEP_1) | instskip(NEXT) | instid1(VALU_DEP_1)
	v_fmac_f32_e32 v3, 0x4f800000, v52
	v_rcp_f32_e32 v3, v3
	s_waitcnt_depctr 0xfff
	v_mul_f32_e32 v3, 0x5f7ffffc, v3
	s_delay_alu instid0(VALU_DEP_1) | instskip(NEXT) | instid1(VALU_DEP_1)
	v_mul_f32_e32 v4, 0x2f800000, v3
	v_trunc_f32_e32 v4, v4
	s_delay_alu instid0(VALU_DEP_1) | instskip(SKIP_1) | instid1(VALU_DEP_2)
	v_fmac_f32_e32 v3, 0xcf800000, v4
	v_cvt_u32_f32_e32 v4, v4
	v_cvt_u32_f32_e32 v3, v3
	s_delay_alu instid0(VALU_DEP_2) | instskip(NEXT) | instid1(VALU_DEP_2)
	v_readfirstlane_b32 s5, v4
	v_readfirstlane_b32 s20, v3
	s_delay_alu instid0(VALU_DEP_2) | instskip(NEXT) | instid1(VALU_DEP_1)
	s_mul_i32 s70, s24, s5
	s_mul_hi_u32 s72, s24, s20
	s_mul_i32 s71, s69, s20
	s_add_i32 s70, s72, s70
	s_mul_i32 s73, s24, s20
	s_add_i32 s70, s70, s71
	s_mul_hi_u32 s72, s20, s73
	s_mul_hi_u32 s74, s5, s73
	s_mul_i32 s71, s5, s73
	s_mul_hi_u32 s73, s20, s70
	s_mul_i32 s20, s20, s70
	s_mul_hi_u32 s75, s5, s70
	s_add_u32 s20, s72, s20
	s_addc_u32 s72, 0, s73
	s_add_u32 s20, s20, s71
	s_mul_i32 s70, s5, s70
	s_addc_u32 s20, s72, s74
	s_addc_u32 s71, s75, 0
	s_add_u32 s20, s20, s70
	s_addc_u32 s70, 0, s71
	v_add_co_u32 v3, s20, v3, s20
	s_delay_alu instid0(VALU_DEP_1) | instskip(SKIP_1) | instid1(VALU_DEP_1)
	s_cmp_lg_u32 s20, 0
	s_addc_u32 s5, s5, s70
	v_readfirstlane_b32 s20, v3
	s_mul_i32 s70, s24, s5
	s_delay_alu instid0(VALU_DEP_1)
	s_mul_hi_u32 s71, s24, s20
	s_mul_i32 s69, s69, s20
	s_add_i32 s70, s71, s70
	s_mul_i32 s24, s24, s20
	s_add_i32 s70, s70, s69
	s_mul_hi_u32 s71, s5, s24
	s_mul_i32 s72, s5, s24
	s_mul_hi_u32 s24, s20, s24
	s_mul_hi_u32 s73, s20, s70
	s_mul_i32 s20, s20, s70
	s_mul_hi_u32 s69, s5, s70
	s_add_u32 s20, s24, s20
	s_addc_u32 s24, 0, s73
	s_add_u32 s20, s20, s72
	s_mul_i32 s70, s5, s70
	s_addc_u32 s20, s24, s71
	s_addc_u32 s24, s69, 0
	s_add_u32 s20, s20, s70
	s_addc_u32 s24, 0, s24
	v_add_co_u32 v3, s20, v3, s20
	s_delay_alu instid0(VALU_DEP_1) | instskip(SKIP_2) | instid1(VALU_DEP_1)
	s_cmp_lg_u32 s20, 0
	s_addc_u32 s5, s5, s24
	s_ashr_i32 s70, s21, 31
	v_readfirstlane_b32 s20, v3
	s_add_u32 s72, s22, s70
	s_mov_b32 s71, s70
	s_addc_u32 s73, s21, s70
	s_delay_alu instid0(SALU_CYCLE_1) | instskip(NEXT) | instid1(SALU_CYCLE_1)
	s_xor_b64 s[72:73], s[72:73], s[70:71]
	s_mul_i32 s69, s72, s5
	s_mul_hi_u32 s71, s72, s20
	s_mul_hi_u32 s24, s72, s5
	s_mul_hi_u32 s75, s73, s20
	s_mul_i32 s20, s73, s20
	s_add_u32 s69, s71, s69
	s_addc_u32 s24, 0, s24
	s_mul_hi_u32 s74, s73, s5
	s_add_u32 s20, s69, s20
	s_mul_i32 s5, s73, s5
	s_addc_u32 s20, s24, s75
	s_addc_u32 s24, s74, 0
	s_add_u32 s5, s20, s5
	s_addc_u32 s20, 0, s24
	s_mul_hi_u32 s24, s33, s5
	s_mul_i32 s5, s33, s5
	s_mul_i32 s20, s33, s20
	v_sub_co_u32 v3, s5, s72, s5
	s_add_i32 s24, s24, s20
	s_cmp_lg_u32 s5, 0
	s_delay_alu instid0(VALU_DEP_1) | instskip(SKIP_2) | instid1(VALU_DEP_1)
	v_sub_co_u32 v4, s5, v3, s33
	s_subb_u32 s20, s73, s24
	s_cmp_lg_u32 s5, 0
	v_cmp_le_u32_e32 vcc_lo, s33, v4
	v_sub_co_u32 v5, s5, v4, s33
	s_subb_u32 s24, s20, 0
	s_cmp_lg_u32 s5, 0
	v_cndmask_b32_e64 v6, 0, -1, vcc_lo
	s_subb_u32 s5, s24, 0
	s_cmp_eq_u32 s24, 0
	v_mov_b32_e32 v8, s5
	s_cselect_b32 vcc_lo, -1, 0
	s_cmp_eq_u32 s20, 0
	v_cndmask_b32_e32 v6, -1, v6, vcc_lo
	v_cmp_le_u32_e32 vcc_lo, s33, v3
	s_cselect_b32 s5, -1, 0
	v_cndmask_b32_e64 v7, 0, -1, vcc_lo
	s_delay_alu instid0(VALU_DEP_3) | instskip(NEXT) | instid1(VALU_DEP_2)
	v_cmp_ne_u32_e32 vcc_lo, 0, v6
	v_cndmask_b32_e64 v6, -1, v7, s5
	v_cndmask_b32_e32 v4, v4, v5, vcc_lo
	v_cndmask_b32_e32 v7, s24, v8, vcc_lo
	s_delay_alu instid0(VALU_DEP_3) | instskip(NEXT) | instid1(VALU_DEP_3)
	v_cmp_ne_u32_e32 vcc_lo, 0, v6
	v_cndmask_b32_e32 v3, v3, v4, vcc_lo
	s_delay_alu instid0(VALU_DEP_3) | instskip(NEXT) | instid1(VALU_DEP_2)
	v_cndmask_b32_e32 v5, s20, v7, vcc_lo
	v_xor_b32_e32 v3, s70, v3
	s_delay_alu instid0(VALU_DEP_2) | instskip(NEXT) | instid1(VALU_DEP_2)
	v_xor_b32_e32 v4, s70, v5
	v_sub_co_u32 v3, vcc_lo, v3, s70
	s_delay_alu instid0(VALU_DEP_2)
	v_subrev_co_ci_u32_e32 v4, vcc_lo, s70, v4, vcc_lo
	s_cbranch_execnz .LBB31_129
.LBB31_128:                             ;   in Loop: Header=BB31_33 Depth=1
	v_cvt_f32_u32_e32 v3, s33
	s_sub_i32 s5, 0, s33
	s_delay_alu instid0(VALU_DEP_1) | instskip(SKIP_2) | instid1(VALU_DEP_1)
	v_rcp_iflag_f32_e32 v3, v3
	s_waitcnt_depctr 0xfff
	v_mul_f32_e32 v3, 0x4f7ffffe, v3
	v_cvt_u32_f32_e32 v3, v3
	s_delay_alu instid0(VALU_DEP_1) | instskip(NEXT) | instid1(VALU_DEP_1)
	v_mul_lo_u32 v4, s5, v3
	v_mul_hi_u32 v4, v3, v4
	s_delay_alu instid0(VALU_DEP_1) | instskip(NEXT) | instid1(VALU_DEP_1)
	v_add_nc_u32_e32 v3, v3, v4
	v_mul_hi_u32 v3, s22, v3
	s_delay_alu instid0(VALU_DEP_1) | instskip(NEXT) | instid1(VALU_DEP_1)
	v_mul_lo_u32 v3, v3, s33
	v_sub_nc_u32_e32 v3, s22, v3
	s_delay_alu instid0(VALU_DEP_1) | instskip(SKIP_1) | instid1(VALU_DEP_2)
	v_subrev_nc_u32_e32 v4, s33, v3
	v_cmp_le_u32_e32 vcc_lo, s33, v3
	v_cndmask_b32_e32 v3, v3, v4, vcc_lo
	s_delay_alu instid0(VALU_DEP_1) | instskip(SKIP_1) | instid1(VALU_DEP_2)
	v_subrev_nc_u32_e32 v4, s33, v3
	v_cmp_le_u32_e32 vcc_lo, s33, v3
	v_cndmask_b32_e32 v17, v3, v4, vcc_lo
	s_delay_alu instid0(VALU_DEP_1)
	v_dual_mov_b32 v3, v17 :: v_dual_mov_b32 v4, v18
.LBB31_129:                             ;   in Loop: Header=BB31_33 Depth=1
	s_delay_alu instid0(VALU_DEP_1) | instskip(NEXT) | instid1(VALU_DEP_2)
	v_sub_co_u32 v7, vcc_lo, s22, v3
	v_sub_co_ci_u32_e32 v8, vcc_lo, s21, v4, vcc_lo
	s_mov_b32 s5, 0
	s_mov_b32 s20, exec_lo
                                        ; implicit-def: $vgpr5_vgpr6
	s_delay_alu instid0(VALU_DEP_1)
	v_cmpx_gt_i64_e64 v[7:8], v[0:1]
	s_cbranch_execz .LBB31_138
; %bb.130:                              ;   in Loop: Header=BB31_33 Depth=1
	v_dual_mov_b32 v11, v44 :: v_dual_mov_b32 v10, v1
	v_mov_b32_e32 v9, v0
	s_mov_b32 s21, 0
                                        ; implicit-def: $sgpr5
	s_set_inst_prefetch_distance 0x1
	s_branch .LBB31_132
	.p2align	6
.LBB31_131:                             ;   in Loop: Header=BB31_132 Depth=2
	s_or_b32 exec_lo, exec_lo, s22
	s_waitcnt lgkmcnt(0)
	s_barrier
	buffer_gl0_inv
	ds_load_b128 v[3:6], v18 offset:3072
	v_add_co_u32 v9, vcc_lo, v9, s33
	v_add_co_ci_u32_e32 v10, vcc_lo, 0, v10, vcc_lo
	v_add_nc_u32_e32 v11, s90, v11
	s_waitcnt lgkmcnt(0)
	s_barrier
	s_delay_alu instid0(VALU_DEP_2) | instskip(SKIP_3) | instid1(VALU_DEP_1)
	v_cmp_ge_i64_e32 vcc_lo, v[9:10], v[7:8]
	buffer_gl0_inv
	v_readfirstlane_b32 s71, v4
	v_readfirstlane_b32 s70, v3
	s_cmp_lg_u64 s[70:71], 0
	s_cselect_b32 s22, -1, 0
	s_delay_alu instid0(SALU_CYCLE_1) | instskip(NEXT) | instid1(SALU_CYCLE_1)
	s_or_b32 s24, s22, vcc_lo
	s_and_b32 s24, exec_lo, s24
	s_delay_alu instid0(SALU_CYCLE_1) | instskip(SKIP_2) | instid1(SALU_CYCLE_1)
	s_or_b32 s21, s24, s21
	s_and_not1_b32 s5, s5, exec_lo
	s_and_b32 s22, s22, exec_lo
	s_or_b32 s5, s5, s22
	s_and_not1_b32 exec_lo, exec_lo, s21
	s_cbranch_execz .LBB31_137
.LBB31_132:                             ;   Parent Loop BB31_33 Depth=1
                                        ; =>  This Inner Loop Header: Depth=2
	s_delay_alu instid0(VALU_DEP_1)
	v_cmp_gt_i64_e32 vcc_lo, s[18:19], v[9:10]
	v_mov_b32_e32 v4, 0
	v_mov_b32_e32 v5, 0
	s_and_saveexec_b32 s22, vcc_lo
	s_cbranch_execz .LBB31_134
; %bb.133:                              ;   in Loop: Header=BB31_132 Depth=2
	ds_load_b64 v[4:5], v11
.LBB31_134:                             ;   in Loop: Header=BB31_132 Depth=2
	s_or_b32 exec_lo, exec_lo, s22
	s_and_saveexec_b32 s22, vcc_lo
	s_cbranch_execz .LBB31_131
; %bb.135:                              ;   in Loop: Header=BB31_132 Depth=2
	s_waitcnt lgkmcnt(0)
	v_xor_b32_e32 v3, 0x80000000, v5
	v_and_b32_e32 v12, s66, v4
	s_delay_alu instid0(VALU_DEP_2) | instskip(NEXT) | instid1(VALU_DEP_1)
	v_and_b32_e32 v13, s67, v3
	v_cmp_eq_u64_e32 vcc_lo, s[64:65], v[12:13]
	s_and_b32 exec_lo, exec_lo, vcc_lo
	s_cbranch_execz .LBB31_131
; %bb.136:                              ;   in Loop: Header=BB31_132 Depth=2
	v_mov_b32_e32 v3, v18
	ds_store_b128 v18, v[2:5] offset:3072
	s_branch .LBB31_131
.LBB31_137:                             ;   in Loop: Header=BB31_33 Depth=1
	s_set_inst_prefetch_distance 0x2
	s_or_b32 exec_lo, exec_lo, s21
	s_delay_alu instid0(SALU_CYCLE_1)
	s_and_b32 s5, s5, exec_lo
.LBB31_138:                             ;   in Loop: Header=BB31_33 Depth=1
	s_or_b32 exec_lo, exec_lo, s20
	s_mov_b32 s22, -1
	s_mov_b32 s20, 0
	s_mov_b32 s21, 0
.LBB31_139:                             ;   in Loop: Header=BB31_33 Depth=1
	s_and_not1_b32 s18, s97, exec_lo
	s_and_b32 s19, s20, exec_lo
	s_and_not1_b32 s20, s98, exec_lo
	s_or_b32 s97, s18, s19
	s_and_not1_b32 s18, s99, exec_lo
	s_and_b32 s19, s22, exec_lo
	s_and_b32 s21, s21, exec_lo
	s_or_b32 s99, s18, s19
	s_or_b32 s98, s20, s21
	s_and_saveexec_b32 s22, s5
	s_cbranch_execz .LBB31_32
; %bb.140:                              ;   in Loop: Header=BB31_33 Depth=1
	s_xor_b32 s5, s68, -1
	s_delay_alu instid0(SALU_CYCLE_1)
	s_and_not1_b32 vcc_lo, exec_lo, s5
	s_mov_b32 s5, 1
	s_cbranch_vccnz .LBB31_151
; %bb.141:                              ;   in Loop: Header=BB31_33 Depth=1
	v_cmp_gt_i64_e64 s5, s[38:39], s[16:17]
	s_mov_b32 s24, -1
                                        ; implicit-def: $sgpr18_sgpr19
                                        ; implicit-def: $sgpr20_sgpr21
	s_delay_alu instid0(VALU_DEP_1)
	s_and_b32 vcc_lo, exec_lo, s5
                                        ; implicit-def: $sgpr5
	s_cbranch_vccnz .LBB31_147
; %bb.142:                              ;   in Loop: Header=BB31_33 Depth=1
	ds_load_b64 v[3:4], v18 offset:5120
	s_waitcnt lgkmcnt(0)
	v_cmp_ne_u64_e32 vcc_lo, 0, v[3:4]
	s_cbranch_vccnz .LBB31_146
; %bb.143:                              ;   in Loop: Header=BB31_33 Depth=1
	s_and_saveexec_b32 s5, s0
	s_cbranch_execz .LBB31_145
; %bb.144:                              ;   in Loop: Header=BB31_33 Depth=1
	v_dual_mov_b32 v3, s16 :: v_dual_mov_b32 v4, s17
	ds_store_b64 v18, v[3:4] offset:5128
.LBB31_145:                             ;   in Loop: Header=BB31_33 Depth=1
	s_or_b32 exec_lo, exec_lo, s5
	s_waitcnt lgkmcnt(0)
	s_barrier
	buffer_gl0_inv
.LBB31_146:                             ;   in Loop: Header=BB31_33 Depth=1
	s_and_b64 s[18:19], s[64:65], s[12:13]
	s_or_b64 s[20:21], s[66:67], s[8:9]
	s_mov_b32 s24, 0
	s_mov_b32 s5, 8
.LBB31_147:                             ;   in Loop: Header=BB31_33 Depth=1
	s_and_not1_b32 vcc_lo, exec_lo, s24
	s_cbranch_vccnz .LBB31_149
; %bb.148:                              ;   in Loop: Header=BB31_33 Depth=1
	s_sub_u32 s38, s38, s16
	s_subb_u32 s39, s39, s17
	s_mov_b32 s24, -1
	s_mov_b32 s5, 0
	s_mov_b64 s[18:19], s[64:65]
	s_mov_b64 s[20:21], s[66:67]
.LBB31_149:                             ;   in Loop: Header=BB31_33 Depth=1
	s_delay_alu instid0(SALU_CYCLE_1)
	s_mov_b64 s[66:67], s[20:21]
	s_mov_b64 s[64:65], s[18:19]
	s_and_b32 vcc_lo, exec_lo, s24
	s_mov_b32 s20, -1
	s_cbranch_vccnz .LBB31_152
.LBB31_150:                             ;   in Loop: Header=BB31_33 Depth=1
	s_mov_b32 s16, -1
                                        ; implicit-def: $sgpr21
                                        ; implicit-def: $sgpr68
                                        ; implicit-def: $sgpr50
	s_delay_alu instid0(SALU_CYCLE_1) | instskip(NEXT) | instid1(SALU_CYCLE_1)
	s_and_saveexec_b32 s6, s16
	s_xor_b32 s6, exec_lo, s6
	s_cbranch_execz .LBB31_31
	s_branch .LBB31_298
.LBB31_151:                             ;   in Loop: Header=BB31_33 Depth=1
	s_mov_b64 s[38:39], 1
	s_mov_b32 s20, -1
	s_branch .LBB31_150
.LBB31_152:                             ;   in Loop: Header=BB31_33 Depth=1
	s_cmp_eq_u64 s[14:15], 1
	s_mov_b32 s18, -1
	s_cselect_b32 s5, -1, 0
	s_cmp_eq_u64 s[38:39], 1
	s_cselect_b32 s16, -1, 0
	s_delay_alu instid0(SALU_CYCLE_1) | instskip(NEXT) | instid1(SALU_CYCLE_1)
	s_and_b32 s70, s5, s16
	s_and_b32 vcc_lo, exec_lo, s70
	s_cbranch_vccz .LBB31_167
; %bb.153:                              ;   in Loop: Header=BB31_33 Depth=1
	ds_load_b64 v[3:4], v18 offset:5120
	s_waitcnt lgkmcnt(0)
	s_barrier
	buffer_gl0_inv
	v_readfirstlane_b32 s16, v3
	v_readfirstlane_b32 s17, v4
	s_and_saveexec_b32 s5, s3
	s_cbranch_execz .LBB31_155
; %bb.154:                              ;   in Loop: Header=BB31_33 Depth=1
	v_mov_b32_e32 v17, v18
	ds_store_b64 v45, v[17:18]
.LBB31_155:                             ;   in Loop: Header=BB31_33 Depth=1
	s_or_b32 exec_lo, exec_lo, s5
	s_delay_alu instid0(VALU_DEP_1)
	v_cmp_gt_i64_e64 s5, s[16:17], 0
	s_lshl_b64 s[18:19], 1, s23
	s_and_b64 s[64:65], s[64:65], s[12:13]
	s_or_b64 s[66:67], s[66:67], s[8:9]
	s_or_b64 s[64:65], s[64:65], s[18:19]
	s_waitcnt lgkmcnt(0)
	s_and_b32 vcc_lo, exec_lo, s5
	s_barrier
	buffer_gl0_inv
	s_cbranch_vccnz .LBB31_170
; %bb.156:                              ;   in Loop: Header=BB31_33 Depth=1
	s_mov_b32 s24, s51
	s_delay_alu instid0(SALU_CYCLE_1)
	s_cmp_lg_u64 s[24:25], 0
	s_cbranch_scc0 .LBB31_215
; %bb.157:                              ;   in Loop: Header=BB31_33 Depth=1
	v_cvt_f32_u32_e32 v3, s33
	s_sub_u32 s19, 0, s33
	s_subb_u32 s21, 0, 0
	s_delay_alu instid0(VALU_DEP_1) | instskip(NEXT) | instid1(VALU_DEP_1)
	v_fmac_f32_e32 v3, 0x4f800000, v52
	v_rcp_f32_e32 v3, v3
	s_waitcnt_depctr 0xfff
	v_mul_f32_e32 v3, 0x5f7ffffc, v3
	s_delay_alu instid0(VALU_DEP_1) | instskip(NEXT) | instid1(VALU_DEP_1)
	v_mul_f32_e32 v4, 0x2f800000, v3
	v_trunc_f32_e32 v4, v4
	s_delay_alu instid0(VALU_DEP_1) | instskip(SKIP_1) | instid1(VALU_DEP_2)
	v_fmac_f32_e32 v3, 0xcf800000, v4
	v_cvt_u32_f32_e32 v4, v4
	v_cvt_u32_f32_e32 v3, v3
	s_delay_alu instid0(VALU_DEP_2) | instskip(NEXT) | instid1(VALU_DEP_2)
	v_readfirstlane_b32 s5, v4
	v_readfirstlane_b32 s18, v3
	s_delay_alu instid0(VALU_DEP_2) | instskip(NEXT) | instid1(VALU_DEP_1)
	s_mul_i32 s24, s19, s5
	s_mul_hi_u32 s68, s19, s18
	s_mul_i32 s50, s21, s18
	s_add_i32 s24, s68, s24
	s_mul_i32 s69, s19, s18
	s_add_i32 s24, s24, s50
	s_mul_hi_u32 s68, s18, s69
	s_mul_hi_u32 s71, s5, s69
	s_mul_i32 s50, s5, s69
	s_mul_hi_u32 s69, s18, s24
	s_mul_i32 s18, s18, s24
	s_mul_hi_u32 s72, s5, s24
	s_add_u32 s18, s68, s18
	s_addc_u32 s68, 0, s69
	s_add_u32 s18, s18, s50
	s_mul_i32 s24, s5, s24
	s_addc_u32 s18, s68, s71
	s_addc_u32 s50, s72, 0
	s_add_u32 s18, s18, s24
	s_addc_u32 s24, 0, s50
	v_add_co_u32 v3, s18, v3, s18
	s_delay_alu instid0(VALU_DEP_1) | instskip(SKIP_1) | instid1(VALU_DEP_1)
	s_cmp_lg_u32 s18, 0
	s_addc_u32 s5, s5, s24
	v_readfirstlane_b32 s18, v3
	s_mul_i32 s24, s19, s5
	s_delay_alu instid0(VALU_DEP_1)
	s_mul_hi_u32 s50, s19, s18
	s_mul_i32 s21, s21, s18
	s_add_i32 s24, s50, s24
	s_mul_i32 s19, s19, s18
	s_add_i32 s24, s24, s21
	s_mul_hi_u32 s50, s5, s19
	s_mul_i32 s68, s5, s19
	s_mul_hi_u32 s19, s18, s19
	s_mul_hi_u32 s69, s18, s24
	s_mul_i32 s18, s18, s24
	s_mul_hi_u32 s21, s5, s24
	s_add_u32 s18, s19, s18
	s_addc_u32 s19, 0, s69
	s_add_u32 s18, s18, s68
	s_mul_i32 s24, s5, s24
	s_addc_u32 s18, s19, s50
	s_addc_u32 s19, s21, 0
	s_add_u32 s18, s18, s24
	s_addc_u32 s19, 0, s19
	v_add_co_u32 v3, s18, v3, s18
	s_delay_alu instid0(VALU_DEP_1) | instskip(SKIP_2) | instid1(VALU_DEP_1)
	s_cmp_lg_u32 s18, 0
	s_addc_u32 s5, s5, s19
	s_ashr_i32 s18, s25, 31
	v_readfirstlane_b32 s21, v3
	s_add_u32 s68, s84, s18
	s_mov_b32 s19, s18
	s_addc_u32 s69, s25, s18
	s_delay_alu instid0(SALU_CYCLE_1) | instskip(NEXT) | instid1(SALU_CYCLE_1)
	s_xor_b64 s[68:69], s[68:69], s[18:19]
	s_mul_i32 s24, s68, s5
	s_mul_hi_u32 s50, s68, s21
	s_mul_hi_u32 s19, s68, s5
	;; [unrolled: 1-line block ×3, first 2 shown]
	s_mul_i32 s21, s69, s21
	s_add_u32 s24, s50, s24
	s_addc_u32 s19, 0, s19
	s_mul_hi_u32 s71, s69, s5
	s_add_u32 s21, s24, s21
	s_mul_i32 s5, s69, s5
	s_addc_u32 s19, s19, s72
	s_addc_u32 s21, s71, 0
	s_add_u32 s5, s19, s5
	s_addc_u32 s19, 0, s21
	s_mul_hi_u32 s21, s33, s5
	s_mul_i32 s5, s33, s5
	s_mul_i32 s19, s33, s19
	v_sub_co_u32 v3, s5, s68, s5
	s_add_i32 s21, s21, s19
	s_cmp_lg_u32 s5, 0
	s_delay_alu instid0(VALU_DEP_1) | instskip(SKIP_2) | instid1(VALU_DEP_1)
	v_sub_co_u32 v4, s5, v3, s33
	s_subb_u32 s19, s69, s21
	s_cmp_lg_u32 s5, 0
	v_cmp_le_u32_e32 vcc_lo, s33, v4
	v_sub_co_u32 v5, s5, v4, s33
	s_subb_u32 s21, s19, 0
	s_cmp_lg_u32 s5, 0
	v_cndmask_b32_e64 v6, 0, -1, vcc_lo
	s_subb_u32 s5, s21, 0
	s_cmp_eq_u32 s21, 0
	v_mov_b32_e32 v8, s5
	s_cselect_b32 vcc_lo, -1, 0
	s_cmp_eq_u32 s19, 0
	v_cndmask_b32_e32 v6, -1, v6, vcc_lo
	v_cmp_le_u32_e32 vcc_lo, s33, v3
	s_cselect_b32 s5, -1, 0
	v_cndmask_b32_e64 v7, 0, -1, vcc_lo
	s_delay_alu instid0(VALU_DEP_3) | instskip(NEXT) | instid1(VALU_DEP_2)
	v_cmp_ne_u32_e32 vcc_lo, 0, v6
	v_cndmask_b32_e64 v6, -1, v7, s5
	v_cndmask_b32_e32 v4, v4, v5, vcc_lo
	v_cndmask_b32_e32 v7, s21, v8, vcc_lo
	s_delay_alu instid0(VALU_DEP_3) | instskip(NEXT) | instid1(VALU_DEP_3)
	v_cmp_ne_u32_e32 vcc_lo, 0, v6
	v_cndmask_b32_e32 v3, v3, v4, vcc_lo
	s_delay_alu instid0(VALU_DEP_3) | instskip(NEXT) | instid1(VALU_DEP_2)
	v_cndmask_b32_e32 v5, s19, v7, vcc_lo
	v_xor_b32_e32 v3, s18, v3
	s_delay_alu instid0(VALU_DEP_2) | instskip(NEXT) | instid1(VALU_DEP_2)
	v_xor_b32_e32 v4, s18, v5
	v_sub_co_u32 v3, vcc_lo, v3, s18
	s_delay_alu instid0(VALU_DEP_2)
	v_subrev_co_ci_u32_e32 v4, vcc_lo, s18, v4, vcc_lo
	s_cbranch_execnz .LBB31_159
.LBB31_158:                             ;   in Loop: Header=BB31_33 Depth=1
	v_cvt_f32_u32_e32 v3, s33
	s_sub_i32 s5, 0, s33
	s_delay_alu instid0(VALU_DEP_1) | instskip(SKIP_2) | instid1(VALU_DEP_1)
	v_rcp_iflag_f32_e32 v3, v3
	s_waitcnt_depctr 0xfff
	v_mul_f32_e32 v3, 0x4f7ffffe, v3
	v_cvt_u32_f32_e32 v3, v3
	s_delay_alu instid0(VALU_DEP_1) | instskip(NEXT) | instid1(VALU_DEP_1)
	v_mul_lo_u32 v4, s5, v3
	v_mul_hi_u32 v4, v3, v4
	s_delay_alu instid0(VALU_DEP_1) | instskip(NEXT) | instid1(VALU_DEP_1)
	v_add_nc_u32_e32 v3, v3, v4
	v_mul_hi_u32 v3, s84, v3
	s_delay_alu instid0(VALU_DEP_1) | instskip(NEXT) | instid1(VALU_DEP_1)
	v_mul_lo_u32 v3, v3, s33
	v_sub_nc_u32_e32 v3, s84, v3
	s_delay_alu instid0(VALU_DEP_1) | instskip(SKIP_1) | instid1(VALU_DEP_2)
	v_subrev_nc_u32_e32 v4, s33, v3
	v_cmp_le_u32_e32 vcc_lo, s33, v3
	v_cndmask_b32_e32 v3, v3, v4, vcc_lo
	s_delay_alu instid0(VALU_DEP_1) | instskip(SKIP_1) | instid1(VALU_DEP_2)
	v_subrev_nc_u32_e32 v4, s33, v3
	v_cmp_le_u32_e32 vcc_lo, s33, v3
	v_cndmask_b32_e32 v17, v3, v4, vcc_lo
	s_delay_alu instid0(VALU_DEP_1)
	v_dual_mov_b32 v3, v17 :: v_dual_mov_b32 v4, v18
.LBB31_159:                             ;   in Loop: Header=BB31_33 Depth=1
	s_delay_alu instid0(VALU_DEP_1) | instskip(NEXT) | instid1(VALU_DEP_2)
	v_sub_co_u32 v7, vcc_lo, s84, v3
	v_sub_co_ci_u32_e32 v8, vcc_lo, s25, v4, vcc_lo
	s_mov_b32 s18, 0
	s_mov_b32 s5, exec_lo
                                        ; implicit-def: $vgpr5_vgpr6
	s_delay_alu instid0(VALU_DEP_1)
	v_cmpx_gt_i64_e64 v[7:8], v[0:1]
	s_cbranch_execz .LBB31_172
; %bb.160:                              ;   in Loop: Header=BB31_33 Depth=1
	v_dual_mov_b32 v9, v15 :: v_dual_mov_b32 v10, v16
	v_dual_mov_b32 v12, v1 :: v_dual_mov_b32 v11, v0
	s_mov_b32 s19, 0
                                        ; implicit-def: $sgpr18
	s_set_inst_prefetch_distance 0x1
	s_branch .LBB31_162
	.p2align	6
.LBB31_161:                             ;   in Loop: Header=BB31_162 Depth=2
	s_or_b32 exec_lo, exec_lo, s21
	s_waitcnt vmcnt(0) lgkmcnt(0)
	s_barrier
	buffer_gl0_inv
	ds_load_b128 v[3:6], v18 offset:3072
	v_add_co_u32 v11, vcc_lo, v11, s33
	v_add_co_ci_u32_e32 v12, vcc_lo, 0, v12, vcc_lo
	s_waitcnt lgkmcnt(0)
	s_barrier
	buffer_gl0_inv
	v_cmp_ge_i64_e32 vcc_lo, v[11:12], v[7:8]
	v_readfirstlane_b32 s69, v4
	v_readfirstlane_b32 s68, v3
	s_delay_alu instid0(VALU_DEP_1) | instskip(SKIP_1) | instid1(SALU_CYCLE_1)
	s_cmp_lg_u64 s[68:69], 0
	s_cselect_b32 s21, -1, 0
	s_or_b32 s24, s21, vcc_lo
	v_add_co_u32 v9, vcc_lo, v9, s52
	s_and_b32 s24, exec_lo, s24
	v_add_co_ci_u32_e32 v10, vcc_lo, s53, v10, vcc_lo
	s_or_b32 s19, s24, s19
	s_and_not1_b32 s18, s18, exec_lo
	s_and_b32 s21, s21, exec_lo
	s_delay_alu instid0(SALU_CYCLE_1)
	s_or_b32 s18, s18, s21
	s_and_not1_b32 exec_lo, exec_lo, s19
	s_cbranch_execz .LBB31_171
.LBB31_162:                             ;   Parent Loop BB31_33 Depth=1
                                        ; =>  This Inner Loop Header: Depth=2
	s_delay_alu instid0(VALU_DEP_1)
	v_cmp_gt_i64_e32 vcc_lo, s[36:37], v[11:12]
	v_mov_b32_e32 v4, 0
	v_mov_b32_e32 v5, 0
	s_and_saveexec_b32 s21, vcc_lo
	s_cbranch_execz .LBB31_164
; %bb.163:                              ;   in Loop: Header=BB31_162 Depth=2
	global_load_b64 v[4:5], v[9:10], off
.LBB31_164:                             ;   in Loop: Header=BB31_162 Depth=2
	s_or_b32 exec_lo, exec_lo, s21
	s_and_saveexec_b32 s21, vcc_lo
	s_cbranch_execz .LBB31_161
; %bb.165:                              ;   in Loop: Header=BB31_162 Depth=2
	s_waitcnt vmcnt(0)
	v_xor_b32_e32 v3, 0x80000000, v5
	v_and_b32_e32 v13, s66, v4
	s_delay_alu instid0(VALU_DEP_2) | instskip(NEXT) | instid1(VALU_DEP_1)
	v_and_b32_e32 v14, s67, v3
	v_cmp_eq_u64_e32 vcc_lo, s[64:65], v[13:14]
	s_and_b32 exec_lo, exec_lo, vcc_lo
	s_cbranch_execz .LBB31_161
; %bb.166:                              ;   in Loop: Header=BB31_162 Depth=2
	v_mov_b32_e32 v3, v18
	ds_store_b128 v18, v[2:5] offset:3072
	s_branch .LBB31_161
.LBB31_167:                             ;   in Loop: Header=BB31_33 Depth=1
                                        ; implicit-def: $sgpr50
                                        ; implicit-def: $sgpr68
                                        ; implicit-def: $sgpr21
	s_branch .LBB31_186
.LBB31_168:                             ;   in Loop: Header=BB31_33 Depth=1
                                        ; implicit-def: $vgpr3_vgpr4
	s_branch .LBB31_113
.LBB31_169:                             ;   in Loop: Header=BB31_33 Depth=1
                                        ; implicit-def: $vgpr3_vgpr4
	s_branch .LBB31_128
.LBB31_170:                             ;   in Loop: Header=BB31_33 Depth=1
	s_mov_b32 s50, -1
	s_mov_b32 s18, 0
                                        ; implicit-def: $sgpr21
                                        ; implicit-def: $vgpr5_vgpr6
	s_mov_b32 s68, s50
	s_cbranch_execnz .LBB31_173
	s_branch .LBB31_186
.LBB31_171:                             ;   in Loop: Header=BB31_33 Depth=1
	s_set_inst_prefetch_distance 0x2
	s_or_b32 exec_lo, exec_lo, s19
	s_delay_alu instid0(SALU_CYCLE_1)
	s_and_b32 s18, s18, exec_lo
.LBB31_172:                             ;   in Loop: Header=BB31_33 Depth=1
	s_or_b32 exec_lo, exec_lo, s5
	s_mov_b32 s21, -1
	s_mov_b32 s50, 0
	s_delay_alu instid0(SALU_CYCLE_1)
	s_mov_b32 s68, s50
	s_branch .LBB31_186
.LBB31_173:                             ;   in Loop: Header=BB31_33 Depth=1
	s_add_u32 s21, s82, s16
	s_addc_u32 s19, s83, s17
	s_mov_b32 s18, s51
	s_delay_alu instid0(SALU_CYCLE_1)
	s_cmp_lg_u64 s[18:19], 0
	s_cbranch_scc0 .LBB31_216
; %bb.174:                              ;   in Loop: Header=BB31_33 Depth=1
	v_cvt_f32_u32_e32 v3, s33
	s_sub_u32 s24, 0, s33
	s_subb_u32 s50, 0, 0
	s_delay_alu instid0(VALU_DEP_1) | instskip(NEXT) | instid1(VALU_DEP_1)
	v_fmac_f32_e32 v3, 0x4f800000, v52
	v_rcp_f32_e32 v3, v3
	s_waitcnt_depctr 0xfff
	v_mul_f32_e32 v3, 0x5f7ffffc, v3
	s_delay_alu instid0(VALU_DEP_1) | instskip(NEXT) | instid1(VALU_DEP_1)
	v_mul_f32_e32 v4, 0x2f800000, v3
	v_trunc_f32_e32 v4, v4
	s_delay_alu instid0(VALU_DEP_1) | instskip(SKIP_1) | instid1(VALU_DEP_2)
	v_fmac_f32_e32 v3, 0xcf800000, v4
	v_cvt_u32_f32_e32 v4, v4
	v_cvt_u32_f32_e32 v3, v3
	s_delay_alu instid0(VALU_DEP_2) | instskip(NEXT) | instid1(VALU_DEP_2)
	v_readfirstlane_b32 s5, v4
	v_readfirstlane_b32 s18, v3
	s_delay_alu instid0(VALU_DEP_2) | instskip(NEXT) | instid1(VALU_DEP_1)
	s_mul_i32 s68, s24, s5
	s_mul_hi_u32 s71, s24, s18
	s_mul_i32 s69, s50, s18
	s_add_i32 s68, s71, s68
	s_mul_i32 s72, s24, s18
	s_add_i32 s68, s68, s69
	s_mul_hi_u32 s71, s18, s72
	s_mul_hi_u32 s73, s5, s72
	s_mul_i32 s69, s5, s72
	s_mul_hi_u32 s72, s18, s68
	s_mul_i32 s18, s18, s68
	s_mul_hi_u32 s74, s5, s68
	s_add_u32 s18, s71, s18
	s_addc_u32 s71, 0, s72
	s_add_u32 s18, s18, s69
	s_mul_i32 s68, s5, s68
	s_addc_u32 s18, s71, s73
	s_addc_u32 s69, s74, 0
	s_add_u32 s18, s18, s68
	s_addc_u32 s68, 0, s69
	v_add_co_u32 v3, s18, v3, s18
	s_delay_alu instid0(VALU_DEP_1) | instskip(SKIP_1) | instid1(VALU_DEP_1)
	s_cmp_lg_u32 s18, 0
	s_addc_u32 s5, s5, s68
	v_readfirstlane_b32 s18, v3
	s_mul_i32 s68, s24, s5
	s_delay_alu instid0(VALU_DEP_1)
	s_mul_hi_u32 s69, s24, s18
	s_mul_i32 s50, s50, s18
	s_add_i32 s68, s69, s68
	s_mul_i32 s24, s24, s18
	s_add_i32 s68, s68, s50
	s_mul_hi_u32 s69, s5, s24
	s_mul_i32 s71, s5, s24
	s_mul_hi_u32 s24, s18, s24
	s_mul_hi_u32 s72, s18, s68
	s_mul_i32 s18, s18, s68
	s_mul_hi_u32 s50, s5, s68
	s_add_u32 s18, s24, s18
	s_addc_u32 s24, 0, s72
	s_add_u32 s18, s18, s71
	s_mul_i32 s68, s5, s68
	s_addc_u32 s18, s24, s69
	s_addc_u32 s24, s50, 0
	s_add_u32 s18, s18, s68
	s_addc_u32 s24, 0, s24
	v_add_co_u32 v3, s18, v3, s18
	s_delay_alu instid0(VALU_DEP_1) | instskip(SKIP_2) | instid1(VALU_DEP_1)
	s_cmp_lg_u32 s18, 0
	s_addc_u32 s5, s5, s24
	s_ashr_i32 s68, s19, 31
	v_readfirstlane_b32 s18, v3
	s_add_u32 s72, s21, s68
	s_mov_b32 s69, s68
	s_addc_u32 s73, s19, s68
	s_delay_alu instid0(SALU_CYCLE_1) | instskip(NEXT) | instid1(SALU_CYCLE_1)
	s_xor_b64 s[72:73], s[72:73], s[68:69]
	s_mul_i32 s50, s72, s5
	s_mul_hi_u32 s69, s72, s18
	s_mul_hi_u32 s24, s72, s5
	;; [unrolled: 1-line block ×3, first 2 shown]
	s_mul_i32 s18, s73, s18
	s_add_u32 s50, s69, s50
	s_addc_u32 s24, 0, s24
	s_mul_hi_u32 s71, s73, s5
	s_add_u32 s18, s50, s18
	s_mul_i32 s5, s73, s5
	s_addc_u32 s18, s24, s74
	s_addc_u32 s24, s71, 0
	s_add_u32 s5, s18, s5
	s_addc_u32 s18, 0, s24
	s_mul_hi_u32 s24, s33, s5
	s_mul_i32 s5, s33, s5
	s_mul_i32 s18, s33, s18
	v_sub_co_u32 v3, s5, s72, s5
	s_add_i32 s24, s24, s18
	s_cmp_lg_u32 s5, 0
	s_delay_alu instid0(VALU_DEP_1) | instskip(SKIP_2) | instid1(VALU_DEP_1)
	v_sub_co_u32 v4, s5, v3, s33
	s_subb_u32 s18, s73, s24
	s_cmp_lg_u32 s5, 0
	v_cmp_le_u32_e32 vcc_lo, s33, v4
	v_sub_co_u32 v5, s5, v4, s33
	s_subb_u32 s24, s18, 0
	s_cmp_lg_u32 s5, 0
	v_cndmask_b32_e64 v6, 0, -1, vcc_lo
	s_subb_u32 s5, s24, 0
	s_cmp_eq_u32 s24, 0
	v_mov_b32_e32 v8, s5
	s_cselect_b32 vcc_lo, -1, 0
	s_cmp_eq_u32 s18, 0
	v_cndmask_b32_e32 v6, -1, v6, vcc_lo
	v_cmp_le_u32_e32 vcc_lo, s33, v3
	s_cselect_b32 s5, -1, 0
	v_cndmask_b32_e64 v7, 0, -1, vcc_lo
	s_delay_alu instid0(VALU_DEP_3) | instskip(NEXT) | instid1(VALU_DEP_2)
	v_cmp_ne_u32_e32 vcc_lo, 0, v6
	v_cndmask_b32_e64 v6, -1, v7, s5
	v_cndmask_b32_e32 v4, v4, v5, vcc_lo
	v_cndmask_b32_e32 v7, s24, v8, vcc_lo
	s_delay_alu instid0(VALU_DEP_3) | instskip(NEXT) | instid1(VALU_DEP_3)
	v_cmp_ne_u32_e32 vcc_lo, 0, v6
	v_cndmask_b32_e32 v3, v3, v4, vcc_lo
	s_delay_alu instid0(VALU_DEP_3) | instskip(NEXT) | instid1(VALU_DEP_2)
	v_cndmask_b32_e32 v5, s18, v7, vcc_lo
	v_xor_b32_e32 v3, s68, v3
	s_delay_alu instid0(VALU_DEP_2) | instskip(NEXT) | instid1(VALU_DEP_2)
	v_xor_b32_e32 v4, s68, v5
	v_sub_co_u32 v3, vcc_lo, v3, s68
	s_delay_alu instid0(VALU_DEP_2)
	v_subrev_co_ci_u32_e32 v4, vcc_lo, s68, v4, vcc_lo
	s_cbranch_execnz .LBB31_176
.LBB31_175:                             ;   in Loop: Header=BB31_33 Depth=1
	v_cvt_f32_u32_e32 v3, s33
	s_sub_i32 s5, 0, s33
	s_delay_alu instid0(VALU_DEP_1) | instskip(SKIP_2) | instid1(VALU_DEP_1)
	v_rcp_iflag_f32_e32 v3, v3
	s_waitcnt_depctr 0xfff
	v_mul_f32_e32 v3, 0x4f7ffffe, v3
	v_cvt_u32_f32_e32 v3, v3
	s_delay_alu instid0(VALU_DEP_1) | instskip(NEXT) | instid1(VALU_DEP_1)
	v_mul_lo_u32 v4, s5, v3
	v_mul_hi_u32 v4, v3, v4
	s_delay_alu instid0(VALU_DEP_1) | instskip(NEXT) | instid1(VALU_DEP_1)
	v_add_nc_u32_e32 v3, v3, v4
	v_mul_hi_u32 v3, s21, v3
	s_delay_alu instid0(VALU_DEP_1) | instskip(NEXT) | instid1(VALU_DEP_1)
	v_mul_lo_u32 v3, v3, s33
	v_sub_nc_u32_e32 v3, s21, v3
	s_delay_alu instid0(VALU_DEP_1) | instskip(SKIP_1) | instid1(VALU_DEP_2)
	v_subrev_nc_u32_e32 v4, s33, v3
	v_cmp_le_u32_e32 vcc_lo, s33, v3
	v_cndmask_b32_e32 v3, v3, v4, vcc_lo
	s_delay_alu instid0(VALU_DEP_1) | instskip(SKIP_1) | instid1(VALU_DEP_2)
	v_subrev_nc_u32_e32 v4, s33, v3
	v_cmp_le_u32_e32 vcc_lo, s33, v3
	v_cndmask_b32_e32 v17, v3, v4, vcc_lo
	s_delay_alu instid0(VALU_DEP_1)
	v_dual_mov_b32 v3, v17 :: v_dual_mov_b32 v4, v18
.LBB31_176:                             ;   in Loop: Header=BB31_33 Depth=1
	s_delay_alu instid0(VALU_DEP_1) | instskip(NEXT) | instid1(VALU_DEP_2)
	v_sub_co_u32 v7, vcc_lo, s21, v3
	v_sub_co_ci_u32_e32 v8, vcc_lo, s19, v4, vcc_lo
	s_mov_b32 s18, 0
	s_mov_b32 s5, exec_lo
                                        ; implicit-def: $vgpr5_vgpr6
	s_delay_alu instid0(VALU_DEP_1)
	v_cmpx_gt_i64_e64 v[7:8], v[0:1]
	s_cbranch_execz .LBB31_185
; %bb.177:                              ;   in Loop: Header=BB31_33 Depth=1
	v_dual_mov_b32 v11, v44 :: v_dual_mov_b32 v10, v1
	v_mov_b32_e32 v9, v0
	s_mov_b32 s19, 0
                                        ; implicit-def: $sgpr18
	s_set_inst_prefetch_distance 0x1
	s_branch .LBB31_179
	.p2align	6
.LBB31_178:                             ;   in Loop: Header=BB31_179 Depth=2
	s_or_b32 exec_lo, exec_lo, s21
	s_waitcnt lgkmcnt(0)
	s_barrier
	buffer_gl0_inv
	ds_load_b128 v[3:6], v18 offset:3072
	v_add_co_u32 v9, vcc_lo, v9, s33
	v_add_co_ci_u32_e32 v10, vcc_lo, 0, v10, vcc_lo
	v_add_nc_u32_e32 v11, s90, v11
	s_waitcnt lgkmcnt(0)
	s_barrier
	s_delay_alu instid0(VALU_DEP_2) | instskip(SKIP_3) | instid1(VALU_DEP_1)
	v_cmp_ge_i64_e32 vcc_lo, v[9:10], v[7:8]
	buffer_gl0_inv
	v_readfirstlane_b32 s69, v4
	v_readfirstlane_b32 s68, v3
	s_cmp_lg_u64 s[68:69], 0
	s_cselect_b32 s21, -1, 0
	s_delay_alu instid0(SALU_CYCLE_1) | instskip(NEXT) | instid1(SALU_CYCLE_1)
	s_or_b32 s24, s21, vcc_lo
	s_and_b32 s24, exec_lo, s24
	s_delay_alu instid0(SALU_CYCLE_1) | instskip(SKIP_2) | instid1(SALU_CYCLE_1)
	s_or_b32 s19, s24, s19
	s_and_not1_b32 s18, s18, exec_lo
	s_and_b32 s21, s21, exec_lo
	s_or_b32 s18, s18, s21
	s_and_not1_b32 exec_lo, exec_lo, s19
	s_cbranch_execz .LBB31_184
.LBB31_179:                             ;   Parent Loop BB31_33 Depth=1
                                        ; =>  This Inner Loop Header: Depth=2
	s_delay_alu instid0(VALU_DEP_1)
	v_cmp_gt_i64_e32 vcc_lo, s[16:17], v[9:10]
	v_mov_b32_e32 v4, 0
	v_mov_b32_e32 v5, 0
	s_and_saveexec_b32 s21, vcc_lo
	s_cbranch_execz .LBB31_181
; %bb.180:                              ;   in Loop: Header=BB31_179 Depth=2
	ds_load_b64 v[4:5], v11
.LBB31_181:                             ;   in Loop: Header=BB31_179 Depth=2
	s_or_b32 exec_lo, exec_lo, s21
	s_and_saveexec_b32 s21, vcc_lo
	s_cbranch_execz .LBB31_178
; %bb.182:                              ;   in Loop: Header=BB31_179 Depth=2
	s_waitcnt lgkmcnt(0)
	v_xor_b32_e32 v3, 0x80000000, v5
	v_and_b32_e32 v12, s66, v4
	s_delay_alu instid0(VALU_DEP_2) | instskip(NEXT) | instid1(VALU_DEP_1)
	v_and_b32_e32 v13, s67, v3
	v_cmp_eq_u64_e32 vcc_lo, s[64:65], v[12:13]
	s_and_b32 exec_lo, exec_lo, vcc_lo
	s_cbranch_execz .LBB31_178
; %bb.183:                              ;   in Loop: Header=BB31_179 Depth=2
	v_mov_b32_e32 v3, v18
	ds_store_b128 v18, v[2:5] offset:3072
	s_branch .LBB31_178
.LBB31_184:                             ;   in Loop: Header=BB31_33 Depth=1
	s_set_inst_prefetch_distance 0x2
	s_or_b32 exec_lo, exec_lo, s19
	s_delay_alu instid0(SALU_CYCLE_1)
	s_and_b32 s18, s18, exec_lo
.LBB31_185:                             ;   in Loop: Header=BB31_33 Depth=1
	s_or_b32 exec_lo, exec_lo, s5
	s_mov_b32 s68, -1
	s_mov_b32 s50, 0
	s_mov_b32 s21, 0
.LBB31_186:                             ;   in Loop: Header=BB31_33 Depth=1
	s_mov_b32 s16, 0
                                        ; implicit-def: $sgpr5
	s_and_saveexec_b32 s69, s18
	s_cbranch_execz .LBB31_297
; %bb.187:                              ;   in Loop: Header=BB31_33 Depth=1
	s_xor_b32 s5, s70, -1
	s_delay_alu instid0(SALU_CYCLE_1)
	s_and_not1_b32 vcc_lo, exec_lo, s5
	s_mov_b32 s5, 1
	s_cbranch_vccnz .LBB31_198
; %bb.188:                              ;   in Loop: Header=BB31_33 Depth=1
	v_cmp_gt_i64_e64 s5, s[38:39], s[14:15]
	s_mov_b32 s24, -1
                                        ; implicit-def: $sgpr16_sgpr17
                                        ; implicit-def: $sgpr18_sgpr19
	s_delay_alu instid0(VALU_DEP_1)
	s_and_b32 vcc_lo, exec_lo, s5
                                        ; implicit-def: $sgpr5
	s_cbranch_vccnz .LBB31_194
; %bb.189:                              ;   in Loop: Header=BB31_33 Depth=1
	ds_load_b64 v[3:4], v18 offset:5120
	s_waitcnt lgkmcnt(0)
	v_cmp_ne_u64_e32 vcc_lo, 0, v[3:4]
	s_cbranch_vccnz .LBB31_193
; %bb.190:                              ;   in Loop: Header=BB31_33 Depth=1
	s_and_saveexec_b32 s5, s0
	s_cbranch_execz .LBB31_192
; %bb.191:                              ;   in Loop: Header=BB31_33 Depth=1
	v_dual_mov_b32 v3, s14 :: v_dual_mov_b32 v4, s15
	ds_store_b64 v18, v[3:4] offset:5128
.LBB31_192:                             ;   in Loop: Header=BB31_33 Depth=1
	s_or_b32 exec_lo, exec_lo, s5
	s_waitcnt lgkmcnt(0)
	s_barrier
	buffer_gl0_inv
.LBB31_193:                             ;   in Loop: Header=BB31_33 Depth=1
	s_lshl_b64 s[16:17], 1, s23
	s_and_b64 s[18:19], s[64:65], s[12:13]
	s_mov_b32 s24, 0
	s_or_b64 s[16:17], s[18:19], s[16:17]
	s_or_b64 s[18:19], s[66:67], s[8:9]
	s_mov_b32 s5, 8
.LBB31_194:                             ;   in Loop: Header=BB31_33 Depth=1
	s_and_not1_b32 vcc_lo, exec_lo, s24
	s_cbranch_vccnz .LBB31_196
; %bb.195:                              ;   in Loop: Header=BB31_33 Depth=1
	s_sub_u32 s38, s38, s14
	s_subb_u32 s39, s39, s15
	s_mov_b32 s24, -1
	s_mov_b32 s5, 0
	s_mov_b64 s[16:17], s[64:65]
	s_mov_b64 s[18:19], s[66:67]
.LBB31_196:                             ;   in Loop: Header=BB31_33 Depth=1
	s_delay_alu instid0(SALU_CYCLE_1)
	s_mov_b64 s[66:67], s[18:19]
	s_mov_b64 s[64:65], s[16:17]
	s_and_not1_b32 vcc_lo, exec_lo, s24
	s_mov_b32 s14, -1
	s_cbranch_vccz .LBB31_199
.LBB31_197:                             ;   in Loop: Header=BB31_33 Depth=1
                                        ; implicit-def: $sgpr19
                                        ; implicit-def: $sgpr70
                                        ; implicit-def: $sgpr18
	s_branch .LBB31_296
.LBB31_198:                             ;   in Loop: Header=BB31_33 Depth=1
	s_mov_b64 s[38:39], 1
	s_mov_b32 s14, -1
	s_cbranch_execnz .LBB31_197
.LBB31_199:                             ;   in Loop: Header=BB31_33 Depth=1
	s_cmp_eq_u64 s[10:11], 1
	s_mov_b32 s16, -1
	s_cselect_b32 s5, -1, 0
	s_cmp_eq_u64 s[38:39], 1
	s_cselect_b32 s14, -1, 0
	s_delay_alu instid0(SALU_CYCLE_1) | instskip(NEXT) | instid1(SALU_CYCLE_1)
	s_and_b32 s72, s5, s14
	s_and_b32 vcc_lo, exec_lo, s72
	s_cbranch_vccz .LBB31_214
; %bb.200:                              ;   in Loop: Header=BB31_33 Depth=1
	ds_load_b64 v[3:4], v18 offset:5120
	s_waitcnt lgkmcnt(0)
	s_barrier
	buffer_gl0_inv
	v_readfirstlane_b32 s14, v3
	v_readfirstlane_b32 s15, v4
	s_and_saveexec_b32 s5, s3
	s_cbranch_execz .LBB31_202
; %bb.201:                              ;   in Loop: Header=BB31_33 Depth=1
	v_mov_b32_e32 v17, v18
	ds_store_b64 v45, v[17:18]
.LBB31_202:                             ;   in Loop: Header=BB31_33 Depth=1
	s_or_b32 exec_lo, exec_lo, s5
	s_delay_alu instid0(VALU_DEP_1)
	v_cmp_gt_i64_e64 s5, s[14:15], 0
	s_lshl_b64 s[16:17], 2, s23
	s_and_b64 s[18:19], s[64:65], s[12:13]
	s_or_b64 s[66:67], s[66:67], s[8:9]
	s_or_b64 s[64:65], s[18:19], s[16:17]
	s_waitcnt lgkmcnt(0)
	s_and_b32 vcc_lo, exec_lo, s5
	s_barrier
	buffer_gl0_inv
	s_cbranch_vccnz .LBB31_217
; %bb.203:                              ;   in Loop: Header=BB31_33 Depth=1
	s_mov_b32 s24, s51
	s_delay_alu instid0(SALU_CYCLE_1)
	s_cmp_lg_u64 s[24:25], 0
	s_cbranch_scc0 .LBB31_262
; %bb.204:                              ;   in Loop: Header=BB31_33 Depth=1
	v_cvt_f32_u32_e32 v3, s33
	s_sub_u32 s17, 0, s33
	s_subb_u32 s18, 0, 0
	s_delay_alu instid0(VALU_DEP_1) | instskip(NEXT) | instid1(VALU_DEP_1)
	v_fmac_f32_e32 v3, 0x4f800000, v52
	v_rcp_f32_e32 v3, v3
	s_waitcnt_depctr 0xfff
	v_mul_f32_e32 v3, 0x5f7ffffc, v3
	s_delay_alu instid0(VALU_DEP_1) | instskip(NEXT) | instid1(VALU_DEP_1)
	v_mul_f32_e32 v4, 0x2f800000, v3
	v_trunc_f32_e32 v4, v4
	s_delay_alu instid0(VALU_DEP_1) | instskip(SKIP_1) | instid1(VALU_DEP_2)
	v_fmac_f32_e32 v3, 0xcf800000, v4
	v_cvt_u32_f32_e32 v4, v4
	v_cvt_u32_f32_e32 v3, v3
	s_delay_alu instid0(VALU_DEP_2) | instskip(NEXT) | instid1(VALU_DEP_2)
	v_readfirstlane_b32 s5, v4
	v_readfirstlane_b32 s16, v3
	s_delay_alu instid0(VALU_DEP_2) | instskip(NEXT) | instid1(VALU_DEP_1)
	s_mul_i32 s19, s17, s5
	s_mul_hi_u32 s70, s17, s16
	s_mul_i32 s24, s18, s16
	s_add_i32 s19, s70, s19
	s_mul_i32 s71, s17, s16
	s_add_i32 s19, s19, s24
	s_mul_hi_u32 s70, s16, s71
	s_mul_hi_u32 s73, s5, s71
	s_mul_i32 s24, s5, s71
	s_mul_hi_u32 s71, s16, s19
	s_mul_i32 s16, s16, s19
	s_mul_hi_u32 s74, s5, s19
	s_add_u32 s16, s70, s16
	s_addc_u32 s70, 0, s71
	s_add_u32 s16, s16, s24
	s_mul_i32 s19, s5, s19
	s_addc_u32 s16, s70, s73
	s_addc_u32 s24, s74, 0
	s_add_u32 s16, s16, s19
	s_addc_u32 s19, 0, s24
	v_add_co_u32 v3, s16, v3, s16
	s_delay_alu instid0(VALU_DEP_1) | instskip(SKIP_1) | instid1(VALU_DEP_1)
	s_cmp_lg_u32 s16, 0
	s_addc_u32 s5, s5, s19
	v_readfirstlane_b32 s16, v3
	s_mul_i32 s19, s17, s5
	s_delay_alu instid0(VALU_DEP_1)
	s_mul_hi_u32 s24, s17, s16
	s_mul_i32 s18, s18, s16
	s_add_i32 s19, s24, s19
	s_mul_i32 s17, s17, s16
	s_add_i32 s19, s19, s18
	s_mul_hi_u32 s24, s5, s17
	s_mul_i32 s70, s5, s17
	s_mul_hi_u32 s17, s16, s17
	s_mul_hi_u32 s71, s16, s19
	s_mul_i32 s16, s16, s19
	s_mul_hi_u32 s18, s5, s19
	s_add_u32 s16, s17, s16
	s_addc_u32 s17, 0, s71
	s_add_u32 s16, s16, s70
	s_mul_i32 s19, s5, s19
	s_addc_u32 s16, s17, s24
	s_addc_u32 s17, s18, 0
	s_add_u32 s16, s16, s19
	s_addc_u32 s17, 0, s17
	v_add_co_u32 v3, s16, v3, s16
	s_delay_alu instid0(VALU_DEP_1) | instskip(SKIP_2) | instid1(VALU_DEP_1)
	s_cmp_lg_u32 s16, 0
	s_addc_u32 s5, s5, s17
	s_ashr_i32 s16, s25, 31
	v_readfirstlane_b32 s24, v3
	s_add_u32 s18, s84, s16
	s_mov_b32 s17, s16
	s_addc_u32 s19, s25, s16
	s_delay_alu instid0(SALU_CYCLE_1) | instskip(NEXT) | instid1(SALU_CYCLE_1)
	s_xor_b64 s[18:19], s[18:19], s[16:17]
	s_mul_i32 s70, s18, s5
	s_mul_hi_u32 s71, s18, s24
	s_mul_hi_u32 s17, s18, s5
	;; [unrolled: 1-line block ×3, first 2 shown]
	s_mul_i32 s24, s19, s24
	s_add_u32 s70, s71, s70
	s_addc_u32 s17, 0, s17
	s_mul_hi_u32 s73, s19, s5
	s_add_u32 s24, s70, s24
	s_mul_i32 s5, s19, s5
	s_addc_u32 s17, s17, s74
	s_addc_u32 s24, s73, 0
	s_add_u32 s5, s17, s5
	s_addc_u32 s17, 0, s24
	s_mul_hi_u32 s24, s33, s5
	s_mul_i32 s5, s33, s5
	s_mul_i32 s17, s33, s17
	v_sub_co_u32 v3, s5, s18, s5
	s_add_i32 s24, s24, s17
	s_cmp_lg_u32 s5, 0
	s_delay_alu instid0(VALU_DEP_1) | instskip(SKIP_2) | instid1(VALU_DEP_1)
	v_sub_co_u32 v4, s5, v3, s33
	s_subb_u32 s17, s19, s24
	s_cmp_lg_u32 s5, 0
	v_cmp_le_u32_e32 vcc_lo, s33, v4
	v_sub_co_u32 v5, s5, v4, s33
	s_subb_u32 s18, s17, 0
	s_cmp_lg_u32 s5, 0
	v_cndmask_b32_e64 v6, 0, -1, vcc_lo
	s_subb_u32 s5, s18, 0
	s_cmp_eq_u32 s18, 0
	v_mov_b32_e32 v8, s5
	s_cselect_b32 vcc_lo, -1, 0
	s_cmp_eq_u32 s17, 0
	v_cndmask_b32_e32 v6, -1, v6, vcc_lo
	v_cmp_le_u32_e32 vcc_lo, s33, v3
	s_cselect_b32 s5, -1, 0
	v_cndmask_b32_e64 v7, 0, -1, vcc_lo
	s_delay_alu instid0(VALU_DEP_3) | instskip(NEXT) | instid1(VALU_DEP_2)
	v_cmp_ne_u32_e32 vcc_lo, 0, v6
	v_cndmask_b32_e64 v6, -1, v7, s5
	v_cndmask_b32_e32 v4, v4, v5, vcc_lo
	v_cndmask_b32_e32 v7, s18, v8, vcc_lo
	s_delay_alu instid0(VALU_DEP_3) | instskip(NEXT) | instid1(VALU_DEP_3)
	v_cmp_ne_u32_e32 vcc_lo, 0, v6
	v_cndmask_b32_e32 v3, v3, v4, vcc_lo
	s_delay_alu instid0(VALU_DEP_3) | instskip(NEXT) | instid1(VALU_DEP_2)
	v_cndmask_b32_e32 v5, s17, v7, vcc_lo
	v_xor_b32_e32 v3, s16, v3
	s_delay_alu instid0(VALU_DEP_2) | instskip(NEXT) | instid1(VALU_DEP_2)
	v_xor_b32_e32 v4, s16, v5
	v_sub_co_u32 v3, vcc_lo, v3, s16
	s_delay_alu instid0(VALU_DEP_2)
	v_subrev_co_ci_u32_e32 v4, vcc_lo, s16, v4, vcc_lo
	s_cbranch_execnz .LBB31_206
.LBB31_205:                             ;   in Loop: Header=BB31_33 Depth=1
	v_cvt_f32_u32_e32 v3, s33
	s_sub_i32 s5, 0, s33
	s_delay_alu instid0(VALU_DEP_1) | instskip(SKIP_2) | instid1(VALU_DEP_1)
	v_rcp_iflag_f32_e32 v3, v3
	s_waitcnt_depctr 0xfff
	v_mul_f32_e32 v3, 0x4f7ffffe, v3
	v_cvt_u32_f32_e32 v3, v3
	s_delay_alu instid0(VALU_DEP_1) | instskip(NEXT) | instid1(VALU_DEP_1)
	v_mul_lo_u32 v4, s5, v3
	v_mul_hi_u32 v4, v3, v4
	s_delay_alu instid0(VALU_DEP_1) | instskip(NEXT) | instid1(VALU_DEP_1)
	v_add_nc_u32_e32 v3, v3, v4
	v_mul_hi_u32 v3, s84, v3
	s_delay_alu instid0(VALU_DEP_1) | instskip(NEXT) | instid1(VALU_DEP_1)
	v_mul_lo_u32 v3, v3, s33
	v_sub_nc_u32_e32 v3, s84, v3
	s_delay_alu instid0(VALU_DEP_1) | instskip(SKIP_1) | instid1(VALU_DEP_2)
	v_subrev_nc_u32_e32 v4, s33, v3
	v_cmp_le_u32_e32 vcc_lo, s33, v3
	v_cndmask_b32_e32 v3, v3, v4, vcc_lo
	s_delay_alu instid0(VALU_DEP_1) | instskip(SKIP_1) | instid1(VALU_DEP_2)
	v_subrev_nc_u32_e32 v4, s33, v3
	v_cmp_le_u32_e32 vcc_lo, s33, v3
	v_cndmask_b32_e32 v17, v3, v4, vcc_lo
	s_delay_alu instid0(VALU_DEP_1)
	v_dual_mov_b32 v3, v17 :: v_dual_mov_b32 v4, v18
.LBB31_206:                             ;   in Loop: Header=BB31_33 Depth=1
	s_delay_alu instid0(VALU_DEP_1) | instskip(NEXT) | instid1(VALU_DEP_2)
	v_sub_co_u32 v7, vcc_lo, s84, v3
	v_sub_co_ci_u32_e32 v8, vcc_lo, s25, v4, vcc_lo
	s_mov_b32 s16, 0
	s_mov_b32 s5, exec_lo
                                        ; implicit-def: $vgpr5_vgpr6
	s_delay_alu instid0(VALU_DEP_1)
	v_cmpx_gt_i64_e64 v[7:8], v[0:1]
	s_cbranch_execz .LBB31_219
; %bb.207:                              ;   in Loop: Header=BB31_33 Depth=1
	v_dual_mov_b32 v9, v15 :: v_dual_mov_b32 v10, v16
	v_dual_mov_b32 v12, v1 :: v_dual_mov_b32 v11, v0
	s_mov_b32 s17, 0
                                        ; implicit-def: $sgpr16
	s_set_inst_prefetch_distance 0x1
	s_branch .LBB31_209
	.p2align	6
.LBB31_208:                             ;   in Loop: Header=BB31_209 Depth=2
	s_or_b32 exec_lo, exec_lo, s18
	s_waitcnt vmcnt(0) lgkmcnt(0)
	s_barrier
	buffer_gl0_inv
	ds_load_b128 v[3:6], v18 offset:3072
	v_add_co_u32 v11, vcc_lo, v11, s33
	v_add_co_ci_u32_e32 v12, vcc_lo, 0, v12, vcc_lo
	s_waitcnt lgkmcnt(0)
	s_barrier
	buffer_gl0_inv
	v_cmp_ge_i64_e32 vcc_lo, v[11:12], v[7:8]
	v_readfirstlane_b32 s19, v4
	v_readfirstlane_b32 s18, v3
	s_delay_alu instid0(VALU_DEP_1) | instskip(SKIP_1) | instid1(SALU_CYCLE_1)
	s_cmp_lg_u64 s[18:19], 0
	s_cselect_b32 s18, -1, 0
	s_or_b32 s19, s18, vcc_lo
	v_add_co_u32 v9, vcc_lo, v9, s52
	s_and_b32 s19, exec_lo, s19
	v_add_co_ci_u32_e32 v10, vcc_lo, s53, v10, vcc_lo
	s_or_b32 s17, s19, s17
	s_and_not1_b32 s16, s16, exec_lo
	s_and_b32 s18, s18, exec_lo
	s_delay_alu instid0(SALU_CYCLE_1)
	s_or_b32 s16, s16, s18
	s_and_not1_b32 exec_lo, exec_lo, s17
	s_cbranch_execz .LBB31_218
.LBB31_209:                             ;   Parent Loop BB31_33 Depth=1
                                        ; =>  This Inner Loop Header: Depth=2
	s_delay_alu instid0(VALU_DEP_1)
	v_cmp_gt_i64_e32 vcc_lo, s[36:37], v[11:12]
	v_mov_b32_e32 v4, 0
	v_mov_b32_e32 v5, 0
	s_and_saveexec_b32 s18, vcc_lo
	s_cbranch_execz .LBB31_211
; %bb.210:                              ;   in Loop: Header=BB31_209 Depth=2
	global_load_b64 v[4:5], v[9:10], off
.LBB31_211:                             ;   in Loop: Header=BB31_209 Depth=2
	s_or_b32 exec_lo, exec_lo, s18
	s_and_saveexec_b32 s18, vcc_lo
	s_cbranch_execz .LBB31_208
; %bb.212:                              ;   in Loop: Header=BB31_209 Depth=2
	s_waitcnt vmcnt(0)
	v_xor_b32_e32 v3, 0x80000000, v5
	v_and_b32_e32 v13, s66, v4
	s_delay_alu instid0(VALU_DEP_2) | instskip(NEXT) | instid1(VALU_DEP_1)
	v_and_b32_e32 v14, s67, v3
	v_cmp_eq_u64_e32 vcc_lo, s[64:65], v[13:14]
	s_and_b32 exec_lo, exec_lo, vcc_lo
	s_cbranch_execz .LBB31_208
; %bb.213:                              ;   in Loop: Header=BB31_209 Depth=2
	v_mov_b32_e32 v3, v18
	ds_store_b128 v18, v[2:5] offset:3072
	s_branch .LBB31_208
.LBB31_214:                             ;   in Loop: Header=BB31_33 Depth=1
                                        ; implicit-def: $sgpr18
                                        ; implicit-def: $sgpr70
                                        ; implicit-def: $sgpr19
	s_branch .LBB31_233
.LBB31_215:                             ;   in Loop: Header=BB31_33 Depth=1
                                        ; implicit-def: $vgpr3_vgpr4
	s_branch .LBB31_158
.LBB31_216:                             ;   in Loop: Header=BB31_33 Depth=1
                                        ; implicit-def: $vgpr3_vgpr4
	s_branch .LBB31_175
.LBB31_217:                             ;   in Loop: Header=BB31_33 Depth=1
	s_mov_b32 s18, -1
	s_mov_b32 s16, 0
                                        ; implicit-def: $sgpr19
                                        ; implicit-def: $vgpr5_vgpr6
	s_mov_b32 s70, s18
	s_cbranch_execnz .LBB31_220
	s_branch .LBB31_233
.LBB31_218:                             ;   in Loop: Header=BB31_33 Depth=1
	s_set_inst_prefetch_distance 0x2
	s_or_b32 exec_lo, exec_lo, s17
	s_delay_alu instid0(SALU_CYCLE_1)
	s_and_b32 s16, s16, exec_lo
.LBB31_219:                             ;   in Loop: Header=BB31_33 Depth=1
	s_or_b32 exec_lo, exec_lo, s5
	s_mov_b32 s19, -1
	s_mov_b32 s18, 0
	s_delay_alu instid0(SALU_CYCLE_1)
	s_mov_b32 s70, s18
	s_branch .LBB31_233
.LBB31_220:                             ;   in Loop: Header=BB31_33 Depth=1
	s_add_u32 s18, s82, s14
	s_addc_u32 s17, s83, s15
	s_mov_b32 s16, s51
	s_delay_alu instid0(SALU_CYCLE_1)
	s_cmp_lg_u64 s[16:17], 0
	s_cbranch_scc0 .LBB31_263
; %bb.221:                              ;   in Loop: Header=BB31_33 Depth=1
	v_cvt_f32_u32_e32 v3, s33
	s_sub_u32 s19, 0, s33
	s_subb_u32 s24, 0, 0
	s_delay_alu instid0(VALU_DEP_1) | instskip(NEXT) | instid1(VALU_DEP_1)
	v_fmac_f32_e32 v3, 0x4f800000, v52
	v_rcp_f32_e32 v3, v3
	s_waitcnt_depctr 0xfff
	v_mul_f32_e32 v3, 0x5f7ffffc, v3
	s_delay_alu instid0(VALU_DEP_1) | instskip(NEXT) | instid1(VALU_DEP_1)
	v_mul_f32_e32 v4, 0x2f800000, v3
	v_trunc_f32_e32 v4, v4
	s_delay_alu instid0(VALU_DEP_1) | instskip(SKIP_1) | instid1(VALU_DEP_2)
	v_fmac_f32_e32 v3, 0xcf800000, v4
	v_cvt_u32_f32_e32 v4, v4
	v_cvt_u32_f32_e32 v3, v3
	s_delay_alu instid0(VALU_DEP_2) | instskip(NEXT) | instid1(VALU_DEP_2)
	v_readfirstlane_b32 s5, v4
	v_readfirstlane_b32 s16, v3
	s_delay_alu instid0(VALU_DEP_2) | instskip(NEXT) | instid1(VALU_DEP_1)
	s_mul_i32 s70, s19, s5
	s_mul_hi_u32 s73, s19, s16
	s_mul_i32 s71, s24, s16
	s_add_i32 s70, s73, s70
	s_mul_i32 s74, s19, s16
	s_add_i32 s70, s70, s71
	s_mul_hi_u32 s73, s16, s74
	s_mul_hi_u32 s75, s5, s74
	s_mul_i32 s71, s5, s74
	s_mul_hi_u32 s74, s16, s70
	s_mul_i32 s16, s16, s70
	s_mul_hi_u32 s76, s5, s70
	s_add_u32 s16, s73, s16
	s_addc_u32 s73, 0, s74
	s_add_u32 s16, s16, s71
	s_mul_i32 s70, s5, s70
	s_addc_u32 s16, s73, s75
	s_addc_u32 s71, s76, 0
	s_add_u32 s16, s16, s70
	s_addc_u32 s70, 0, s71
	v_add_co_u32 v3, s16, v3, s16
	s_delay_alu instid0(VALU_DEP_1) | instskip(SKIP_1) | instid1(VALU_DEP_1)
	s_cmp_lg_u32 s16, 0
	s_addc_u32 s5, s5, s70
	v_readfirstlane_b32 s16, v3
	s_mul_i32 s70, s19, s5
	s_delay_alu instid0(VALU_DEP_1)
	s_mul_hi_u32 s71, s19, s16
	s_mul_i32 s24, s24, s16
	s_add_i32 s70, s71, s70
	s_mul_i32 s19, s19, s16
	s_add_i32 s70, s70, s24
	s_mul_hi_u32 s71, s5, s19
	s_mul_i32 s73, s5, s19
	s_mul_hi_u32 s19, s16, s19
	s_mul_hi_u32 s74, s16, s70
	s_mul_i32 s16, s16, s70
	s_mul_hi_u32 s24, s5, s70
	s_add_u32 s16, s19, s16
	s_addc_u32 s19, 0, s74
	s_add_u32 s16, s16, s73
	s_mul_i32 s70, s5, s70
	s_addc_u32 s16, s19, s71
	s_addc_u32 s19, s24, 0
	s_add_u32 s16, s16, s70
	s_addc_u32 s19, 0, s19
	v_add_co_u32 v3, s16, v3, s16
	s_delay_alu instid0(VALU_DEP_1) | instskip(SKIP_2) | instid1(VALU_DEP_1)
	s_cmp_lg_u32 s16, 0
	s_addc_u32 s5, s5, s19
	s_ashr_i32 s70, s17, 31
	v_readfirstlane_b32 s16, v3
	s_add_u32 s74, s18, s70
	s_mov_b32 s71, s70
	s_addc_u32 s75, s17, s70
	s_delay_alu instid0(SALU_CYCLE_1) | instskip(NEXT) | instid1(SALU_CYCLE_1)
	s_xor_b64 s[74:75], s[74:75], s[70:71]
	s_mul_i32 s24, s74, s5
	s_mul_hi_u32 s71, s74, s16
	s_mul_hi_u32 s19, s74, s5
	;; [unrolled: 1-line block ×3, first 2 shown]
	s_mul_i32 s16, s75, s16
	s_add_u32 s24, s71, s24
	s_addc_u32 s19, 0, s19
	s_mul_hi_u32 s73, s75, s5
	s_add_u32 s16, s24, s16
	s_mul_i32 s5, s75, s5
	s_addc_u32 s16, s19, s76
	s_addc_u32 s19, s73, 0
	s_add_u32 s5, s16, s5
	s_addc_u32 s16, 0, s19
	s_mul_hi_u32 s19, s33, s5
	s_mul_i32 s5, s33, s5
	s_mul_i32 s16, s33, s16
	v_sub_co_u32 v3, s5, s74, s5
	s_add_i32 s19, s19, s16
	s_cmp_lg_u32 s5, 0
	s_delay_alu instid0(VALU_DEP_1) | instskip(SKIP_2) | instid1(VALU_DEP_1)
	v_sub_co_u32 v4, s5, v3, s33
	s_subb_u32 s16, s75, s19
	s_cmp_lg_u32 s5, 0
	v_cmp_le_u32_e32 vcc_lo, s33, v4
	v_sub_co_u32 v5, s5, v4, s33
	s_subb_u32 s19, s16, 0
	s_cmp_lg_u32 s5, 0
	v_cndmask_b32_e64 v6, 0, -1, vcc_lo
	s_subb_u32 s5, s19, 0
	s_cmp_eq_u32 s19, 0
	v_mov_b32_e32 v8, s5
	s_cselect_b32 vcc_lo, -1, 0
	s_cmp_eq_u32 s16, 0
	v_cndmask_b32_e32 v6, -1, v6, vcc_lo
	v_cmp_le_u32_e32 vcc_lo, s33, v3
	s_cselect_b32 s5, -1, 0
	v_cndmask_b32_e64 v7, 0, -1, vcc_lo
	s_delay_alu instid0(VALU_DEP_3) | instskip(NEXT) | instid1(VALU_DEP_2)
	v_cmp_ne_u32_e32 vcc_lo, 0, v6
	v_cndmask_b32_e64 v6, -1, v7, s5
	v_cndmask_b32_e32 v4, v4, v5, vcc_lo
	v_cndmask_b32_e32 v7, s19, v8, vcc_lo
	s_delay_alu instid0(VALU_DEP_3) | instskip(NEXT) | instid1(VALU_DEP_3)
	v_cmp_ne_u32_e32 vcc_lo, 0, v6
	v_cndmask_b32_e32 v3, v3, v4, vcc_lo
	s_delay_alu instid0(VALU_DEP_3) | instskip(NEXT) | instid1(VALU_DEP_2)
	v_cndmask_b32_e32 v5, s16, v7, vcc_lo
	v_xor_b32_e32 v3, s70, v3
	s_delay_alu instid0(VALU_DEP_2) | instskip(NEXT) | instid1(VALU_DEP_2)
	v_xor_b32_e32 v4, s70, v5
	v_sub_co_u32 v3, vcc_lo, v3, s70
	s_delay_alu instid0(VALU_DEP_2)
	v_subrev_co_ci_u32_e32 v4, vcc_lo, s70, v4, vcc_lo
	s_cbranch_execnz .LBB31_223
.LBB31_222:                             ;   in Loop: Header=BB31_33 Depth=1
	v_cvt_f32_u32_e32 v3, s33
	s_sub_i32 s5, 0, s33
	s_delay_alu instid0(VALU_DEP_1) | instskip(SKIP_2) | instid1(VALU_DEP_1)
	v_rcp_iflag_f32_e32 v3, v3
	s_waitcnt_depctr 0xfff
	v_mul_f32_e32 v3, 0x4f7ffffe, v3
	v_cvt_u32_f32_e32 v3, v3
	s_delay_alu instid0(VALU_DEP_1) | instskip(NEXT) | instid1(VALU_DEP_1)
	v_mul_lo_u32 v4, s5, v3
	v_mul_hi_u32 v4, v3, v4
	s_delay_alu instid0(VALU_DEP_1) | instskip(NEXT) | instid1(VALU_DEP_1)
	v_add_nc_u32_e32 v3, v3, v4
	v_mul_hi_u32 v3, s18, v3
	s_delay_alu instid0(VALU_DEP_1) | instskip(NEXT) | instid1(VALU_DEP_1)
	v_mul_lo_u32 v3, v3, s33
	v_sub_nc_u32_e32 v3, s18, v3
	s_delay_alu instid0(VALU_DEP_1) | instskip(SKIP_1) | instid1(VALU_DEP_2)
	v_subrev_nc_u32_e32 v4, s33, v3
	v_cmp_le_u32_e32 vcc_lo, s33, v3
	v_cndmask_b32_e32 v3, v3, v4, vcc_lo
	s_delay_alu instid0(VALU_DEP_1) | instskip(SKIP_1) | instid1(VALU_DEP_2)
	v_subrev_nc_u32_e32 v4, s33, v3
	v_cmp_le_u32_e32 vcc_lo, s33, v3
	v_cndmask_b32_e32 v17, v3, v4, vcc_lo
	s_delay_alu instid0(VALU_DEP_1)
	v_dual_mov_b32 v3, v17 :: v_dual_mov_b32 v4, v18
.LBB31_223:                             ;   in Loop: Header=BB31_33 Depth=1
	s_delay_alu instid0(VALU_DEP_1) | instskip(NEXT) | instid1(VALU_DEP_2)
	v_sub_co_u32 v7, vcc_lo, s18, v3
	v_sub_co_ci_u32_e32 v8, vcc_lo, s17, v4, vcc_lo
	s_mov_b32 s16, 0
	s_mov_b32 s5, exec_lo
                                        ; implicit-def: $vgpr5_vgpr6
	s_delay_alu instid0(VALU_DEP_1)
	v_cmpx_gt_i64_e64 v[7:8], v[0:1]
	s_cbranch_execz .LBB31_232
; %bb.224:                              ;   in Loop: Header=BB31_33 Depth=1
	v_dual_mov_b32 v11, v44 :: v_dual_mov_b32 v10, v1
	v_mov_b32_e32 v9, v0
	s_mov_b32 s17, 0
                                        ; implicit-def: $sgpr16
	s_set_inst_prefetch_distance 0x1
	s_branch .LBB31_226
	.p2align	6
.LBB31_225:                             ;   in Loop: Header=BB31_226 Depth=2
	s_or_b32 exec_lo, exec_lo, s18
	s_waitcnt lgkmcnt(0)
	s_barrier
	buffer_gl0_inv
	ds_load_b128 v[3:6], v18 offset:3072
	v_add_co_u32 v9, vcc_lo, v9, s33
	v_add_co_ci_u32_e32 v10, vcc_lo, 0, v10, vcc_lo
	v_add_nc_u32_e32 v11, s90, v11
	s_waitcnt lgkmcnt(0)
	s_barrier
	s_delay_alu instid0(VALU_DEP_2) | instskip(SKIP_3) | instid1(VALU_DEP_1)
	v_cmp_ge_i64_e32 vcc_lo, v[9:10], v[7:8]
	buffer_gl0_inv
	v_readfirstlane_b32 s19, v4
	v_readfirstlane_b32 s18, v3
	s_cmp_lg_u64 s[18:19], 0
	s_cselect_b32 s18, -1, 0
	s_delay_alu instid0(SALU_CYCLE_1) | instskip(NEXT) | instid1(SALU_CYCLE_1)
	s_or_b32 s19, s18, vcc_lo
	s_and_b32 s19, exec_lo, s19
	s_delay_alu instid0(SALU_CYCLE_1) | instskip(SKIP_2) | instid1(SALU_CYCLE_1)
	s_or_b32 s17, s19, s17
	s_and_not1_b32 s16, s16, exec_lo
	s_and_b32 s18, s18, exec_lo
	s_or_b32 s16, s16, s18
	s_and_not1_b32 exec_lo, exec_lo, s17
	s_cbranch_execz .LBB31_231
.LBB31_226:                             ;   Parent Loop BB31_33 Depth=1
                                        ; =>  This Inner Loop Header: Depth=2
	s_delay_alu instid0(VALU_DEP_1)
	v_cmp_gt_i64_e32 vcc_lo, s[14:15], v[9:10]
	v_mov_b32_e32 v4, 0
	v_mov_b32_e32 v5, 0
	s_and_saveexec_b32 s18, vcc_lo
	s_cbranch_execz .LBB31_228
; %bb.227:                              ;   in Loop: Header=BB31_226 Depth=2
	ds_load_b64 v[4:5], v11
.LBB31_228:                             ;   in Loop: Header=BB31_226 Depth=2
	s_or_b32 exec_lo, exec_lo, s18
	s_and_saveexec_b32 s18, vcc_lo
	s_cbranch_execz .LBB31_225
; %bb.229:                              ;   in Loop: Header=BB31_226 Depth=2
	s_waitcnt lgkmcnt(0)
	v_xor_b32_e32 v3, 0x80000000, v5
	v_and_b32_e32 v12, s66, v4
	s_delay_alu instid0(VALU_DEP_2) | instskip(NEXT) | instid1(VALU_DEP_1)
	v_and_b32_e32 v13, s67, v3
	v_cmp_eq_u64_e32 vcc_lo, s[64:65], v[12:13]
	s_and_b32 exec_lo, exec_lo, vcc_lo
	s_cbranch_execz .LBB31_225
; %bb.230:                              ;   in Loop: Header=BB31_226 Depth=2
	v_mov_b32_e32 v3, v18
	ds_store_b128 v18, v[2:5] offset:3072
	s_branch .LBB31_225
.LBB31_231:                             ;   in Loop: Header=BB31_33 Depth=1
	s_set_inst_prefetch_distance 0x2
	s_or_b32 exec_lo, exec_lo, s17
	s_delay_alu instid0(SALU_CYCLE_1)
	s_and_b32 s16, s16, exec_lo
.LBB31_232:                             ;   in Loop: Header=BB31_33 Depth=1
	s_or_b32 exec_lo, exec_lo, s5
	s_mov_b32 s70, -1
	s_mov_b32 s18, 0
	s_mov_b32 s19, 0
.LBB31_233:                             ;   in Loop: Header=BB31_33 Depth=1
	s_mov_b32 s14, 0
                                        ; implicit-def: $sgpr5
	s_and_saveexec_b32 s71, s16
	s_cbranch_execz .LBB31_295
; %bb.234:                              ;   in Loop: Header=BB31_33 Depth=1
	s_xor_b32 s5, s72, -1
	s_delay_alu instid0(SALU_CYCLE_1)
	s_and_not1_b32 vcc_lo, exec_lo, s5
	s_mov_b32 s5, 1
	s_cbranch_vccnz .LBB31_245
; %bb.235:                              ;   in Loop: Header=BB31_33 Depth=1
	v_cmp_gt_i64_e64 s5, s[38:39], s[10:11]
	s_mov_b32 s24, -1
                                        ; implicit-def: $sgpr14_sgpr15
                                        ; implicit-def: $sgpr16_sgpr17
	s_delay_alu instid0(VALU_DEP_1)
	s_and_b32 vcc_lo, exec_lo, s5
                                        ; implicit-def: $sgpr5
	s_cbranch_vccnz .LBB31_241
; %bb.236:                              ;   in Loop: Header=BB31_33 Depth=1
	ds_load_b64 v[3:4], v18 offset:5120
	s_waitcnt lgkmcnt(0)
	v_cmp_ne_u64_e32 vcc_lo, 0, v[3:4]
	s_cbranch_vccnz .LBB31_240
; %bb.237:                              ;   in Loop: Header=BB31_33 Depth=1
	s_and_saveexec_b32 s5, s0
	s_cbranch_execz .LBB31_239
; %bb.238:                              ;   in Loop: Header=BB31_33 Depth=1
	v_dual_mov_b32 v3, s10 :: v_dual_mov_b32 v4, s11
	ds_store_b64 v18, v[3:4] offset:5128
.LBB31_239:                             ;   in Loop: Header=BB31_33 Depth=1
	s_or_b32 exec_lo, exec_lo, s5
	s_waitcnt lgkmcnt(0)
	s_barrier
	buffer_gl0_inv
.LBB31_240:                             ;   in Loop: Header=BB31_33 Depth=1
	s_lshl_b64 s[14:15], 2, s23
	s_and_b64 s[12:13], s[64:65], s[12:13]
	s_or_b64 s[16:17], s[66:67], s[8:9]
	s_or_b64 s[14:15], s[12:13], s[14:15]
	s_mov_b32 s24, 0
	s_mov_b32 s5, 8
.LBB31_241:                             ;   in Loop: Header=BB31_33 Depth=1
	s_and_not1_b32 vcc_lo, exec_lo, s24
	s_cbranch_vccnz .LBB31_243
; %bb.242:                              ;   in Loop: Header=BB31_33 Depth=1
	s_sub_u32 s38, s38, s10
	s_subb_u32 s39, s39, s11
	s_mov_b32 s24, -1
	s_mov_b32 s5, 0
	s_mov_b64 s[14:15], s[64:65]
	s_mov_b64 s[16:17], s[66:67]
.LBB31_243:                             ;   in Loop: Header=BB31_33 Depth=1
	s_delay_alu instid0(SALU_CYCLE_1)
	s_mov_b64 s[66:67], s[16:17]
	s_mov_b64 s[64:65], s[14:15]
	s_and_not1_b32 vcc_lo, exec_lo, s24
	s_mov_b32 s13, -1
	s_cbranch_vccz .LBB31_246
.LBB31_244:                             ;   in Loop: Header=BB31_33 Depth=1
                                        ; implicit-def: $sgpr15
                                        ; implicit-def: $sgpr17
                                        ; implicit-def: $sgpr16
	s_branch .LBB31_294
.LBB31_245:                             ;   in Loop: Header=BB31_33 Depth=1
	s_mov_b64 s[38:39], 1
	s_mov_b32 s13, -1
	s_cbranch_execnz .LBB31_244
.LBB31_246:                             ;   in Loop: Header=BB31_33 Depth=1
	s_cmp_eq_u64 s[6:7], 1
	s_mov_b32 s12, -1
	s_cselect_b32 s5, -1, 0
	s_cmp_eq_u64 s[38:39], 1
	s_cselect_b32 s10, -1, 0
	s_delay_alu instid0(SALU_CYCLE_1) | instskip(NEXT) | instid1(SALU_CYCLE_1)
	s_and_b32 s14, s5, s10
	s_and_b32 vcc_lo, exec_lo, s14
	s_cbranch_vccz .LBB31_261
; %bb.247:                              ;   in Loop: Header=BB31_33 Depth=1
	ds_load_b64 v[3:4], v18 offset:5120
	s_waitcnt lgkmcnt(0)
	s_barrier
	buffer_gl0_inv
	v_readfirstlane_b32 s10, v3
	v_readfirstlane_b32 s11, v4
	s_and_saveexec_b32 s5, s3
	s_cbranch_execz .LBB31_249
; %bb.248:                              ;   in Loop: Header=BB31_33 Depth=1
	v_mov_b32_e32 v17, v18
	ds_store_b64 v45, v[17:18]
.LBB31_249:                             ;   in Loop: Header=BB31_33 Depth=1
	s_or_b32 exec_lo, exec_lo, s5
	s_delay_alu instid0(VALU_DEP_1)
	v_cmp_gt_i64_e64 s5, s[10:11], 0
	s_or_b64 s[64:65], s[64:65], s[8:9]
	s_or_b64 s[66:67], s[66:67], s[8:9]
	s_waitcnt lgkmcnt(0)
	s_barrier
	buffer_gl0_inv
	s_and_b32 vcc_lo, exec_lo, s5
	s_cbranch_vccnz .LBB31_264
; %bb.250:                              ;   in Loop: Header=BB31_33 Depth=1
	s_mov_b32 s24, s51
	s_delay_alu instid0(SALU_CYCLE_1)
	s_cmp_lg_u64 s[24:25], 0
	s_cbranch_scc0 .LBB31_300
; %bb.251:                              ;   in Loop: Header=BB31_33 Depth=1
	v_cvt_f32_u32_e32 v3, s33
	s_sub_u32 s13, 0, s33
	s_subb_u32 s15, 0, 0
	s_delay_alu instid0(VALU_DEP_1) | instskip(NEXT) | instid1(VALU_DEP_1)
	v_fmac_f32_e32 v3, 0x4f800000, v52
	v_rcp_f32_e32 v3, v3
	s_waitcnt_depctr 0xfff
	v_mul_f32_e32 v3, 0x5f7ffffc, v3
	s_delay_alu instid0(VALU_DEP_1) | instskip(NEXT) | instid1(VALU_DEP_1)
	v_mul_f32_e32 v4, 0x2f800000, v3
	v_trunc_f32_e32 v4, v4
	s_delay_alu instid0(VALU_DEP_1) | instskip(SKIP_1) | instid1(VALU_DEP_2)
	v_fmac_f32_e32 v3, 0xcf800000, v4
	v_cvt_u32_f32_e32 v4, v4
	v_cvt_u32_f32_e32 v3, v3
	s_delay_alu instid0(VALU_DEP_2) | instskip(NEXT) | instid1(VALU_DEP_2)
	v_readfirstlane_b32 s5, v4
	v_readfirstlane_b32 s12, v3
	s_delay_alu instid0(VALU_DEP_2) | instskip(NEXT) | instid1(VALU_DEP_1)
	s_mul_i32 s16, s13, s5
	s_mul_hi_u32 s23, s13, s12
	s_mul_i32 s17, s15, s12
	s_add_i32 s16, s23, s16
	s_mul_i32 s24, s13, s12
	s_add_i32 s16, s16, s17
	s_mul_hi_u32 s23, s12, s24
	s_mul_hi_u32 s72, s5, s24
	s_mul_i32 s17, s5, s24
	s_mul_hi_u32 s24, s12, s16
	s_mul_i32 s12, s12, s16
	s_mul_hi_u32 s73, s5, s16
	s_add_u32 s12, s23, s12
	s_addc_u32 s23, 0, s24
	s_add_u32 s12, s12, s17
	s_mul_i32 s16, s5, s16
	s_addc_u32 s12, s23, s72
	s_addc_u32 s17, s73, 0
	s_add_u32 s12, s12, s16
	s_addc_u32 s16, 0, s17
	v_add_co_u32 v3, s12, v3, s12
	s_delay_alu instid0(VALU_DEP_1) | instskip(SKIP_1) | instid1(VALU_DEP_1)
	s_cmp_lg_u32 s12, 0
	s_addc_u32 s5, s5, s16
	v_readfirstlane_b32 s12, v3
	s_mul_i32 s16, s13, s5
	s_delay_alu instid0(VALU_DEP_1)
	s_mul_hi_u32 s17, s13, s12
	s_mul_i32 s15, s15, s12
	s_add_i32 s16, s17, s16
	s_mul_i32 s13, s13, s12
	s_add_i32 s16, s16, s15
	s_mul_hi_u32 s17, s5, s13
	s_mul_i32 s23, s5, s13
	s_mul_hi_u32 s13, s12, s13
	s_mul_hi_u32 s24, s12, s16
	s_mul_i32 s12, s12, s16
	s_mul_hi_u32 s15, s5, s16
	s_add_u32 s12, s13, s12
	s_addc_u32 s13, 0, s24
	s_add_u32 s12, s12, s23
	s_mul_i32 s16, s5, s16
	s_addc_u32 s12, s13, s17
	s_addc_u32 s13, s15, 0
	s_add_u32 s12, s12, s16
	s_addc_u32 s13, 0, s13
	v_add_co_u32 v3, s12, v3, s12
	s_delay_alu instid0(VALU_DEP_1) | instskip(SKIP_2) | instid1(VALU_DEP_1)
	s_cmp_lg_u32 s12, 0
	s_addc_u32 s5, s5, s13
	s_ashr_i32 s12, s25, 31
	v_readfirstlane_b32 s15, v3
	s_add_u32 s16, s84, s12
	s_mov_b32 s13, s12
	s_addc_u32 s17, s25, s12
	s_delay_alu instid0(SALU_CYCLE_1) | instskip(NEXT) | instid1(SALU_CYCLE_1)
	s_xor_b64 s[16:17], s[16:17], s[12:13]
	s_mul_i32 s23, s16, s5
	s_mul_hi_u32 s24, s16, s15
	s_mul_hi_u32 s13, s16, s5
	;; [unrolled: 1-line block ×3, first 2 shown]
	s_mul_i32 s15, s17, s15
	s_add_u32 s23, s24, s23
	s_addc_u32 s13, 0, s13
	s_mul_hi_u32 s72, s17, s5
	s_add_u32 s15, s23, s15
	s_mul_i32 s5, s17, s5
	s_addc_u32 s13, s13, s73
	s_addc_u32 s15, s72, 0
	s_add_u32 s5, s13, s5
	s_addc_u32 s13, 0, s15
	s_mul_hi_u32 s15, s33, s5
	s_mul_i32 s5, s33, s5
	s_mul_i32 s13, s33, s13
	v_sub_co_u32 v3, s5, s16, s5
	s_add_i32 s15, s15, s13
	s_cmp_lg_u32 s5, 0
	s_delay_alu instid0(VALU_DEP_1) | instskip(SKIP_2) | instid1(VALU_DEP_1)
	v_sub_co_u32 v4, s5, v3, s33
	s_subb_u32 s13, s17, s15
	s_cmp_lg_u32 s5, 0
	v_cmp_le_u32_e32 vcc_lo, s33, v4
	v_sub_co_u32 v5, s5, v4, s33
	s_subb_u32 s15, s13, 0
	s_cmp_lg_u32 s5, 0
	v_cndmask_b32_e64 v6, 0, -1, vcc_lo
	s_subb_u32 s5, s15, 0
	s_cmp_eq_u32 s15, 0
	v_mov_b32_e32 v8, s5
	s_cselect_b32 vcc_lo, -1, 0
	s_cmp_eq_u32 s13, 0
	v_cndmask_b32_e32 v6, -1, v6, vcc_lo
	v_cmp_le_u32_e32 vcc_lo, s33, v3
	s_cselect_b32 s5, -1, 0
	v_cndmask_b32_e64 v7, 0, -1, vcc_lo
	s_delay_alu instid0(VALU_DEP_3) | instskip(NEXT) | instid1(VALU_DEP_2)
	v_cmp_ne_u32_e32 vcc_lo, 0, v6
	v_cndmask_b32_e64 v6, -1, v7, s5
	v_cndmask_b32_e32 v4, v4, v5, vcc_lo
	v_cndmask_b32_e32 v7, s15, v8, vcc_lo
	s_delay_alu instid0(VALU_DEP_3) | instskip(NEXT) | instid1(VALU_DEP_3)
	v_cmp_ne_u32_e32 vcc_lo, 0, v6
	v_cndmask_b32_e32 v3, v3, v4, vcc_lo
	s_delay_alu instid0(VALU_DEP_3) | instskip(NEXT) | instid1(VALU_DEP_2)
	v_cndmask_b32_e32 v5, s13, v7, vcc_lo
	v_xor_b32_e32 v3, s12, v3
	s_delay_alu instid0(VALU_DEP_2) | instskip(NEXT) | instid1(VALU_DEP_2)
	v_xor_b32_e32 v4, s12, v5
	v_sub_co_u32 v3, vcc_lo, v3, s12
	s_delay_alu instid0(VALU_DEP_2)
	v_subrev_co_ci_u32_e32 v4, vcc_lo, s12, v4, vcc_lo
	s_cbranch_execnz .LBB31_253
.LBB31_252:                             ;   in Loop: Header=BB31_33 Depth=1
	v_cvt_f32_u32_e32 v3, s33
	s_sub_i32 s5, 0, s33
	s_delay_alu instid0(VALU_DEP_1) | instskip(SKIP_2) | instid1(VALU_DEP_1)
	v_rcp_iflag_f32_e32 v3, v3
	s_waitcnt_depctr 0xfff
	v_mul_f32_e32 v3, 0x4f7ffffe, v3
	v_cvt_u32_f32_e32 v3, v3
	s_delay_alu instid0(VALU_DEP_1) | instskip(NEXT) | instid1(VALU_DEP_1)
	v_mul_lo_u32 v4, s5, v3
	v_mul_hi_u32 v4, v3, v4
	s_delay_alu instid0(VALU_DEP_1) | instskip(NEXT) | instid1(VALU_DEP_1)
	v_add_nc_u32_e32 v3, v3, v4
	v_mul_hi_u32 v3, s84, v3
	s_delay_alu instid0(VALU_DEP_1) | instskip(NEXT) | instid1(VALU_DEP_1)
	v_mul_lo_u32 v3, v3, s33
	v_sub_nc_u32_e32 v3, s84, v3
	s_delay_alu instid0(VALU_DEP_1) | instskip(SKIP_1) | instid1(VALU_DEP_2)
	v_subrev_nc_u32_e32 v4, s33, v3
	v_cmp_le_u32_e32 vcc_lo, s33, v3
	v_cndmask_b32_e32 v3, v3, v4, vcc_lo
	s_delay_alu instid0(VALU_DEP_1) | instskip(SKIP_1) | instid1(VALU_DEP_2)
	v_subrev_nc_u32_e32 v4, s33, v3
	v_cmp_le_u32_e32 vcc_lo, s33, v3
	v_cndmask_b32_e32 v17, v3, v4, vcc_lo
	s_delay_alu instid0(VALU_DEP_1)
	v_dual_mov_b32 v3, v17 :: v_dual_mov_b32 v4, v18
.LBB31_253:                             ;   in Loop: Header=BB31_33 Depth=1
	s_delay_alu instid0(VALU_DEP_1) | instskip(NEXT) | instid1(VALU_DEP_2)
	v_sub_co_u32 v7, vcc_lo, s84, v3
	v_sub_co_ci_u32_e32 v8, vcc_lo, s25, v4, vcc_lo
	s_mov_b32 s12, 0
	s_mov_b32 s5, exec_lo
                                        ; implicit-def: $vgpr5_vgpr6
	s_delay_alu instid0(VALU_DEP_1)
	v_cmpx_gt_i64_e64 v[7:8], v[0:1]
	s_cbranch_execz .LBB31_266
; %bb.254:                              ;   in Loop: Header=BB31_33 Depth=1
	v_dual_mov_b32 v9, v15 :: v_dual_mov_b32 v10, v16
	v_dual_mov_b32 v12, v1 :: v_dual_mov_b32 v11, v0
	s_mov_b32 s13, 0
                                        ; implicit-def: $sgpr12
	s_set_inst_prefetch_distance 0x1
	s_branch .LBB31_256
	.p2align	6
.LBB31_255:                             ;   in Loop: Header=BB31_256 Depth=2
	s_or_b32 exec_lo, exec_lo, s15
	s_waitcnt vmcnt(0) lgkmcnt(0)
	s_barrier
	buffer_gl0_inv
	ds_load_b128 v[3:6], v18 offset:3072
	v_add_co_u32 v11, vcc_lo, v11, s33
	v_add_co_ci_u32_e32 v12, vcc_lo, 0, v12, vcc_lo
	s_waitcnt lgkmcnt(0)
	s_barrier
	buffer_gl0_inv
	v_cmp_ge_i64_e32 vcc_lo, v[11:12], v[7:8]
	v_readfirstlane_b32 s17, v4
	v_readfirstlane_b32 s16, v3
	s_delay_alu instid0(VALU_DEP_1) | instskip(SKIP_1) | instid1(SALU_CYCLE_1)
	s_cmp_lg_u64 s[16:17], 0
	s_cselect_b32 s15, -1, 0
	s_or_b32 s16, s15, vcc_lo
	v_add_co_u32 v9, vcc_lo, v9, s52
	s_and_b32 s16, exec_lo, s16
	v_add_co_ci_u32_e32 v10, vcc_lo, s53, v10, vcc_lo
	s_or_b32 s13, s16, s13
	s_and_not1_b32 s12, s12, exec_lo
	s_and_b32 s15, s15, exec_lo
	s_delay_alu instid0(SALU_CYCLE_1)
	s_or_b32 s12, s12, s15
	s_and_not1_b32 exec_lo, exec_lo, s13
	s_cbranch_execz .LBB31_265
.LBB31_256:                             ;   Parent Loop BB31_33 Depth=1
                                        ; =>  This Inner Loop Header: Depth=2
	s_delay_alu instid0(VALU_DEP_1)
	v_cmp_gt_i64_e32 vcc_lo, s[36:37], v[11:12]
	v_mov_b32_e32 v4, 0
	v_mov_b32_e32 v5, 0
	s_and_saveexec_b32 s15, vcc_lo
	s_cbranch_execz .LBB31_258
; %bb.257:                              ;   in Loop: Header=BB31_256 Depth=2
	global_load_b64 v[4:5], v[9:10], off
.LBB31_258:                             ;   in Loop: Header=BB31_256 Depth=2
	s_or_b32 exec_lo, exec_lo, s15
	s_and_saveexec_b32 s15, vcc_lo
	s_cbranch_execz .LBB31_255
; %bb.259:                              ;   in Loop: Header=BB31_256 Depth=2
	s_waitcnt vmcnt(0)
	v_xor_b32_e32 v3, 0x80000000, v5
	v_and_b32_e32 v13, s66, v4
	s_delay_alu instid0(VALU_DEP_2) | instskip(NEXT) | instid1(VALU_DEP_1)
	v_and_b32_e32 v14, s67, v3
	v_cmp_eq_u64_e32 vcc_lo, s[64:65], v[13:14]
	s_and_b32 exec_lo, exec_lo, vcc_lo
	s_cbranch_execz .LBB31_255
; %bb.260:                              ;   in Loop: Header=BB31_256 Depth=2
	v_mov_b32_e32 v3, v18
	ds_store_b128 v18, v[2:5] offset:3072
	s_branch .LBB31_255
.LBB31_261:                             ;   in Loop: Header=BB31_33 Depth=1
                                        ; implicit-def: $sgpr15
                                        ; implicit-def: $sgpr17
                                        ; implicit-def: $sgpr16
	s_branch .LBB31_280
.LBB31_262:                             ;   in Loop: Header=BB31_33 Depth=1
                                        ; implicit-def: $vgpr3_vgpr4
	s_branch .LBB31_205
.LBB31_263:                             ;   in Loop: Header=BB31_33 Depth=1
                                        ; implicit-def: $vgpr3_vgpr4
	s_branch .LBB31_222
.LBB31_264:                             ;   in Loop: Header=BB31_33 Depth=1
	s_mov_b32 s15, -1
	s_mov_b32 s12, 0
                                        ; implicit-def: $sgpr16
                                        ; implicit-def: $vgpr5_vgpr6
	s_mov_b32 s17, s15
	s_cbranch_execnz .LBB31_267
	s_branch .LBB31_280
.LBB31_265:                             ;   in Loop: Header=BB31_33 Depth=1
	s_set_inst_prefetch_distance 0x2
	s_or_b32 exec_lo, exec_lo, s13
	s_delay_alu instid0(SALU_CYCLE_1)
	s_and_b32 s12, s12, exec_lo
.LBB31_266:                             ;   in Loop: Header=BB31_33 Depth=1
	s_or_b32 exec_lo, exec_lo, s5
	s_mov_b32 s16, -1
	s_mov_b32 s15, 0
	s_delay_alu instid0(SALU_CYCLE_1)
	s_mov_b32 s17, s15
	s_branch .LBB31_280
.LBB31_267:                             ;   in Loop: Header=BB31_33 Depth=1
	s_add_u32 s15, s82, s10
	s_addc_u32 s13, s83, s11
	s_mov_b32 s12, s51
	s_delay_alu instid0(SALU_CYCLE_1)
	s_cmp_lg_u64 s[12:13], 0
	s_cbranch_scc0 .LBB31_301
; %bb.268:                              ;   in Loop: Header=BB31_33 Depth=1
	v_cvt_f32_u32_e32 v3, s33
	s_sub_u32 s16, 0, s33
	s_subb_u32 s17, 0, 0
	s_delay_alu instid0(VALU_DEP_1) | instskip(NEXT) | instid1(VALU_DEP_1)
	v_fmac_f32_e32 v3, 0x4f800000, v52
	v_rcp_f32_e32 v3, v3
	s_waitcnt_depctr 0xfff
	v_mul_f32_e32 v3, 0x5f7ffffc, v3
	s_delay_alu instid0(VALU_DEP_1) | instskip(NEXT) | instid1(VALU_DEP_1)
	v_mul_f32_e32 v4, 0x2f800000, v3
	v_trunc_f32_e32 v4, v4
	s_delay_alu instid0(VALU_DEP_1) | instskip(SKIP_1) | instid1(VALU_DEP_2)
	v_fmac_f32_e32 v3, 0xcf800000, v4
	v_cvt_u32_f32_e32 v4, v4
	v_cvt_u32_f32_e32 v3, v3
	s_delay_alu instid0(VALU_DEP_2) | instskip(NEXT) | instid1(VALU_DEP_2)
	v_readfirstlane_b32 s5, v4
	v_readfirstlane_b32 s12, v3
	s_delay_alu instid0(VALU_DEP_2) | instskip(NEXT) | instid1(VALU_DEP_1)
	s_mul_i32 s23, s16, s5
	s_mul_hi_u32 s72, s16, s12
	s_mul_i32 s24, s17, s12
	s_add_i32 s23, s72, s23
	s_mul_i32 s73, s16, s12
	s_add_i32 s23, s23, s24
	s_mul_hi_u32 s72, s12, s73
	s_mul_hi_u32 s74, s5, s73
	s_mul_i32 s24, s5, s73
	s_mul_hi_u32 s73, s12, s23
	s_mul_i32 s12, s12, s23
	s_mul_hi_u32 s75, s5, s23
	s_add_u32 s12, s72, s12
	s_addc_u32 s72, 0, s73
	s_add_u32 s12, s12, s24
	s_mul_i32 s23, s5, s23
	s_addc_u32 s12, s72, s74
	s_addc_u32 s24, s75, 0
	s_add_u32 s12, s12, s23
	s_addc_u32 s23, 0, s24
	v_add_co_u32 v3, s12, v3, s12
	s_delay_alu instid0(VALU_DEP_1) | instskip(SKIP_1) | instid1(VALU_DEP_1)
	s_cmp_lg_u32 s12, 0
	s_addc_u32 s5, s5, s23
	v_readfirstlane_b32 s12, v3
	s_mul_i32 s23, s16, s5
	s_delay_alu instid0(VALU_DEP_1)
	s_mul_hi_u32 s24, s16, s12
	s_mul_i32 s17, s17, s12
	s_add_i32 s23, s24, s23
	s_mul_i32 s16, s16, s12
	s_add_i32 s23, s23, s17
	s_mul_hi_u32 s24, s5, s16
	s_mul_i32 s72, s5, s16
	s_mul_hi_u32 s16, s12, s16
	s_mul_hi_u32 s73, s12, s23
	s_mul_i32 s12, s12, s23
	s_mul_hi_u32 s17, s5, s23
	s_add_u32 s12, s16, s12
	s_addc_u32 s16, 0, s73
	s_add_u32 s12, s12, s72
	s_mul_i32 s23, s5, s23
	s_addc_u32 s12, s16, s24
	s_addc_u32 s16, s17, 0
	s_add_u32 s12, s12, s23
	s_addc_u32 s16, 0, s16
	v_add_co_u32 v3, s12, v3, s12
	s_delay_alu instid0(VALU_DEP_1) | instskip(SKIP_2) | instid1(VALU_DEP_1)
	s_cmp_lg_u32 s12, 0
	s_addc_u32 s5, s5, s16
	s_ashr_i32 s16, s13, 31
	v_readfirstlane_b32 s12, v3
	s_add_u32 s72, s15, s16
	s_mov_b32 s17, s16
	s_addc_u32 s73, s13, s16
	s_delay_alu instid0(SALU_CYCLE_1) | instskip(NEXT) | instid1(SALU_CYCLE_1)
	s_xor_b64 s[72:73], s[72:73], s[16:17]
	s_mul_i32 s23, s72, s5
	s_mul_hi_u32 s24, s72, s12
	s_mul_hi_u32 s17, s72, s5
	;; [unrolled: 1-line block ×3, first 2 shown]
	s_mul_i32 s12, s73, s12
	s_add_u32 s23, s24, s23
	s_addc_u32 s17, 0, s17
	s_mul_hi_u32 s74, s73, s5
	s_add_u32 s12, s23, s12
	s_mul_i32 s5, s73, s5
	s_addc_u32 s12, s17, s75
	s_addc_u32 s17, s74, 0
	s_add_u32 s5, s12, s5
	s_addc_u32 s12, 0, s17
	s_mul_hi_u32 s17, s33, s5
	s_mul_i32 s5, s33, s5
	s_mul_i32 s12, s33, s12
	v_sub_co_u32 v3, s5, s72, s5
	s_add_i32 s17, s17, s12
	s_cmp_lg_u32 s5, 0
	s_delay_alu instid0(VALU_DEP_1) | instskip(SKIP_2) | instid1(VALU_DEP_1)
	v_sub_co_u32 v4, s5, v3, s33
	s_subb_u32 s12, s73, s17
	s_cmp_lg_u32 s5, 0
	v_cmp_le_u32_e32 vcc_lo, s33, v4
	v_sub_co_u32 v5, s5, v4, s33
	s_subb_u32 s17, s12, 0
	s_cmp_lg_u32 s5, 0
	v_cndmask_b32_e64 v6, 0, -1, vcc_lo
	s_subb_u32 s5, s17, 0
	s_cmp_eq_u32 s17, 0
	v_mov_b32_e32 v8, s5
	s_cselect_b32 vcc_lo, -1, 0
	s_cmp_eq_u32 s12, 0
	v_cndmask_b32_e32 v6, -1, v6, vcc_lo
	v_cmp_le_u32_e32 vcc_lo, s33, v3
	s_cselect_b32 s5, -1, 0
	v_cndmask_b32_e64 v7, 0, -1, vcc_lo
	s_delay_alu instid0(VALU_DEP_3) | instskip(NEXT) | instid1(VALU_DEP_2)
	v_cmp_ne_u32_e32 vcc_lo, 0, v6
	v_cndmask_b32_e64 v6, -1, v7, s5
	v_cndmask_b32_e32 v4, v4, v5, vcc_lo
	v_cndmask_b32_e32 v7, s17, v8, vcc_lo
	s_delay_alu instid0(VALU_DEP_3) | instskip(NEXT) | instid1(VALU_DEP_3)
	v_cmp_ne_u32_e32 vcc_lo, 0, v6
	v_cndmask_b32_e32 v3, v3, v4, vcc_lo
	s_delay_alu instid0(VALU_DEP_3) | instskip(NEXT) | instid1(VALU_DEP_2)
	v_cndmask_b32_e32 v5, s12, v7, vcc_lo
	v_xor_b32_e32 v3, s16, v3
	s_delay_alu instid0(VALU_DEP_2) | instskip(NEXT) | instid1(VALU_DEP_2)
	v_xor_b32_e32 v4, s16, v5
	v_sub_co_u32 v3, vcc_lo, v3, s16
	s_delay_alu instid0(VALU_DEP_2)
	v_subrev_co_ci_u32_e32 v4, vcc_lo, s16, v4, vcc_lo
	s_cbranch_execnz .LBB31_270
.LBB31_269:                             ;   in Loop: Header=BB31_33 Depth=1
	v_cvt_f32_u32_e32 v3, s33
	s_sub_i32 s5, 0, s33
	s_delay_alu instid0(VALU_DEP_1) | instskip(SKIP_2) | instid1(VALU_DEP_1)
	v_rcp_iflag_f32_e32 v3, v3
	s_waitcnt_depctr 0xfff
	v_mul_f32_e32 v3, 0x4f7ffffe, v3
	v_cvt_u32_f32_e32 v3, v3
	s_delay_alu instid0(VALU_DEP_1) | instskip(NEXT) | instid1(VALU_DEP_1)
	v_mul_lo_u32 v4, s5, v3
	v_mul_hi_u32 v4, v3, v4
	s_delay_alu instid0(VALU_DEP_1) | instskip(NEXT) | instid1(VALU_DEP_1)
	v_add_nc_u32_e32 v3, v3, v4
	v_mul_hi_u32 v3, s15, v3
	s_delay_alu instid0(VALU_DEP_1) | instskip(NEXT) | instid1(VALU_DEP_1)
	v_mul_lo_u32 v3, v3, s33
	v_sub_nc_u32_e32 v3, s15, v3
	s_delay_alu instid0(VALU_DEP_1) | instskip(SKIP_1) | instid1(VALU_DEP_2)
	v_subrev_nc_u32_e32 v4, s33, v3
	v_cmp_le_u32_e32 vcc_lo, s33, v3
	v_cndmask_b32_e32 v3, v3, v4, vcc_lo
	s_delay_alu instid0(VALU_DEP_1) | instskip(SKIP_1) | instid1(VALU_DEP_2)
	v_subrev_nc_u32_e32 v4, s33, v3
	v_cmp_le_u32_e32 vcc_lo, s33, v3
	v_cndmask_b32_e32 v17, v3, v4, vcc_lo
	s_delay_alu instid0(VALU_DEP_1)
	v_dual_mov_b32 v3, v17 :: v_dual_mov_b32 v4, v18
.LBB31_270:                             ;   in Loop: Header=BB31_33 Depth=1
	s_delay_alu instid0(VALU_DEP_1) | instskip(NEXT) | instid1(VALU_DEP_2)
	v_sub_co_u32 v7, vcc_lo, s15, v3
	v_sub_co_ci_u32_e32 v8, vcc_lo, s13, v4, vcc_lo
	s_mov_b32 s12, 0
	s_mov_b32 s5, exec_lo
                                        ; implicit-def: $vgpr5_vgpr6
	s_delay_alu instid0(VALU_DEP_1)
	v_cmpx_gt_i64_e64 v[7:8], v[0:1]
	s_cbranch_execz .LBB31_279
; %bb.271:                              ;   in Loop: Header=BB31_33 Depth=1
	v_dual_mov_b32 v11, v44 :: v_dual_mov_b32 v10, v1
	v_mov_b32_e32 v9, v0
	s_mov_b32 s13, 0
                                        ; implicit-def: $sgpr12
	s_set_inst_prefetch_distance 0x1
	s_branch .LBB31_273
	.p2align	6
.LBB31_272:                             ;   in Loop: Header=BB31_273 Depth=2
	s_or_b32 exec_lo, exec_lo, s15
	s_waitcnt lgkmcnt(0)
	s_barrier
	buffer_gl0_inv
	ds_load_b128 v[3:6], v18 offset:3072
	v_add_co_u32 v9, vcc_lo, v9, s33
	v_add_co_ci_u32_e32 v10, vcc_lo, 0, v10, vcc_lo
	v_add_nc_u32_e32 v11, s90, v11
	s_waitcnt lgkmcnt(0)
	s_barrier
	s_delay_alu instid0(VALU_DEP_2) | instskip(SKIP_3) | instid1(VALU_DEP_1)
	v_cmp_ge_i64_e32 vcc_lo, v[9:10], v[7:8]
	buffer_gl0_inv
	v_readfirstlane_b32 s17, v4
	v_readfirstlane_b32 s16, v3
	s_cmp_lg_u64 s[16:17], 0
	s_cselect_b32 s15, -1, 0
	s_delay_alu instid0(SALU_CYCLE_1) | instskip(NEXT) | instid1(SALU_CYCLE_1)
	s_or_b32 s16, s15, vcc_lo
	s_and_b32 s16, exec_lo, s16
	s_delay_alu instid0(SALU_CYCLE_1) | instskip(SKIP_2) | instid1(SALU_CYCLE_1)
	s_or_b32 s13, s16, s13
	s_and_not1_b32 s12, s12, exec_lo
	s_and_b32 s15, s15, exec_lo
	s_or_b32 s12, s12, s15
	s_and_not1_b32 exec_lo, exec_lo, s13
	s_cbranch_execz .LBB31_278
.LBB31_273:                             ;   Parent Loop BB31_33 Depth=1
                                        ; =>  This Inner Loop Header: Depth=2
	s_delay_alu instid0(VALU_DEP_1)
	v_cmp_gt_i64_e32 vcc_lo, s[10:11], v[9:10]
	v_mov_b32_e32 v4, 0
	v_mov_b32_e32 v5, 0
	s_and_saveexec_b32 s15, vcc_lo
	s_cbranch_execz .LBB31_275
; %bb.274:                              ;   in Loop: Header=BB31_273 Depth=2
	ds_load_b64 v[4:5], v11
.LBB31_275:                             ;   in Loop: Header=BB31_273 Depth=2
	s_or_b32 exec_lo, exec_lo, s15
	s_and_saveexec_b32 s15, vcc_lo
	s_cbranch_execz .LBB31_272
; %bb.276:                              ;   in Loop: Header=BB31_273 Depth=2
	s_waitcnt lgkmcnt(0)
	v_xor_b32_e32 v3, 0x80000000, v5
	v_and_b32_e32 v12, s66, v4
	s_delay_alu instid0(VALU_DEP_2) | instskip(NEXT) | instid1(VALU_DEP_1)
	v_and_b32_e32 v13, s67, v3
	v_cmp_eq_u64_e32 vcc_lo, s[64:65], v[12:13]
	s_and_b32 exec_lo, exec_lo, vcc_lo
	s_cbranch_execz .LBB31_272
; %bb.277:                              ;   in Loop: Header=BB31_273 Depth=2
	v_mov_b32_e32 v3, v18
	ds_store_b128 v18, v[2:5] offset:3072
	s_branch .LBB31_272
.LBB31_278:                             ;   in Loop: Header=BB31_33 Depth=1
	s_set_inst_prefetch_distance 0x2
	s_or_b32 exec_lo, exec_lo, s13
	s_delay_alu instid0(SALU_CYCLE_1)
	s_and_b32 s12, s12, exec_lo
.LBB31_279:                             ;   in Loop: Header=BB31_33 Depth=1
	s_or_b32 exec_lo, exec_lo, s5
	s_mov_b32 s17, -1
	s_mov_b32 s15, 0
	s_mov_b32 s16, 0
.LBB31_280:                             ;   in Loop: Header=BB31_33 Depth=1
	s_mov_b32 s13, 0
                                        ; implicit-def: $sgpr5
                                        ; implicit-def: $sgpr10_sgpr11
	s_and_saveexec_b32 s23, s12
	s_cbranch_execz .LBB31_293
; %bb.281:                              ;   in Loop: Header=BB31_33 Depth=1
	s_xor_b32 s5, s14, -1
	s_mov_b64 s[10:11], 1
	s_and_not1_b32 vcc_lo, exec_lo, s5
	s_mov_b32 s5, 1
	s_cbranch_vccnz .LBB31_292
; %bb.282:                              ;   in Loop: Header=BB31_33 Depth=1
	v_cmp_gt_i64_e64 s5, s[38:39], s[6:7]
	s_delay_alu instid0(VALU_DEP_1)
	s_and_b32 vcc_lo, exec_lo, s5
	s_cbranch_vccnz .LBB31_288
; %bb.283:                              ;   in Loop: Header=BB31_33 Depth=1
	ds_load_b64 v[3:4], v18 offset:5120
	s_waitcnt lgkmcnt(0)
	v_cmp_ne_u64_e32 vcc_lo, 0, v[3:4]
	s_cbranch_vccnz .LBB31_287
; %bb.284:                              ;   in Loop: Header=BB31_33 Depth=1
	s_and_saveexec_b32 s5, s0
	s_cbranch_execz .LBB31_286
; %bb.285:                              ;   in Loop: Header=BB31_33 Depth=1
	v_dual_mov_b32 v3, s6 :: v_dual_mov_b32 v4, s7
	ds_store_b64 v18, v[3:4] offset:5128
.LBB31_286:                             ;   in Loop: Header=BB31_33 Depth=1
	s_or_b32 exec_lo, exec_lo, s5
	s_waitcnt lgkmcnt(0)
	s_barrier
	buffer_gl0_inv
.LBB31_287:                             ;   in Loop: Header=BB31_33 Depth=1
	s_or_b64 s[12:13], s[64:65], s[8:9]
	s_or_b64 s[8:9], s[66:67], s[8:9]
	s_mov_b32 s10, 0
	s_mov_b32 s5, 8
	s_branch .LBB31_289
.LBB31_288:                             ;   in Loop: Header=BB31_33 Depth=1
	s_mov_b32 s10, -1
                                        ; implicit-def: $sgpr5
                                        ; implicit-def: $sgpr12_sgpr13
                                        ; implicit-def: $sgpr8_sgpr9
.LBB31_289:                             ;   in Loop: Header=BB31_33 Depth=1
	s_delay_alu instid0(SALU_CYCLE_1)
	s_and_not1_b32 vcc_lo, exec_lo, s10
	s_cbranch_vccnz .LBB31_291
; %bb.290:                              ;   in Loop: Header=BB31_33 Depth=1
	s_sub_u32 s38, s38, s6
	s_subb_u32 s39, s39, s7
	s_mov_b32 s5, 8
	s_mov_b64 s[12:13], s[64:65]
	s_mov_b64 s[8:9], s[66:67]
.LBB31_291:                             ;   in Loop: Header=BB31_33 Depth=1
	s_mov_b64 s[10:11], s[38:39]
	s_mov_b64 s[64:65], s[12:13]
	s_mov_b64 s[66:67], s[8:9]
.LBB31_292:                             ;   in Loop: Header=BB31_33 Depth=1
	s_mov_b32 s13, exec_lo
.LBB31_293:                             ;   in Loop: Header=BB31_33 Depth=1
	s_or_b32 exec_lo, exec_lo, s23
	s_mov_b64 s[38:39], s[10:11]
.LBB31_294:                             ;   in Loop: Header=BB31_33 Depth=1
	s_and_not1_b32 s6, s18, exec_lo
	s_and_b32 s7, s15, exec_lo
	s_and_not1_b32 s8, s19, exec_lo
	s_or_b32 s18, s6, s7
	s_and_not1_b32 s6, s70, exec_lo
	s_and_b32 s7, s17, exec_lo
	s_and_b32 s9, s16, exec_lo
	s_or_b32 s70, s6, s7
	s_or_b32 s19, s8, s9
	s_and_b32 s14, s13, exec_lo
.LBB31_295:                             ;   in Loop: Header=BB31_33 Depth=1
	s_or_b32 exec_lo, exec_lo, s71
.LBB31_296:                             ;   in Loop: Header=BB31_33 Depth=1
	s_delay_alu instid0(SALU_CYCLE_1)
	s_and_not1_b32 s6, s50, exec_lo
	s_and_b32 s7, s18, exec_lo
	s_and_not1_b32 s8, s21, exec_lo
	s_or_b32 s50, s6, s7
	s_and_not1_b32 s6, s68, exec_lo
	s_and_b32 s7, s70, exec_lo
	s_and_b32 s9, s19, exec_lo
	s_or_b32 s68, s6, s7
	s_or_b32 s21, s8, s9
	s_and_b32 s16, s14, exec_lo
.LBB31_297:                             ;   in Loop: Header=BB31_33 Depth=1
	s_or_b32 exec_lo, exec_lo, s69
	s_and_saveexec_b32 s6, s16
	s_delay_alu instid0(SALU_CYCLE_1)
	s_xor_b32 s6, exec_lo, s6
	s_cbranch_execz .LBB31_31
.LBB31_298:                             ;   in Loop: Header=BB31_33 Depth=1
	s_and_b32 s5, s5, -9
	s_delay_alu instid0(SALU_CYCLE_1)
	s_cmp_eq_u32 s5, 0
	s_cbranch_scc1 .LBB31_29
; %bb.299:                              ;   in Loop: Header=BB31_33 Depth=1
	s_mov_b32 s5, -1
	s_mov_b32 s7, -1
                                        ; implicit-def: $sgpr66_sgpr67
                                        ; implicit-def: $sgpr94
                                        ; implicit-def: $sgpr96
	s_branch .LBB31_30
.LBB31_300:                             ;   in Loop: Header=BB31_33 Depth=1
                                        ; implicit-def: $vgpr3_vgpr4
	s_branch .LBB31_252
.LBB31_301:                             ;   in Loop: Header=BB31_33 Depth=1
                                        ; implicit-def: $vgpr3_vgpr4
	s_branch .LBB31_269
.LBB31_302:
	s_or_b32 exec_lo, exec_lo, s91
	s_xor_b32 s5, s95, -1
	s_xor_b32 s2, s92, -1
	s_xor_b32 s4, s93, -1
	s_mov_b32 s3, 0
	s_and_saveexec_b32 s6, s2
	s_delay_alu instid0(SALU_CYCLE_1)
	s_xor_b32 s2, exec_lo, s6
	s_cbranch_execz .LBB31_325
; %bb.303:
	s_and_saveexec_b32 s3, s5
	s_delay_alu instid0(SALU_CYCLE_1)
	s_xor_b32 s3, exec_lo, s3
	s_cbranch_execz .LBB31_323
; %bb.304:
	s_and_saveexec_b32 s5, s4
	s_delay_alu instid0(SALU_CYCLE_1)
	s_xor_b32 s4, exec_lo, s5
; %bb.305:
	v_xor_b32_e32 v4, 0x80000000, v4
	s_delay_alu instid0(VALU_DEP_1)
	v_dual_mov_b32 v6, v4 :: v_dual_mov_b32 v5, v3
; %bb.306:
	s_or_b32 exec_lo, exec_lo, s4
	s_and_saveexec_b32 s4, s0
	s_cbranch_execz .LBB31_308
; %bb.307:
	v_dual_mov_b32 v2, 0 :: v_dual_mov_b32 v3, s36
	ds_store_b32 v2, v3 offset:5140
.LBB31_308:
	s_or_b32 exec_lo, exec_lo, s4
	s_waitcnt lgkmcnt(0)
	s_barrier
	buffer_gl0_inv
	s_and_saveexec_b32 s4, s1
	s_cbranch_execz .LBB31_320
; %bb.309:
	v_mov_b32_e32 v2, 0
	s_mov_b32 s5, 0
                                        ; implicit-def: $sgpr6
                                        ; implicit-def: $sgpr7
                                        ; implicit-def: $sgpr8
	ds_load_b32 v7, v2 offset:5140
	s_waitcnt lgkmcnt(0)
	v_ashrrev_i32_e32 v8, 31, v7
	s_set_inst_prefetch_distance 0x1
	s_branch .LBB31_312
	.p2align	6
.LBB31_310:                             ;   in Loop: Header=BB31_312 Depth=1
	s_or_b32 exec_lo, exec_lo, s11
	s_delay_alu instid0(SALU_CYCLE_1)
	s_and_not1_b32 s8, s8, exec_lo
	s_and_b32 s10, s10, exec_lo
	s_and_not1_b32 s7, s7, exec_lo
	s_and_b32 s1, s1, exec_lo
	s_or_b32 s8, s8, s10
	s_or_b32 s7, s7, s1
.LBB31_311:                             ;   in Loop: Header=BB31_312 Depth=1
	s_or_b32 exec_lo, exec_lo, s9
	s_delay_alu instid0(SALU_CYCLE_1) | instskip(NEXT) | instid1(SALU_CYCLE_1)
	s_and_b32 s1, exec_lo, s7
	s_or_b32 s5, s1, s5
	s_and_not1_b32 s1, s6, exec_lo
	s_and_b32 s6, s8, exec_lo
	s_delay_alu instid0(SALU_CYCLE_1)
	s_or_b32 s6, s1, s6
	s_and_not1_b32 exec_lo, exec_lo, s5
	s_cbranch_execz .LBB31_315
.LBB31_312:                             ; =>This Inner Loop Header: Depth=1
	v_dual_mov_b32 v3, v1 :: v_dual_mov_b32 v2, v0
	s_or_b32 s8, s8, exec_lo
	s_or_b32 s7, s7, exec_lo
	s_mov_b32 s9, exec_lo
                                        ; implicit-def: $vgpr0_vgpr1
	s_delay_alu instid0(VALU_DEP_1)
	v_cmpx_lt_i64_e64 v[2:3], v[7:8]
	s_cbranch_execz .LBB31_311
; %bb.313:                              ;   in Loop: Header=BB31_312 Depth=1
	global_load_b64 v[0:1], v[15:16], off
	s_mov_b32 s1, -1
	s_mov_b32 s10, 0
	s_waitcnt vmcnt(0)
	v_cmp_ne_u64_e32 vcc_lo, v[0:1], v[5:6]
                                        ; implicit-def: $vgpr0_vgpr1
	s_and_saveexec_b32 s11, vcc_lo
	s_cbranch_execz .LBB31_310
; %bb.314:                              ;   in Loop: Header=BB31_312 Depth=1
	v_add_co_u32 v0, vcc_lo, v2, s33
	v_add_co_ci_u32_e32 v1, vcc_lo, 0, v3, vcc_lo
	v_add_co_u32 v15, s1, v15, s52
	s_delay_alu instid0(VALU_DEP_1) | instskip(NEXT) | instid1(VALU_DEP_3)
	v_add_co_ci_u32_e64 v16, s1, s53, v16, s1
	v_cmp_le_i64_e32 vcc_lo, s[36:37], v[0:1]
	s_mov_b32 s10, exec_lo
	s_or_not1_b32 s1, vcc_lo, exec_lo
	s_branch .LBB31_310
.LBB31_315:
	s_set_inst_prefetch_distance 0x2
	s_or_b32 exec_lo, exec_lo, s5
	s_xor_b32 s1, s6, -1
	s_delay_alu instid0(SALU_CYCLE_1) | instskip(NEXT) | instid1(SALU_CYCLE_1)
	s_and_saveexec_b32 s5, s1
	s_xor_b32 s5, exec_lo, s5
	s_cbranch_execz .LBB31_320
; %bb.316:
	s_mov_b32 s5, exec_lo
	s_brev_b32 s1, -2
.LBB31_317:                             ; =>This Inner Loop Header: Depth=1
	s_ctz_i32_b32 s6, s5
	s_delay_alu instid0(SALU_CYCLE_1) | instskip(SKIP_1) | instid1(SALU_CYCLE_1)
	v_readlane_b32 s7, v2, s6
	s_lshl_b32 s6, 1, s6
	s_and_not1_b32 s5, s5, s6
	s_delay_alu instid0(VALU_DEP_1)
	s_min_i32 s1, s1, s7
	s_cmp_lg_u32 s5, 0
	s_cbranch_scc1 .LBB31_317
; %bb.318:
	v_mbcnt_lo_u32_b32 v0, exec_lo, 0
	s_mov_b32 s5, exec_lo
	s_delay_alu instid0(VALU_DEP_1)
	v_cmpx_eq_u32_e32 0, v0
	s_xor_b32 s5, exec_lo, s5
	s_cbranch_execz .LBB31_320
; %bb.319:
	v_dual_mov_b32 v0, 0 :: v_dual_mov_b32 v1, s1
	ds_min_i32 v0, v1 offset:5140
.LBB31_320:
	s_or_b32 exec_lo, exec_lo, s4
	s_waitcnt lgkmcnt(0)
	s_barrier
	buffer_gl0_inv
	s_and_saveexec_b32 s1, s0
	s_cbranch_execz .LBB31_322
; %bb.321:
	v_mov_b32_e32 v2, 0
	s_mul_i32 s0, s30, s29
	s_mul_hi_u32 s5, s30, s28
	s_mul_i32 s6, s31, s28
	s_add_i32 s0, s5, s0
	ds_load_b32 v0, v2 offset:5140
	s_mul_i32 s7, s46, s41
	s_mul_hi_u32 s8, s46, s40
	s_mul_i32 s4, s30, s28
	s_add_i32 s5, s0, s6
	s_mul_i32 s9, s47, s40
	s_add_i32 s0, s8, s7
	s_lshl_b64 s[4:5], s[4:5], 3
	s_add_i32 s7, s0, s9
	s_add_u32 s0, s48, s4
	s_addc_u32 s8, s49, s5
	s_lshl_b64 s[4:5], s[26:27], 3
	s_mul_i32 s6, s46, s40
	s_add_u32 s4, s0, s4
	s_addc_u32 s5, s8, s5
	s_lshl_b64 s[6:7], s[6:7], 3
	s_delay_alu instid0(SALU_CYCLE_1)
	s_add_u32 s0, s44, s6
	s_addc_u32 s8, s45, s7
	s_lshl_b64 s[6:7], s[34:35], 3
	s_waitcnt lgkmcnt(0)
	v_ashrrev_i32_e32 v1, 31, v0
	s_add_u32 s6, s0, s6
	s_addc_u32 s7, s8, s7
	s_clause 0x1
	global_store_b64 v2, v[0:1], s[6:7]
	global_store_b64 v2, v[5:6], s[4:5]
.LBB31_322:
	s_or_b32 exec_lo, exec_lo, s1
.LBB31_323:
	s_or_saveexec_b32 s0, s3
	s_mov_b32 s1, 0
	s_xor_b32 exec_lo, exec_lo, s0
	s_cbranch_execnz .LBB31_331
.LBB31_324:
	s_or_b32 exec_lo, exec_lo, s0
	s_delay_alu instid0(SALU_CYCLE_1)
	s_and_b32 s3, s1, exec_lo
.LBB31_325:
	s_and_not1_saveexec_b32 s0, s2
	s_cbranch_execnz .LBB31_329
; %bb.326:
	s_or_b32 exec_lo, exec_lo, s0
	s_and_saveexec_b32 s0, s3
.LBB31_327:
	; divergent unreachable
.LBB31_328:
	s_nop 0
	s_sendmsg sendmsg(MSG_DEALLOC_VGPRS)
	s_endpgm
.LBB31_329:
	s_cbranch_execnz .LBB31_333
; %bb.330:
	s_or_b32 s3, s3, exec_lo
	s_or_b32 exec_lo, exec_lo, s0
	s_and_saveexec_b32 s0, s3
	s_cbranch_execnz .LBB31_327
	s_branch .LBB31_328
.LBB31_331:
	s_cbranch_execnz .LBB31_335
; %bb.332:
	s_mov_b32 s1, exec_lo
	s_branch .LBB31_324
.LBB31_333:
	s_trap 2
	s_sendmsg_rtn_b32 s0, sendmsg(MSG_RTN_GET_DOORBELL)
	s_mov_b32 ttmp2, m0
	s_waitcnt lgkmcnt(0)
	s_and_b32 s0, s0, 0x3ff
	s_delay_alu instid0(SALU_CYCLE_1) | instskip(NEXT) | instid1(SALU_CYCLE_1)
	s_bitset1_b32 s0, 10
	s_mov_b32 m0, s0
	s_sendmsg sendmsg(MSG_INTERRUPT)
	s_mov_b32 m0, ttmp2
.LBB31_334:                             ; =>This Inner Loop Header: Depth=1
	s_sethalt 5
	s_branch .LBB31_334
.LBB31_335:
	s_trap 2
	s_sendmsg_rtn_b32 s0, sendmsg(MSG_RTN_GET_DOORBELL)
	s_mov_b32 ttmp2, m0
	s_waitcnt lgkmcnt(0)
	s_and_b32 s0, s0, 0x3ff
	s_delay_alu instid0(SALU_CYCLE_1) | instskip(NEXT) | instid1(SALU_CYCLE_1)
	s_bitset1_b32 s0, 10
	s_mov_b32 m0, s0
	s_sendmsg sendmsg(MSG_INTERRUPT)
	s_mov_b32 m0, ttmp2
.LBB31_336:                             ; =>This Inner Loop Header: Depth=1
	s_sethalt 5
	s_branch .LBB31_336
	.section	.rodata,"a",@progbits
	.p2align	6, 0x0
	.amdhsa_kernel _ZN2at6native12_GLOBAL__N_114gatherKthValueIllLin1EEEvNS_4cuda6detail10TensorInfoIKT_T0_EES8_S8_S8_S8_NS5_IS6_S8_EENS5_IlS8_EE
		.amdhsa_group_segment_fixed_size 5144
		.amdhsa_private_segment_fixed_size 0
		.amdhsa_kernarg_size 1536
		.amdhsa_user_sgpr_count 13
		.amdhsa_user_sgpr_dispatch_ptr 0
		.amdhsa_user_sgpr_queue_ptr 0
		.amdhsa_user_sgpr_kernarg_segment_ptr 1
		.amdhsa_user_sgpr_dispatch_id 0
		.amdhsa_user_sgpr_private_segment_size 0
		.amdhsa_wavefront_size32 1
		.amdhsa_uses_dynamic_stack 0
		.amdhsa_enable_private_segment 0
		.amdhsa_system_sgpr_workgroup_id_x 1
		.amdhsa_system_sgpr_workgroup_id_y 1
		.amdhsa_system_sgpr_workgroup_id_z 1
		.amdhsa_system_sgpr_workgroup_info 0
		.amdhsa_system_vgpr_workitem_id 0
		.amdhsa_next_free_vgpr 67
		.amdhsa_next_free_sgpr 105
		.amdhsa_reserve_vcc 1
		.amdhsa_float_round_mode_32 0
		.amdhsa_float_round_mode_16_64 0
		.amdhsa_float_denorm_mode_32 3
		.amdhsa_float_denorm_mode_16_64 3
		.amdhsa_dx10_clamp 1
		.amdhsa_ieee_mode 1
		.amdhsa_fp16_overflow 0
		.amdhsa_workgroup_processor_mode 1
		.amdhsa_memory_ordered 1
		.amdhsa_forward_progress 0
		.amdhsa_shared_vgpr_count 0
		.amdhsa_exception_fp_ieee_invalid_op 0
		.amdhsa_exception_fp_denorm_src 0
		.amdhsa_exception_fp_ieee_div_zero 0
		.amdhsa_exception_fp_ieee_overflow 0
		.amdhsa_exception_fp_ieee_underflow 0
		.amdhsa_exception_fp_ieee_inexact 0
		.amdhsa_exception_int_div_zero 0
	.end_amdhsa_kernel
	.section	.text._ZN2at6native12_GLOBAL__N_114gatherKthValueIllLin1EEEvNS_4cuda6detail10TensorInfoIKT_T0_EES8_S8_S8_S8_NS5_IS6_S8_EENS5_IlS8_EE,"axG",@progbits,_ZN2at6native12_GLOBAL__N_114gatherKthValueIllLin1EEEvNS_4cuda6detail10TensorInfoIKT_T0_EES8_S8_S8_S8_NS5_IS6_S8_EENS5_IlS8_EE,comdat
.Lfunc_end31:
	.size	_ZN2at6native12_GLOBAL__N_114gatherKthValueIllLin1EEEvNS_4cuda6detail10TensorInfoIKT_T0_EES8_S8_S8_S8_NS5_IS6_S8_EENS5_IlS8_EE, .Lfunc_end31-_ZN2at6native12_GLOBAL__N_114gatherKthValueIllLin1EEEvNS_4cuda6detail10TensorInfoIKT_T0_EES8_S8_S8_S8_NS5_IS6_S8_EENS5_IlS8_EE
                                        ; -- End function
	.section	.AMDGPU.csdata,"",@progbits
; Kernel info:
; codeLenInByte = 20308
; NumSgprs: 107
; NumVgprs: 67
; ScratchSize: 0
; MemoryBound: 0
; FloatMode: 240
; IeeeMode: 1
; LDSByteSize: 5144 bytes/workgroup (compile time only)
; SGPRBlocks: 13
; VGPRBlocks: 8
; NumSGPRsForWavesPerEU: 107
; NumVGPRsForWavesPerEU: 67
; Occupancy: 16
; WaveLimiterHint : 1
; COMPUTE_PGM_RSRC2:SCRATCH_EN: 0
; COMPUTE_PGM_RSRC2:USER_SGPR: 13
; COMPUTE_PGM_RSRC2:TRAP_HANDLER: 0
; COMPUTE_PGM_RSRC2:TGID_X_EN: 1
; COMPUTE_PGM_RSRC2:TGID_Y_EN: 1
; COMPUTE_PGM_RSRC2:TGID_Z_EN: 1
; COMPUTE_PGM_RSRC2:TIDIG_COMP_CNT: 0
	.section	.text._ZN2at6native12_GLOBAL__N_114gatherKthValueIsiLi1EEEvNS_4cuda6detail10TensorInfoIKT_T0_EES8_S8_S8_S8_NS5_IS6_S8_EENS5_IlS8_EE,"axG",@progbits,_ZN2at6native12_GLOBAL__N_114gatherKthValueIsiLi1EEEvNS_4cuda6detail10TensorInfoIKT_T0_EES8_S8_S8_S8_NS5_IS6_S8_EENS5_IlS8_EE,comdat
	.globl	_ZN2at6native12_GLOBAL__N_114gatherKthValueIsiLi1EEEvNS_4cuda6detail10TensorInfoIKT_T0_EES8_S8_S8_S8_NS5_IS6_S8_EENS5_IlS8_EE ; -- Begin function _ZN2at6native12_GLOBAL__N_114gatherKthValueIsiLi1EEEvNS_4cuda6detail10TensorInfoIKT_T0_EES8_S8_S8_S8_NS5_IS6_S8_EENS5_IlS8_EE
	.p2align	8
	.type	_ZN2at6native12_GLOBAL__N_114gatherKthValueIsiLi1EEEvNS_4cuda6detail10TensorInfoIKT_T0_EES8_S8_S8_S8_NS5_IS6_S8_EENS5_IlS8_EE,@function
_ZN2at6native12_GLOBAL__N_114gatherKthValueIsiLi1EEEvNS_4cuda6detail10TensorInfoIKT_T0_EES8_S8_S8_S8_NS5_IS6_S8_EENS5_IlS8_EE: ; @_ZN2at6native12_GLOBAL__N_114gatherKthValueIsiLi1EEEvNS_4cuda6detail10TensorInfoIKT_T0_EES8_S8_S8_S8_NS5_IS6_S8_EENS5_IlS8_EE
; %bb.0:
	s_clause 0x1
	s_load_b64 s[6:7], s[0:1], 0x298
	s_load_b128 s[36:39], s[0:1], 0xd8
	s_add_u32 s4, s0, 0x298
	s_addc_u32 s5, s1, 0
	s_waitcnt lgkmcnt(0)
	s_mul_i32 s2, s7, s15
	s_delay_alu instid0(SALU_CYCLE_1) | instskip(NEXT) | instid1(SALU_CYCLE_1)
	s_add_i32 s2, s2, s14
	s_mul_i32 s29, s2, s6
	s_delay_alu instid0(SALU_CYCLE_1) | instskip(NEXT) | instid1(SALU_CYCLE_1)
	s_add_i32 s29, s29, s13
	s_cmp_ge_i32 s29, s38
	s_cbranch_scc1 .LBB32_263
; %bb.1:
	s_clause 0x3
	s_load_b64 s[30:31], s[0:1], 0x1c0
	s_load_b64 s[34:35], s[0:1], 0xe8
	s_load_b32 s3, s[0:1], 0x6c
	s_load_b64 s[8:9], s[0:1], 0x0
	v_cmp_eq_u32_e64 s2, 0, v0
	s_mov_b32 s45, 0
	s_delay_alu instid0(VALU_DEP_1)
	s_and_saveexec_b32 s7, s2
	s_cbranch_execz .LBB32_3
; %bb.2:
	v_dual_mov_b32 v1, 0 :: v_dual_mov_b32 v2, s36
	s_delay_alu instid0(VALU_DEP_1)
	v_mov_b32_e32 v3, v1
	ds_store_b96 v1, v[1:3] offset:4096
.LBB32_3:
	s_or_b32 exec_lo, exec_lo, s7
	s_waitcnt lgkmcnt(0)
	s_barrier
	buffer_gl0_inv
	s_load_b32 s7, s[4:5], 0xc
	s_clause 0x1
	s_load_b32 s33, s[0:1], 0x22c
	s_load_b32 s38, s[0:1], 0x154
	s_mul_i32 s0, s3, s29
	v_mbcnt_lo_u32_b32 v15, -1, 0
	s_ashr_i32 s1, s0, 31
	v_cmp_gt_u32_e32 vcc_lo, 32, v0
	s_lshl_b64 s[10:11], s[0:1], 1
	v_mul_lo_u32 v5, v0, s39
	s_add_u32 s42, s8, s10
	s_addc_u32 s43, s9, s11
	v_cmp_gt_i32_e64 s1, 4, v15
	v_mov_b32_e32 v7, 0
	v_lshrrev_b32_e32 v3, 3, v0
	v_lshlrev_b32_e32 v17, 1, v0
	s_mov_b32 s10, s39
	s_and_b32 s47, vcc_lo, s1
	v_mov_b32_e32 v6, v7
	v_and_b32_e32 v20, 0x7c, v3
	v_cmp_gt_u32_e64 s0, 2, v0
	s_waitcnt lgkmcnt(0)
	s_and_b32 s44, s7, 0xffff
	s_bfe_u32 s1, s7, 0xb0005
	s_lshl_b32 s46, s44, 2
	s_add_i32 s49, s44, -1
	v_cvt_f32_u32_e32 v1, s46
	s_add_i32 s59, s49, s36
	s_cmpk_gt_i32 s36, 0x600
	v_cvt_f32_u32_e32 v2, s44
	s_cselect_b32 s50, -1, 0
	v_rcp_iflag_f32_e32 v1, v1
	s_cmp_gt_u32 s44, 31
	v_lshlrev_b32_e32 v16, 2, v0
	s_cselect_b32 s51, -1, 0
	s_cmp_lt_u32 s13, s6
	v_rcp_iflag_f32_e32 v2, v2
	s_cselect_b32 s3, 12, 18
	v_lshlrev_b64 v[8:9], 1, v[5:6]
	s_add_u32 s40, s4, s3
	s_addc_u32 s41, s5, 0
	s_waitcnt_depctr 0xfff
	v_mul_f32_e32 v1, 0x4f7ffffe, v1
	s_add_i32 s3, s1, -1
	s_bfe_u32 s52, s44, 0x30005
	s_cmp_gt_u32 s3, 6
	v_add_co_u32 v8, vcc_lo, s42, v8
	v_cvt_u32_f32_e32 v1, v1
	s_cselect_b32 s53, -1, 0
	s_and_b32 s54, s1, 0x7f8
	s_cmp_lg_u32 s52, 0
	v_lshlrev_b32_e32 v24, 2, v5
	v_readfirstlane_b32 s4, v1
	s_cselect_b32 s55, -1, 0
	s_sub_i32 s3, 0, s46
	v_mul_f32_e32 v1, 0x4f7ffffe, v2
	v_add_co_ci_u32_e32 v9, vcc_lo, s43, v9, vcc_lo
	s_mul_i32 s5, s3, s4
	v_mad_u64_u32 v[12:13], null, s39, v16, s[10:11]
	s_mul_hi_u32 s5, s4, s5
	v_cvt_u32_f32_e32 v1, v1
	s_add_i32 s56, s4, s5
	v_cmp_gt_u32_e64 s1, s36, v0
	s_mul_hi_u32 s5, s36, s56
	v_cmp_gt_i32_e64 s3, s36, v0
	s_mul_i32 s5, s5, s46
	v_cmp_eq_u32_e64 s4, 0, v15
	s_sub_i32 s5, s36, s5
	v_add_nc_u32_e32 v18, 0xc00, v17
	s_sub_i32 s6, s5, s46
	s_cmp_ge_u32 s5, s46
	v_lshlrev_b32_e32 v26, 3, v0
	s_cselect_b32 s5, s6, s5
	v_readfirstlane_b32 s6, v1
	s_sub_i32 s7, s5, s46
	s_cmp_ge_u32 s5, s46
	v_lshlrev_b64 v[1:2], v15, -1
	s_cselect_b32 s9, s7, s5
	v_mov_b32_e32 v28, 0
	s_sub_i32 s57, s36, s9
	s_sub_i32 s5, 0, s44
	v_add_nc_u32_e32 v19, s57, v0
	s_mul_i32 s5, s5, s6
	s_abs_i32 s7, s59
	s_mul_hi_u32 s5, s6, s5
	v_not_b32_e32 v21, v1
	v_mul_lo_u32 v2, v19, s39
	s_add_i32 s58, s6, s5
	v_lshl_or_b32 v27, v15, 2, 0xc00
	s_mul_hi_u32 s5, s7, s58
	s_mul_i32 s48, s39, s44
	s_mul_i32 s5, s5, s44
	s_mov_b32 s66, 14
	s_sub_i32 s5, s7, s5
	v_ashrrev_i32_e32 v3, 31, v2
	s_ashr_i32 s7, s59, 31
	s_sub_i32 s6, s5, s44
	s_cmp_ge_u32 s5, s44
	s_mov_b32 s69, 0
	v_lshlrev_b64 v[1:2], 1, v[2:3]
	s_cselect_b32 s5, s6, s5
	v_or_b32_e32 v3, 3, v16
	s_sub_i32 s6, s5, s44
	s_cmp_ge_u32 s5, s44
	s_mov_b32 s71, 0
	v_add_co_u32 v10, vcc_lo, s42, v1
	v_add3_u32 v1, s44, s36, v0
	s_cselect_b32 s6, s6, s5
	v_add_co_ci_u32_e32 v11, vcc_lo, s43, v2, vcc_lo
	v_or_b32_e32 v2, 2, v16
	s_delay_alu instid0(VALU_DEP_3)
	v_subrev_nc_u32_e32 v1, s9, v1
	s_xor_b32 s8, s6, s7
	v_mul_lo_u32 v23, s39, v3
	s_sub_i32 s7, s7, s8
	v_mul_lo_u32 v22, s39, v2
	v_mul_lo_u32 v25, s39, v1
	s_add_i32 s59, s59, s7
	v_cmp_gt_i32_e64 s5, s57, v16
	v_cmp_gt_u32_e64 s6, s36, v19
	v_cmp_gt_i32_e64 s7, s36, v19
	v_cmp_gt_i32_e64 s8, s59, v0
	s_lshl_b32 s60, s48, 2
	s_lshl_b32 s61, s44, 3
	;; [unrolled: 1-line block ×3, first 2 shown]
	s_mov_b32 s72, 0
                                        ; implicit-def: $sgpr63
                                        ; implicit-def: $sgpr65
                                        ; implicit-def: $sgpr64
                                        ; implicit-def: $sgpr68
                                        ; implicit-def: $sgpr70
                                        ; implicit-def: $sgpr67
	s_branch .LBB32_8
.LBB32_4:                               ;   in Loop: Header=BB32_8 Depth=1
	s_xor_b32 s69, s69, 1
	s_add_i32 s13, s66, -2
	s_cmp_eq_u32 s66, 0
	s_mov_b32 s9, 0
	s_cselect_b32 s11, -1, 0
	s_mov_b32 s66, s13
.LBB32_5:                               ;   in Loop: Header=BB32_8 Depth=1
	s_and_not1_b32 s13, s15, exec_lo
	s_and_b32 s9, s9, exec_lo
	s_and_not1_b32 s17, s17, exec_lo
	s_or_b32 s15, s13, s9
	s_and_not1_b32 s14, s14, exec_lo
	s_or_not1_b32 s13, s11, exec_lo
	s_mov_b32 s37, s22
.LBB32_6:                               ;   in Loop: Header=BB32_8 Depth=1
	s_or_b32 exec_lo, exec_lo, s10
	s_delay_alu instid0(SALU_CYCLE_1)
	s_and_not1_b32 s9, s67, exec_lo
	s_and_b32 s10, s15, exec_lo
	s_and_not1_b32 s11, s68, exec_lo
	s_or_b32 s67, s9, s10
	s_and_not1_b32 s9, s70, exec_lo
	s_and_b32 s10, s17, exec_lo
	s_and_b32 s14, s14, exec_lo
	s_or_b32 s70, s9, s10
	s_or_b32 s68, s11, s14
	s_or_not1_b32 s14, s13, exec_lo
.LBB32_7:                               ;   in Loop: Header=BB32_8 Depth=1
	s_or_b32 exec_lo, exec_lo, s12
	s_delay_alu instid0(SALU_CYCLE_1)
	s_and_b32 s9, exec_lo, s14
	v_mov_b32_e32 v1, s71
	s_or_b32 s45, s9, s45
	s_and_not1_b32 s9, s64, exec_lo
	s_and_b32 s10, s67, exec_lo
	s_and_not1_b32 s11, s63, exec_lo
	s_or_b32 s64, s9, s10
	s_and_not1_b32 s9, s65, exec_lo
	s_and_b32 s10, s70, exec_lo
	s_and_b32 s12, s68, exec_lo
	s_or_b32 s65, s9, s10
	s_or_b32 s63, s11, s12
	s_and_not1_b32 exec_lo, exec_lo, s45
	s_cbranch_execz .LBB32_239
.LBB32_8:                               ; =>This Loop Header: Depth=1
                                        ;     Child Loop BB32_13 Depth 2
                                        ;     Child Loop BB32_32 Depth 2
	;; [unrolled: 1-line block ×16, first 2 shown]
	ds_load_b64 v[1:2], v7 offset:4096
	s_waitcnt lgkmcnt(0)
	v_readfirstlane_b32 s73, v1
	s_delay_alu instid0(VALU_DEP_1)
	s_cmp_gt_i32 s73, 0
	s_cbranch_scc1 .LBB32_39
; %bb.9:                                ;   in Loop: Header=BB32_8 Depth=1
	s_and_b32 vcc_lo, exec_lo, s50
	s_cbranch_vccz .LBB32_21
; %bb.10:                               ;   in Loop: Header=BB32_8 Depth=1
	v_cmp_gt_i32_e32 vcc_lo, 0x601, v2
	s_mov_b32 s10, 0
	s_mov_b32 s9, 0
	s_cbranch_vccz .LBB32_26
; %bb.11:                               ;   in Loop: Header=BB32_8 Depth=1
	global_load_u16 v1, v7, s[40:41]
	global_load_u16 v4, v[8:9], off
	v_mov_b32_e32 v3, v0
	s_mov_b32 s11, 0
	s_waitcnt vmcnt(1)
	v_add_nc_u32_e32 v2, v0, v1
	s_delay_alu instid0(VALU_DEP_1)
	v_mul_lo_u32 v6, s39, v2
	v_mul_lo_u32 v2, s39, v1
	s_branch .LBB32_13
.LBB32_12:                              ;   in Loop: Header=BB32_13 Depth=2
	s_or_b32 exec_lo, exec_lo, s9
	v_cmp_le_i32_e32 vcc_lo, s36, v3
	v_add_nc_u32_e32 v6, v6, v2
	v_mov_b32_e32 v4, v13
	s_or_b32 s11, vcc_lo, s11
	s_delay_alu instid0(SALU_CYCLE_1)
	s_and_not1_b32 exec_lo, exec_lo, s11
	s_cbranch_execz .LBB32_22
.LBB32_13:                              ;   Parent Loop BB32_8 Depth=1
                                        ; =>  This Inner Loop Header: Depth=2
	s_waitcnt lgkmcnt(0)
	v_dual_mov_b32 v14, 0 :: v_dual_add_nc_u32 v3, v3, v1
	v_mov_b32_e32 v13, 0
	s_mov_b32 s9, exec_lo
	s_delay_alu instid0(VALU_DEP_2)
	v_cmpx_gt_u32_e64 s36, v3
	s_cbranch_execz .LBB32_15
; %bb.14:                               ;   in Loop: Header=BB32_13 Depth=2
	v_lshlrev_b64 v[29:30], 1, v[6:7]
	s_delay_alu instid0(VALU_DEP_1) | instskip(NEXT) | instid1(VALU_DEP_2)
	v_add_co_u32 v29, vcc_lo, s42, v29
	v_add_co_ci_u32_e32 v30, vcc_lo, s43, v30, vcc_lo
	global_load_u16 v13, v[29:30], off
.LBB32_15:                              ;   in Loop: Header=BB32_13 Depth=2
	s_or_b32 exec_lo, exec_lo, s9
	s_waitcnt vmcnt(0)
	v_bfe_i32 v29, v4, 0, 16
	s_delay_alu instid0(VALU_DEP_1) | instskip(NEXT) | instid1(VALU_DEP_1)
	v_add_nc_u32_e32 v29, 0x8000, v29
	v_and_b32_e32 v29, s72, v29
	s_delay_alu instid0(VALU_DEP_1) | instskip(SKIP_2) | instid1(SALU_CYCLE_1)
	v_cmp_eq_u32_e32 vcc_lo, s71, v29
	s_cmp_lg_u32 vcc_lo, 0
	s_cselect_b32 s9, -1, 0
	s_and_b32 s9, s4, s9
	s_delay_alu instid0(SALU_CYCLE_1)
	s_and_saveexec_b32 s12, s9
	s_cbranch_execz .LBB32_19
; %bb.16:                               ;   in Loop: Header=BB32_13 Depth=2
	s_mov_b32 s15, exec_lo
	s_bcnt1_i32_b32 s13, vcc_lo
	v_mbcnt_lo_u32_b32 v14, s15, 0
	s_mov_b32 s14, exec_lo
                                        ; implicit-def: $vgpr29
	s_delay_alu instid0(VALU_DEP_1)
	v_cmpx_eq_u32_e32 0, v14
	s_cbranch_execz .LBB32_18
; %bb.17:                               ;   in Loop: Header=BB32_13 Depth=2
	s_bcnt1_i32_b32 s9, s15
	s_delay_alu instid0(SALU_CYCLE_1) | instskip(NEXT) | instid1(SALU_CYCLE_1)
	s_mul_i32 s9, s13, s9
	v_mov_b32_e32 v29, s9
	ds_add_rtn_u32 v29, v7, v29 offset:4104
.LBB32_18:                              ;   in Loop: Header=BB32_13 Depth=2
	s_or_b32 exec_lo, exec_lo, s14
	s_waitcnt lgkmcnt(0)
	v_readfirstlane_b32 s9, v29
	s_delay_alu instid0(VALU_DEP_1)
	v_mad_u32_u24 v14, s13, v14, s9
.LBB32_19:                              ;   in Loop: Header=BB32_13 Depth=2
	s_or_b32 exec_lo, exec_lo, s12
	ds_bpermute_b32 v14, v7, v14
	s_and_saveexec_b32 s9, vcc_lo
	s_cbranch_execz .LBB32_12
; %bb.20:                               ;   in Loop: Header=BB32_13 Depth=2
	v_and_b32_e32 v29, vcc_lo, v21
	s_delay_alu instid0(VALU_DEP_1) | instskip(NEXT) | instid1(VALU_DEP_1)
	v_bcnt_u32_b32 v29, v29, 0
	v_lshlrev_b32_e32 v29, 1, v29
	s_waitcnt lgkmcnt(0)
	s_delay_alu instid0(VALU_DEP_1)
	v_lshl_add_u32 v14, v14, 1, v29
	ds_store_b16 v14, v4
	s_branch .LBB32_12
.LBB32_21:                              ;   in Loop: Header=BB32_8 Depth=1
	s_mov_b32 s10, -1
	s_mov_b32 s9, 0
	s_branch .LBB32_25
.LBB32_22:                              ;   in Loop: Header=BB32_8 Depth=1
	s_or_b32 exec_lo, exec_lo, s11
	s_waitcnt lgkmcnt(0)
	s_barrier
	buffer_gl0_inv
	s_and_saveexec_b32 s9, s2
	s_cbranch_execz .LBB32_24
; %bb.23:                               ;   in Loop: Header=BB32_8 Depth=1
	ds_load_b32 v1, v7 offset:4104
	s_waitcnt lgkmcnt(0)
	ds_store_b32 v7, v1 offset:4096
.LBB32_24:                              ;   in Loop: Header=BB32_8 Depth=1
	s_or_b32 exec_lo, exec_lo, s9
	s_waitcnt lgkmcnt(0)
	s_mov_b32 s9, -1
	s_barrier
.LBB32_25:                              ;   in Loop: Header=BB32_8 Depth=1
                                        ; implicit-def: $sgpr73
.LBB32_26:                              ;   in Loop: Header=BB32_8 Depth=1
	s_and_b32 vcc_lo, exec_lo, s10
	s_cbranch_vccz .LBB32_37
; %bb.27:                               ;   in Loop: Header=BB32_8 Depth=1
	v_mov_b32_e32 v1, 0
	s_and_saveexec_b32 s9, s1
	s_cbranch_execz .LBB32_29
; %bb.28:                               ;   in Loop: Header=BB32_8 Depth=1
	global_load_u16 v1, v[8:9], off
.LBB32_29:                              ;   in Loop: Header=BB32_8 Depth=1
	s_or_b32 exec_lo, exec_lo, s9
	s_and_saveexec_b32 s9, s3
	s_cbranch_execz .LBB32_34
; %bb.30:                               ;   in Loop: Header=BB32_8 Depth=1
	global_load_u16 v2, v7, s[40:41]
	v_mov_b32_e32 v14, v0
	s_mov_b32 s10, 0
	v_mov_b32_e32 v13, v17
	s_waitcnt vmcnt(0)
	v_add_nc_u32_e32 v3, v0, v2
	v_lshlrev_b32_e32 v4, 1, v2
	s_delay_alu instid0(VALU_DEP_2)
	v_mul_lo_u32 v6, s39, v3
	v_mul_lo_u32 v3, s39, v2
	s_branch .LBB32_32
	.p2align	6
.LBB32_31:                              ;   in Loop: Header=BB32_32 Depth=2
	s_or_b32 exec_lo, exec_lo, s11
	v_cmp_le_i32_e32 vcc_lo, s36, v14
	ds_store_b16 v13, v1
	v_add_nc_u32_e32 v13, v13, v4
	s_waitcnt vmcnt(0)
	v_dual_mov_b32 v1, v29 :: v_dual_add_nc_u32 v6, v6, v3
	s_or_b32 s10, vcc_lo, s10
	s_delay_alu instid0(SALU_CYCLE_1)
	s_and_not1_b32 exec_lo, exec_lo, s10
	s_cbranch_execz .LBB32_34
.LBB32_32:                              ;   Parent Loop BB32_8 Depth=1
                                        ; =>  This Inner Loop Header: Depth=2
	v_dual_mov_b32 v29, 0 :: v_dual_add_nc_u32 v14, v14, v2
	s_mov_b32 s11, exec_lo
	s_delay_alu instid0(VALU_DEP_1)
	v_cmpx_gt_u32_e64 s36, v14
	s_cbranch_execz .LBB32_31
; %bb.33:                               ;   in Loop: Header=BB32_32 Depth=2
	s_delay_alu instid0(VALU_DEP_3) | instskip(NEXT) | instid1(VALU_DEP_1)
	v_lshlrev_b64 v[29:30], 1, v[6:7]
	v_add_co_u32 v29, vcc_lo, s42, v29
	s_delay_alu instid0(VALU_DEP_2)
	v_add_co_ci_u32_e32 v30, vcc_lo, s43, v30, vcc_lo
	global_load_u16 v29, v[29:30], off
	s_branch .LBB32_31
.LBB32_34:                              ;   in Loop: Header=BB32_8 Depth=1
	s_or_b32 exec_lo, exec_lo, s9
	s_waitcnt vmcnt(0) lgkmcnt(0)
	s_barrier
	buffer_gl0_inv
	s_and_saveexec_b32 s9, s2
	s_cbranch_execz .LBB32_36
; %bb.35:                               ;   in Loop: Header=BB32_8 Depth=1
	v_mov_b32_e32 v1, s36
	ds_store_b32 v7, v1 offset:4096
.LBB32_36:                              ;   in Loop: Header=BB32_8 Depth=1
	s_or_b32 exec_lo, exec_lo, s9
	s_mov_b32 s9, -1
	s_waitcnt lgkmcnt(0)
	s_barrier
                                        ; implicit-def: $sgpr73
.LBB32_37:                              ;   in Loop: Header=BB32_8 Depth=1
	s_and_b32 vcc_lo, exec_lo, s9
	s_cbranch_vccz .LBB32_39
; %bb.38:                               ;   in Loop: Header=BB32_8 Depth=1
	buffer_gl0_inv
	ds_load_b32 v1, v7 offset:4096
	s_waitcnt lgkmcnt(0)
	v_readfirstlane_b32 s73, v1
.LBB32_39:                              ;   in Loop: Header=BB32_8 Depth=1
	s_delay_alu instid0(VALU_DEP_1)
	s_cmp_lt_i32 s73, 1
	s_cbranch_scc0 .LBB32_43
; %bb.40:                               ;   in Loop: Header=BB32_8 Depth=1
	v_dual_mov_b32 v1, 0 :: v_dual_mov_b32 v2, 0
	v_dual_mov_b32 v3, 0 :: v_dual_mov_b32 v4, 0
	s_mov_b32 s75, 0
	s_and_saveexec_b32 s74, s5
	s_cbranch_execnz .LBB32_44
; %bb.41:                               ;   in Loop: Header=BB32_8 Depth=1
	s_or_b32 exec_lo, exec_lo, s74
	v_mov_b32_e32 v29, 0
	s_and_saveexec_b32 s9, s6
	s_cbranch_execnz .LBB32_47
.LBB32_42:                              ;   in Loop: Header=BB32_8 Depth=1
	s_or_b32 exec_lo, exec_lo, s9
	s_and_saveexec_b32 s13, s7
	s_cbranch_execnz .LBB32_48
	s_branch .LBB32_53
.LBB32_43:                              ;   in Loop: Header=BB32_8 Depth=1
                                        ; implicit-def: $vgpr4
	s_cbranch_execnz .LBB32_54
	s_branch .LBB32_63
.LBB32_44:                              ;   in Loop: Header=BB32_8 Depth=1
	v_mov_b32_e32 v6, v16
	s_and_b32 s76, s66, 0xfe
	s_mov_b32 s77, 0
	s_mov_b32 s78, 0
	;; [unrolled: 1-line block ×5, first 2 shown]
.LBB32_45:                              ;   Parent Loop BB32_8 Depth=1
                                        ; =>  This Inner Loop Header: Depth=2
	v_add_nc_u32_e32 v1, s77, v24
	v_add_nc_u32_e32 v3, s77, v12
	;; [unrolled: 1-line block ×4, first 2 shown]
	s_add_i32 s77, s77, s60
	v_ashrrev_i32_e32 v2, 31, v1
	v_ashrrev_i32_e32 v4, 31, v3
	;; [unrolled: 1-line block ×4, first 2 shown]
	s_delay_alu instid0(VALU_DEP_4) | instskip(NEXT) | instid1(VALU_DEP_4)
	v_lshlrev_b64 v[1:2], 1, v[1:2]
	v_lshlrev_b64 v[3:4], 1, v[3:4]
	s_delay_alu instid0(VALU_DEP_4) | instskip(NEXT) | instid1(VALU_DEP_4)
	v_lshlrev_b64 v[13:14], 1, v[13:14]
	v_lshlrev_b64 v[29:30], 1, v[29:30]
	s_delay_alu instid0(VALU_DEP_4)
	v_add_co_u32 v1, vcc_lo, s42, v1
	v_add_co_ci_u32_e32 v2, vcc_lo, s43, v2, vcc_lo
	v_add_co_u32 v3, vcc_lo, s42, v3
	v_add_co_ci_u32_e32 v4, vcc_lo, s43, v4, vcc_lo
	;; [unrolled: 2-line block ×4, first 2 shown]
	s_clause 0x3
	global_load_i16 v1, v[1:2], off
	global_load_i16 v2, v[3:4], off
	;; [unrolled: 1-line block ×4, first 2 shown]
	s_waitcnt vmcnt(3)
	v_add_nc_u32_e32 v1, 0x8000, v1
	s_waitcnt vmcnt(2)
	v_add_nc_u32_e32 v2, 0x8000, v2
	s_waitcnt vmcnt(1)
	v_add_nc_u32_e32 v3, 0x8000, v3
	s_waitcnt vmcnt(0)
	v_add_nc_u32_e32 v4, 0x8000, v4
	v_and_b32_e32 v13, s72, v1
	v_bfe_u32 v1, v1, s76, 2
	v_and_b32_e32 v14, s72, v2
	v_bfe_u32 v2, v2, s76, 2
	;; [unrolled: 2-line block ×3, first 2 shown]
	v_cmp_eq_u32_e64 s9, s71, v13
	v_cmp_eq_u32_e64 s13, 0, v1
	v_and_b32_e32 v30, s72, v4
	v_bfe_u32 v4, v4, s76, 2
	v_cmp_eq_u32_e64 s10, s71, v14
	v_cmp_eq_u32_e64 s14, 0, v2
	;; [unrolled: 1-line block ×4, first 2 shown]
	s_and_b32 s13, s9, s13
	v_cmp_eq_u32_e64 s12, s71, v30
	v_cmp_eq_u32_e64 s16, 0, v4
	v_cmp_eq_u32_e64 s17, 1, v1
	v_cmp_eq_u32_e64 s21, 2, v1
	v_cmp_eq_u32_e64 s25, 3, v1
	v_cndmask_b32_e64 v1, 0, 1, s13
	s_and_b32 s13, s10, s14
	v_cmp_eq_u32_e64 s18, 1, v2
	v_cmp_eq_u32_e64 s22, 2, v2
	v_cmp_eq_u32_e64 s26, 3, v2
	v_cndmask_b32_e64 v2, 0, 1, s13
	s_and_b32 s13, s11, s15
	v_cmp_eq_u32_e64 s19, 1, v3
	v_cmp_eq_u32_e64 s23, 2, v3
	v_cmp_eq_u32_e64 s27, 3, v3
	;; [unrolled: 5-line block ×3, first 2 shown]
	v_cndmask_b32_e64 v4, 0, 1, s13
	s_and_b32 s13, s9, s17
	s_delay_alu instid0(SALU_CYCLE_1) | instskip(SKIP_1) | instid1(SALU_CYCLE_1)
	v_cndmask_b32_e64 v13, 0, 1, s13
	s_and_b32 s13, s10, s18
	v_cndmask_b32_e64 v14, 0, 1, s13
	s_and_b32 s13, s11, s19
	s_delay_alu instid0(SALU_CYCLE_1) | instskip(SKIP_1) | instid1(VALU_DEP_2)
	v_cndmask_b32_e64 v29, 0, 1, s13
	s_and_b32 s13, s12, s20
	v_cmp_ne_u32_e64 s14, 0, v14
	v_cndmask_b32_e64 v30, 0, 1, s13
	s_and_b32 s13, s9, s21
	s_and_b32 s9, s9, s25
	v_cndmask_b32_e64 v31, 0, 1, s13
	v_cndmask_b32_e64 v35, 0, 1, s9
	s_and_b32 s9, s10, s26
	s_and_b32 s13, s10, s22
	v_cndmask_b32_e64 v36, 0, 1, s9
	s_and_b32 s9, s11, s27
	v_cndmask_b32_e64 v32, 0, 1, s13
	v_cndmask_b32_e64 v37, 0, 1, s9
	s_and_b32 s9, s12, s28
	s_and_b32 s13, s11, s23
	v_cndmask_b32_e64 v38, 0, 1, s9
	v_cmp_ne_u32_e64 s9, 0, v1
	v_cmp_ne_u32_e64 s10, 0, v2
	v_cndmask_b32_e64 v33, 0, 1, s13
	s_and_b32 s13, s12, s24
	v_cmp_ne_u32_e64 s11, 0, v3
	v_cndmask_b32_e64 v34, 0, 1, s13
	v_cmp_ne_u32_e64 s13, 0, v13
	v_cmp_ne_u32_e64 s17, 0, v31
	;; [unrolled: 1-line block ×3, first 2 shown]
	s_bcnt1_i32_b32 s9, s9
	v_cmp_ne_u32_e64 s12, 0, v4
	v_cmp_ne_u32_e64 s18, 0, v32
	;; [unrolled: 1-line block ×3, first 2 shown]
	s_bcnt1_i32_b32 s10, s10
	s_add_i32 s9, s9, s81
	v_cmp_ne_u32_e64 s15, 0, v29
	v_cmp_ne_u32_e64 s19, 0, v33
	;; [unrolled: 1-line block ×3, first 2 shown]
	s_bcnt1_i32_b32 s11, s11
	s_add_i32 s9, s9, s10
	s_bcnt1_i32_b32 s13, s13
	s_bcnt1_i32_b32 s17, s17
	;; [unrolled: 1-line block ×3, first 2 shown]
	v_cmp_ne_u32_e64 s16, 0, v30
	v_cmp_ne_u32_e64 s20, 0, v34
	;; [unrolled: 1-line block ×3, first 2 shown]
	s_bcnt1_i32_b32 s12, s12
	s_add_i32 s9, s9, s11
	s_bcnt1_i32_b32 s14, s14
	s_bcnt1_i32_b32 s18, s18
	;; [unrolled: 1-line block ×3, first 2 shown]
	s_add_i32 s13, s13, s80
	s_add_i32 s17, s17, s79
	;; [unrolled: 1-line block ×4, first 2 shown]
	s_delay_alu instid0(SALU_CYCLE_1)
	v_dual_mov_b32 v1, s81 :: v_dual_add_nc_u32 v6, s46, v6
	s_bcnt1_i32_b32 s15, s15
	s_bcnt1_i32_b32 s19, s19
	;; [unrolled: 1-line block ×3, first 2 shown]
	s_add_i32 s10, s13, s14
	s_add_i32 s13, s17, s18
	;; [unrolled: 1-line block ×3, first 2 shown]
	s_bcnt1_i32_b32 s16, s16
	s_bcnt1_i32_b32 s20, s20
	;; [unrolled: 1-line block ×3, first 2 shown]
	s_add_i32 s10, s10, s15
	s_add_i32 s11, s13, s19
	;; [unrolled: 1-line block ×3, first 2 shown]
	v_cmp_le_i32_e32 vcc_lo, s57, v6
	s_add_i32 s80, s10, s16
	s_add_i32 s79, s11, s20
	;; [unrolled: 1-line block ×3, first 2 shown]
	v_dual_mov_b32 v2, s80 :: v_dual_mov_b32 v3, s79
	v_mov_b32_e32 v4, s78
	s_or_b32 s75, vcc_lo, s75
	s_delay_alu instid0(SALU_CYCLE_1)
	s_and_not1_b32 exec_lo, exec_lo, s75
	s_cbranch_execnz .LBB32_45
; %bb.46:                               ;   in Loop: Header=BB32_8 Depth=1
	s_or_b32 exec_lo, exec_lo, s75
	s_delay_alu instid0(SALU_CYCLE_1)
	s_or_b32 exec_lo, exec_lo, s74
	v_mov_b32_e32 v29, 0
	s_and_saveexec_b32 s9, s6
	s_cbranch_execz .LBB32_42
.LBB32_47:                              ;   in Loop: Header=BB32_8 Depth=1
	global_load_u16 v29, v[10:11], off
	s_or_b32 exec_lo, exec_lo, s9
	s_and_saveexec_b32 s13, s7
	s_cbranch_execz .LBB32_53
.LBB32_48:                              ;   in Loop: Header=BB32_8 Depth=1
	v_dual_mov_b32 v13, v25 :: v_dual_mov_b32 v6, v19
	s_and_b32 s15, s66, 0xfe
	s_mov_b32 s14, 0
	s_branch .LBB32_50
.LBB32_49:                              ;   in Loop: Header=BB32_50 Depth=2
	s_or_b32 exec_lo, exec_lo, s9
	s_waitcnt vmcnt(0)
	v_bfe_i32 v29, v29, 0, 16
	v_add_nc_u32_e32 v13, s48, v13
	s_delay_alu instid0(VALU_DEP_2) | instskip(NEXT) | instid1(VALU_DEP_1)
	v_add_nc_u32_e32 v29, 0x8000, v29
	v_and_b32_e32 v30, s72, v29
	v_bfe_u32 v29, v29, s15, 2
	s_delay_alu instid0(VALU_DEP_2) | instskip(NEXT) | instid1(VALU_DEP_2)
	v_cmp_eq_u32_e32 vcc_lo, s71, v30
	v_cmp_eq_u32_e64 s9, 0, v29
	v_cmp_eq_u32_e64 s10, 1, v29
	;; [unrolled: 1-line block ×4, first 2 shown]
	s_delay_alu instid0(VALU_DEP_4) | instskip(NEXT) | instid1(SALU_CYCLE_1)
	s_and_b32 s9, vcc_lo, s9
	v_cndmask_b32_e64 v29, 0, 1, s9
	s_and_b32 s9, vcc_lo, s10
	s_delay_alu instid0(SALU_CYCLE_1) | instskip(SKIP_1) | instid1(SALU_CYCLE_1)
	v_cndmask_b32_e64 v30, 0, 1, s9
	s_and_b32 s9, vcc_lo, s11
	v_cndmask_b32_e64 v31, 0, 1, s9
	s_and_b32 s9, vcc_lo, s12
	v_cmp_ne_u32_e32 vcc_lo, 0, v29
	v_mov_b32_e32 v29, v14
	v_cndmask_b32_e64 v32, 0, 1, s9
	v_cmp_ne_u32_e64 s9, 0, v30
	v_cmp_ne_u32_e64 s10, 0, v31
	v_cmp_le_i32_e64 s12, s36, v6
	s_bcnt1_i32_b32 s16, vcc_lo
	v_cmp_ne_u32_e64 s11, 0, v32
	s_bcnt1_i32_b32 s9, s9
	s_bcnt1_i32_b32 s10, s10
	v_add_nc_u32_e32 v1, s16, v1
	v_add_nc_u32_e32 v2, s9, v2
	s_bcnt1_i32_b32 s11, s11
	v_add_nc_u32_e32 v3, s10, v3
	v_add_nc_u32_e32 v4, s11, v4
	s_or_b32 s14, s12, s14
	s_delay_alu instid0(SALU_CYCLE_1)
	s_and_not1_b32 exec_lo, exec_lo, s14
	s_cbranch_execz .LBB32_52
.LBB32_50:                              ;   Parent Loop BB32_8 Depth=1
                                        ; =>  This Inner Loop Header: Depth=2
	s_delay_alu instid0(VALU_DEP_1) | instskip(SKIP_2) | instid1(VALU_DEP_2)
	v_add_nc_u32_e32 v6, s44, v6
	v_mov_b32_e32 v14, 0
	s_mov_b32 s9, exec_lo
	v_cmpx_gt_u32_e64 s36, v6
	s_cbranch_execz .LBB32_49
; %bb.51:                               ;   in Loop: Header=BB32_50 Depth=2
	v_ashrrev_i32_e32 v14, 31, v13
	s_delay_alu instid0(VALU_DEP_1) | instskip(NEXT) | instid1(VALU_DEP_1)
	v_lshlrev_b64 v[30:31], 1, v[13:14]
	v_add_co_u32 v30, vcc_lo, s42, v30
	s_delay_alu instid0(VALU_DEP_2)
	v_add_co_ci_u32_e32 v31, vcc_lo, s43, v31, vcc_lo
	global_load_u16 v14, v[30:31], off
	s_branch .LBB32_49
.LBB32_52:                              ;   in Loop: Header=BB32_8 Depth=1
	s_or_b32 exec_lo, exec_lo, s14
.LBB32_53:                              ;   in Loop: Header=BB32_8 Depth=1
	s_delay_alu instid0(SALU_CYCLE_1)
	s_or_b32 exec_lo, exec_lo, s13
	s_branch .LBB32_63
.LBB32_54:                              ;   in Loop: Header=BB32_8 Depth=1
	s_mul_hi_u32 s9, s73, s56
	v_dual_mov_b32 v1, 0 :: v_dual_mov_b32 v2, 0
	s_mul_i32 s9, s9, s46
	v_dual_mov_b32 v3, 0 :: v_dual_mov_b32 v4, 0
	s_sub_i32 s9, s73, s9
	s_mov_b32 s76, 0
	s_sub_i32 s10, s9, s46
	s_cmp_ge_u32 s9, s46
	s_mov_b32 s75, exec_lo
	s_cselect_b32 s9, s10, s9
	s_delay_alu instid0(SALU_CYCLE_1) | instskip(SKIP_2) | instid1(SALU_CYCLE_1)
	s_sub_i32 s10, s9, s46
	s_cmp_ge_u32 s9, s46
	s_cselect_b32 s9, s10, s9
	s_sub_i32 s74, s73, s9
	s_delay_alu instid0(SALU_CYCLE_1)
	v_cmpx_gt_u32_e64 s74, v16
	s_cbranch_execz .LBB32_58
; %bb.55:                               ;   in Loop: Header=BB32_8 Depth=1
	v_dual_mov_b32 v6, v26 :: v_dual_mov_b32 v13, v16
	s_and_b32 s77, s66, 0xfe
	s_mov_b32 s78, 0
	s_mov_b32 s79, 0
	;; [unrolled: 1-line block ×4, first 2 shown]
.LBB32_56:                              ;   Parent Loop BB32_8 Depth=1
                                        ; =>  This Inner Loop Header: Depth=2
	ds_load_b64 v[1:2], v6
	s_waitcnt lgkmcnt(0)
	v_bfe_i32 v3, v1, 0, 16
	v_ashrrev_i32_e32 v1, 16, v1
	v_bfe_i32 v4, v2, 0, 16
	v_ashrrev_i32_e32 v2, 16, v2
	s_delay_alu instid0(VALU_DEP_4) | instskip(NEXT) | instid1(VALU_DEP_4)
	v_add_nc_u32_e32 v3, 0x8000, v3
	v_add_nc_u32_e32 v1, 0x8000, v1
	s_delay_alu instid0(VALU_DEP_4) | instskip(NEXT) | instid1(VALU_DEP_4)
	v_add_nc_u32_e32 v4, 0x8000, v4
	v_add_nc_u32_e32 v2, 0x8000, v2
	s_delay_alu instid0(VALU_DEP_4)
	v_and_b32_e32 v14, s72, v3
	v_bfe_u32 v3, v3, s77, 2
	s_waitcnt vmcnt(0)
	v_and_b32_e32 v29, s72, v1
	v_bfe_u32 v1, v1, s77, 2
	v_and_b32_e32 v30, s72, v4
	v_bfe_u32 v4, v4, s77, 2
	v_cmp_eq_u32_e64 s9, s71, v14
	v_cmp_eq_u32_e64 s13, 0, v3
	v_and_b32_e32 v31, s72, v2
	v_bfe_u32 v2, v2, s77, 2
	v_cmp_eq_u32_e64 s10, s71, v29
	v_cmp_eq_u32_e64 s14, 0, v1
	v_cmp_eq_u32_e64 s11, s71, v30
	v_cmp_eq_u32_e64 s15, 0, v4
	s_and_b32 s13, s9, s13
	v_cmp_eq_u32_e64 s12, s71, v31
	v_cmp_eq_u32_e64 s16, 0, v2
	;; [unrolled: 1-line block ×5, first 2 shown]
	v_cndmask_b32_e64 v1, 0, 1, s13
	s_and_b32 s13, s10, s14
	v_cmp_eq_u32_e64 s17, 1, v3
	v_cmp_eq_u32_e64 s20, 1, v2
	v_cmp_eq_u32_e64 s24, 2, v2
	v_cmp_eq_u32_e64 s28, 3, v2
	v_cndmask_b32_e64 v2, 0, 1, s13
	s_and_b32 s13, s11, s15
	v_cmp_eq_u32_e64 s21, 2, v3
	v_cmp_eq_u32_e64 s25, 3, v3
	v_cndmask_b32_e64 v3, 0, 1, s13
	s_and_b32 s13, s12, s16
	v_cmp_eq_u32_e64 s19, 1, v4
	v_cmp_eq_u32_e64 s23, 2, v4
	;; [unrolled: 1-line block ×3, first 2 shown]
	v_cndmask_b32_e64 v4, 0, 1, s13
	s_and_b32 s13, s9, s17
	s_delay_alu instid0(SALU_CYCLE_1) | instskip(SKIP_1) | instid1(SALU_CYCLE_1)
	v_cndmask_b32_e64 v14, 0, 1, s13
	s_and_b32 s13, s10, s18
	v_cndmask_b32_e64 v29, 0, 1, s13
	s_and_b32 s13, s11, s19
	s_delay_alu instid0(SALU_CYCLE_1) | instskip(SKIP_1) | instid1(VALU_DEP_2)
	v_cndmask_b32_e64 v30, 0, 1, s13
	s_and_b32 s13, s12, s20
	v_cmp_ne_u32_e64 s14, 0, v29
	v_cndmask_b32_e64 v31, 0, 1, s13
	s_and_b32 s13, s9, s21
	s_and_b32 s9, s9, s25
	v_cndmask_b32_e64 v32, 0, 1, s13
	s_and_b32 s13, s10, s22
	v_cndmask_b32_e64 v36, 0, 1, s9
	;; [unrolled: 2-line block ×7, first 2 shown]
	v_cndmask_b32_e64 v39, 0, 1, s9
	v_cmp_ne_u32_e64 s9, 0, v1
	v_cmp_ne_u32_e64 s13, 0, v14
	;; [unrolled: 1-line block ×6, first 2 shown]
	s_bcnt1_i32_b32 s9, s9
	s_bcnt1_i32_b32 s13, s13
	v_cmp_ne_u32_e64 s16, 0, v31
	v_cmp_ne_u32_e64 s18, 0, v33
	;; [unrolled: 1-line block ×3, first 2 shown]
	s_bcnt1_i32_b32 s10, s10
	s_bcnt1_i32_b32 s14, s14
	s_add_i32 s9, s9, s81
	s_add_i32 s13, s13, s80
	v_cmp_ne_u32_e64 s11, 0, v3
	v_cmp_ne_u32_e64 s19, 0, v34
	;; [unrolled: 1-line block ×3, first 2 shown]
	s_bcnt1_i32_b32 s15, s15
	s_add_i32 s9, s9, s10
	s_add_i32 s10, s13, s14
	s_bcnt1_i32_b32 s17, s17
	s_bcnt1_i32_b32 s21, s21
	v_cmp_ne_u32_e64 s12, 0, v4
	v_cmp_ne_u32_e64 s20, 0, v35
	;; [unrolled: 1-line block ×3, first 2 shown]
	s_bcnt1_i32_b32 s16, s16
	s_add_i32 s10, s10, s15
	s_bcnt1_i32_b32 s18, s18
	s_bcnt1_i32_b32 s22, s22
	s_add_i32 s17, s17, s79
	s_add_i32 s21, s21, s78
	s_add_i32 s80, s10, s16
	s_delay_alu instid0(SALU_CYCLE_1)
	v_dual_mov_b32 v2, s80 :: v_dual_add_nc_u32 v13, s46, v13
	s_bcnt1_i32_b32 s11, s11
	s_bcnt1_i32_b32 s19, s19
	;; [unrolled: 1-line block ×3, first 2 shown]
	s_add_i32 s13, s17, s18
	s_add_i32 s14, s21, s22
	s_bcnt1_i32_b32 s12, s12
	s_bcnt1_i32_b32 s20, s20
	;; [unrolled: 1-line block ×3, first 2 shown]
	s_add_i32 s9, s9, s11
	s_add_i32 s11, s13, s19
	;; [unrolled: 1-line block ×3, first 2 shown]
	v_cmp_le_i32_e32 vcc_lo, s74, v13
	s_add_i32 s81, s9, s12
	s_add_i32 s79, s11, s20
	;; [unrolled: 1-line block ×3, first 2 shown]
	v_dual_mov_b32 v1, s81 :: v_dual_add_nc_u32 v6, s61, v6
	v_dual_mov_b32 v3, s79 :: v_dual_mov_b32 v4, s78
	s_or_b32 s76, vcc_lo, s76
	s_delay_alu instid0(SALU_CYCLE_1)
	s_and_not1_b32 exec_lo, exec_lo, s76
	s_cbranch_execnz .LBB32_56
; %bb.57:                               ;   in Loop: Header=BB32_8 Depth=1
	s_or_b32 exec_lo, exec_lo, s76
.LBB32_58:                              ;   in Loop: Header=BB32_8 Depth=1
	s_delay_alu instid0(SALU_CYCLE_1) | instskip(SKIP_2) | instid1(VALU_DEP_1)
	s_or_b32 exec_lo, exec_lo, s75
	v_add_nc_u32_e32 v6, s74, v0
	s_mov_b32 s14, exec_lo
	v_cmpx_gt_i32_e64 s73, v6
	s_cbranch_execz .LBB32_62
; %bb.59:                               ;   in Loop: Header=BB32_8 Depth=1
	v_lshlrev_b32_e32 v13, 1, v6
	s_and_b32 s16, s66, 0xfe
	s_mov_b32 s15, 0
.LBB32_60:                              ;   Parent Loop BB32_8 Depth=1
                                        ; =>  This Inner Loop Header: Depth=2
	ds_load_i16 v14, v13
	v_add_nc_u32_e32 v6, s44, v6
	v_add_nc_u32_e32 v13, s62, v13
	s_delay_alu instid0(VALU_DEP_2) | instskip(SKIP_3) | instid1(VALU_DEP_1)
	v_cmp_le_i32_e32 vcc_lo, s73, v6
	s_waitcnt lgkmcnt(0)
	v_add_nc_u32_e32 v14, 0x8000, v14
	s_waitcnt vmcnt(0)
	v_and_b32_e32 v29, s72, v14
	v_bfe_u32 v14, v14, s16, 2
	s_delay_alu instid0(VALU_DEP_2) | instskip(NEXT) | instid1(VALU_DEP_2)
	v_cmp_eq_u32_e64 s9, s71, v29
	v_cmp_eq_u32_e64 s10, 0, v14
	;; [unrolled: 1-line block ×5, first 2 shown]
	s_delay_alu instid0(VALU_DEP_4) | instskip(NEXT) | instid1(SALU_CYCLE_1)
	s_and_b32 s10, s9, s10
	v_cndmask_b32_e64 v14, 0, 1, s10
	s_and_b32 s10, s9, s11
	s_delay_alu instid0(SALU_CYCLE_1)
	v_cndmask_b32_e64 v29, 0, 1, s10
	s_and_b32 s10, s9, s12
	s_and_b32 s9, s9, s13
	v_cndmask_b32_e64 v30, 0, 1, s10
	v_cndmask_b32_e64 v31, 0, 1, s9
	v_cmp_ne_u32_e64 s9, 0, v14
	v_cmp_ne_u32_e64 s10, 0, v29
	s_delay_alu instid0(VALU_DEP_4) | instskip(NEXT) | instid1(VALU_DEP_4)
	v_cmp_ne_u32_e64 s11, 0, v30
	v_cmp_ne_u32_e64 s12, 0, v31
	s_delay_alu instid0(VALU_DEP_4) | instskip(NEXT) | instid1(VALU_DEP_3)
	s_bcnt1_i32_b32 s9, s9
	s_bcnt1_i32_b32 s10, s10
	v_add_nc_u32_e32 v1, s9, v1
	s_bcnt1_i32_b32 s11, s11
	s_bcnt1_i32_b32 s12, s12
	v_add_nc_u32_e32 v2, s10, v2
	v_add_nc_u32_e32 v3, s11, v3
	;; [unrolled: 1-line block ×3, first 2 shown]
	s_or_b32 s15, vcc_lo, s15
	s_delay_alu instid0(SALU_CYCLE_1)
	s_and_not1_b32 exec_lo, exec_lo, s15
	s_cbranch_execnz .LBB32_60
; %bb.61:                               ;   in Loop: Header=BB32_8 Depth=1
	s_or_b32 exec_lo, exec_lo, s15
.LBB32_62:                              ;   in Loop: Header=BB32_8 Depth=1
	s_delay_alu instid0(SALU_CYCLE_1)
	s_or_b32 exec_lo, exec_lo, s14
.LBB32_63:                              ;   in Loop: Header=BB32_8 Depth=1
	s_lshl_b32 s9, s69, 7
	s_and_saveexec_b32 s10, s4
	s_cbranch_execz .LBB32_65
; %bb.64:                               ;   in Loop: Header=BB32_8 Depth=1
	v_or_b32_e32 v6, s9, v20
	s_delay_alu instid0(VALU_DEP_1)
	v_lshlrev_b32_e32 v6, 2, v6
	ds_store_b128 v6, v[1:4] offset:3072
.LBB32_65:                              ;   in Loop: Header=BB32_8 Depth=1
	s_or_b32 exec_lo, exec_lo, s10
	s_waitcnt vmcnt(0) lgkmcnt(0)
	s_barrier
	buffer_gl0_inv
	s_and_saveexec_b32 s10, s47
	s_cbranch_execz .LBB32_75
; %bb.66:                               ;   in Loop: Header=BB32_8 Depth=1
	v_mov_b32_e32 v1, 0
	s_and_not1_b32 vcc_lo, exec_lo, s51
	s_cbranch_vccnz .LBB32_74
; %bb.67:                               ;   in Loop: Header=BB32_8 Depth=1
	v_mov_b32_e32 v1, 0
	s_and_not1_b32 vcc_lo, exec_lo, s53
	s_mov_b32 s11, 0
	s_cbranch_vccnz .LBB32_71
; %bb.68:                               ;   in Loop: Header=BB32_8 Depth=1
	v_lshl_add_u32 v2, s69, 9, v27
	v_mov_b32_e32 v1, 0
	.p2align	6
.LBB32_69:                              ;   Parent Loop BB32_8 Depth=1
                                        ; =>  This Inner Loop Header: Depth=2
	ds_load_2addr_b32 v[3:4], v2 offset1:4
	ds_load_2addr_b32 v[13:14], v2 offset0:8 offset1:12
	ds_load_2addr_b32 v[29:30], v2 offset0:16 offset1:20
	;; [unrolled: 1-line block ×3, first 2 shown]
	v_add_nc_u32_e32 v2, 0x80, v2
	s_add_i32 s11, s11, 8
	s_delay_alu instid0(SALU_CYCLE_1) | instskip(SKIP_3) | instid1(VALU_DEP_1)
	s_cmp_eq_u32 s54, s11
	s_waitcnt lgkmcnt(3)
	v_add3_u32 v1, v3, v1, v4
	s_waitcnt lgkmcnt(2)
	v_add3_u32 v1, v13, v1, v14
	s_waitcnt lgkmcnt(1)
	s_delay_alu instid0(VALU_DEP_1) | instskip(SKIP_1) | instid1(VALU_DEP_1)
	v_add3_u32 v1, v29, v1, v30
	s_waitcnt lgkmcnt(0)
	v_add3_u32 v1, v31, v1, v32
	s_cbranch_scc0 .LBB32_69
; %bb.70:                               ;   in Loop: Header=BB32_8 Depth=1
	s_mov_b32 s11, s54
.LBB32_71:                              ;   in Loop: Header=BB32_8 Depth=1
	s_and_not1_b32 vcc_lo, exec_lo, s55
	s_cbranch_vccnz .LBB32_74
; %bb.72:                               ;   in Loop: Header=BB32_8 Depth=1
	s_lshl_b32 s12, s69, 9
	s_lshl_b32 s11, s11, 4
	s_delay_alu instid0(SALU_CYCLE_1)
	v_add3_u32 v2, s12, s11, v27
	s_mov_b32 s11, s52
.LBB32_73:                              ;   Parent Loop BB32_8 Depth=1
                                        ; =>  This Inner Loop Header: Depth=2
	ds_load_b32 v3, v2
	v_add_nc_u32_e32 v2, 16, v2
	s_add_i32 s11, s11, -1
	s_delay_alu instid0(SALU_CYCLE_1)
	s_cmp_lg_u32 s11, 0
	s_waitcnt lgkmcnt(0)
	v_add_nc_u32_e32 v1, v3, v1
	s_cbranch_scc1 .LBB32_73
.LBB32_74:                              ;   in Loop: Header=BB32_8 Depth=1
	v_add_lshl_u32 v2, s9, v15, 2
	ds_store_b32 v2, v1 offset:3072
.LBB32_75:                              ;   in Loop: Header=BB32_8 Depth=1
	s_or_b32 exec_lo, exec_lo, s10
	s_lshl_b32 s9, s9, 2
	s_waitcnt lgkmcnt(0)
	v_mov_b32_e32 v1, s9
	s_barrier
	buffer_gl0_inv
	s_and_b32 s18, s66, 0xfe
	s_mov_b32 s14, -1
	ds_load_b128 v[1:4], v1 offset:3072
	s_lshl_b32 s11, 3, s18
	s_delay_alu instid0(SALU_CYCLE_1) | instskip(SKIP_4) | instid1(VALU_DEP_3)
	s_not_b32 s19, s11
	s_waitcnt lgkmcnt(0)
	v_readfirstlane_b32 s13, v1
	v_readfirstlane_b32 s21, v2
	;; [unrolled: 1-line block ×3, first 2 shown]
	s_cmp_eq_u32 s13, 1
	s_cselect_b32 s9, -1, 0
	s_cmp_eq_u32 s37, 1
	s_cselect_b32 s10, -1, 0
	s_delay_alu instid0(SALU_CYCLE_1)
	s_and_b32 s15, s9, s10
	v_readfirstlane_b32 s10, v4
	s_and_b32 vcc_lo, exec_lo, s15
	s_cbranch_vccz .LBB32_87
; %bb.76:                               ;   in Loop: Header=BB32_8 Depth=1
	ds_load_b32 v1, v7 offset:4096
	s_waitcnt lgkmcnt(0)
	s_barrier
	buffer_gl0_inv
	v_readfirstlane_b32 s12, v1
	s_and_saveexec_b32 s9, s0
	s_cbranch_execz .LBB32_78
; %bb.77:                               ;   in Loop: Header=BB32_8 Depth=1
	ds_store_b16 v18, v7
.LBB32_78:                              ;   in Loop: Header=BB32_8 Depth=1
	s_or_b32 exec_lo, exec_lo, s9
	s_and_b32 s71, s71, s19
	s_or_b32 s72, s72, s11
	s_cmp_lt_i32 s12, 1
	s_waitcnt lgkmcnt(0)
	s_barrier
	buffer_gl0_inv
	s_cbranch_scc0 .LBB32_88
; %bb.79:                               ;   in Loop: Header=BB32_8 Depth=1
	s_mov_b32 s9, 0
                                        ; implicit-def: $vgpr28
	s_and_saveexec_b32 s17, s8
	s_cbranch_execz .LBB32_90
; %bb.80:                               ;   in Loop: Header=BB32_8 Depth=1
	v_mov_b32_e32 v1, v5
	v_mov_b32_e32 v3, v0
	s_mov_b32 s20, 0
                                        ; implicit-def: $sgpr22
	s_set_inst_prefetch_distance 0x1
	s_branch .LBB32_82
	.p2align	6
.LBB32_81:                              ;   in Loop: Header=BB32_82 Depth=2
	s_or_b32 exec_lo, exec_lo, s9
	s_waitcnt vmcnt(0) lgkmcnt(0)
	s_barrier
	buffer_gl0_inv
	ds_load_b32 v2, v7 offset:3072
	v_add_nc_u32_e32 v3, s44, v3
	v_add_nc_u32_e32 v1, s48, v1
	s_waitcnt lgkmcnt(0)
	s_barrier
	buffer_gl0_inv
	v_cmp_le_i32_e32 vcc_lo, s59, v3
	v_cmp_ne_u16_e64 s9, 0, v2
	s_delay_alu instid0(VALU_DEP_1) | instskip(NEXT) | instid1(SALU_CYCLE_1)
	s_or_b32 s23, vcc_lo, s9
	s_and_b32 s23, exec_lo, s23
	s_delay_alu instid0(SALU_CYCLE_1) | instskip(SKIP_2) | instid1(SALU_CYCLE_1)
	s_or_b32 s20, s23, s20
	s_and_not1_b32 s22, s22, exec_lo
	s_and_b32 s9, s9, exec_lo
	s_or_b32 s22, s22, s9
	s_and_not1_b32 exec_lo, exec_lo, s20
	s_cbranch_execz .LBB32_89
.LBB32_82:                              ;   Parent Loop BB32_8 Depth=1
                                        ; =>  This Inner Loop Header: Depth=2
	s_delay_alu instid0(VALU_DEP_1)
	v_cmp_gt_i32_e32 vcc_lo, s36, v3
	v_mov_b32_e32 v2, 0
	s_and_saveexec_b32 s23, vcc_lo
	s_cbranch_execz .LBB32_84
; %bb.83:                               ;   in Loop: Header=BB32_82 Depth=2
	v_ashrrev_i32_e32 v2, 31, v1
	s_delay_alu instid0(VALU_DEP_1) | instskip(NEXT) | instid1(VALU_DEP_1)
	v_lshlrev_b64 v[13:14], 1, v[1:2]
	v_add_co_u32 v13, s9, s42, v13
	s_delay_alu instid0(VALU_DEP_1)
	v_add_co_ci_u32_e64 v14, s9, s43, v14, s9
	global_load_u16 v2, v[13:14], off
.LBB32_84:                              ;   in Loop: Header=BB32_82 Depth=2
	s_or_b32 exec_lo, exec_lo, s23
	s_and_saveexec_b32 s9, vcc_lo
	s_cbranch_execz .LBB32_81
; %bb.85:                               ;   in Loop: Header=BB32_82 Depth=2
	s_waitcnt vmcnt(0)
	v_bfe_i32 v4, v2, 0, 16
	s_delay_alu instid0(VALU_DEP_1) | instskip(NEXT) | instid1(VALU_DEP_1)
	v_add_nc_u32_e32 v4, 0x8000, v4
	v_and_b32_e32 v4, s72, v4
	s_delay_alu instid0(VALU_DEP_1)
	v_cmp_eq_u32_e32 vcc_lo, s71, v4
	s_and_b32 exec_lo, exec_lo, vcc_lo
	s_cbranch_execz .LBB32_81
; %bb.86:                               ;   in Loop: Header=BB32_82 Depth=2
	v_perm_b32 v2, v2, 1, 0x5040100
	ds_store_b32 v7, v2 offset:3072
	s_branch .LBB32_81
.LBB32_87:                              ;   in Loop: Header=BB32_8 Depth=1
	s_mov_b32 s9, -1
                                        ; implicit-def: $sgpr17
                                        ; implicit-def: $sgpr22
                                        ; implicit-def: $sgpr20
	s_branch .LBB32_101
.LBB32_88:                              ;   in Loop: Header=BB32_8 Depth=1
	s_mov_b32 s17, -1
	s_mov_b32 s9, 0
                                        ; implicit-def: $sgpr20
                                        ; implicit-def: $vgpr28
	s_mov_b32 s22, s17
	s_cbranch_execnz .LBB32_91
	s_branch .LBB32_101
.LBB32_89:                              ;   in Loop: Header=BB32_8 Depth=1
	s_set_inst_prefetch_distance 0x2
	s_or_b32 exec_lo, exec_lo, s20
	v_lshrrev_b32_e32 v28, 16, v2
	s_and_b32 s9, s22, exec_lo
.LBB32_90:                              ;   in Loop: Header=BB32_8 Depth=1
	s_or_b32 exec_lo, exec_lo, s17
	s_mov_b32 s20, -1
	s_mov_b32 s17, 0
	s_delay_alu instid0(SALU_CYCLE_1)
	s_mov_b32 s22, s17
	s_branch .LBB32_101
.LBB32_91:                              ;   in Loop: Header=BB32_8 Depth=1
	s_add_i32 s20, s12, s49
                                        ; implicit-def: $vgpr28
	s_delay_alu instid0(SALU_CYCLE_1) | instskip(NEXT) | instid1(SALU_CYCLE_1)
	s_abs_i32 s9, s20
	s_mul_hi_u32 s17, s9, s58
	s_delay_alu instid0(SALU_CYCLE_1) | instskip(NEXT) | instid1(SALU_CYCLE_1)
	s_mul_i32 s17, s17, s44
	s_sub_i32 s9, s9, s17
	s_ashr_i32 s17, s20, 31
	s_sub_i32 s22, s9, s44
	s_cmp_ge_u32 s9, s44
	s_cselect_b32 s9, s22, s9
	s_delay_alu instid0(SALU_CYCLE_1) | instskip(SKIP_2) | instid1(SALU_CYCLE_1)
	s_sub_i32 s22, s9, s44
	s_cmp_ge_u32 s9, s44
	s_cselect_b32 s9, s22, s9
	s_xor_b32 s9, s9, s17
	s_delay_alu instid0(SALU_CYCLE_1)
	s_sub_i32 s9, s17, s9
	s_mov_b32 s17, exec_lo
	s_add_i32 s20, s20, s9
	s_mov_b32 s9, 0
	v_cmpx_gt_i32_e64 s20, v0
	s_cbranch_execz .LBB32_100
; %bb.92:                               ;   in Loop: Header=BB32_8 Depth=1
	v_dual_mov_b32 v1, v17 :: v_dual_mov_b32 v2, v0
	s_mov_b32 s22, 0
                                        ; implicit-def: $sgpr23
	s_set_inst_prefetch_distance 0x1
	s_branch .LBB32_94
	.p2align	6
.LBB32_93:                              ;   in Loop: Header=BB32_94 Depth=2
	s_or_b32 exec_lo, exec_lo, s9
	s_waitcnt lgkmcnt(0)
	s_barrier
	buffer_gl0_inv
	ds_load_b32 v3, v7 offset:3072
	v_add_nc_u32_e32 v2, s44, v2
	v_add_nc_u32_e32 v1, s62, v1
	s_waitcnt lgkmcnt(0)
	s_barrier
	buffer_gl0_inv
	v_cmp_le_i32_e32 vcc_lo, s20, v2
	v_cmp_ne_u16_e64 s9, 0, v3
	s_delay_alu instid0(VALU_DEP_1) | instskip(NEXT) | instid1(SALU_CYCLE_1)
	s_or_b32 s24, vcc_lo, s9
	s_and_b32 s24, exec_lo, s24
	s_delay_alu instid0(SALU_CYCLE_1) | instskip(SKIP_2) | instid1(SALU_CYCLE_1)
	s_or_b32 s22, s24, s22
	s_and_not1_b32 s23, s23, exec_lo
	s_and_b32 s9, s9, exec_lo
	s_or_b32 s23, s23, s9
	s_and_not1_b32 exec_lo, exec_lo, s22
	s_cbranch_execz .LBB32_99
.LBB32_94:                              ;   Parent Loop BB32_8 Depth=1
                                        ; =>  This Inner Loop Header: Depth=2
	s_delay_alu instid0(VALU_DEP_1)
	v_cmp_gt_i32_e32 vcc_lo, s12, v2
	v_mov_b32_e32 v3, 0
	s_and_saveexec_b32 s9, vcc_lo
	s_cbranch_execz .LBB32_96
; %bb.95:                               ;   in Loop: Header=BB32_94 Depth=2
	ds_load_u16 v3, v1
.LBB32_96:                              ;   in Loop: Header=BB32_94 Depth=2
	s_or_b32 exec_lo, exec_lo, s9
	s_and_saveexec_b32 s9, vcc_lo
	s_cbranch_execz .LBB32_93
; %bb.97:                               ;   in Loop: Header=BB32_94 Depth=2
	s_waitcnt lgkmcnt(0)
	v_bfe_i32 v4, v3, 0, 16
	s_delay_alu instid0(VALU_DEP_1) | instskip(NEXT) | instid1(VALU_DEP_1)
	v_add_nc_u32_e32 v4, 0x8000, v4
	v_and_b32_e32 v4, s72, v4
	s_delay_alu instid0(VALU_DEP_1)
	v_cmp_eq_u32_e32 vcc_lo, s71, v4
	s_and_b32 exec_lo, exec_lo, vcc_lo
	s_cbranch_execz .LBB32_93
; %bb.98:                               ;   in Loop: Header=BB32_94 Depth=2
	v_perm_b32 v3, v3, 1, 0x5040100
	ds_store_b32 v7, v3 offset:3072
	s_branch .LBB32_93
.LBB32_99:                              ;   in Loop: Header=BB32_8 Depth=1
	s_set_inst_prefetch_distance 0x2
	s_or_b32 exec_lo, exec_lo, s22
	v_lshrrev_b32_e32 v28, 16, v3
	s_and_b32 s9, s23, exec_lo
.LBB32_100:                             ;   in Loop: Header=BB32_8 Depth=1
	s_or_b32 exec_lo, exec_lo, s17
	s_mov_b32 s22, -1
	s_mov_b32 s17, 0
	s_mov_b32 s20, 0
.LBB32_101:                             ;   in Loop: Header=BB32_8 Depth=1
	s_and_not1_b32 s12, s67, exec_lo
	s_and_b32 s17, s17, exec_lo
	s_and_b32 s20, s20, exec_lo
	s_or_b32 s67, s12, s17
	s_and_not1_b32 s12, s70, exec_lo
	s_and_b32 s17, s22, exec_lo
	s_and_not1_b32 s22, s68, exec_lo
	s_or_b32 s70, s12, s17
	s_or_b32 s68, s22, s20
	s_and_saveexec_b32 s12, s9
	s_cbranch_execz .LBB32_7
; %bb.102:                              ;   in Loop: Header=BB32_8 Depth=1
	s_xor_b32 s9, s15, -1
	s_mov_b32 s14, 0
	s_and_not1_b32 vcc_lo, exec_lo, s9
	s_mov_b32 s22, 1
	s_cbranch_vccnz .LBB32_113
; %bb.103:                              ;   in Loop: Header=BB32_8 Depth=1
	s_cmp_gt_i32 s37, s13
	s_mov_b32 s14, -1
                                        ; implicit-def: $sgpr9
                                        ; implicit-def: $sgpr15
                                        ; implicit-def: $sgpr17
	s_cbranch_scc1 .LBB32_109
; %bb.104:                              ;   in Loop: Header=BB32_8 Depth=1
	ds_load_b32 v1, v7 offset:4096
	s_waitcnt lgkmcnt(0)
	v_cmp_ne_u32_e32 vcc_lo, 0, v1
	s_cbranch_vccnz .LBB32_108
; %bb.105:                              ;   in Loop: Header=BB32_8 Depth=1
	s_and_saveexec_b32 s9, s2
	s_cbranch_execz .LBB32_107
; %bb.106:                              ;   in Loop: Header=BB32_8 Depth=1
	v_mov_b32_e32 v1, s13
	ds_store_b32 v7, v1 offset:4100
.LBB32_107:                             ;   in Loop: Header=BB32_8 Depth=1
	s_or_b32 exec_lo, exec_lo, s9
	s_waitcnt lgkmcnt(0)
	s_barrier
	buffer_gl0_inv
.LBB32_108:                             ;   in Loop: Header=BB32_8 Depth=1
	s_and_b32 s15, s71, s19
	s_or_b32 s17, s72, s11
	s_mov_b32 s14, 0
	s_mov_b32 s9, 8
.LBB32_109:                             ;   in Loop: Header=BB32_8 Depth=1
	s_and_not1_b32 vcc_lo, exec_lo, s14
	s_cbranch_vccnz .LBB32_111
; %bb.110:                              ;   in Loop: Header=BB32_8 Depth=1
	s_sub_i32 s37, s37, s13
	s_mov_b32 s14, -1
	s_mov_b32 s9, 0
	s_mov_b32 s15, s71
	;; [unrolled: 1-line block ×3, first 2 shown]
.LBB32_111:                             ;   in Loop: Header=BB32_8 Depth=1
	s_delay_alu instid0(SALU_CYCLE_1)
	s_mov_b32 s72, s17
	s_mov_b32 s71, s15
	;; [unrolled: 1-line block ×3, first 2 shown]
	s_and_b32 vcc_lo, exec_lo, s14
	s_mov_b32 s13, -1
	s_cbranch_vccnz .LBB32_114
.LBB32_112:                             ;   in Loop: Header=BB32_8 Depth=1
	s_mov_b32 s25, -1
                                        ; implicit-def: $sgpr14
                                        ; implicit-def: $sgpr17
                                        ; implicit-def: $sgpr15
	s_delay_alu instid0(SALU_CYCLE_1) | instskip(NEXT) | instid1(SALU_CYCLE_1)
	s_and_saveexec_b32 s10, s25
	s_xor_b32 s10, exec_lo, s10
	s_cbranch_execz .LBB32_6
	s_branch .LBB32_237
.LBB32_113:                             ;   in Loop: Header=BB32_8 Depth=1
	s_mov_b32 s9, 1
	s_and_b32 vcc_lo, exec_lo, s14
	s_mov_b32 s13, -1
	s_cbranch_vccz .LBB32_112
.LBB32_114:                             ;   in Loop: Header=BB32_8 Depth=1
	s_cmp_eq_u32 s21, 1
	s_mov_b32 s24, -1
	s_cselect_b32 s9, -1, 0
	s_cmp_eq_u32 s22, 1
	s_cselect_b32 s14, -1, 0
	s_delay_alu instid0(SALU_CYCLE_1) | instskip(NEXT) | instid1(SALU_CYCLE_1)
	s_and_b32 s23, s9, s14
	s_and_b32 vcc_lo, exec_lo, s23
	s_cbranch_vccz .LBB32_126
; %bb.115:                              ;   in Loop: Header=BB32_8 Depth=1
	ds_load_b32 v1, v7 offset:4096
	s_waitcnt lgkmcnt(0)
	s_barrier
	buffer_gl0_inv
	v_readfirstlane_b32 s20, v1
	s_and_saveexec_b32 s9, s0
	s_cbranch_execz .LBB32_117
; %bb.116:                              ;   in Loop: Header=BB32_8 Depth=1
	ds_store_b16 v18, v7
.LBB32_117:                             ;   in Loop: Header=BB32_8 Depth=1
	s_or_b32 exec_lo, exec_lo, s9
	s_lshl_b32 s9, 1, s18
	s_and_b32 s14, s71, s19
	s_or_b32 s72, s72, s11
	s_or_b32 s71, s14, s9
	s_cmp_gt_i32 s20, 0
	s_waitcnt lgkmcnt(0)
	s_barrier
	buffer_gl0_inv
	s_cbranch_scc1 .LBB32_127
; %bb.118:                              ;   in Loop: Header=BB32_8 Depth=1
	s_mov_b32 s24, 0
                                        ; implicit-def: $vgpr28
	s_and_saveexec_b32 s14, s8
	s_cbranch_execz .LBB32_129
; %bb.119:                              ;   in Loop: Header=BB32_8 Depth=1
	v_mov_b32_e32 v1, v5
	v_mov_b32_e32 v3, v0
	s_mov_b32 s15, 0
                                        ; implicit-def: $sgpr17
	s_set_inst_prefetch_distance 0x1
	s_branch .LBB32_121
	.p2align	6
.LBB32_120:                             ;   in Loop: Header=BB32_121 Depth=2
	s_or_b32 exec_lo, exec_lo, s9
	s_waitcnt vmcnt(0) lgkmcnt(0)
	s_barrier
	buffer_gl0_inv
	ds_load_b32 v2, v7 offset:3072
	v_add_nc_u32_e32 v3, s44, v3
	v_add_nc_u32_e32 v1, s48, v1
	s_waitcnt lgkmcnt(0)
	s_barrier
	buffer_gl0_inv
	v_cmp_le_i32_e32 vcc_lo, s59, v3
	v_cmp_ne_u16_e64 s9, 0, v2
	s_delay_alu instid0(VALU_DEP_1) | instskip(NEXT) | instid1(SALU_CYCLE_1)
	s_or_b32 s24, vcc_lo, s9
	s_and_b32 s24, exec_lo, s24
	s_delay_alu instid0(SALU_CYCLE_1) | instskip(SKIP_2) | instid1(SALU_CYCLE_1)
	s_or_b32 s15, s24, s15
	s_and_not1_b32 s17, s17, exec_lo
	s_and_b32 s9, s9, exec_lo
	s_or_b32 s17, s17, s9
	s_and_not1_b32 exec_lo, exec_lo, s15
	s_cbranch_execz .LBB32_128
.LBB32_121:                             ;   Parent Loop BB32_8 Depth=1
                                        ; =>  This Inner Loop Header: Depth=2
	s_delay_alu instid0(VALU_DEP_1)
	v_cmp_gt_i32_e32 vcc_lo, s36, v3
	v_mov_b32_e32 v2, 0
	s_and_saveexec_b32 s24, vcc_lo
	s_cbranch_execz .LBB32_123
; %bb.122:                              ;   in Loop: Header=BB32_121 Depth=2
	v_ashrrev_i32_e32 v2, 31, v1
	s_delay_alu instid0(VALU_DEP_1) | instskip(NEXT) | instid1(VALU_DEP_1)
	v_lshlrev_b64 v[13:14], 1, v[1:2]
	v_add_co_u32 v13, s9, s42, v13
	s_delay_alu instid0(VALU_DEP_1)
	v_add_co_ci_u32_e64 v14, s9, s43, v14, s9
	global_load_u16 v2, v[13:14], off
.LBB32_123:                             ;   in Loop: Header=BB32_121 Depth=2
	s_or_b32 exec_lo, exec_lo, s24
	s_and_saveexec_b32 s9, vcc_lo
	s_cbranch_execz .LBB32_120
; %bb.124:                              ;   in Loop: Header=BB32_121 Depth=2
	s_waitcnt vmcnt(0)
	v_bfe_i32 v4, v2, 0, 16
	s_delay_alu instid0(VALU_DEP_1) | instskip(NEXT) | instid1(VALU_DEP_1)
	v_add_nc_u32_e32 v4, 0x8000, v4
	v_and_b32_e32 v4, s72, v4
	s_delay_alu instid0(VALU_DEP_1)
	v_cmp_eq_u32_e32 vcc_lo, s71, v4
	s_and_b32 exec_lo, exec_lo, vcc_lo
	s_cbranch_execz .LBB32_120
; %bb.125:                              ;   in Loop: Header=BB32_121 Depth=2
	v_perm_b32 v2, v2, 1, 0x5040100
	ds_store_b32 v7, v2 offset:3072
	s_branch .LBB32_120
.LBB32_126:                             ;   in Loop: Header=BB32_8 Depth=1
                                        ; implicit-def: $sgpr15
                                        ; implicit-def: $sgpr17
                                        ; implicit-def: $sgpr14
	s_branch .LBB32_140
.LBB32_127:                             ;   in Loop: Header=BB32_8 Depth=1
	s_mov_b32 s15, -1
	s_mov_b32 s24, 0
                                        ; implicit-def: $sgpr14
                                        ; implicit-def: $vgpr28
	s_mov_b32 s17, s15
	s_cbranch_execnz .LBB32_130
	s_branch .LBB32_140
.LBB32_128:                             ;   in Loop: Header=BB32_8 Depth=1
	s_set_inst_prefetch_distance 0x2
	s_or_b32 exec_lo, exec_lo, s15
	v_lshrrev_b32_e32 v28, 16, v2
	s_and_b32 s24, s17, exec_lo
.LBB32_129:                             ;   in Loop: Header=BB32_8 Depth=1
	s_or_b32 exec_lo, exec_lo, s14
	s_mov_b32 s14, -1
	s_mov_b32 s15, 0
	s_delay_alu instid0(SALU_CYCLE_1)
	s_mov_b32 s17, s15
	s_branch .LBB32_140
.LBB32_130:                             ;   in Loop: Header=BB32_8 Depth=1
	s_add_i32 s15, s20, s49
	s_mov_b32 s24, 0
	s_abs_i32 s9, s15
                                        ; implicit-def: $vgpr28
	s_delay_alu instid0(SALU_CYCLE_1) | instskip(NEXT) | instid1(SALU_CYCLE_1)
	s_mul_hi_u32 s14, s9, s58
	s_mul_i32 s14, s14, s44
	s_delay_alu instid0(SALU_CYCLE_1) | instskip(SKIP_4) | instid1(SALU_CYCLE_1)
	s_sub_i32 s9, s9, s14
	s_ashr_i32 s14, s15, 31
	s_sub_i32 s17, s9, s44
	s_cmp_ge_u32 s9, s44
	s_cselect_b32 s9, s17, s9
	s_sub_i32 s17, s9, s44
	s_cmp_ge_u32 s9, s44
	s_cselect_b32 s9, s17, s9
	s_delay_alu instid0(SALU_CYCLE_1) | instskip(NEXT) | instid1(SALU_CYCLE_1)
	s_xor_b32 s9, s9, s14
	s_sub_i32 s9, s14, s9
	s_mov_b32 s14, exec_lo
	s_add_i32 s15, s15, s9
	s_delay_alu instid0(SALU_CYCLE_1)
	v_cmpx_gt_i32_e64 s15, v0
	s_cbranch_execz .LBB32_139
; %bb.131:                              ;   in Loop: Header=BB32_8 Depth=1
	v_dual_mov_b32 v1, v17 :: v_dual_mov_b32 v2, v0
	s_mov_b32 s17, 0
                                        ; implicit-def: $sgpr24
	s_set_inst_prefetch_distance 0x1
	s_branch .LBB32_133
	.p2align	6
.LBB32_132:                             ;   in Loop: Header=BB32_133 Depth=2
	s_or_b32 exec_lo, exec_lo, s9
	s_waitcnt lgkmcnt(0)
	s_barrier
	buffer_gl0_inv
	ds_load_b32 v3, v7 offset:3072
	v_add_nc_u32_e32 v2, s44, v2
	v_add_nc_u32_e32 v1, s62, v1
	s_waitcnt lgkmcnt(0)
	s_barrier
	buffer_gl0_inv
	v_cmp_le_i32_e32 vcc_lo, s15, v2
	v_cmp_ne_u16_e64 s9, 0, v3
	s_delay_alu instid0(VALU_DEP_1) | instskip(NEXT) | instid1(SALU_CYCLE_1)
	s_or_b32 s25, vcc_lo, s9
	s_and_b32 s25, exec_lo, s25
	s_delay_alu instid0(SALU_CYCLE_1) | instskip(SKIP_2) | instid1(SALU_CYCLE_1)
	s_or_b32 s17, s25, s17
	s_and_not1_b32 s24, s24, exec_lo
	s_and_b32 s9, s9, exec_lo
	s_or_b32 s24, s24, s9
	s_and_not1_b32 exec_lo, exec_lo, s17
	s_cbranch_execz .LBB32_138
.LBB32_133:                             ;   Parent Loop BB32_8 Depth=1
                                        ; =>  This Inner Loop Header: Depth=2
	s_delay_alu instid0(VALU_DEP_1)
	v_cmp_gt_i32_e32 vcc_lo, s20, v2
	v_mov_b32_e32 v3, 0
	s_and_saveexec_b32 s9, vcc_lo
	s_cbranch_execz .LBB32_135
; %bb.134:                              ;   in Loop: Header=BB32_133 Depth=2
	ds_load_u16 v3, v1
.LBB32_135:                             ;   in Loop: Header=BB32_133 Depth=2
	s_or_b32 exec_lo, exec_lo, s9
	s_and_saveexec_b32 s9, vcc_lo
	s_cbranch_execz .LBB32_132
; %bb.136:                              ;   in Loop: Header=BB32_133 Depth=2
	s_waitcnt lgkmcnt(0)
	v_bfe_i32 v4, v3, 0, 16
	s_delay_alu instid0(VALU_DEP_1) | instskip(NEXT) | instid1(VALU_DEP_1)
	v_add_nc_u32_e32 v4, 0x8000, v4
	v_and_b32_e32 v4, s72, v4
	s_delay_alu instid0(VALU_DEP_1)
	v_cmp_eq_u32_e32 vcc_lo, s71, v4
	s_and_b32 exec_lo, exec_lo, vcc_lo
	s_cbranch_execz .LBB32_132
; %bb.137:                              ;   in Loop: Header=BB32_133 Depth=2
	v_perm_b32 v3, v3, 1, 0x5040100
	ds_store_b32 v7, v3 offset:3072
	s_branch .LBB32_132
.LBB32_138:                             ;   in Loop: Header=BB32_8 Depth=1
	s_set_inst_prefetch_distance 0x2
	s_or_b32 exec_lo, exec_lo, s17
	v_lshrrev_b32_e32 v28, 16, v3
	s_and_b32 s24, s24, exec_lo
.LBB32_139:                             ;   in Loop: Header=BB32_8 Depth=1
	s_or_b32 exec_lo, exec_lo, s14
	s_mov_b32 s17, -1
	s_mov_b32 s15, 0
	s_mov_b32 s14, 0
.LBB32_140:                             ;   in Loop: Header=BB32_8 Depth=1
	s_mov_b32 s25, 0
                                        ; implicit-def: $sgpr9
	s_and_saveexec_b32 s20, s24
	s_cbranch_execz .LBB32_236
; %bb.141:                              ;   in Loop: Header=BB32_8 Depth=1
	s_xor_b32 s9, s23, -1
	s_mov_b32 s23, 0
	s_and_not1_b32 vcc_lo, exec_lo, s9
	s_mov_b32 s26, 1
	s_cbranch_vccnz .LBB32_152
; %bb.142:                              ;   in Loop: Header=BB32_8 Depth=1
	s_cmp_gt_i32 s22, s21
	s_mov_b32 s23, -1
                                        ; implicit-def: $sgpr9
                                        ; implicit-def: $sgpr24
                                        ; implicit-def: $sgpr25
	s_cbranch_scc1 .LBB32_148
; %bb.143:                              ;   in Loop: Header=BB32_8 Depth=1
	ds_load_b32 v1, v7 offset:4096
	s_waitcnt lgkmcnt(0)
	v_cmp_ne_u32_e32 vcc_lo, 0, v1
	s_cbranch_vccnz .LBB32_147
; %bb.144:                              ;   in Loop: Header=BB32_8 Depth=1
	s_and_saveexec_b32 s9, s2
	s_cbranch_execz .LBB32_146
; %bb.145:                              ;   in Loop: Header=BB32_8 Depth=1
	v_mov_b32_e32 v1, s21
	ds_store_b32 v7, v1 offset:4100
.LBB32_146:                             ;   in Loop: Header=BB32_8 Depth=1
	s_or_b32 exec_lo, exec_lo, s9
	s_waitcnt lgkmcnt(0)
	s_barrier
	buffer_gl0_inv
.LBB32_147:                             ;   in Loop: Header=BB32_8 Depth=1
	s_lshl_b32 s9, 1, s18
	s_and_b32 s23, s71, s19
	s_or_b32 s25, s72, s11
	s_or_b32 s24, s23, s9
	s_mov_b32 s23, 0
	s_mov_b32 s9, 8
.LBB32_148:                             ;   in Loop: Header=BB32_8 Depth=1
	s_and_not1_b32 vcc_lo, exec_lo, s23
	s_cbranch_vccnz .LBB32_150
; %bb.149:                              ;   in Loop: Header=BB32_8 Depth=1
	s_sub_i32 s22, s22, s21
	s_mov_b32 s23, -1
	s_mov_b32 s9, 0
	s_mov_b32 s24, s71
	;; [unrolled: 1-line block ×3, first 2 shown]
.LBB32_150:                             ;   in Loop: Header=BB32_8 Depth=1
	s_delay_alu instid0(SALU_CYCLE_1)
	s_mov_b32 s72, s25
	s_mov_b32 s71, s24
	;; [unrolled: 1-line block ×3, first 2 shown]
	s_and_not1_b32 vcc_lo, exec_lo, s23
	s_mov_b32 s28, -1
	s_cbranch_vccz .LBB32_153
.LBB32_151:                             ;   in Loop: Header=BB32_8 Depth=1
                                        ; implicit-def: $sgpr22
                                        ; implicit-def: $sgpr23
                                        ; implicit-def: $sgpr21
	s_branch .LBB32_235
.LBB32_152:                             ;   in Loop: Header=BB32_8 Depth=1
	s_mov_b32 s9, 1
	s_and_not1_b32 vcc_lo, exec_lo, s23
	s_mov_b32 s28, -1
	s_cbranch_vccnz .LBB32_151
.LBB32_153:                             ;   in Loop: Header=BB32_8 Depth=1
	s_cmp_eq_u32 s16, 1
	s_mov_b32 s27, -1
	s_cselect_b32 s9, -1, 0
	s_cmp_eq_u32 s26, 1
	s_cselect_b32 s21, -1, 0
	s_delay_alu instid0(SALU_CYCLE_1) | instskip(NEXT) | instid1(SALU_CYCLE_1)
	s_and_b32 s25, s9, s21
	s_and_b32 vcc_lo, exec_lo, s25
	s_cbranch_vccz .LBB32_165
; %bb.154:                              ;   in Loop: Header=BB32_8 Depth=1
	ds_load_b32 v1, v7 offset:4096
	s_waitcnt lgkmcnt(0)
	s_barrier
	buffer_gl0_inv
	v_readfirstlane_b32 s24, v1
	s_and_saveexec_b32 s9, s0
	s_cbranch_execz .LBB32_156
; %bb.155:                              ;   in Loop: Header=BB32_8 Depth=1
	ds_store_b16 v18, v7
.LBB32_156:                             ;   in Loop: Header=BB32_8 Depth=1
	s_or_b32 exec_lo, exec_lo, s9
	s_lshl_b32 s9, 2, s18
	s_and_b32 s21, s71, s19
	s_or_b32 s72, s72, s11
	s_or_b32 s71, s21, s9
	s_cmp_gt_i32 s24, 0
	s_waitcnt lgkmcnt(0)
	s_barrier
	buffer_gl0_inv
	s_cbranch_scc1 .LBB32_166
; %bb.157:                              ;   in Loop: Header=BB32_8 Depth=1
	s_mov_b32 s27, 0
                                        ; implicit-def: $vgpr28
	s_and_saveexec_b32 s21, s8
	s_cbranch_execz .LBB32_168
; %bb.158:                              ;   in Loop: Header=BB32_8 Depth=1
	v_mov_b32_e32 v1, v5
	v_mov_b32_e32 v3, v0
	s_mov_b32 s22, 0
                                        ; implicit-def: $sgpr23
	s_set_inst_prefetch_distance 0x1
	s_branch .LBB32_160
	.p2align	6
.LBB32_159:                             ;   in Loop: Header=BB32_160 Depth=2
	s_or_b32 exec_lo, exec_lo, s9
	s_waitcnt vmcnt(0) lgkmcnt(0)
	s_barrier
	buffer_gl0_inv
	ds_load_b32 v2, v7 offset:3072
	v_add_nc_u32_e32 v3, s44, v3
	v_add_nc_u32_e32 v1, s48, v1
	s_waitcnt lgkmcnt(0)
	s_barrier
	buffer_gl0_inv
	v_cmp_le_i32_e32 vcc_lo, s59, v3
	v_cmp_ne_u16_e64 s9, 0, v2
	s_delay_alu instid0(VALU_DEP_1) | instskip(NEXT) | instid1(SALU_CYCLE_1)
	s_or_b32 s27, vcc_lo, s9
	s_and_b32 s27, exec_lo, s27
	s_delay_alu instid0(SALU_CYCLE_1) | instskip(SKIP_2) | instid1(SALU_CYCLE_1)
	s_or_b32 s22, s27, s22
	s_and_not1_b32 s23, s23, exec_lo
	s_and_b32 s9, s9, exec_lo
	s_or_b32 s23, s23, s9
	s_and_not1_b32 exec_lo, exec_lo, s22
	s_cbranch_execz .LBB32_167
.LBB32_160:                             ;   Parent Loop BB32_8 Depth=1
                                        ; =>  This Inner Loop Header: Depth=2
	s_delay_alu instid0(VALU_DEP_1)
	v_cmp_gt_i32_e32 vcc_lo, s36, v3
	v_mov_b32_e32 v2, 0
	s_and_saveexec_b32 s27, vcc_lo
	s_cbranch_execz .LBB32_162
; %bb.161:                              ;   in Loop: Header=BB32_160 Depth=2
	v_ashrrev_i32_e32 v2, 31, v1
	s_delay_alu instid0(VALU_DEP_1) | instskip(NEXT) | instid1(VALU_DEP_1)
	v_lshlrev_b64 v[13:14], 1, v[1:2]
	v_add_co_u32 v13, s9, s42, v13
	s_delay_alu instid0(VALU_DEP_1)
	v_add_co_ci_u32_e64 v14, s9, s43, v14, s9
	global_load_u16 v2, v[13:14], off
.LBB32_162:                             ;   in Loop: Header=BB32_160 Depth=2
	s_or_b32 exec_lo, exec_lo, s27
	s_and_saveexec_b32 s9, vcc_lo
	s_cbranch_execz .LBB32_159
; %bb.163:                              ;   in Loop: Header=BB32_160 Depth=2
	s_waitcnt vmcnt(0)
	v_bfe_i32 v4, v2, 0, 16
	s_delay_alu instid0(VALU_DEP_1) | instskip(NEXT) | instid1(VALU_DEP_1)
	v_add_nc_u32_e32 v4, 0x8000, v4
	v_and_b32_e32 v4, s72, v4
	s_delay_alu instid0(VALU_DEP_1)
	v_cmp_eq_u32_e32 vcc_lo, s71, v4
	s_and_b32 exec_lo, exec_lo, vcc_lo
	s_cbranch_execz .LBB32_159
; %bb.164:                              ;   in Loop: Header=BB32_160 Depth=2
	v_perm_b32 v2, v2, 1, 0x5040100
	ds_store_b32 v7, v2 offset:3072
	s_branch .LBB32_159
.LBB32_165:                             ;   in Loop: Header=BB32_8 Depth=1
                                        ; implicit-def: $sgpr21
                                        ; implicit-def: $sgpr23
                                        ; implicit-def: $sgpr22
	s_branch .LBB32_179
.LBB32_166:                             ;   in Loop: Header=BB32_8 Depth=1
	s_mov_b32 s21, -1
	s_mov_b32 s27, 0
                                        ; implicit-def: $sgpr22
                                        ; implicit-def: $vgpr28
	s_mov_b32 s23, s21
	s_cbranch_execnz .LBB32_169
	s_branch .LBB32_179
.LBB32_167:                             ;   in Loop: Header=BB32_8 Depth=1
	s_set_inst_prefetch_distance 0x2
	s_or_b32 exec_lo, exec_lo, s22
	v_lshrrev_b32_e32 v28, 16, v2
	s_and_b32 s27, s23, exec_lo
.LBB32_168:                             ;   in Loop: Header=BB32_8 Depth=1
	s_or_b32 exec_lo, exec_lo, s21
	s_mov_b32 s22, -1
	s_mov_b32 s21, 0
	s_delay_alu instid0(SALU_CYCLE_1)
	s_mov_b32 s23, s21
	s_branch .LBB32_179
.LBB32_169:                             ;   in Loop: Header=BB32_8 Depth=1
	s_add_i32 s22, s24, s49
	s_mov_b32 s27, 0
	s_abs_i32 s9, s22
                                        ; implicit-def: $vgpr28
	s_delay_alu instid0(SALU_CYCLE_1) | instskip(NEXT) | instid1(SALU_CYCLE_1)
	s_mul_hi_u32 s21, s9, s58
	s_mul_i32 s21, s21, s44
	s_delay_alu instid0(SALU_CYCLE_1) | instskip(SKIP_4) | instid1(SALU_CYCLE_1)
	s_sub_i32 s9, s9, s21
	s_ashr_i32 s21, s22, 31
	s_sub_i32 s23, s9, s44
	s_cmp_ge_u32 s9, s44
	s_cselect_b32 s9, s23, s9
	s_sub_i32 s23, s9, s44
	s_cmp_ge_u32 s9, s44
	s_cselect_b32 s9, s23, s9
	s_delay_alu instid0(SALU_CYCLE_1) | instskip(NEXT) | instid1(SALU_CYCLE_1)
	s_xor_b32 s9, s9, s21
	s_sub_i32 s9, s21, s9
	s_mov_b32 s21, exec_lo
	s_add_i32 s22, s22, s9
	s_delay_alu instid0(SALU_CYCLE_1)
	v_cmpx_gt_i32_e64 s22, v0
	s_cbranch_execz .LBB32_178
; %bb.170:                              ;   in Loop: Header=BB32_8 Depth=1
	v_dual_mov_b32 v1, v17 :: v_dual_mov_b32 v2, v0
	s_mov_b32 s23, 0
                                        ; implicit-def: $sgpr27
	s_set_inst_prefetch_distance 0x1
	s_branch .LBB32_172
	.p2align	6
.LBB32_171:                             ;   in Loop: Header=BB32_172 Depth=2
	s_or_b32 exec_lo, exec_lo, s9
	s_waitcnt lgkmcnt(0)
	s_barrier
	buffer_gl0_inv
	ds_load_b32 v3, v7 offset:3072
	v_add_nc_u32_e32 v2, s44, v2
	v_add_nc_u32_e32 v1, s62, v1
	s_waitcnt lgkmcnt(0)
	s_barrier
	buffer_gl0_inv
	v_cmp_le_i32_e32 vcc_lo, s22, v2
	v_cmp_ne_u16_e64 s9, 0, v3
	s_delay_alu instid0(VALU_DEP_1) | instskip(NEXT) | instid1(SALU_CYCLE_1)
	s_or_b32 s28, vcc_lo, s9
	s_and_b32 s28, exec_lo, s28
	s_delay_alu instid0(SALU_CYCLE_1) | instskip(SKIP_2) | instid1(SALU_CYCLE_1)
	s_or_b32 s23, s28, s23
	s_and_not1_b32 s27, s27, exec_lo
	s_and_b32 s9, s9, exec_lo
	s_or_b32 s27, s27, s9
	s_and_not1_b32 exec_lo, exec_lo, s23
	s_cbranch_execz .LBB32_177
.LBB32_172:                             ;   Parent Loop BB32_8 Depth=1
                                        ; =>  This Inner Loop Header: Depth=2
	s_delay_alu instid0(VALU_DEP_1)
	v_cmp_gt_i32_e32 vcc_lo, s24, v2
	v_mov_b32_e32 v3, 0
	s_and_saveexec_b32 s9, vcc_lo
	s_cbranch_execz .LBB32_174
; %bb.173:                              ;   in Loop: Header=BB32_172 Depth=2
	ds_load_u16 v3, v1
.LBB32_174:                             ;   in Loop: Header=BB32_172 Depth=2
	s_or_b32 exec_lo, exec_lo, s9
	s_and_saveexec_b32 s9, vcc_lo
	s_cbranch_execz .LBB32_171
; %bb.175:                              ;   in Loop: Header=BB32_172 Depth=2
	s_waitcnt lgkmcnt(0)
	v_bfe_i32 v4, v3, 0, 16
	s_delay_alu instid0(VALU_DEP_1) | instskip(NEXT) | instid1(VALU_DEP_1)
	v_add_nc_u32_e32 v4, 0x8000, v4
	v_and_b32_e32 v4, s72, v4
	s_delay_alu instid0(VALU_DEP_1)
	v_cmp_eq_u32_e32 vcc_lo, s71, v4
	s_and_b32 exec_lo, exec_lo, vcc_lo
	s_cbranch_execz .LBB32_171
; %bb.176:                              ;   in Loop: Header=BB32_172 Depth=2
	v_perm_b32 v3, v3, 1, 0x5040100
	ds_store_b32 v7, v3 offset:3072
	s_branch .LBB32_171
.LBB32_177:                             ;   in Loop: Header=BB32_8 Depth=1
	s_set_inst_prefetch_distance 0x2
	s_or_b32 exec_lo, exec_lo, s23
	v_lshrrev_b32_e32 v28, 16, v3
	s_and_b32 s27, s27, exec_lo
.LBB32_178:                             ;   in Loop: Header=BB32_8 Depth=1
	s_or_b32 exec_lo, exec_lo, s21
	s_mov_b32 s23, -1
	s_mov_b32 s21, 0
	s_mov_b32 s22, 0
.LBB32_179:                             ;   in Loop: Header=BB32_8 Depth=1
	s_mov_b32 s28, 0
                                        ; implicit-def: $sgpr9
	s_and_saveexec_b32 s24, s27
	s_cbranch_execz .LBB32_234
; %bb.180:                              ;   in Loop: Header=BB32_8 Depth=1
	s_xor_b32 s9, s25, -1
	s_mov_b32 s27, 0
	s_and_not1_b32 vcc_lo, exec_lo, s9
	s_mov_b32 s25, 1
	s_cbranch_vccnz .LBB32_191
; %bb.181:                              ;   in Loop: Header=BB32_8 Depth=1
	s_cmp_gt_i32 s26, s16
	s_mov_b32 s27, -1
                                        ; implicit-def: $sgpr9
                                        ; implicit-def: $sgpr25
                                        ; implicit-def: $sgpr28
	s_cbranch_scc1 .LBB32_187
; %bb.182:                              ;   in Loop: Header=BB32_8 Depth=1
	ds_load_b32 v1, v7 offset:4096
	s_waitcnt lgkmcnt(0)
	v_cmp_ne_u32_e32 vcc_lo, 0, v1
	s_cbranch_vccnz .LBB32_186
; %bb.183:                              ;   in Loop: Header=BB32_8 Depth=1
	s_and_saveexec_b32 s9, s2
	s_cbranch_execz .LBB32_185
; %bb.184:                              ;   in Loop: Header=BB32_8 Depth=1
	v_mov_b32_e32 v1, s16
	ds_store_b32 v7, v1 offset:4100
.LBB32_185:                             ;   in Loop: Header=BB32_8 Depth=1
	s_or_b32 exec_lo, exec_lo, s9
	s_waitcnt lgkmcnt(0)
	s_barrier
	buffer_gl0_inv
.LBB32_186:                             ;   in Loop: Header=BB32_8 Depth=1
	s_lshl_b32 s9, 2, s18
	s_and_b32 s18, s71, s19
	s_or_b32 s28, s72, s11
	s_or_b32 s25, s18, s9
	s_mov_b32 s27, 0
	s_mov_b32 s9, 8
.LBB32_187:                             ;   in Loop: Header=BB32_8 Depth=1
	s_and_not1_b32 vcc_lo, exec_lo, s27
	s_cbranch_vccnz .LBB32_189
; %bb.188:                              ;   in Loop: Header=BB32_8 Depth=1
	s_sub_i32 s26, s26, s16
	s_mov_b32 s27, -1
	s_mov_b32 s9, 0
	s_mov_b32 s25, s71
	;; [unrolled: 1-line block ×3, first 2 shown]
.LBB32_189:                             ;   in Loop: Header=BB32_8 Depth=1
	s_delay_alu instid0(SALU_CYCLE_1)
	s_mov_b32 s72, s28
	s_mov_b32 s71, s25
	;; [unrolled: 1-line block ×3, first 2 shown]
	s_and_not1_b32 vcc_lo, exec_lo, s27
	s_mov_b32 s37, -1
	s_cbranch_vccz .LBB32_192
.LBB32_190:                             ;   in Loop: Header=BB32_8 Depth=1
                                        ; implicit-def: $sgpr19
                                        ; implicit-def: $sgpr27
                                        ; implicit-def: $sgpr26
	s_branch .LBB32_233
.LBB32_191:                             ;   in Loop: Header=BB32_8 Depth=1
	s_mov_b32 s9, 1
	s_and_not1_b32 vcc_lo, exec_lo, s27
	s_mov_b32 s37, -1
	s_cbranch_vccnz .LBB32_190
.LBB32_192:                             ;   in Loop: Header=BB32_8 Depth=1
	s_cmp_eq_u32 s10, 1
	s_mov_b32 s28, -1
	s_cselect_b32 s9, -1, 0
	s_cmp_eq_u32 s25, 1
	s_cselect_b32 s16, -1, 0
	s_delay_alu instid0(SALU_CYCLE_1) | instskip(NEXT) | instid1(SALU_CYCLE_1)
	s_and_b32 s16, s9, s16
	s_and_b32 vcc_lo, exec_lo, s16
	s_cbranch_vccz .LBB32_204
; %bb.193:                              ;   in Loop: Header=BB32_8 Depth=1
	ds_load_b32 v1, v7 offset:4096
	s_waitcnt lgkmcnt(0)
	s_barrier
	buffer_gl0_inv
	v_readfirstlane_b32 s18, v1
	s_and_saveexec_b32 s9, s0
	s_cbranch_execz .LBB32_195
; %bb.194:                              ;   in Loop: Header=BB32_8 Depth=1
	ds_store_b16 v18, v7
.LBB32_195:                             ;   in Loop: Header=BB32_8 Depth=1
	s_or_b32 exec_lo, exec_lo, s9
	s_or_b32 s71, s71, s11
	s_or_b32 s72, s72, s11
	s_cmp_gt_i32 s18, 0
	s_waitcnt lgkmcnt(0)
	s_barrier
	buffer_gl0_inv
	s_cbranch_scc1 .LBB32_205
; %bb.196:                              ;   in Loop: Header=BB32_8 Depth=1
	s_mov_b32 s28, 0
                                        ; implicit-def: $vgpr28
	s_and_saveexec_b32 s19, s8
	s_cbranch_execz .LBB32_207
; %bb.197:                              ;   in Loop: Header=BB32_8 Depth=1
	v_mov_b32_e32 v1, v5
	v_mov_b32_e32 v3, v0
	s_mov_b32 s26, 0
                                        ; implicit-def: $sgpr27
	s_set_inst_prefetch_distance 0x1
	s_branch .LBB32_199
	.p2align	6
.LBB32_198:                             ;   in Loop: Header=BB32_199 Depth=2
	s_or_b32 exec_lo, exec_lo, s9
	s_waitcnt vmcnt(0) lgkmcnt(0)
	s_barrier
	buffer_gl0_inv
	ds_load_b32 v2, v7 offset:3072
	v_add_nc_u32_e32 v3, s44, v3
	v_add_nc_u32_e32 v1, s48, v1
	s_waitcnt lgkmcnt(0)
	s_barrier
	buffer_gl0_inv
	v_cmp_le_i32_e32 vcc_lo, s59, v3
	v_cmp_ne_u16_e64 s9, 0, v2
	s_delay_alu instid0(VALU_DEP_1) | instskip(NEXT) | instid1(SALU_CYCLE_1)
	s_or_b32 s28, vcc_lo, s9
	s_and_b32 s28, exec_lo, s28
	s_delay_alu instid0(SALU_CYCLE_1) | instskip(SKIP_2) | instid1(SALU_CYCLE_1)
	s_or_b32 s26, s28, s26
	s_and_not1_b32 s27, s27, exec_lo
	s_and_b32 s9, s9, exec_lo
	s_or_b32 s27, s27, s9
	s_and_not1_b32 exec_lo, exec_lo, s26
	s_cbranch_execz .LBB32_206
.LBB32_199:                             ;   Parent Loop BB32_8 Depth=1
                                        ; =>  This Inner Loop Header: Depth=2
	s_delay_alu instid0(VALU_DEP_1)
	v_cmp_gt_i32_e32 vcc_lo, s36, v3
	v_mov_b32_e32 v2, 0
	s_and_saveexec_b32 s28, vcc_lo
	s_cbranch_execz .LBB32_201
; %bb.200:                              ;   in Loop: Header=BB32_199 Depth=2
	v_ashrrev_i32_e32 v2, 31, v1
	s_delay_alu instid0(VALU_DEP_1) | instskip(NEXT) | instid1(VALU_DEP_1)
	v_lshlrev_b64 v[13:14], 1, v[1:2]
	v_add_co_u32 v13, s9, s42, v13
	s_delay_alu instid0(VALU_DEP_1)
	v_add_co_ci_u32_e64 v14, s9, s43, v14, s9
	global_load_u16 v2, v[13:14], off
.LBB32_201:                             ;   in Loop: Header=BB32_199 Depth=2
	s_or_b32 exec_lo, exec_lo, s28
	s_and_saveexec_b32 s9, vcc_lo
	s_cbranch_execz .LBB32_198
; %bb.202:                              ;   in Loop: Header=BB32_199 Depth=2
	s_waitcnt vmcnt(0)
	v_bfe_i32 v4, v2, 0, 16
	s_delay_alu instid0(VALU_DEP_1) | instskip(NEXT) | instid1(VALU_DEP_1)
	v_add_nc_u32_e32 v4, 0x8000, v4
	v_and_b32_e32 v4, s72, v4
	s_delay_alu instid0(VALU_DEP_1)
	v_cmp_eq_u32_e32 vcc_lo, s71, v4
	s_and_b32 exec_lo, exec_lo, vcc_lo
	s_cbranch_execz .LBB32_198
; %bb.203:                              ;   in Loop: Header=BB32_199 Depth=2
	v_perm_b32 v2, v2, 1, 0x5040100
	ds_store_b32 v7, v2 offset:3072
	s_branch .LBB32_198
.LBB32_204:                             ;   in Loop: Header=BB32_8 Depth=1
                                        ; implicit-def: $sgpr19
                                        ; implicit-def: $sgpr27
                                        ; implicit-def: $sgpr26
	s_branch .LBB32_218
.LBB32_205:                             ;   in Loop: Header=BB32_8 Depth=1
	s_mov_b32 s19, -1
	s_mov_b32 s28, 0
                                        ; implicit-def: $sgpr26
                                        ; implicit-def: $vgpr28
	s_mov_b32 s27, s19
	s_cbranch_execnz .LBB32_208
	s_branch .LBB32_218
.LBB32_206:                             ;   in Loop: Header=BB32_8 Depth=1
	s_set_inst_prefetch_distance 0x2
	s_or_b32 exec_lo, exec_lo, s26
	v_lshrrev_b32_e32 v28, 16, v2
	s_and_b32 s28, s27, exec_lo
.LBB32_207:                             ;   in Loop: Header=BB32_8 Depth=1
	s_or_b32 exec_lo, exec_lo, s19
	s_mov_b32 s26, -1
	s_mov_b32 s19, 0
	s_delay_alu instid0(SALU_CYCLE_1)
	s_mov_b32 s27, s19
	s_branch .LBB32_218
.LBB32_208:                             ;   in Loop: Header=BB32_8 Depth=1
	s_add_i32 s26, s18, s49
	s_mov_b32 s28, 0
	s_abs_i32 s9, s26
                                        ; implicit-def: $vgpr28
	s_delay_alu instid0(SALU_CYCLE_1) | instskip(NEXT) | instid1(SALU_CYCLE_1)
	s_mul_hi_u32 s19, s9, s58
	s_mul_i32 s19, s19, s44
	s_delay_alu instid0(SALU_CYCLE_1) | instskip(SKIP_4) | instid1(SALU_CYCLE_1)
	s_sub_i32 s9, s9, s19
	s_ashr_i32 s19, s26, 31
	s_sub_i32 s27, s9, s44
	s_cmp_ge_u32 s9, s44
	s_cselect_b32 s9, s27, s9
	s_sub_i32 s27, s9, s44
	s_cmp_ge_u32 s9, s44
	s_cselect_b32 s9, s27, s9
	s_delay_alu instid0(SALU_CYCLE_1) | instskip(NEXT) | instid1(SALU_CYCLE_1)
	s_xor_b32 s9, s9, s19
	s_sub_i32 s9, s19, s9
	s_mov_b32 s19, exec_lo
	s_add_i32 s26, s26, s9
	s_delay_alu instid0(SALU_CYCLE_1)
	v_cmpx_gt_i32_e64 s26, v0
	s_cbranch_execz .LBB32_217
; %bb.209:                              ;   in Loop: Header=BB32_8 Depth=1
	v_dual_mov_b32 v1, v17 :: v_dual_mov_b32 v2, v0
	s_mov_b32 s27, 0
                                        ; implicit-def: $sgpr28
	s_set_inst_prefetch_distance 0x1
	s_branch .LBB32_211
	.p2align	6
.LBB32_210:                             ;   in Loop: Header=BB32_211 Depth=2
	s_or_b32 exec_lo, exec_lo, s9
	s_waitcnt lgkmcnt(0)
	s_barrier
	buffer_gl0_inv
	ds_load_b32 v3, v7 offset:3072
	v_add_nc_u32_e32 v2, s44, v2
	v_add_nc_u32_e32 v1, s62, v1
	s_waitcnt lgkmcnt(0)
	s_barrier
	buffer_gl0_inv
	v_cmp_le_i32_e32 vcc_lo, s26, v2
	v_cmp_ne_u16_e64 s9, 0, v3
	s_delay_alu instid0(VALU_DEP_1) | instskip(NEXT) | instid1(SALU_CYCLE_1)
	s_or_b32 s37, vcc_lo, s9
	s_and_b32 s37, exec_lo, s37
	s_delay_alu instid0(SALU_CYCLE_1) | instskip(SKIP_2) | instid1(SALU_CYCLE_1)
	s_or_b32 s27, s37, s27
	s_and_not1_b32 s28, s28, exec_lo
	s_and_b32 s9, s9, exec_lo
	s_or_b32 s28, s28, s9
	s_and_not1_b32 exec_lo, exec_lo, s27
	s_cbranch_execz .LBB32_216
.LBB32_211:                             ;   Parent Loop BB32_8 Depth=1
                                        ; =>  This Inner Loop Header: Depth=2
	s_delay_alu instid0(VALU_DEP_1)
	v_cmp_gt_i32_e32 vcc_lo, s18, v2
	v_mov_b32_e32 v3, 0
	s_and_saveexec_b32 s9, vcc_lo
	s_cbranch_execz .LBB32_213
; %bb.212:                              ;   in Loop: Header=BB32_211 Depth=2
	ds_load_u16 v3, v1
.LBB32_213:                             ;   in Loop: Header=BB32_211 Depth=2
	s_or_b32 exec_lo, exec_lo, s9
	s_and_saveexec_b32 s9, vcc_lo
	s_cbranch_execz .LBB32_210
; %bb.214:                              ;   in Loop: Header=BB32_211 Depth=2
	s_waitcnt lgkmcnt(0)
	v_bfe_i32 v4, v3, 0, 16
	s_delay_alu instid0(VALU_DEP_1) | instskip(NEXT) | instid1(VALU_DEP_1)
	v_add_nc_u32_e32 v4, 0x8000, v4
	v_and_b32_e32 v4, s72, v4
	s_delay_alu instid0(VALU_DEP_1)
	v_cmp_eq_u32_e32 vcc_lo, s71, v4
	s_and_b32 exec_lo, exec_lo, vcc_lo
	s_cbranch_execz .LBB32_210
; %bb.215:                              ;   in Loop: Header=BB32_211 Depth=2
	v_perm_b32 v3, v3, 1, 0x5040100
	ds_store_b32 v7, v3 offset:3072
	s_branch .LBB32_210
.LBB32_216:                             ;   in Loop: Header=BB32_8 Depth=1
	s_set_inst_prefetch_distance 0x2
	s_or_b32 exec_lo, exec_lo, s27
	v_lshrrev_b32_e32 v28, 16, v3
	s_and_b32 s28, s28, exec_lo
.LBB32_217:                             ;   in Loop: Header=BB32_8 Depth=1
	s_or_b32 exec_lo, exec_lo, s19
	s_mov_b32 s27, -1
	s_mov_b32 s19, 0
	s_mov_b32 s26, 0
.LBB32_218:                             ;   in Loop: Header=BB32_8 Depth=1
	s_mov_b32 s37, 0
                                        ; implicit-def: $sgpr9
	s_and_saveexec_b32 s18, s28
	s_cbranch_execz .LBB32_232
; %bb.219:                              ;   in Loop: Header=BB32_8 Depth=1
	s_xor_b32 s9, s16, -1
	s_delay_alu instid0(SALU_CYCLE_1)
	s_and_not1_b32 vcc_lo, exec_lo, s9
	s_mov_b32 s9, 1
	s_cbranch_vccnz .LBB32_226
; %bb.220:                              ;   in Loop: Header=BB32_8 Depth=1
	s_cmp_gt_i32 s25, s10
	s_cbranch_scc1 .LBB32_227
; %bb.221:                              ;   in Loop: Header=BB32_8 Depth=1
	ds_load_b32 v1, v7 offset:4096
	s_waitcnt lgkmcnt(0)
	v_cmp_ne_u32_e32 vcc_lo, 0, v1
	s_cbranch_vccnz .LBB32_225
; %bb.222:                              ;   in Loop: Header=BB32_8 Depth=1
	s_and_saveexec_b32 s9, s2
	s_cbranch_execz .LBB32_224
; %bb.223:                              ;   in Loop: Header=BB32_8 Depth=1
	v_mov_b32_e32 v1, s10
	ds_store_b32 v7, v1 offset:4100
.LBB32_224:                             ;   in Loop: Header=BB32_8 Depth=1
	s_or_b32 exec_lo, exec_lo, s9
	s_waitcnt lgkmcnt(0)
	s_barrier
	buffer_gl0_inv
.LBB32_225:                             ;   in Loop: Header=BB32_8 Depth=1
	s_or_b32 s16, s71, s11
	s_or_b32 s11, s72, s11
	s_mov_b32 s28, 0
	s_mov_b32 s9, 8
	s_branch .LBB32_228
.LBB32_226:                             ;   in Loop: Header=BB32_8 Depth=1
	s_mov_b32 s25, 1
	s_branch .LBB32_231
.LBB32_227:                             ;   in Loop: Header=BB32_8 Depth=1
	s_mov_b32 s28, -1
                                        ; implicit-def: $sgpr9
                                        ; implicit-def: $sgpr16
                                        ; implicit-def: $sgpr11
.LBB32_228:                             ;   in Loop: Header=BB32_8 Depth=1
	s_delay_alu instid0(SALU_CYCLE_1)
	s_and_not1_b32 vcc_lo, exec_lo, s28
	s_cbranch_vccnz .LBB32_230
; %bb.229:                              ;   in Loop: Header=BB32_8 Depth=1
	s_sub_i32 s25, s25, s10
	s_mov_b32 s9, 8
	s_mov_b32 s16, s71
	;; [unrolled: 1-line block ×3, first 2 shown]
.LBB32_230:                             ;   in Loop: Header=BB32_8 Depth=1
	s_mov_b32 s71, s16
	s_mov_b32 s72, s11
.LBB32_231:                             ;   in Loop: Header=BB32_8 Depth=1
	s_mov_b32 s37, exec_lo
.LBB32_232:                             ;   in Loop: Header=BB32_8 Depth=1
	s_or_b32 exec_lo, exec_lo, s18
.LBB32_233:                             ;   in Loop: Header=BB32_8 Depth=1
	s_delay_alu instid0(SALU_CYCLE_1)
	s_and_not1_b32 s10, s21, exec_lo
	s_and_b32 s11, s19, exec_lo
	s_and_not1_b32 s16, s22, exec_lo
	s_or_b32 s21, s10, s11
	s_and_not1_b32 s10, s23, exec_lo
	s_and_b32 s11, s27, exec_lo
	s_and_b32 s18, s26, exec_lo
	s_or_b32 s23, s10, s11
	s_or_b32 s22, s16, s18
	s_and_b32 s28, s37, exec_lo
	s_mov_b32 s26, s25
.LBB32_234:                             ;   in Loop: Header=BB32_8 Depth=1
	s_or_b32 exec_lo, exec_lo, s24
.LBB32_235:                             ;   in Loop: Header=BB32_8 Depth=1
	s_delay_alu instid0(SALU_CYCLE_1)
	s_and_not1_b32 s10, s15, exec_lo
	s_and_b32 s11, s21, exec_lo
	s_and_not1_b32 s14, s14, exec_lo
	s_or_b32 s15, s10, s11
	s_and_not1_b32 s10, s17, exec_lo
	s_and_b32 s11, s23, exec_lo
	s_and_b32 s16, s22, exec_lo
	s_or_b32 s17, s10, s11
	s_or_b32 s14, s14, s16
	s_and_b32 s25, s28, exec_lo
	s_mov_b32 s22, s26
.LBB32_236:                             ;   in Loop: Header=BB32_8 Depth=1
	s_or_b32 exec_lo, exec_lo, s20
	s_and_saveexec_b32 s10, s25
	s_delay_alu instid0(SALU_CYCLE_1)
	s_xor_b32 s10, exec_lo, s10
	s_cbranch_execz .LBB32_6
.LBB32_237:                             ;   in Loop: Header=BB32_8 Depth=1
	s_and_b32 s9, s9, -9
	s_delay_alu instid0(SALU_CYCLE_1)
	s_cmp_eq_u32 s9, 0
	s_cbranch_scc1 .LBB32_4
; %bb.238:                              ;   in Loop: Header=BB32_8 Depth=1
	s_mov_b32 s9, -1
	s_mov_b32 s11, -1
                                        ; implicit-def: $sgpr72
                                        ; implicit-def: $sgpr22
                                        ; implicit-def: $sgpr66
                                        ; implicit-def: $sgpr69
	s_branch .LBB32_5
.LBB32_239:
	s_or_b32 exec_lo, exec_lo, s45
	s_xor_b32 s4, s65, -1
	s_xor_b32 s0, s63, -1
	;; [unrolled: 1-line block ×3, first 2 shown]
	s_mov_b32 s1, 0
	s_and_saveexec_b32 s5, s0
	s_delay_alu instid0(SALU_CYCLE_1)
	s_xor_b32 s0, exec_lo, s5
	s_cbranch_execz .LBB32_260
; %bb.240:
	s_and_saveexec_b32 s1, s4
	s_delay_alu instid0(SALU_CYCLE_1)
	s_xor_b32 s1, exec_lo, s1
	s_cbranch_execz .LBB32_258
; %bb.241:
	s_and_saveexec_b32 s4, s3
	s_delay_alu instid0(SALU_CYCLE_1)
	s_xor_b32 s3, exec_lo, s4
; %bb.242:
	v_xor_b32_e32 v28, 0xffff8000, v1
; %bb.243:
	s_or_b32 exec_lo, exec_lo, s3
	s_and_saveexec_b32 s3, s2
	s_cbranch_execz .LBB32_245
; %bb.244:
	v_dual_mov_b32 v1, 0 :: v_dual_mov_b32 v2, s36
	ds_store_b32 v1, v2 offset:4108
.LBB32_245:
	s_or_b32 exec_lo, exec_lo, s3
	v_mov_b32_e32 v1, 0
	s_waitcnt lgkmcnt(0)
	s_barrier
	buffer_gl0_inv
	s_mov_b32 s3, exec_lo
	ds_load_b32 v1, v1 offset:4108
	s_waitcnt lgkmcnt(0)
	v_min_i32_e32 v1, s36, v1
	s_delay_alu instid0(VALU_DEP_1)
	v_cmpx_lt_i32_e64 v0, v1
	s_cbranch_execz .LBB32_255
; %bb.246:
	s_mov_b32 s4, 0
                                        ; implicit-def: $sgpr5
                                        ; implicit-def: $sgpr7
                                        ; implicit-def: $sgpr6
	s_set_inst_prefetch_distance 0x1
	s_branch .LBB32_248
	.p2align	6
.LBB32_247:                             ;   in Loop: Header=BB32_248 Depth=1
	s_or_b32 exec_lo, exec_lo, s8
	s_delay_alu instid0(SALU_CYCLE_1) | instskip(NEXT) | instid1(SALU_CYCLE_1)
	s_and_b32 s8, exec_lo, s7
	s_or_b32 s4, s8, s4
	s_and_not1_b32 s5, s5, exec_lo
	s_and_b32 s8, s6, exec_lo
	s_delay_alu instid0(SALU_CYCLE_1)
	s_or_b32 s5, s5, s8
	s_and_not1_b32 exec_lo, exec_lo, s4
	s_cbranch_execz .LBB32_250
.LBB32_248:                             ; =>This Inner Loop Header: Depth=1
	v_ashrrev_i32_e32 v6, 31, v5
	s_or_b32 s6, s6, exec_lo
	s_or_b32 s7, s7, exec_lo
	s_mov_b32 s8, exec_lo
	s_delay_alu instid0(VALU_DEP_1) | instskip(NEXT) | instid1(VALU_DEP_1)
	v_lshlrev_b64 v[2:3], 1, v[5:6]
	v_add_co_u32 v2, vcc_lo, s42, v2
	s_delay_alu instid0(VALU_DEP_2)
	v_add_co_ci_u32_e32 v3, vcc_lo, s43, v3, vcc_lo
	global_load_u16 v3, v[2:3], off
	v_mov_b32_e32 v2, v0
                                        ; implicit-def: $vgpr0
	s_waitcnt vmcnt(0)
	v_cmpx_ne_u16_e64 v3, v28
	s_cbranch_execz .LBB32_247
; %bb.249:                              ;   in Loop: Header=BB32_248 Depth=1
	s_delay_alu instid0(VALU_DEP_2) | instskip(SKIP_3) | instid1(VALU_DEP_2)
	v_add_nc_u32_e32 v0, s44, v2
	s_and_not1_b32 s7, s7, exec_lo
	v_add_nc_u32_e32 v5, s48, v5
	s_and_not1_b32 s6, s6, exec_lo
	v_cmp_ge_i32_e32 vcc_lo, v0, v1
	s_and_b32 s9, vcc_lo, exec_lo
	s_delay_alu instid0(SALU_CYCLE_1)
	s_or_b32 s7, s7, s9
	s_branch .LBB32_247
.LBB32_250:
	s_set_inst_prefetch_distance 0x2
	s_or_b32 exec_lo, exec_lo, s4
	s_and_saveexec_b32 s4, s5
	s_delay_alu instid0(SALU_CYCLE_1)
	s_xor_b32 s4, exec_lo, s4
	s_cbranch_execz .LBB32_255
; %bb.251:
	s_mov_b32 s5, exec_lo
	s_brev_b32 s4, -2
.LBB32_252:                             ; =>This Inner Loop Header: Depth=1
	s_ctz_i32_b32 s6, s5
	s_delay_alu instid0(SALU_CYCLE_1) | instskip(SKIP_1) | instid1(SALU_CYCLE_1)
	v_readlane_b32 s7, v2, s6
	s_lshl_b32 s6, 1, s6
	s_and_not1_b32 s5, s5, s6
	s_delay_alu instid0(VALU_DEP_1)
	s_min_i32 s4, s4, s7
	s_cmp_lg_u32 s5, 0
	s_cbranch_scc1 .LBB32_252
; %bb.253:
	v_mbcnt_lo_u32_b32 v0, exec_lo, 0
	s_mov_b32 s5, exec_lo
	s_delay_alu instid0(VALU_DEP_1)
	v_cmpx_eq_u32_e32 0, v0
	s_xor_b32 s5, exec_lo, s5
	s_cbranch_execz .LBB32_255
; %bb.254:
	v_dual_mov_b32 v0, 0 :: v_dual_mov_b32 v1, s4
	ds_min_i32 v0, v1 offset:4108
.LBB32_255:
	s_or_b32 exec_lo, exec_lo, s3
	s_waitcnt lgkmcnt(0)
	s_barrier
	buffer_gl0_inv
	s_and_saveexec_b32 s3, s2
	s_cbranch_execz .LBB32_257
; %bb.256:
	v_mov_b32_e32 v2, 0
	s_mul_i32 s4, s38, s29
	s_mul_i32 s6, s33, s29
	s_ashr_i32 s5, s4, 31
	s_delay_alu instid0(SALU_CYCLE_1) | instskip(SKIP_4) | instid1(SALU_CYCLE_1)
	s_lshl_b64 s[4:5], s[4:5], 1
	ds_load_b32 v0, v2 offset:4108
	s_add_u32 s4, s34, s4
	s_addc_u32 s5, s35, s5
	s_ashr_i32 s7, s6, 31
	s_lshl_b64 s[6:7], s[6:7], 3
	s_delay_alu instid0(SALU_CYCLE_1)
	s_add_u32 s6, s30, s6
	s_addc_u32 s7, s31, s7
	s_waitcnt lgkmcnt(0)
	v_ashrrev_i32_e32 v1, 31, v0
	s_clause 0x1
	global_store_b64 v2, v[0:1], s[6:7]
	global_store_b16 v2, v28, s[4:5]
.LBB32_257:
	s_or_b32 exec_lo, exec_lo, s3
.LBB32_258:
	s_or_saveexec_b32 s1, s1
	s_mov_b32 s2, 0
	s_xor_b32 exec_lo, exec_lo, s1
	s_cbranch_execnz .LBB32_266
.LBB32_259:
	s_or_b32 exec_lo, exec_lo, s1
	s_delay_alu instid0(SALU_CYCLE_1)
	s_and_b32 s1, s2, exec_lo
.LBB32_260:
	s_and_not1_saveexec_b32 s0, s0
	s_cbranch_execnz .LBB32_264
; %bb.261:
	s_or_b32 exec_lo, exec_lo, s0
	s_and_saveexec_b32 s0, s1
.LBB32_262:
	; divergent unreachable
.LBB32_263:
	s_nop 0
	s_sendmsg sendmsg(MSG_DEALLOC_VGPRS)
	s_endpgm
.LBB32_264:
	s_cbranch_execnz .LBB32_268
; %bb.265:
	s_or_b32 s1, s1, exec_lo
	s_or_b32 exec_lo, exec_lo, s0
	s_and_saveexec_b32 s0, s1
	s_cbranch_execnz .LBB32_262
	s_branch .LBB32_263
.LBB32_266:
	s_cbranch_execnz .LBB32_270
; %bb.267:
	s_mov_b32 s2, exec_lo
	s_branch .LBB32_259
.LBB32_268:
	s_trap 2
	s_sendmsg_rtn_b32 s0, sendmsg(MSG_RTN_GET_DOORBELL)
	s_mov_b32 ttmp2, m0
	s_waitcnt lgkmcnt(0)
	s_and_b32 s0, s0, 0x3ff
	s_delay_alu instid0(SALU_CYCLE_1) | instskip(NEXT) | instid1(SALU_CYCLE_1)
	s_bitset1_b32 s0, 10
	s_mov_b32 m0, s0
	s_sendmsg sendmsg(MSG_INTERRUPT)
	s_mov_b32 m0, ttmp2
.LBB32_269:                             ; =>This Inner Loop Header: Depth=1
	s_sethalt 5
	s_branch .LBB32_269
.LBB32_270:
	s_trap 2
	s_sendmsg_rtn_b32 s0, sendmsg(MSG_RTN_GET_DOORBELL)
	s_mov_b32 ttmp2, m0
	s_waitcnt lgkmcnt(0)
	s_and_b32 s0, s0, 0x3ff
	s_delay_alu instid0(SALU_CYCLE_1) | instskip(NEXT) | instid1(SALU_CYCLE_1)
	s_bitset1_b32 s0, 10
	s_mov_b32 m0, s0
	s_sendmsg sendmsg(MSG_INTERRUPT)
	s_mov_b32 m0, ttmp2
.LBB32_271:                             ; =>This Inner Loop Header: Depth=1
	s_sethalt 5
	s_branch .LBB32_271
	.section	.rodata,"a",@progbits
	.p2align	6, 0x0
	.amdhsa_kernel _ZN2at6native12_GLOBAL__N_114gatherKthValueIsiLi1EEEvNS_4cuda6detail10TensorInfoIKT_T0_EES8_S8_S8_S8_NS5_IS6_S8_EENS5_IlS8_EE
		.amdhsa_group_segment_fixed_size 4112
		.amdhsa_private_segment_fixed_size 0
		.amdhsa_kernarg_size 920
		.amdhsa_user_sgpr_count 13
		.amdhsa_user_sgpr_dispatch_ptr 0
		.amdhsa_user_sgpr_queue_ptr 0
		.amdhsa_user_sgpr_kernarg_segment_ptr 1
		.amdhsa_user_sgpr_dispatch_id 0
		.amdhsa_user_sgpr_private_segment_size 0
		.amdhsa_wavefront_size32 1
		.amdhsa_uses_dynamic_stack 0
		.amdhsa_enable_private_segment 0
		.amdhsa_system_sgpr_workgroup_id_x 1
		.amdhsa_system_sgpr_workgroup_id_y 1
		.amdhsa_system_sgpr_workgroup_id_z 1
		.amdhsa_system_sgpr_workgroup_info 0
		.amdhsa_system_vgpr_workitem_id 0
		.amdhsa_next_free_vgpr 40
		.amdhsa_next_free_sgpr 82
		.amdhsa_reserve_vcc 1
		.amdhsa_float_round_mode_32 0
		.amdhsa_float_round_mode_16_64 0
		.amdhsa_float_denorm_mode_32 3
		.amdhsa_float_denorm_mode_16_64 3
		.amdhsa_dx10_clamp 1
		.amdhsa_ieee_mode 1
		.amdhsa_fp16_overflow 0
		.amdhsa_workgroup_processor_mode 1
		.amdhsa_memory_ordered 1
		.amdhsa_forward_progress 0
		.amdhsa_shared_vgpr_count 0
		.amdhsa_exception_fp_ieee_invalid_op 0
		.amdhsa_exception_fp_denorm_src 0
		.amdhsa_exception_fp_ieee_div_zero 0
		.amdhsa_exception_fp_ieee_overflow 0
		.amdhsa_exception_fp_ieee_underflow 0
		.amdhsa_exception_fp_ieee_inexact 0
		.amdhsa_exception_int_div_zero 0
	.end_amdhsa_kernel
	.section	.text._ZN2at6native12_GLOBAL__N_114gatherKthValueIsiLi1EEEvNS_4cuda6detail10TensorInfoIKT_T0_EES8_S8_S8_S8_NS5_IS6_S8_EENS5_IlS8_EE,"axG",@progbits,_ZN2at6native12_GLOBAL__N_114gatherKthValueIsiLi1EEEvNS_4cuda6detail10TensorInfoIKT_T0_EES8_S8_S8_S8_NS5_IS6_S8_EENS5_IlS8_EE,comdat
.Lfunc_end32:
	.size	_ZN2at6native12_GLOBAL__N_114gatherKthValueIsiLi1EEEvNS_4cuda6detail10TensorInfoIKT_T0_EES8_S8_S8_S8_NS5_IS6_S8_EENS5_IlS8_EE, .Lfunc_end32-_ZN2at6native12_GLOBAL__N_114gatherKthValueIsiLi1EEEvNS_4cuda6detail10TensorInfoIKT_T0_EES8_S8_S8_S8_NS5_IS6_S8_EENS5_IlS8_EE
                                        ; -- End function
	.section	.AMDGPU.csdata,"",@progbits
; Kernel info:
; codeLenInByte = 9820
; NumSgprs: 84
; NumVgprs: 40
; ScratchSize: 0
; MemoryBound: 0
; FloatMode: 240
; IeeeMode: 1
; LDSByteSize: 4112 bytes/workgroup (compile time only)
; SGPRBlocks: 10
; VGPRBlocks: 4
; NumSGPRsForWavesPerEU: 84
; NumVGPRsForWavesPerEU: 40
; Occupancy: 16
; WaveLimiterHint : 1
; COMPUTE_PGM_RSRC2:SCRATCH_EN: 0
; COMPUTE_PGM_RSRC2:USER_SGPR: 13
; COMPUTE_PGM_RSRC2:TRAP_HANDLER: 0
; COMPUTE_PGM_RSRC2:TGID_X_EN: 1
; COMPUTE_PGM_RSRC2:TGID_Y_EN: 1
; COMPUTE_PGM_RSRC2:TGID_Z_EN: 1
; COMPUTE_PGM_RSRC2:TIDIG_COMP_CNT: 0
	.section	.text._ZN2at6native12_GLOBAL__N_114gatherKthValueIsiLi2EEEvNS_4cuda6detail10TensorInfoIKT_T0_EES8_S8_S8_S8_NS5_IS6_S8_EENS5_IlS8_EE,"axG",@progbits,_ZN2at6native12_GLOBAL__N_114gatherKthValueIsiLi2EEEvNS_4cuda6detail10TensorInfoIKT_T0_EES8_S8_S8_S8_NS5_IS6_S8_EENS5_IlS8_EE,comdat
	.globl	_ZN2at6native12_GLOBAL__N_114gatherKthValueIsiLi2EEEvNS_4cuda6detail10TensorInfoIKT_T0_EES8_S8_S8_S8_NS5_IS6_S8_EENS5_IlS8_EE ; -- Begin function _ZN2at6native12_GLOBAL__N_114gatherKthValueIsiLi2EEEvNS_4cuda6detail10TensorInfoIKT_T0_EES8_S8_S8_S8_NS5_IS6_S8_EENS5_IlS8_EE
	.p2align	8
	.type	_ZN2at6native12_GLOBAL__N_114gatherKthValueIsiLi2EEEvNS_4cuda6detail10TensorInfoIKT_T0_EES8_S8_S8_S8_NS5_IS6_S8_EENS5_IlS8_EE,@function
_ZN2at6native12_GLOBAL__N_114gatherKthValueIsiLi2EEEvNS_4cuda6detail10TensorInfoIKT_T0_EES8_S8_S8_S8_NS5_IS6_S8_EENS5_IlS8_EE: ; @_ZN2at6native12_GLOBAL__N_114gatherKthValueIsiLi2EEEvNS_4cuda6detail10TensorInfoIKT_T0_EES8_S8_S8_S8_NS5_IS6_S8_EENS5_IlS8_EE
; %bb.0:
	s_clause 0x1
	s_load_b64 s[4:5], s[0:1], 0x298
	s_load_b128 s[36:39], s[0:1], 0xd8
	s_add_u32 s2, s0, 0x298
	s_addc_u32 s3, s1, 0
	s_waitcnt lgkmcnt(0)
	s_mul_i32 s5, s5, s15
	s_delay_alu instid0(SALU_CYCLE_1) | instskip(NEXT) | instid1(SALU_CYCLE_1)
	s_add_i32 s5, s5, s14
	s_mul_i32 s29, s5, s4
	s_delay_alu instid0(SALU_CYCLE_1) | instskip(NEXT) | instid1(SALU_CYCLE_1)
	s_add_i32 s29, s29, s13
	s_cmp_ge_i32 s29, s38
	s_cbranch_scc1 .LBB33_263
; %bb.1:
	s_clause 0x8
	s_load_b32 s5, s[0:1], 0xc
	s_load_b32 s38, s[0:1], 0xf4
	;; [unrolled: 1-line block ×3, first 2 shown]
	s_load_b64 s[42:43], s[0:1], 0x154
	s_load_b64 s[34:35], s[0:1], 0xe8
	;; [unrolled: 1-line block ×6, first 2 shown]
	v_cmp_eq_u32_e64 s0, 0, v0
	s_abs_i32 s47, s29
	s_ashr_i32 s48, s29, 31
	s_mov_b32 s57, 0
	s_waitcnt lgkmcnt(0)
	s_abs_i32 s10, s5
	s_abs_i32 s49, s38
	;; [unrolled: 1-line block ×3, first 2 shown]
	v_cvt_f32_u32_e32 v1, s10
	v_cvt_f32_u32_e32 v2, s49
	;; [unrolled: 1-line block ×3, first 2 shown]
	s_sub_i32 s11, 0, s10
	s_sub_i32 s16, 0, s49
	v_rcp_iflag_f32_e32 v1, v1
	v_rcp_iflag_f32_e32 v2, v2
	;; [unrolled: 1-line block ×3, first 2 shown]
	s_sub_i32 s17, 0, s46
	s_ashr_i32 s1, s5, 31
	s_waitcnt_depctr 0xfff
	v_dual_mul_f32 v1, 0x4f7ffffe, v1 :: v_dual_mul_f32 v2, 0x4f7ffffe, v2
	v_mul_f32_e32 v3, 0x4f7ffffe, v3
	s_delay_alu instid0(VALU_DEP_2) | instskip(NEXT) | instid1(VALU_DEP_3)
	v_cvt_u32_f32_e32 v1, v1
	v_cvt_u32_f32_e32 v2, v2
	s_delay_alu instid0(VALU_DEP_3) | instskip(NEXT) | instid1(VALU_DEP_3)
	v_cvt_u32_f32_e32 v3, v3
	v_readfirstlane_b32 s12, v1
	s_delay_alu instid0(VALU_DEP_3) | instskip(NEXT) | instid1(VALU_DEP_3)
	v_readfirstlane_b32 s14, v2
	v_readfirstlane_b32 s15, v3
	s_delay_alu instid0(VALU_DEP_3) | instskip(NEXT) | instid1(VALU_DEP_2)
	s_mul_i32 s11, s11, s12
	s_mul_i32 s16, s16, s14
	s_delay_alu instid0(VALU_DEP_1)
	s_mul_i32 s17, s17, s15
	s_mul_hi_u32 s11, s12, s11
	s_mul_hi_u32 s16, s14, s16
	s_mul_hi_u32 s17, s15, s17
	s_add_i32 s12, s12, s11
	s_add_i32 s14, s14, s16
	;; [unrolled: 1-line block ×3, first 2 shown]
	s_mul_hi_u32 s11, s47, s12
	s_mul_hi_u32 s52, s47, s14
	;; [unrolled: 1-line block ×3, first 2 shown]
	s_and_saveexec_b32 s12, s0
	s_cbranch_execz .LBB33_3
; %bb.2:
	v_dual_mov_b32 v1, 0 :: v_dual_mov_b32 v2, s36
	s_delay_alu instid0(VALU_DEP_1)
	v_mov_b32_e32 v3, v1
	ds_store_b96 v1, v[1:3] offset:4096
.LBB33_3:
	s_or_b32 exec_lo, exec_lo, s12
	s_mul_i32 s12, s11, s10
	s_ashr_i32 s53, s38, 31
	s_sub_i32 s12, s47, s12
	s_ashr_i32 s51, s33, 31
	s_xor_b32 s1, s48, s1
	s_add_i32 s14, s11, 1
	s_sub_i32 s15, s12, s10
	s_cmp_ge_u32 s12, s10
	s_waitcnt lgkmcnt(0)
	s_cselect_b32 s11, s14, s11
	s_cselect_b32 s12, s15, s12
	s_add_i32 s14, s11, 1
	s_cmp_ge_u32 s12, s10
	s_barrier
	s_cselect_b32 s10, s14, s11
	buffer_gl0_inv
	s_load_b32 s11, s[2:3], 0xc
	s_xor_b32 s10, s10, s1
	v_mbcnt_lo_u32_b32 v15, -1, 0
	s_sub_i32 s1, s10, s1
	v_cmp_gt_u32_e32 vcc_lo, 32, v0
	s_mul_i32 s5, s1, s5
	s_mul_i32 s1, s1, s8
	s_sub_i32 s5, s29, s5
	v_mov_b32_e32 v7, 0
	s_mul_i32 s5, s5, s9
	v_mul_lo_u32 v5, v0, s39
	s_add_i32 s8, s1, s5
	v_cmp_gt_i32_e64 s1, 4, v15
	s_ashr_i32 s9, s8, 31
	v_dual_mov_b32 v6, v7 :: v_dual_lshlrev_b32 v17, 1, v0
	s_lshl_b64 s[8:9], s[8:9], 1
	s_mov_b32 s10, s39
	s_add_u32 s54, s6, s8
	s_addc_u32 s55, s7, s9
	s_waitcnt lgkmcnt(0)
	s_and_b32 s56, s11, 0xffff
	s_bfe_u32 s5, s11, 0xb0005
	s_lshl_b32 s58, s56, 2
	s_add_i32 s60, s56, -1
	v_cvt_f32_u32_e32 v1, s58
	s_and_b32 s61, vcc_lo, s1
	s_add_i32 s71, s60, s36
	s_cmpk_gt_i32 s36, 0x600
	v_cmp_gt_u32_e64 s1, 2, v0
	v_rcp_iflag_f32_e32 v1, v1
	s_cselect_b32 s62, -1, 0
	s_cmp_gt_u32 s56, 31
	v_lshlrev_b32_e32 v16, 2, v0
	s_cselect_b32 s63, -1, 0
	s_cmp_lt_u32 s13, s4
	v_add_nc_u32_e32 v18, 0xc00, v17
	s_cselect_b32 s4, 12, 18
	v_lshlrev_b32_e32 v26, 3, v0
	s_add_u32 s44, s2, s4
	s_waitcnt_depctr 0xfff
	v_mul_f32_e32 v1, 0x4f7ffffe, v1
	s_addc_u32 s45, s3, 0
	s_add_i32 s2, s5, -1
	s_bfe_u32 s64, s56, 0x30005
	s_cmp_gt_u32 s2, 6
	v_cvt_u32_f32_e32 v1, v1
	s_cselect_b32 s65, -1, 0
	s_and_b32 s66, s5, 0x7f8
	s_cmp_lg_u32 s64, 0
	v_mad_u64_u32 v[12:13], null, s39, v16, s[10:11]
	v_readfirstlane_b32 s2, v1
	s_cselect_b32 s67, -1, 0
	s_sub_i32 s3, 0, s58
	v_cvt_f32_u32_e32 v1, s56
	v_lshl_or_b32 v27, v15, 2, 0xc00
	s_mul_i32 s3, s3, s2
	s_mul_i32 s59, s39, s56
	s_mul_hi_u32 s3, s2, s3
	v_rcp_iflag_f32_e32 v3, v1
	s_add_i32 s68, s2, s3
	v_lshlrev_b64 v[1:2], 1, v[5:6]
	s_mul_hi_u32 s3, s36, s68
	v_lshlrev_b32_e32 v24, 2, v5
	s_mul_i32 s3, s3, s58
	v_cmp_eq_u32_e64 s2, 0, v15
	s_sub_i32 s3, s36, s3
	v_add_co_u32 v8, vcc_lo, s54, v1
	s_sub_i32 s4, s3, s58
	s_cmp_ge_u32 s3, s58
	s_waitcnt_depctr 0xfff
	v_mul_f32_e32 v3, 0x4f7ffffe, v3
	s_cselect_b32 s4, s4, s3
	v_add_co_ci_u32_e32 v9, vcc_lo, s55, v2, vcc_lo
	s_sub_i32 s5, s4, s58
	s_cmp_ge_u32 s4, s58
	v_cvt_u32_f32_e32 v1, v3
	s_cselect_b32 s9, s5, s4
	v_mov_b32_e32 v28, 0
	s_sub_i32 s69, s36, s9
	s_sub_i32 s6, 0, s56
	v_add_nc_u32_e32 v19, s69, v0
	v_readfirstlane_b32 s5, v1
	v_lshrrev_b32_e32 v2, 3, v0
	s_abs_i32 s7, s71
	v_lshlrev_b64 v[3:4], v15, -1
	v_mul_lo_u32 v1, v19, s39
	s_mul_i32 s6, s6, s5
	v_and_b32_e32 v20, 0x7c, v2
	s_mul_hi_u32 s6, s5, s6
	v_cmp_gt_u32_e64 s3, s36, v0
	s_add_i32 s70, s5, s6
	v_not_b32_e32 v21, v3
	s_mul_hi_u32 s5, s7, s70
	v_ashrrev_i32_e32 v2, 31, v1
	s_mul_i32 s5, s5, s56
	v_or_b32_e32 v3, 3, v16
	s_sub_i32 s5, s7, s5
	s_ashr_i32 s7, s71, 31
	v_lshlrev_b64 v[1:2], 1, v[1:2]
	s_sub_i32 s6, s5, s56
	s_cmp_ge_u32 s5, s56
	v_mul_lo_u32 v23, s39, v3
	s_cselect_b32 s5, s6, s5
	v_cmp_gt_i32_e64 s4, s36, v0
	v_add_co_u32 v10, vcc_lo, s54, v1
	v_add3_u32 v1, s56, s36, v0
	s_sub_i32 s6, s5, s56
	s_cmp_ge_u32 s5, s56
	v_add_co_ci_u32_e32 v11, vcc_lo, s55, v2, vcc_lo
	s_cselect_b32 s6, s6, s5
	v_or_b32_e32 v2, 2, v16
	v_subrev_nc_u32_e32 v1, s9, v1
	s_xor_b32 s8, s6, s7
	v_cmp_gt_i32_e64 s5, s69, v16
	s_sub_i32 s7, s7, s8
	v_mul_lo_u32 v22, s39, v2
	v_mul_lo_u32 v25, s39, v1
	s_add_i32 s71, s71, s7
	v_cmp_gt_u32_e64 s6, s36, v19
	v_cmp_gt_i32_e64 s7, s36, v19
	v_cmp_gt_i32_e64 s8, s71, v0
	s_lshl_b32 s72, s59, 2
	s_lshl_b32 s73, s56, 3
	;; [unrolled: 1-line block ×3, first 2 shown]
	s_mov_b32 s78, 14
	s_mov_b32 s81, 0
	;; [unrolled: 1-line block ×4, first 2 shown]
                                        ; implicit-def: $sgpr75
                                        ; implicit-def: $sgpr77
                                        ; implicit-def: $sgpr76
                                        ; implicit-def: $sgpr80
                                        ; implicit-def: $sgpr82
                                        ; implicit-def: $sgpr79
	s_branch .LBB33_8
.LBB33_4:                               ;   in Loop: Header=BB33_8 Depth=1
	s_xor_b32 s81, s81, 1
	s_add_i32 s13, s78, -2
	s_cmp_eq_u32 s78, 0
	s_mov_b32 s9, 0
	s_cselect_b32 s11, -1, 0
	s_mov_b32 s78, s13
.LBB33_5:                               ;   in Loop: Header=BB33_8 Depth=1
	s_and_not1_b32 s13, s15, exec_lo
	s_and_b32 s9, s9, exec_lo
	s_and_not1_b32 s17, s17, exec_lo
	s_or_b32 s15, s13, s9
	s_and_not1_b32 s14, s14, exec_lo
	s_or_not1_b32 s13, s11, exec_lo
	s_mov_b32 s37, s22
.LBB33_6:                               ;   in Loop: Header=BB33_8 Depth=1
	s_or_b32 exec_lo, exec_lo, s10
	s_delay_alu instid0(SALU_CYCLE_1)
	s_and_not1_b32 s9, s79, exec_lo
	s_and_b32 s10, s15, exec_lo
	s_and_not1_b32 s11, s80, exec_lo
	s_or_b32 s79, s9, s10
	s_and_not1_b32 s9, s82, exec_lo
	s_and_b32 s10, s17, exec_lo
	s_and_b32 s14, s14, exec_lo
	s_or_b32 s82, s9, s10
	s_or_b32 s80, s11, s14
	s_or_not1_b32 s14, s13, exec_lo
.LBB33_7:                               ;   in Loop: Header=BB33_8 Depth=1
	s_or_b32 exec_lo, exec_lo, s12
	s_delay_alu instid0(SALU_CYCLE_1)
	s_and_b32 s9, exec_lo, s14
	v_mov_b32_e32 v1, s83
	s_or_b32 s57, s9, s57
	s_and_not1_b32 s9, s76, exec_lo
	s_and_b32 s10, s79, exec_lo
	s_and_not1_b32 s11, s75, exec_lo
	s_or_b32 s76, s9, s10
	s_and_not1_b32 s9, s77, exec_lo
	s_and_b32 s10, s82, exec_lo
	s_and_b32 s12, s80, exec_lo
	s_or_b32 s77, s9, s10
	s_or_b32 s75, s11, s12
	s_and_not1_b32 exec_lo, exec_lo, s57
	s_cbranch_execz .LBB33_239
.LBB33_8:                               ; =>This Loop Header: Depth=1
                                        ;     Child Loop BB33_13 Depth 2
                                        ;     Child Loop BB33_32 Depth 2
	;; [unrolled: 1-line block ×16, first 2 shown]
	ds_load_b64 v[1:2], v7 offset:4096
	s_waitcnt lgkmcnt(0)
	v_readfirstlane_b32 s85, v1
	s_delay_alu instid0(VALU_DEP_1)
	s_cmp_gt_i32 s85, 0
	s_cbranch_scc1 .LBB33_39
; %bb.9:                                ;   in Loop: Header=BB33_8 Depth=1
	s_and_b32 vcc_lo, exec_lo, s62
	s_cbranch_vccz .LBB33_21
; %bb.10:                               ;   in Loop: Header=BB33_8 Depth=1
	v_cmp_gt_i32_e32 vcc_lo, 0x601, v2
	s_mov_b32 s10, 0
	s_mov_b32 s9, 0
	s_cbranch_vccz .LBB33_26
; %bb.11:                               ;   in Loop: Header=BB33_8 Depth=1
	global_load_u16 v1, v7, s[44:45]
	global_load_u16 v4, v[8:9], off
	v_mov_b32_e32 v3, v0
	s_mov_b32 s11, 0
	s_waitcnt vmcnt(1)
	v_add_nc_u32_e32 v2, v0, v1
	s_delay_alu instid0(VALU_DEP_1)
	v_mul_lo_u32 v6, s39, v2
	v_mul_lo_u32 v2, s39, v1
	s_branch .LBB33_13
.LBB33_12:                              ;   in Loop: Header=BB33_13 Depth=2
	s_or_b32 exec_lo, exec_lo, s9
	v_cmp_le_i32_e32 vcc_lo, s36, v3
	v_add_nc_u32_e32 v6, v6, v2
	v_mov_b32_e32 v4, v13
	s_or_b32 s11, vcc_lo, s11
	s_delay_alu instid0(SALU_CYCLE_1)
	s_and_not1_b32 exec_lo, exec_lo, s11
	s_cbranch_execz .LBB33_22
.LBB33_13:                              ;   Parent Loop BB33_8 Depth=1
                                        ; =>  This Inner Loop Header: Depth=2
	s_waitcnt lgkmcnt(0)
	v_dual_mov_b32 v14, 0 :: v_dual_add_nc_u32 v3, v3, v1
	v_mov_b32_e32 v13, 0
	s_mov_b32 s9, exec_lo
	s_delay_alu instid0(VALU_DEP_2)
	v_cmpx_gt_u32_e64 s36, v3
	s_cbranch_execz .LBB33_15
; %bb.14:                               ;   in Loop: Header=BB33_13 Depth=2
	v_lshlrev_b64 v[29:30], 1, v[6:7]
	s_delay_alu instid0(VALU_DEP_1) | instskip(NEXT) | instid1(VALU_DEP_2)
	v_add_co_u32 v29, vcc_lo, s54, v29
	v_add_co_ci_u32_e32 v30, vcc_lo, s55, v30, vcc_lo
	global_load_u16 v13, v[29:30], off
.LBB33_15:                              ;   in Loop: Header=BB33_13 Depth=2
	s_or_b32 exec_lo, exec_lo, s9
	s_waitcnt vmcnt(0)
	v_bfe_i32 v29, v4, 0, 16
	s_delay_alu instid0(VALU_DEP_1) | instskip(NEXT) | instid1(VALU_DEP_1)
	v_add_nc_u32_e32 v29, 0x8000, v29
	v_and_b32_e32 v29, s84, v29
	s_delay_alu instid0(VALU_DEP_1) | instskip(SKIP_2) | instid1(SALU_CYCLE_1)
	v_cmp_eq_u32_e32 vcc_lo, s83, v29
	s_cmp_lg_u32 vcc_lo, 0
	s_cselect_b32 s9, -1, 0
	s_and_b32 s9, s2, s9
	s_delay_alu instid0(SALU_CYCLE_1)
	s_and_saveexec_b32 s12, s9
	s_cbranch_execz .LBB33_19
; %bb.16:                               ;   in Loop: Header=BB33_13 Depth=2
	s_mov_b32 s15, exec_lo
	s_bcnt1_i32_b32 s13, vcc_lo
	v_mbcnt_lo_u32_b32 v14, s15, 0
	s_mov_b32 s14, exec_lo
                                        ; implicit-def: $vgpr29
	s_delay_alu instid0(VALU_DEP_1)
	v_cmpx_eq_u32_e32 0, v14
	s_cbranch_execz .LBB33_18
; %bb.17:                               ;   in Loop: Header=BB33_13 Depth=2
	s_bcnt1_i32_b32 s9, s15
	s_delay_alu instid0(SALU_CYCLE_1) | instskip(NEXT) | instid1(SALU_CYCLE_1)
	s_mul_i32 s9, s13, s9
	v_mov_b32_e32 v29, s9
	ds_add_rtn_u32 v29, v7, v29 offset:4104
.LBB33_18:                              ;   in Loop: Header=BB33_13 Depth=2
	s_or_b32 exec_lo, exec_lo, s14
	s_waitcnt lgkmcnt(0)
	v_readfirstlane_b32 s9, v29
	s_delay_alu instid0(VALU_DEP_1)
	v_mad_u32_u24 v14, s13, v14, s9
.LBB33_19:                              ;   in Loop: Header=BB33_13 Depth=2
	s_or_b32 exec_lo, exec_lo, s12
	ds_bpermute_b32 v14, v7, v14
	s_and_saveexec_b32 s9, vcc_lo
	s_cbranch_execz .LBB33_12
; %bb.20:                               ;   in Loop: Header=BB33_13 Depth=2
	v_and_b32_e32 v29, vcc_lo, v21
	s_delay_alu instid0(VALU_DEP_1) | instskip(NEXT) | instid1(VALU_DEP_1)
	v_bcnt_u32_b32 v29, v29, 0
	v_lshlrev_b32_e32 v29, 1, v29
	s_waitcnt lgkmcnt(0)
	s_delay_alu instid0(VALU_DEP_1)
	v_lshl_add_u32 v14, v14, 1, v29
	ds_store_b16 v14, v4
	s_branch .LBB33_12
.LBB33_21:                              ;   in Loop: Header=BB33_8 Depth=1
	s_mov_b32 s10, -1
	s_mov_b32 s9, 0
	s_branch .LBB33_25
.LBB33_22:                              ;   in Loop: Header=BB33_8 Depth=1
	s_or_b32 exec_lo, exec_lo, s11
	s_waitcnt lgkmcnt(0)
	s_barrier
	buffer_gl0_inv
	s_and_saveexec_b32 s9, s0
	s_cbranch_execz .LBB33_24
; %bb.23:                               ;   in Loop: Header=BB33_8 Depth=1
	ds_load_b32 v1, v7 offset:4104
	s_waitcnt lgkmcnt(0)
	ds_store_b32 v7, v1 offset:4096
.LBB33_24:                              ;   in Loop: Header=BB33_8 Depth=1
	s_or_b32 exec_lo, exec_lo, s9
	s_waitcnt lgkmcnt(0)
	s_mov_b32 s9, -1
	s_barrier
.LBB33_25:                              ;   in Loop: Header=BB33_8 Depth=1
                                        ; implicit-def: $sgpr85
.LBB33_26:                              ;   in Loop: Header=BB33_8 Depth=1
	s_and_b32 vcc_lo, exec_lo, s10
	s_cbranch_vccz .LBB33_37
; %bb.27:                               ;   in Loop: Header=BB33_8 Depth=1
	v_mov_b32_e32 v1, 0
	s_and_saveexec_b32 s9, s3
	s_cbranch_execz .LBB33_29
; %bb.28:                               ;   in Loop: Header=BB33_8 Depth=1
	global_load_u16 v1, v[8:9], off
.LBB33_29:                              ;   in Loop: Header=BB33_8 Depth=1
	s_or_b32 exec_lo, exec_lo, s9
	s_and_saveexec_b32 s9, s4
	s_cbranch_execz .LBB33_34
; %bb.30:                               ;   in Loop: Header=BB33_8 Depth=1
	global_load_u16 v2, v7, s[44:45]
	v_mov_b32_e32 v14, v0
	s_mov_b32 s10, 0
	v_mov_b32_e32 v13, v17
	s_waitcnt vmcnt(0)
	v_add_nc_u32_e32 v3, v0, v2
	v_lshlrev_b32_e32 v4, 1, v2
	s_delay_alu instid0(VALU_DEP_2)
	v_mul_lo_u32 v6, s39, v3
	v_mul_lo_u32 v3, s39, v2
	s_branch .LBB33_32
	.p2align	6
.LBB33_31:                              ;   in Loop: Header=BB33_32 Depth=2
	s_or_b32 exec_lo, exec_lo, s11
	v_cmp_le_i32_e32 vcc_lo, s36, v14
	ds_store_b16 v13, v1
	v_add_nc_u32_e32 v13, v13, v4
	s_waitcnt vmcnt(0)
	v_dual_mov_b32 v1, v29 :: v_dual_add_nc_u32 v6, v6, v3
	s_or_b32 s10, vcc_lo, s10
	s_delay_alu instid0(SALU_CYCLE_1)
	s_and_not1_b32 exec_lo, exec_lo, s10
	s_cbranch_execz .LBB33_34
.LBB33_32:                              ;   Parent Loop BB33_8 Depth=1
                                        ; =>  This Inner Loop Header: Depth=2
	v_dual_mov_b32 v29, 0 :: v_dual_add_nc_u32 v14, v14, v2
	s_mov_b32 s11, exec_lo
	s_delay_alu instid0(VALU_DEP_1)
	v_cmpx_gt_u32_e64 s36, v14
	s_cbranch_execz .LBB33_31
; %bb.33:                               ;   in Loop: Header=BB33_32 Depth=2
	s_delay_alu instid0(VALU_DEP_3) | instskip(NEXT) | instid1(VALU_DEP_1)
	v_lshlrev_b64 v[29:30], 1, v[6:7]
	v_add_co_u32 v29, vcc_lo, s54, v29
	s_delay_alu instid0(VALU_DEP_2)
	v_add_co_ci_u32_e32 v30, vcc_lo, s55, v30, vcc_lo
	global_load_u16 v29, v[29:30], off
	s_branch .LBB33_31
.LBB33_34:                              ;   in Loop: Header=BB33_8 Depth=1
	s_or_b32 exec_lo, exec_lo, s9
	s_waitcnt vmcnt(0) lgkmcnt(0)
	s_barrier
	buffer_gl0_inv
	s_and_saveexec_b32 s9, s0
	s_cbranch_execz .LBB33_36
; %bb.35:                               ;   in Loop: Header=BB33_8 Depth=1
	v_mov_b32_e32 v1, s36
	ds_store_b32 v7, v1 offset:4096
.LBB33_36:                              ;   in Loop: Header=BB33_8 Depth=1
	s_or_b32 exec_lo, exec_lo, s9
	s_mov_b32 s9, -1
	s_waitcnt lgkmcnt(0)
	s_barrier
                                        ; implicit-def: $sgpr85
.LBB33_37:                              ;   in Loop: Header=BB33_8 Depth=1
	s_and_b32 vcc_lo, exec_lo, s9
	s_cbranch_vccz .LBB33_39
; %bb.38:                               ;   in Loop: Header=BB33_8 Depth=1
	buffer_gl0_inv
	ds_load_b32 v1, v7 offset:4096
	s_waitcnt lgkmcnt(0)
	v_readfirstlane_b32 s85, v1
.LBB33_39:                              ;   in Loop: Header=BB33_8 Depth=1
	s_delay_alu instid0(VALU_DEP_1)
	s_cmp_lt_i32 s85, 1
	s_cbranch_scc0 .LBB33_43
; %bb.40:                               ;   in Loop: Header=BB33_8 Depth=1
	v_dual_mov_b32 v1, 0 :: v_dual_mov_b32 v2, 0
	v_dual_mov_b32 v3, 0 :: v_dual_mov_b32 v4, 0
	s_mov_b32 s87, 0
	s_and_saveexec_b32 s86, s5
	s_cbranch_execnz .LBB33_44
; %bb.41:                               ;   in Loop: Header=BB33_8 Depth=1
	s_or_b32 exec_lo, exec_lo, s86
	v_mov_b32_e32 v29, 0
	s_and_saveexec_b32 s9, s6
	s_cbranch_execnz .LBB33_47
.LBB33_42:                              ;   in Loop: Header=BB33_8 Depth=1
	s_or_b32 exec_lo, exec_lo, s9
	s_and_saveexec_b32 s13, s7
	s_cbranch_execnz .LBB33_48
	s_branch .LBB33_53
.LBB33_43:                              ;   in Loop: Header=BB33_8 Depth=1
                                        ; implicit-def: $vgpr4
	s_cbranch_execnz .LBB33_54
	s_branch .LBB33_63
.LBB33_44:                              ;   in Loop: Header=BB33_8 Depth=1
	v_mov_b32_e32 v6, v16
	s_and_b32 s88, s78, 0xfe
	s_mov_b32 s89, 0
	s_mov_b32 s90, 0
	;; [unrolled: 1-line block ×5, first 2 shown]
.LBB33_45:                              ;   Parent Loop BB33_8 Depth=1
                                        ; =>  This Inner Loop Header: Depth=2
	v_add_nc_u32_e32 v1, s89, v24
	v_add_nc_u32_e32 v3, s89, v12
	;; [unrolled: 1-line block ×4, first 2 shown]
	s_add_i32 s89, s89, s72
	v_ashrrev_i32_e32 v2, 31, v1
	v_ashrrev_i32_e32 v4, 31, v3
	;; [unrolled: 1-line block ×4, first 2 shown]
	s_delay_alu instid0(VALU_DEP_4) | instskip(NEXT) | instid1(VALU_DEP_4)
	v_lshlrev_b64 v[1:2], 1, v[1:2]
	v_lshlrev_b64 v[3:4], 1, v[3:4]
	s_delay_alu instid0(VALU_DEP_4) | instskip(NEXT) | instid1(VALU_DEP_4)
	v_lshlrev_b64 v[13:14], 1, v[13:14]
	v_lshlrev_b64 v[29:30], 1, v[29:30]
	s_delay_alu instid0(VALU_DEP_4)
	v_add_co_u32 v1, vcc_lo, s54, v1
	v_add_co_ci_u32_e32 v2, vcc_lo, s55, v2, vcc_lo
	v_add_co_u32 v3, vcc_lo, s54, v3
	v_add_co_ci_u32_e32 v4, vcc_lo, s55, v4, vcc_lo
	;; [unrolled: 2-line block ×4, first 2 shown]
	s_clause 0x3
	global_load_i16 v1, v[1:2], off
	global_load_i16 v2, v[3:4], off
	;; [unrolled: 1-line block ×4, first 2 shown]
	s_waitcnt vmcnt(3)
	v_add_nc_u32_e32 v1, 0x8000, v1
	s_waitcnt vmcnt(2)
	v_add_nc_u32_e32 v2, 0x8000, v2
	;; [unrolled: 2-line block ×4, first 2 shown]
	v_and_b32_e32 v13, s84, v1
	v_bfe_u32 v1, v1, s88, 2
	v_and_b32_e32 v14, s84, v2
	v_bfe_u32 v2, v2, s88, 2
	;; [unrolled: 2-line block ×3, first 2 shown]
	v_cmp_eq_u32_e64 s9, s83, v13
	v_cmp_eq_u32_e64 s13, 0, v1
	v_and_b32_e32 v30, s84, v4
	v_bfe_u32 v4, v4, s88, 2
	v_cmp_eq_u32_e64 s10, s83, v14
	v_cmp_eq_u32_e64 s14, 0, v2
	;; [unrolled: 1-line block ×4, first 2 shown]
	s_and_b32 s13, s9, s13
	v_cmp_eq_u32_e64 s12, s83, v30
	v_cmp_eq_u32_e64 s16, 0, v4
	;; [unrolled: 1-line block ×5, first 2 shown]
	v_cndmask_b32_e64 v1, 0, 1, s13
	s_and_b32 s13, s10, s14
	v_cmp_eq_u32_e64 s18, 1, v2
	v_cmp_eq_u32_e64 s22, 2, v2
	v_cmp_eq_u32_e64 s26, 3, v2
	v_cndmask_b32_e64 v2, 0, 1, s13
	s_and_b32 s13, s11, s15
	v_cmp_eq_u32_e64 s19, 1, v3
	v_cmp_eq_u32_e64 s23, 2, v3
	v_cmp_eq_u32_e64 s27, 3, v3
	;; [unrolled: 5-line block ×3, first 2 shown]
	v_cndmask_b32_e64 v4, 0, 1, s13
	s_and_b32 s13, s9, s17
	s_delay_alu instid0(SALU_CYCLE_1) | instskip(SKIP_1) | instid1(SALU_CYCLE_1)
	v_cndmask_b32_e64 v13, 0, 1, s13
	s_and_b32 s13, s10, s18
	v_cndmask_b32_e64 v14, 0, 1, s13
	s_and_b32 s13, s11, s19
	s_delay_alu instid0(SALU_CYCLE_1) | instskip(SKIP_1) | instid1(VALU_DEP_2)
	v_cndmask_b32_e64 v29, 0, 1, s13
	s_and_b32 s13, s12, s20
	v_cmp_ne_u32_e64 s14, 0, v14
	v_cndmask_b32_e64 v30, 0, 1, s13
	s_and_b32 s13, s9, s21
	s_and_b32 s9, s9, s25
	v_cndmask_b32_e64 v31, 0, 1, s13
	v_cndmask_b32_e64 v35, 0, 1, s9
	s_and_b32 s9, s10, s26
	s_and_b32 s13, s10, s22
	v_cndmask_b32_e64 v36, 0, 1, s9
	s_and_b32 s9, s11, s27
	v_cndmask_b32_e64 v32, 0, 1, s13
	v_cndmask_b32_e64 v37, 0, 1, s9
	s_and_b32 s9, s12, s28
	s_and_b32 s13, s11, s23
	v_cndmask_b32_e64 v38, 0, 1, s9
	v_cmp_ne_u32_e64 s9, 0, v1
	v_cmp_ne_u32_e64 s10, 0, v2
	v_cndmask_b32_e64 v33, 0, 1, s13
	s_and_b32 s13, s12, s24
	v_cmp_ne_u32_e64 s11, 0, v3
	v_cndmask_b32_e64 v34, 0, 1, s13
	v_cmp_ne_u32_e64 s13, 0, v13
	v_cmp_ne_u32_e64 s17, 0, v31
	;; [unrolled: 1-line block ×3, first 2 shown]
	s_bcnt1_i32_b32 s9, s9
	v_cmp_ne_u32_e64 s12, 0, v4
	v_cmp_ne_u32_e64 s18, 0, v32
	;; [unrolled: 1-line block ×3, first 2 shown]
	s_bcnt1_i32_b32 s10, s10
	s_add_i32 s9, s9, s93
	v_cmp_ne_u32_e64 s15, 0, v29
	v_cmp_ne_u32_e64 s19, 0, v33
	v_cmp_ne_u32_e64 s23, 0, v37
	s_bcnt1_i32_b32 s11, s11
	s_add_i32 s9, s9, s10
	s_bcnt1_i32_b32 s13, s13
	s_bcnt1_i32_b32 s17, s17
	;; [unrolled: 1-line block ×3, first 2 shown]
	v_cmp_ne_u32_e64 s16, 0, v30
	v_cmp_ne_u32_e64 s20, 0, v34
	;; [unrolled: 1-line block ×3, first 2 shown]
	s_bcnt1_i32_b32 s12, s12
	s_add_i32 s9, s9, s11
	s_bcnt1_i32_b32 s14, s14
	s_bcnt1_i32_b32 s18, s18
	;; [unrolled: 1-line block ×3, first 2 shown]
	s_add_i32 s13, s13, s92
	s_add_i32 s17, s17, s91
	;; [unrolled: 1-line block ×4, first 2 shown]
	s_delay_alu instid0(SALU_CYCLE_1)
	v_dual_mov_b32 v1, s93 :: v_dual_add_nc_u32 v6, s58, v6
	s_bcnt1_i32_b32 s15, s15
	s_bcnt1_i32_b32 s19, s19
	;; [unrolled: 1-line block ×3, first 2 shown]
	s_add_i32 s10, s13, s14
	s_add_i32 s13, s17, s18
	;; [unrolled: 1-line block ×3, first 2 shown]
	s_bcnt1_i32_b32 s16, s16
	s_bcnt1_i32_b32 s20, s20
	;; [unrolled: 1-line block ×3, first 2 shown]
	s_add_i32 s10, s10, s15
	s_add_i32 s11, s13, s19
	;; [unrolled: 1-line block ×3, first 2 shown]
	v_cmp_le_i32_e32 vcc_lo, s69, v6
	s_add_i32 s92, s10, s16
	s_add_i32 s91, s11, s20
	;; [unrolled: 1-line block ×3, first 2 shown]
	v_dual_mov_b32 v2, s92 :: v_dual_mov_b32 v3, s91
	v_mov_b32_e32 v4, s90
	s_or_b32 s87, vcc_lo, s87
	s_delay_alu instid0(SALU_CYCLE_1)
	s_and_not1_b32 exec_lo, exec_lo, s87
	s_cbranch_execnz .LBB33_45
; %bb.46:                               ;   in Loop: Header=BB33_8 Depth=1
	s_or_b32 exec_lo, exec_lo, s87
	s_delay_alu instid0(SALU_CYCLE_1)
	s_or_b32 exec_lo, exec_lo, s86
	v_mov_b32_e32 v29, 0
	s_and_saveexec_b32 s9, s6
	s_cbranch_execz .LBB33_42
.LBB33_47:                              ;   in Loop: Header=BB33_8 Depth=1
	global_load_u16 v29, v[10:11], off
	s_or_b32 exec_lo, exec_lo, s9
	s_and_saveexec_b32 s13, s7
	s_cbranch_execz .LBB33_53
.LBB33_48:                              ;   in Loop: Header=BB33_8 Depth=1
	v_dual_mov_b32 v13, v25 :: v_dual_mov_b32 v6, v19
	s_and_b32 s15, s78, 0xfe
	s_mov_b32 s14, 0
	s_branch .LBB33_50
.LBB33_49:                              ;   in Loop: Header=BB33_50 Depth=2
	s_or_b32 exec_lo, exec_lo, s9
	s_waitcnt vmcnt(0)
	v_bfe_i32 v29, v29, 0, 16
	v_add_nc_u32_e32 v13, s59, v13
	s_delay_alu instid0(VALU_DEP_2) | instskip(NEXT) | instid1(VALU_DEP_1)
	v_add_nc_u32_e32 v29, 0x8000, v29
	v_and_b32_e32 v30, s84, v29
	v_bfe_u32 v29, v29, s15, 2
	s_delay_alu instid0(VALU_DEP_2) | instskip(NEXT) | instid1(VALU_DEP_2)
	v_cmp_eq_u32_e32 vcc_lo, s83, v30
	v_cmp_eq_u32_e64 s9, 0, v29
	v_cmp_eq_u32_e64 s10, 1, v29
	;; [unrolled: 1-line block ×4, first 2 shown]
	s_delay_alu instid0(VALU_DEP_4) | instskip(NEXT) | instid1(SALU_CYCLE_1)
	s_and_b32 s9, vcc_lo, s9
	v_cndmask_b32_e64 v29, 0, 1, s9
	s_and_b32 s9, vcc_lo, s10
	s_delay_alu instid0(SALU_CYCLE_1) | instskip(SKIP_1) | instid1(SALU_CYCLE_1)
	v_cndmask_b32_e64 v30, 0, 1, s9
	s_and_b32 s9, vcc_lo, s11
	v_cndmask_b32_e64 v31, 0, 1, s9
	s_and_b32 s9, vcc_lo, s12
	v_cmp_ne_u32_e32 vcc_lo, 0, v29
	v_mov_b32_e32 v29, v14
	v_cndmask_b32_e64 v32, 0, 1, s9
	v_cmp_ne_u32_e64 s9, 0, v30
	v_cmp_ne_u32_e64 s10, 0, v31
	v_cmp_le_i32_e64 s12, s36, v6
	s_bcnt1_i32_b32 s16, vcc_lo
	v_cmp_ne_u32_e64 s11, 0, v32
	s_bcnt1_i32_b32 s9, s9
	s_bcnt1_i32_b32 s10, s10
	v_add_nc_u32_e32 v1, s16, v1
	v_add_nc_u32_e32 v2, s9, v2
	s_bcnt1_i32_b32 s11, s11
	v_add_nc_u32_e32 v3, s10, v3
	v_add_nc_u32_e32 v4, s11, v4
	s_or_b32 s14, s12, s14
	s_delay_alu instid0(SALU_CYCLE_1)
	s_and_not1_b32 exec_lo, exec_lo, s14
	s_cbranch_execz .LBB33_52
.LBB33_50:                              ;   Parent Loop BB33_8 Depth=1
                                        ; =>  This Inner Loop Header: Depth=2
	s_delay_alu instid0(VALU_DEP_1) | instskip(SKIP_2) | instid1(VALU_DEP_2)
	v_add_nc_u32_e32 v6, s56, v6
	v_mov_b32_e32 v14, 0
	s_mov_b32 s9, exec_lo
	v_cmpx_gt_u32_e64 s36, v6
	s_cbranch_execz .LBB33_49
; %bb.51:                               ;   in Loop: Header=BB33_50 Depth=2
	v_ashrrev_i32_e32 v14, 31, v13
	s_delay_alu instid0(VALU_DEP_1) | instskip(NEXT) | instid1(VALU_DEP_1)
	v_lshlrev_b64 v[30:31], 1, v[13:14]
	v_add_co_u32 v30, vcc_lo, s54, v30
	s_delay_alu instid0(VALU_DEP_2)
	v_add_co_ci_u32_e32 v31, vcc_lo, s55, v31, vcc_lo
	global_load_u16 v14, v[30:31], off
	s_branch .LBB33_49
.LBB33_52:                              ;   in Loop: Header=BB33_8 Depth=1
	s_or_b32 exec_lo, exec_lo, s14
.LBB33_53:                              ;   in Loop: Header=BB33_8 Depth=1
	s_delay_alu instid0(SALU_CYCLE_1)
	s_or_b32 exec_lo, exec_lo, s13
	s_branch .LBB33_63
.LBB33_54:                              ;   in Loop: Header=BB33_8 Depth=1
	s_mul_hi_u32 s9, s85, s68
	v_dual_mov_b32 v1, 0 :: v_dual_mov_b32 v2, 0
	s_mul_i32 s9, s9, s58
	v_dual_mov_b32 v3, 0 :: v_dual_mov_b32 v4, 0
	s_sub_i32 s9, s85, s9
	s_mov_b32 s88, 0
	s_sub_i32 s10, s9, s58
	s_cmp_ge_u32 s9, s58
	s_mov_b32 s87, exec_lo
	s_cselect_b32 s9, s10, s9
	s_delay_alu instid0(SALU_CYCLE_1) | instskip(SKIP_2) | instid1(SALU_CYCLE_1)
	s_sub_i32 s10, s9, s58
	s_cmp_ge_u32 s9, s58
	s_cselect_b32 s9, s10, s9
	s_sub_i32 s86, s85, s9
	s_delay_alu instid0(SALU_CYCLE_1)
	v_cmpx_gt_u32_e64 s86, v16
	s_cbranch_execz .LBB33_58
; %bb.55:                               ;   in Loop: Header=BB33_8 Depth=1
	v_dual_mov_b32 v6, v26 :: v_dual_mov_b32 v13, v16
	s_and_b32 s89, s78, 0xfe
	s_mov_b32 s90, 0
	s_mov_b32 s91, 0
	;; [unrolled: 1-line block ×4, first 2 shown]
.LBB33_56:                              ;   Parent Loop BB33_8 Depth=1
                                        ; =>  This Inner Loop Header: Depth=2
	ds_load_b64 v[1:2], v6
	s_waitcnt lgkmcnt(0)
	v_bfe_i32 v3, v1, 0, 16
	v_ashrrev_i32_e32 v1, 16, v1
	v_bfe_i32 v4, v2, 0, 16
	v_ashrrev_i32_e32 v2, 16, v2
	s_delay_alu instid0(VALU_DEP_4) | instskip(NEXT) | instid1(VALU_DEP_4)
	v_add_nc_u32_e32 v3, 0x8000, v3
	v_add_nc_u32_e32 v1, 0x8000, v1
	s_delay_alu instid0(VALU_DEP_4) | instskip(NEXT) | instid1(VALU_DEP_4)
	v_add_nc_u32_e32 v4, 0x8000, v4
	v_add_nc_u32_e32 v2, 0x8000, v2
	s_delay_alu instid0(VALU_DEP_4)
	v_and_b32_e32 v14, s84, v3
	v_bfe_u32 v3, v3, s89, 2
	s_waitcnt vmcnt(0)
	v_and_b32_e32 v29, s84, v1
	v_bfe_u32 v1, v1, s89, 2
	v_and_b32_e32 v30, s84, v4
	v_bfe_u32 v4, v4, s89, 2
	v_cmp_eq_u32_e64 s9, s83, v14
	v_cmp_eq_u32_e64 s13, 0, v3
	v_and_b32_e32 v31, s84, v2
	v_bfe_u32 v2, v2, s89, 2
	v_cmp_eq_u32_e64 s10, s83, v29
	v_cmp_eq_u32_e64 s14, 0, v1
	;; [unrolled: 1-line block ×4, first 2 shown]
	s_and_b32 s13, s9, s13
	v_cmp_eq_u32_e64 s12, s83, v31
	v_cmp_eq_u32_e64 s16, 0, v2
	;; [unrolled: 1-line block ×5, first 2 shown]
	v_cndmask_b32_e64 v1, 0, 1, s13
	s_and_b32 s13, s10, s14
	v_cmp_eq_u32_e64 s17, 1, v3
	v_cmp_eq_u32_e64 s20, 1, v2
	;; [unrolled: 1-line block ×4, first 2 shown]
	v_cndmask_b32_e64 v2, 0, 1, s13
	s_and_b32 s13, s11, s15
	v_cmp_eq_u32_e64 s21, 2, v3
	v_cmp_eq_u32_e64 s25, 3, v3
	v_cndmask_b32_e64 v3, 0, 1, s13
	s_and_b32 s13, s12, s16
	v_cmp_eq_u32_e64 s19, 1, v4
	v_cmp_eq_u32_e64 s23, 2, v4
	;; [unrolled: 1-line block ×3, first 2 shown]
	v_cndmask_b32_e64 v4, 0, 1, s13
	s_and_b32 s13, s9, s17
	s_delay_alu instid0(SALU_CYCLE_1) | instskip(SKIP_1) | instid1(SALU_CYCLE_1)
	v_cndmask_b32_e64 v14, 0, 1, s13
	s_and_b32 s13, s10, s18
	v_cndmask_b32_e64 v29, 0, 1, s13
	s_and_b32 s13, s11, s19
	s_delay_alu instid0(SALU_CYCLE_1) | instskip(SKIP_1) | instid1(VALU_DEP_2)
	v_cndmask_b32_e64 v30, 0, 1, s13
	s_and_b32 s13, s12, s20
	v_cmp_ne_u32_e64 s14, 0, v29
	v_cndmask_b32_e64 v31, 0, 1, s13
	s_and_b32 s13, s9, s21
	s_and_b32 s9, s9, s25
	v_cndmask_b32_e64 v32, 0, 1, s13
	s_and_b32 s13, s10, s22
	v_cndmask_b32_e64 v36, 0, 1, s9
	;; [unrolled: 2-line block ×7, first 2 shown]
	v_cndmask_b32_e64 v39, 0, 1, s9
	v_cmp_ne_u32_e64 s9, 0, v1
	v_cmp_ne_u32_e64 s13, 0, v14
	;; [unrolled: 1-line block ×6, first 2 shown]
	s_bcnt1_i32_b32 s9, s9
	s_bcnt1_i32_b32 s13, s13
	v_cmp_ne_u32_e64 s16, 0, v31
	v_cmp_ne_u32_e64 s18, 0, v33
	;; [unrolled: 1-line block ×3, first 2 shown]
	s_bcnt1_i32_b32 s10, s10
	s_bcnt1_i32_b32 s14, s14
	s_add_i32 s9, s9, s93
	s_add_i32 s13, s13, s92
	v_cmp_ne_u32_e64 s11, 0, v3
	v_cmp_ne_u32_e64 s19, 0, v34
	;; [unrolled: 1-line block ×3, first 2 shown]
	s_bcnt1_i32_b32 s15, s15
	s_add_i32 s9, s9, s10
	s_add_i32 s10, s13, s14
	s_bcnt1_i32_b32 s17, s17
	s_bcnt1_i32_b32 s21, s21
	v_cmp_ne_u32_e64 s12, 0, v4
	v_cmp_ne_u32_e64 s20, 0, v35
	;; [unrolled: 1-line block ×3, first 2 shown]
	s_bcnt1_i32_b32 s16, s16
	s_add_i32 s10, s10, s15
	s_bcnt1_i32_b32 s18, s18
	s_bcnt1_i32_b32 s22, s22
	s_add_i32 s17, s17, s91
	s_add_i32 s21, s21, s90
	;; [unrolled: 1-line block ×3, first 2 shown]
	s_delay_alu instid0(SALU_CYCLE_1)
	v_dual_mov_b32 v2, s92 :: v_dual_add_nc_u32 v13, s58, v13
	s_bcnt1_i32_b32 s11, s11
	s_bcnt1_i32_b32 s19, s19
	s_bcnt1_i32_b32 s23, s23
	s_add_i32 s13, s17, s18
	s_add_i32 s14, s21, s22
	s_bcnt1_i32_b32 s12, s12
	s_bcnt1_i32_b32 s20, s20
	;; [unrolled: 1-line block ×3, first 2 shown]
	s_add_i32 s9, s9, s11
	s_add_i32 s11, s13, s19
	s_add_i32 s13, s14, s23
	v_cmp_le_i32_e32 vcc_lo, s86, v13
	s_add_i32 s93, s9, s12
	s_add_i32 s91, s11, s20
	;; [unrolled: 1-line block ×3, first 2 shown]
	v_dual_mov_b32 v1, s93 :: v_dual_add_nc_u32 v6, s73, v6
	v_dual_mov_b32 v3, s91 :: v_dual_mov_b32 v4, s90
	s_or_b32 s88, vcc_lo, s88
	s_delay_alu instid0(SALU_CYCLE_1)
	s_and_not1_b32 exec_lo, exec_lo, s88
	s_cbranch_execnz .LBB33_56
; %bb.57:                               ;   in Loop: Header=BB33_8 Depth=1
	s_or_b32 exec_lo, exec_lo, s88
.LBB33_58:                              ;   in Loop: Header=BB33_8 Depth=1
	s_delay_alu instid0(SALU_CYCLE_1) | instskip(SKIP_2) | instid1(VALU_DEP_1)
	s_or_b32 exec_lo, exec_lo, s87
	v_add_nc_u32_e32 v6, s86, v0
	s_mov_b32 s14, exec_lo
	v_cmpx_gt_i32_e64 s85, v6
	s_cbranch_execz .LBB33_62
; %bb.59:                               ;   in Loop: Header=BB33_8 Depth=1
	v_lshlrev_b32_e32 v13, 1, v6
	s_and_b32 s16, s78, 0xfe
	s_mov_b32 s15, 0
.LBB33_60:                              ;   Parent Loop BB33_8 Depth=1
                                        ; =>  This Inner Loop Header: Depth=2
	ds_load_i16 v14, v13
	v_add_nc_u32_e32 v6, s56, v6
	v_add_nc_u32_e32 v13, s74, v13
	s_delay_alu instid0(VALU_DEP_2) | instskip(SKIP_3) | instid1(VALU_DEP_1)
	v_cmp_le_i32_e32 vcc_lo, s85, v6
	s_waitcnt lgkmcnt(0)
	v_add_nc_u32_e32 v14, 0x8000, v14
	s_waitcnt vmcnt(0)
	v_and_b32_e32 v29, s84, v14
	v_bfe_u32 v14, v14, s16, 2
	s_delay_alu instid0(VALU_DEP_2) | instskip(NEXT) | instid1(VALU_DEP_2)
	v_cmp_eq_u32_e64 s9, s83, v29
	v_cmp_eq_u32_e64 s10, 0, v14
	;; [unrolled: 1-line block ×5, first 2 shown]
	s_delay_alu instid0(VALU_DEP_4) | instskip(NEXT) | instid1(SALU_CYCLE_1)
	s_and_b32 s10, s9, s10
	v_cndmask_b32_e64 v14, 0, 1, s10
	s_and_b32 s10, s9, s11
	s_delay_alu instid0(SALU_CYCLE_1)
	v_cndmask_b32_e64 v29, 0, 1, s10
	s_and_b32 s10, s9, s12
	s_and_b32 s9, s9, s13
	v_cndmask_b32_e64 v30, 0, 1, s10
	v_cndmask_b32_e64 v31, 0, 1, s9
	v_cmp_ne_u32_e64 s9, 0, v14
	v_cmp_ne_u32_e64 s10, 0, v29
	s_delay_alu instid0(VALU_DEP_4) | instskip(NEXT) | instid1(VALU_DEP_4)
	v_cmp_ne_u32_e64 s11, 0, v30
	v_cmp_ne_u32_e64 s12, 0, v31
	s_delay_alu instid0(VALU_DEP_4) | instskip(NEXT) | instid1(VALU_DEP_3)
	s_bcnt1_i32_b32 s9, s9
	s_bcnt1_i32_b32 s10, s10
	v_add_nc_u32_e32 v1, s9, v1
	s_bcnt1_i32_b32 s11, s11
	s_bcnt1_i32_b32 s12, s12
	v_add_nc_u32_e32 v2, s10, v2
	v_add_nc_u32_e32 v3, s11, v3
	;; [unrolled: 1-line block ×3, first 2 shown]
	s_or_b32 s15, vcc_lo, s15
	s_delay_alu instid0(SALU_CYCLE_1)
	s_and_not1_b32 exec_lo, exec_lo, s15
	s_cbranch_execnz .LBB33_60
; %bb.61:                               ;   in Loop: Header=BB33_8 Depth=1
	s_or_b32 exec_lo, exec_lo, s15
.LBB33_62:                              ;   in Loop: Header=BB33_8 Depth=1
	s_delay_alu instid0(SALU_CYCLE_1)
	s_or_b32 exec_lo, exec_lo, s14
.LBB33_63:                              ;   in Loop: Header=BB33_8 Depth=1
	s_lshl_b32 s9, s81, 7
	s_and_saveexec_b32 s10, s2
	s_cbranch_execz .LBB33_65
; %bb.64:                               ;   in Loop: Header=BB33_8 Depth=1
	v_or_b32_e32 v6, s9, v20
	s_delay_alu instid0(VALU_DEP_1)
	v_lshlrev_b32_e32 v6, 2, v6
	ds_store_b128 v6, v[1:4] offset:3072
.LBB33_65:                              ;   in Loop: Header=BB33_8 Depth=1
	s_or_b32 exec_lo, exec_lo, s10
	s_waitcnt vmcnt(0) lgkmcnt(0)
	s_barrier
	buffer_gl0_inv
	s_and_saveexec_b32 s10, s61
	s_cbranch_execz .LBB33_75
; %bb.66:                               ;   in Loop: Header=BB33_8 Depth=1
	v_mov_b32_e32 v1, 0
	s_and_not1_b32 vcc_lo, exec_lo, s63
	s_cbranch_vccnz .LBB33_74
; %bb.67:                               ;   in Loop: Header=BB33_8 Depth=1
	v_mov_b32_e32 v1, 0
	s_and_not1_b32 vcc_lo, exec_lo, s65
	s_mov_b32 s11, 0
	s_cbranch_vccnz .LBB33_71
; %bb.68:                               ;   in Loop: Header=BB33_8 Depth=1
	v_lshl_add_u32 v2, s81, 9, v27
	v_mov_b32_e32 v1, 0
	.p2align	6
.LBB33_69:                              ;   Parent Loop BB33_8 Depth=1
                                        ; =>  This Inner Loop Header: Depth=2
	ds_load_2addr_b32 v[3:4], v2 offset1:4
	ds_load_2addr_b32 v[13:14], v2 offset0:8 offset1:12
	ds_load_2addr_b32 v[29:30], v2 offset0:16 offset1:20
	;; [unrolled: 1-line block ×3, first 2 shown]
	v_add_nc_u32_e32 v2, 0x80, v2
	s_add_i32 s11, s11, 8
	s_delay_alu instid0(SALU_CYCLE_1) | instskip(SKIP_3) | instid1(VALU_DEP_1)
	s_cmp_eq_u32 s66, s11
	s_waitcnt lgkmcnt(3)
	v_add3_u32 v1, v3, v1, v4
	s_waitcnt lgkmcnt(2)
	v_add3_u32 v1, v13, v1, v14
	s_waitcnt lgkmcnt(1)
	s_delay_alu instid0(VALU_DEP_1) | instskip(SKIP_1) | instid1(VALU_DEP_1)
	v_add3_u32 v1, v29, v1, v30
	s_waitcnt lgkmcnt(0)
	v_add3_u32 v1, v31, v1, v32
	s_cbranch_scc0 .LBB33_69
; %bb.70:                               ;   in Loop: Header=BB33_8 Depth=1
	s_mov_b32 s11, s66
.LBB33_71:                              ;   in Loop: Header=BB33_8 Depth=1
	s_and_not1_b32 vcc_lo, exec_lo, s67
	s_cbranch_vccnz .LBB33_74
; %bb.72:                               ;   in Loop: Header=BB33_8 Depth=1
	s_lshl_b32 s12, s81, 9
	s_lshl_b32 s11, s11, 4
	s_delay_alu instid0(SALU_CYCLE_1)
	v_add3_u32 v2, s12, s11, v27
	s_mov_b32 s11, s64
.LBB33_73:                              ;   Parent Loop BB33_8 Depth=1
                                        ; =>  This Inner Loop Header: Depth=2
	ds_load_b32 v3, v2
	v_add_nc_u32_e32 v2, 16, v2
	s_add_i32 s11, s11, -1
	s_delay_alu instid0(SALU_CYCLE_1)
	s_cmp_lg_u32 s11, 0
	s_waitcnt lgkmcnt(0)
	v_add_nc_u32_e32 v1, v3, v1
	s_cbranch_scc1 .LBB33_73
.LBB33_74:                              ;   in Loop: Header=BB33_8 Depth=1
	v_add_lshl_u32 v2, s9, v15, 2
	ds_store_b32 v2, v1 offset:3072
.LBB33_75:                              ;   in Loop: Header=BB33_8 Depth=1
	s_or_b32 exec_lo, exec_lo, s10
	s_lshl_b32 s9, s9, 2
	s_waitcnt lgkmcnt(0)
	v_mov_b32_e32 v1, s9
	s_barrier
	buffer_gl0_inv
	s_and_b32 s18, s78, 0xfe
	s_mov_b32 s14, -1
	ds_load_b128 v[1:4], v1 offset:3072
	s_lshl_b32 s11, 3, s18
	s_delay_alu instid0(SALU_CYCLE_1) | instskip(SKIP_4) | instid1(VALU_DEP_3)
	s_not_b32 s19, s11
	s_waitcnt lgkmcnt(0)
	v_readfirstlane_b32 s13, v1
	v_readfirstlane_b32 s21, v2
	;; [unrolled: 1-line block ×3, first 2 shown]
	s_cmp_eq_u32 s13, 1
	s_cselect_b32 s9, -1, 0
	s_cmp_eq_u32 s37, 1
	s_cselect_b32 s10, -1, 0
	s_delay_alu instid0(SALU_CYCLE_1)
	s_and_b32 s15, s9, s10
	v_readfirstlane_b32 s10, v4
	s_and_b32 vcc_lo, exec_lo, s15
	s_cbranch_vccz .LBB33_87
; %bb.76:                               ;   in Loop: Header=BB33_8 Depth=1
	ds_load_b32 v1, v7 offset:4096
	s_waitcnt lgkmcnt(0)
	s_barrier
	buffer_gl0_inv
	v_readfirstlane_b32 s12, v1
	s_and_saveexec_b32 s9, s1
	s_cbranch_execz .LBB33_78
; %bb.77:                               ;   in Loop: Header=BB33_8 Depth=1
	ds_store_b16 v18, v7
.LBB33_78:                              ;   in Loop: Header=BB33_8 Depth=1
	s_or_b32 exec_lo, exec_lo, s9
	s_and_b32 s83, s83, s19
	s_or_b32 s84, s84, s11
	s_cmp_lt_i32 s12, 1
	s_waitcnt lgkmcnt(0)
	s_barrier
	buffer_gl0_inv
	s_cbranch_scc0 .LBB33_88
; %bb.79:                               ;   in Loop: Header=BB33_8 Depth=1
	s_mov_b32 s9, 0
                                        ; implicit-def: $vgpr28
	s_and_saveexec_b32 s17, s8
	s_cbranch_execz .LBB33_90
; %bb.80:                               ;   in Loop: Header=BB33_8 Depth=1
	v_mov_b32_e32 v1, v5
	v_mov_b32_e32 v3, v0
	s_mov_b32 s20, 0
                                        ; implicit-def: $sgpr22
	s_set_inst_prefetch_distance 0x1
	s_branch .LBB33_82
	.p2align	6
.LBB33_81:                              ;   in Loop: Header=BB33_82 Depth=2
	s_or_b32 exec_lo, exec_lo, s9
	s_waitcnt vmcnt(0) lgkmcnt(0)
	s_barrier
	buffer_gl0_inv
	ds_load_b32 v2, v7 offset:3072
	v_add_nc_u32_e32 v3, s56, v3
	v_add_nc_u32_e32 v1, s59, v1
	s_waitcnt lgkmcnt(0)
	s_barrier
	buffer_gl0_inv
	v_cmp_le_i32_e32 vcc_lo, s71, v3
	v_cmp_ne_u16_e64 s9, 0, v2
	s_delay_alu instid0(VALU_DEP_1) | instskip(NEXT) | instid1(SALU_CYCLE_1)
	s_or_b32 s23, vcc_lo, s9
	s_and_b32 s23, exec_lo, s23
	s_delay_alu instid0(SALU_CYCLE_1) | instskip(SKIP_2) | instid1(SALU_CYCLE_1)
	s_or_b32 s20, s23, s20
	s_and_not1_b32 s22, s22, exec_lo
	s_and_b32 s9, s9, exec_lo
	s_or_b32 s22, s22, s9
	s_and_not1_b32 exec_lo, exec_lo, s20
	s_cbranch_execz .LBB33_89
.LBB33_82:                              ;   Parent Loop BB33_8 Depth=1
                                        ; =>  This Inner Loop Header: Depth=2
	s_delay_alu instid0(VALU_DEP_1)
	v_cmp_gt_i32_e32 vcc_lo, s36, v3
	v_mov_b32_e32 v2, 0
	s_and_saveexec_b32 s23, vcc_lo
	s_cbranch_execz .LBB33_84
; %bb.83:                               ;   in Loop: Header=BB33_82 Depth=2
	v_ashrrev_i32_e32 v2, 31, v1
	s_delay_alu instid0(VALU_DEP_1) | instskip(NEXT) | instid1(VALU_DEP_1)
	v_lshlrev_b64 v[13:14], 1, v[1:2]
	v_add_co_u32 v13, s9, s54, v13
	s_delay_alu instid0(VALU_DEP_1)
	v_add_co_ci_u32_e64 v14, s9, s55, v14, s9
	global_load_u16 v2, v[13:14], off
.LBB33_84:                              ;   in Loop: Header=BB33_82 Depth=2
	s_or_b32 exec_lo, exec_lo, s23
	s_and_saveexec_b32 s9, vcc_lo
	s_cbranch_execz .LBB33_81
; %bb.85:                               ;   in Loop: Header=BB33_82 Depth=2
	s_waitcnt vmcnt(0)
	v_bfe_i32 v4, v2, 0, 16
	s_delay_alu instid0(VALU_DEP_1) | instskip(NEXT) | instid1(VALU_DEP_1)
	v_add_nc_u32_e32 v4, 0x8000, v4
	v_and_b32_e32 v4, s84, v4
	s_delay_alu instid0(VALU_DEP_1)
	v_cmp_eq_u32_e32 vcc_lo, s83, v4
	s_and_b32 exec_lo, exec_lo, vcc_lo
	s_cbranch_execz .LBB33_81
; %bb.86:                               ;   in Loop: Header=BB33_82 Depth=2
	v_perm_b32 v2, v2, 1, 0x5040100
	ds_store_b32 v7, v2 offset:3072
	s_branch .LBB33_81
.LBB33_87:                              ;   in Loop: Header=BB33_8 Depth=1
	s_mov_b32 s9, -1
                                        ; implicit-def: $sgpr17
                                        ; implicit-def: $sgpr22
                                        ; implicit-def: $sgpr20
	s_branch .LBB33_101
.LBB33_88:                              ;   in Loop: Header=BB33_8 Depth=1
	s_mov_b32 s17, -1
	s_mov_b32 s9, 0
                                        ; implicit-def: $sgpr20
                                        ; implicit-def: $vgpr28
	s_mov_b32 s22, s17
	s_cbranch_execnz .LBB33_91
	s_branch .LBB33_101
.LBB33_89:                              ;   in Loop: Header=BB33_8 Depth=1
	s_set_inst_prefetch_distance 0x2
	s_or_b32 exec_lo, exec_lo, s20
	v_lshrrev_b32_e32 v28, 16, v2
	s_and_b32 s9, s22, exec_lo
.LBB33_90:                              ;   in Loop: Header=BB33_8 Depth=1
	s_or_b32 exec_lo, exec_lo, s17
	s_mov_b32 s20, -1
	s_mov_b32 s17, 0
	s_delay_alu instid0(SALU_CYCLE_1)
	s_mov_b32 s22, s17
	s_branch .LBB33_101
.LBB33_91:                              ;   in Loop: Header=BB33_8 Depth=1
	s_add_i32 s20, s12, s60
                                        ; implicit-def: $vgpr28
	s_delay_alu instid0(SALU_CYCLE_1) | instskip(NEXT) | instid1(SALU_CYCLE_1)
	s_abs_i32 s9, s20
	s_mul_hi_u32 s17, s9, s70
	s_delay_alu instid0(SALU_CYCLE_1) | instskip(NEXT) | instid1(SALU_CYCLE_1)
	s_mul_i32 s17, s17, s56
	s_sub_i32 s9, s9, s17
	s_ashr_i32 s17, s20, 31
	s_sub_i32 s22, s9, s56
	s_cmp_ge_u32 s9, s56
	s_cselect_b32 s9, s22, s9
	s_delay_alu instid0(SALU_CYCLE_1) | instskip(SKIP_2) | instid1(SALU_CYCLE_1)
	s_sub_i32 s22, s9, s56
	s_cmp_ge_u32 s9, s56
	s_cselect_b32 s9, s22, s9
	s_xor_b32 s9, s9, s17
	s_delay_alu instid0(SALU_CYCLE_1)
	s_sub_i32 s9, s17, s9
	s_mov_b32 s17, exec_lo
	s_add_i32 s20, s20, s9
	s_mov_b32 s9, 0
	v_cmpx_gt_i32_e64 s20, v0
	s_cbranch_execz .LBB33_100
; %bb.92:                               ;   in Loop: Header=BB33_8 Depth=1
	v_dual_mov_b32 v1, v17 :: v_dual_mov_b32 v2, v0
	s_mov_b32 s22, 0
                                        ; implicit-def: $sgpr23
	s_set_inst_prefetch_distance 0x1
	s_branch .LBB33_94
	.p2align	6
.LBB33_93:                              ;   in Loop: Header=BB33_94 Depth=2
	s_or_b32 exec_lo, exec_lo, s9
	s_waitcnt lgkmcnt(0)
	s_barrier
	buffer_gl0_inv
	ds_load_b32 v3, v7 offset:3072
	v_add_nc_u32_e32 v2, s56, v2
	v_add_nc_u32_e32 v1, s74, v1
	s_waitcnt lgkmcnt(0)
	s_barrier
	buffer_gl0_inv
	v_cmp_le_i32_e32 vcc_lo, s20, v2
	v_cmp_ne_u16_e64 s9, 0, v3
	s_delay_alu instid0(VALU_DEP_1) | instskip(NEXT) | instid1(SALU_CYCLE_1)
	s_or_b32 s24, vcc_lo, s9
	s_and_b32 s24, exec_lo, s24
	s_delay_alu instid0(SALU_CYCLE_1) | instskip(SKIP_2) | instid1(SALU_CYCLE_1)
	s_or_b32 s22, s24, s22
	s_and_not1_b32 s23, s23, exec_lo
	s_and_b32 s9, s9, exec_lo
	s_or_b32 s23, s23, s9
	s_and_not1_b32 exec_lo, exec_lo, s22
	s_cbranch_execz .LBB33_99
.LBB33_94:                              ;   Parent Loop BB33_8 Depth=1
                                        ; =>  This Inner Loop Header: Depth=2
	s_delay_alu instid0(VALU_DEP_1)
	v_cmp_gt_i32_e32 vcc_lo, s12, v2
	v_mov_b32_e32 v3, 0
	s_and_saveexec_b32 s9, vcc_lo
	s_cbranch_execz .LBB33_96
; %bb.95:                               ;   in Loop: Header=BB33_94 Depth=2
	ds_load_u16 v3, v1
.LBB33_96:                              ;   in Loop: Header=BB33_94 Depth=2
	s_or_b32 exec_lo, exec_lo, s9
	s_and_saveexec_b32 s9, vcc_lo
	s_cbranch_execz .LBB33_93
; %bb.97:                               ;   in Loop: Header=BB33_94 Depth=2
	s_waitcnt lgkmcnt(0)
	v_bfe_i32 v4, v3, 0, 16
	s_delay_alu instid0(VALU_DEP_1) | instskip(NEXT) | instid1(VALU_DEP_1)
	v_add_nc_u32_e32 v4, 0x8000, v4
	v_and_b32_e32 v4, s84, v4
	s_delay_alu instid0(VALU_DEP_1)
	v_cmp_eq_u32_e32 vcc_lo, s83, v4
	s_and_b32 exec_lo, exec_lo, vcc_lo
	s_cbranch_execz .LBB33_93
; %bb.98:                               ;   in Loop: Header=BB33_94 Depth=2
	v_perm_b32 v3, v3, 1, 0x5040100
	ds_store_b32 v7, v3 offset:3072
	s_branch .LBB33_93
.LBB33_99:                              ;   in Loop: Header=BB33_8 Depth=1
	s_set_inst_prefetch_distance 0x2
	s_or_b32 exec_lo, exec_lo, s22
	v_lshrrev_b32_e32 v28, 16, v3
	s_and_b32 s9, s23, exec_lo
.LBB33_100:                             ;   in Loop: Header=BB33_8 Depth=1
	s_or_b32 exec_lo, exec_lo, s17
	s_mov_b32 s22, -1
	s_mov_b32 s17, 0
	s_mov_b32 s20, 0
.LBB33_101:                             ;   in Loop: Header=BB33_8 Depth=1
	s_and_not1_b32 s12, s79, exec_lo
	s_and_b32 s17, s17, exec_lo
	s_and_b32 s20, s20, exec_lo
	s_or_b32 s79, s12, s17
	s_and_not1_b32 s12, s82, exec_lo
	s_and_b32 s17, s22, exec_lo
	s_and_not1_b32 s22, s80, exec_lo
	s_or_b32 s82, s12, s17
	s_or_b32 s80, s22, s20
	s_and_saveexec_b32 s12, s9
	s_cbranch_execz .LBB33_7
; %bb.102:                              ;   in Loop: Header=BB33_8 Depth=1
	s_xor_b32 s9, s15, -1
	s_mov_b32 s14, 0
	s_and_not1_b32 vcc_lo, exec_lo, s9
	s_mov_b32 s22, 1
	s_cbranch_vccnz .LBB33_113
; %bb.103:                              ;   in Loop: Header=BB33_8 Depth=1
	s_cmp_gt_i32 s37, s13
	s_mov_b32 s14, -1
                                        ; implicit-def: $sgpr9
                                        ; implicit-def: $sgpr15
                                        ; implicit-def: $sgpr17
	s_cbranch_scc1 .LBB33_109
; %bb.104:                              ;   in Loop: Header=BB33_8 Depth=1
	ds_load_b32 v1, v7 offset:4096
	s_waitcnt lgkmcnt(0)
	v_cmp_ne_u32_e32 vcc_lo, 0, v1
	s_cbranch_vccnz .LBB33_108
; %bb.105:                              ;   in Loop: Header=BB33_8 Depth=1
	s_and_saveexec_b32 s9, s0
	s_cbranch_execz .LBB33_107
; %bb.106:                              ;   in Loop: Header=BB33_8 Depth=1
	v_mov_b32_e32 v1, s13
	ds_store_b32 v7, v1 offset:4100
.LBB33_107:                             ;   in Loop: Header=BB33_8 Depth=1
	s_or_b32 exec_lo, exec_lo, s9
	s_waitcnt lgkmcnt(0)
	s_barrier
	buffer_gl0_inv
.LBB33_108:                             ;   in Loop: Header=BB33_8 Depth=1
	s_and_b32 s15, s83, s19
	s_or_b32 s17, s84, s11
	s_mov_b32 s14, 0
	s_mov_b32 s9, 8
.LBB33_109:                             ;   in Loop: Header=BB33_8 Depth=1
	s_and_not1_b32 vcc_lo, exec_lo, s14
	s_cbranch_vccnz .LBB33_111
; %bb.110:                              ;   in Loop: Header=BB33_8 Depth=1
	s_sub_i32 s37, s37, s13
	s_mov_b32 s14, -1
	s_mov_b32 s9, 0
	s_mov_b32 s15, s83
	;; [unrolled: 1-line block ×3, first 2 shown]
.LBB33_111:                             ;   in Loop: Header=BB33_8 Depth=1
	s_delay_alu instid0(SALU_CYCLE_1)
	s_mov_b32 s84, s17
	s_mov_b32 s83, s15
	;; [unrolled: 1-line block ×3, first 2 shown]
	s_and_b32 vcc_lo, exec_lo, s14
	s_mov_b32 s13, -1
	s_cbranch_vccnz .LBB33_114
.LBB33_112:                             ;   in Loop: Header=BB33_8 Depth=1
	s_mov_b32 s25, -1
                                        ; implicit-def: $sgpr14
                                        ; implicit-def: $sgpr17
                                        ; implicit-def: $sgpr15
	s_delay_alu instid0(SALU_CYCLE_1) | instskip(NEXT) | instid1(SALU_CYCLE_1)
	s_and_saveexec_b32 s10, s25
	s_xor_b32 s10, exec_lo, s10
	s_cbranch_execz .LBB33_6
	s_branch .LBB33_237
.LBB33_113:                             ;   in Loop: Header=BB33_8 Depth=1
	s_mov_b32 s9, 1
	s_and_b32 vcc_lo, exec_lo, s14
	s_mov_b32 s13, -1
	s_cbranch_vccz .LBB33_112
.LBB33_114:                             ;   in Loop: Header=BB33_8 Depth=1
	s_cmp_eq_u32 s21, 1
	s_mov_b32 s24, -1
	s_cselect_b32 s9, -1, 0
	s_cmp_eq_u32 s22, 1
	s_cselect_b32 s14, -1, 0
	s_delay_alu instid0(SALU_CYCLE_1) | instskip(NEXT) | instid1(SALU_CYCLE_1)
	s_and_b32 s23, s9, s14
	s_and_b32 vcc_lo, exec_lo, s23
	s_cbranch_vccz .LBB33_126
; %bb.115:                              ;   in Loop: Header=BB33_8 Depth=1
	ds_load_b32 v1, v7 offset:4096
	s_waitcnt lgkmcnt(0)
	s_barrier
	buffer_gl0_inv
	v_readfirstlane_b32 s20, v1
	s_and_saveexec_b32 s9, s1
	s_cbranch_execz .LBB33_117
; %bb.116:                              ;   in Loop: Header=BB33_8 Depth=1
	ds_store_b16 v18, v7
.LBB33_117:                             ;   in Loop: Header=BB33_8 Depth=1
	s_or_b32 exec_lo, exec_lo, s9
	s_lshl_b32 s9, 1, s18
	s_and_b32 s14, s83, s19
	s_or_b32 s84, s84, s11
	s_or_b32 s83, s14, s9
	s_cmp_gt_i32 s20, 0
	s_waitcnt lgkmcnt(0)
	s_barrier
	buffer_gl0_inv
	s_cbranch_scc1 .LBB33_127
; %bb.118:                              ;   in Loop: Header=BB33_8 Depth=1
	s_mov_b32 s24, 0
                                        ; implicit-def: $vgpr28
	s_and_saveexec_b32 s14, s8
	s_cbranch_execz .LBB33_129
; %bb.119:                              ;   in Loop: Header=BB33_8 Depth=1
	v_mov_b32_e32 v1, v5
	v_mov_b32_e32 v3, v0
	s_mov_b32 s15, 0
                                        ; implicit-def: $sgpr17
	s_set_inst_prefetch_distance 0x1
	s_branch .LBB33_121
	.p2align	6
.LBB33_120:                             ;   in Loop: Header=BB33_121 Depth=2
	s_or_b32 exec_lo, exec_lo, s9
	s_waitcnt vmcnt(0) lgkmcnt(0)
	s_barrier
	buffer_gl0_inv
	ds_load_b32 v2, v7 offset:3072
	v_add_nc_u32_e32 v3, s56, v3
	v_add_nc_u32_e32 v1, s59, v1
	s_waitcnt lgkmcnt(0)
	s_barrier
	buffer_gl0_inv
	v_cmp_le_i32_e32 vcc_lo, s71, v3
	v_cmp_ne_u16_e64 s9, 0, v2
	s_delay_alu instid0(VALU_DEP_1) | instskip(NEXT) | instid1(SALU_CYCLE_1)
	s_or_b32 s24, vcc_lo, s9
	s_and_b32 s24, exec_lo, s24
	s_delay_alu instid0(SALU_CYCLE_1) | instskip(SKIP_2) | instid1(SALU_CYCLE_1)
	s_or_b32 s15, s24, s15
	s_and_not1_b32 s17, s17, exec_lo
	s_and_b32 s9, s9, exec_lo
	s_or_b32 s17, s17, s9
	s_and_not1_b32 exec_lo, exec_lo, s15
	s_cbranch_execz .LBB33_128
.LBB33_121:                             ;   Parent Loop BB33_8 Depth=1
                                        ; =>  This Inner Loop Header: Depth=2
	s_delay_alu instid0(VALU_DEP_1)
	v_cmp_gt_i32_e32 vcc_lo, s36, v3
	v_mov_b32_e32 v2, 0
	s_and_saveexec_b32 s24, vcc_lo
	s_cbranch_execz .LBB33_123
; %bb.122:                              ;   in Loop: Header=BB33_121 Depth=2
	v_ashrrev_i32_e32 v2, 31, v1
	s_delay_alu instid0(VALU_DEP_1) | instskip(NEXT) | instid1(VALU_DEP_1)
	v_lshlrev_b64 v[13:14], 1, v[1:2]
	v_add_co_u32 v13, s9, s54, v13
	s_delay_alu instid0(VALU_DEP_1)
	v_add_co_ci_u32_e64 v14, s9, s55, v14, s9
	global_load_u16 v2, v[13:14], off
.LBB33_123:                             ;   in Loop: Header=BB33_121 Depth=2
	s_or_b32 exec_lo, exec_lo, s24
	s_and_saveexec_b32 s9, vcc_lo
	s_cbranch_execz .LBB33_120
; %bb.124:                              ;   in Loop: Header=BB33_121 Depth=2
	s_waitcnt vmcnt(0)
	v_bfe_i32 v4, v2, 0, 16
	s_delay_alu instid0(VALU_DEP_1) | instskip(NEXT) | instid1(VALU_DEP_1)
	v_add_nc_u32_e32 v4, 0x8000, v4
	v_and_b32_e32 v4, s84, v4
	s_delay_alu instid0(VALU_DEP_1)
	v_cmp_eq_u32_e32 vcc_lo, s83, v4
	s_and_b32 exec_lo, exec_lo, vcc_lo
	s_cbranch_execz .LBB33_120
; %bb.125:                              ;   in Loop: Header=BB33_121 Depth=2
	v_perm_b32 v2, v2, 1, 0x5040100
	ds_store_b32 v7, v2 offset:3072
	s_branch .LBB33_120
.LBB33_126:                             ;   in Loop: Header=BB33_8 Depth=1
                                        ; implicit-def: $sgpr15
                                        ; implicit-def: $sgpr17
                                        ; implicit-def: $sgpr14
	s_branch .LBB33_140
.LBB33_127:                             ;   in Loop: Header=BB33_8 Depth=1
	s_mov_b32 s15, -1
	s_mov_b32 s24, 0
                                        ; implicit-def: $sgpr14
                                        ; implicit-def: $vgpr28
	s_mov_b32 s17, s15
	s_cbranch_execnz .LBB33_130
	s_branch .LBB33_140
.LBB33_128:                             ;   in Loop: Header=BB33_8 Depth=1
	s_set_inst_prefetch_distance 0x2
	s_or_b32 exec_lo, exec_lo, s15
	v_lshrrev_b32_e32 v28, 16, v2
	s_and_b32 s24, s17, exec_lo
.LBB33_129:                             ;   in Loop: Header=BB33_8 Depth=1
	s_or_b32 exec_lo, exec_lo, s14
	s_mov_b32 s14, -1
	s_mov_b32 s15, 0
	s_delay_alu instid0(SALU_CYCLE_1)
	s_mov_b32 s17, s15
	s_branch .LBB33_140
.LBB33_130:                             ;   in Loop: Header=BB33_8 Depth=1
	s_add_i32 s15, s20, s60
	s_mov_b32 s24, 0
	s_abs_i32 s9, s15
                                        ; implicit-def: $vgpr28
	s_delay_alu instid0(SALU_CYCLE_1) | instskip(NEXT) | instid1(SALU_CYCLE_1)
	s_mul_hi_u32 s14, s9, s70
	s_mul_i32 s14, s14, s56
	s_delay_alu instid0(SALU_CYCLE_1) | instskip(SKIP_4) | instid1(SALU_CYCLE_1)
	s_sub_i32 s9, s9, s14
	s_ashr_i32 s14, s15, 31
	s_sub_i32 s17, s9, s56
	s_cmp_ge_u32 s9, s56
	s_cselect_b32 s9, s17, s9
	s_sub_i32 s17, s9, s56
	s_cmp_ge_u32 s9, s56
	s_cselect_b32 s9, s17, s9
	s_delay_alu instid0(SALU_CYCLE_1) | instskip(NEXT) | instid1(SALU_CYCLE_1)
	s_xor_b32 s9, s9, s14
	s_sub_i32 s9, s14, s9
	s_mov_b32 s14, exec_lo
	s_add_i32 s15, s15, s9
	s_delay_alu instid0(SALU_CYCLE_1)
	v_cmpx_gt_i32_e64 s15, v0
	s_cbranch_execz .LBB33_139
; %bb.131:                              ;   in Loop: Header=BB33_8 Depth=1
	v_dual_mov_b32 v1, v17 :: v_dual_mov_b32 v2, v0
	s_mov_b32 s17, 0
                                        ; implicit-def: $sgpr24
	s_set_inst_prefetch_distance 0x1
	s_branch .LBB33_133
	.p2align	6
.LBB33_132:                             ;   in Loop: Header=BB33_133 Depth=2
	s_or_b32 exec_lo, exec_lo, s9
	s_waitcnt lgkmcnt(0)
	s_barrier
	buffer_gl0_inv
	ds_load_b32 v3, v7 offset:3072
	v_add_nc_u32_e32 v2, s56, v2
	v_add_nc_u32_e32 v1, s74, v1
	s_waitcnt lgkmcnt(0)
	s_barrier
	buffer_gl0_inv
	v_cmp_le_i32_e32 vcc_lo, s15, v2
	v_cmp_ne_u16_e64 s9, 0, v3
	s_delay_alu instid0(VALU_DEP_1) | instskip(NEXT) | instid1(SALU_CYCLE_1)
	s_or_b32 s25, vcc_lo, s9
	s_and_b32 s25, exec_lo, s25
	s_delay_alu instid0(SALU_CYCLE_1) | instskip(SKIP_2) | instid1(SALU_CYCLE_1)
	s_or_b32 s17, s25, s17
	s_and_not1_b32 s24, s24, exec_lo
	s_and_b32 s9, s9, exec_lo
	s_or_b32 s24, s24, s9
	s_and_not1_b32 exec_lo, exec_lo, s17
	s_cbranch_execz .LBB33_138
.LBB33_133:                             ;   Parent Loop BB33_8 Depth=1
                                        ; =>  This Inner Loop Header: Depth=2
	s_delay_alu instid0(VALU_DEP_1)
	v_cmp_gt_i32_e32 vcc_lo, s20, v2
	v_mov_b32_e32 v3, 0
	s_and_saveexec_b32 s9, vcc_lo
	s_cbranch_execz .LBB33_135
; %bb.134:                              ;   in Loop: Header=BB33_133 Depth=2
	ds_load_u16 v3, v1
.LBB33_135:                             ;   in Loop: Header=BB33_133 Depth=2
	s_or_b32 exec_lo, exec_lo, s9
	s_and_saveexec_b32 s9, vcc_lo
	s_cbranch_execz .LBB33_132
; %bb.136:                              ;   in Loop: Header=BB33_133 Depth=2
	s_waitcnt lgkmcnt(0)
	v_bfe_i32 v4, v3, 0, 16
	s_delay_alu instid0(VALU_DEP_1) | instskip(NEXT) | instid1(VALU_DEP_1)
	v_add_nc_u32_e32 v4, 0x8000, v4
	v_and_b32_e32 v4, s84, v4
	s_delay_alu instid0(VALU_DEP_1)
	v_cmp_eq_u32_e32 vcc_lo, s83, v4
	s_and_b32 exec_lo, exec_lo, vcc_lo
	s_cbranch_execz .LBB33_132
; %bb.137:                              ;   in Loop: Header=BB33_133 Depth=2
	v_perm_b32 v3, v3, 1, 0x5040100
	ds_store_b32 v7, v3 offset:3072
	s_branch .LBB33_132
.LBB33_138:                             ;   in Loop: Header=BB33_8 Depth=1
	s_set_inst_prefetch_distance 0x2
	s_or_b32 exec_lo, exec_lo, s17
	v_lshrrev_b32_e32 v28, 16, v3
	s_and_b32 s24, s24, exec_lo
.LBB33_139:                             ;   in Loop: Header=BB33_8 Depth=1
	s_or_b32 exec_lo, exec_lo, s14
	s_mov_b32 s17, -1
	s_mov_b32 s15, 0
	s_mov_b32 s14, 0
.LBB33_140:                             ;   in Loop: Header=BB33_8 Depth=1
	s_mov_b32 s25, 0
                                        ; implicit-def: $sgpr9
	s_and_saveexec_b32 s20, s24
	s_cbranch_execz .LBB33_236
; %bb.141:                              ;   in Loop: Header=BB33_8 Depth=1
	s_xor_b32 s9, s23, -1
	s_mov_b32 s23, 0
	s_and_not1_b32 vcc_lo, exec_lo, s9
	s_mov_b32 s26, 1
	s_cbranch_vccnz .LBB33_152
; %bb.142:                              ;   in Loop: Header=BB33_8 Depth=1
	s_cmp_gt_i32 s22, s21
	s_mov_b32 s23, -1
                                        ; implicit-def: $sgpr9
                                        ; implicit-def: $sgpr24
                                        ; implicit-def: $sgpr25
	s_cbranch_scc1 .LBB33_148
; %bb.143:                              ;   in Loop: Header=BB33_8 Depth=1
	ds_load_b32 v1, v7 offset:4096
	s_waitcnt lgkmcnt(0)
	v_cmp_ne_u32_e32 vcc_lo, 0, v1
	s_cbranch_vccnz .LBB33_147
; %bb.144:                              ;   in Loop: Header=BB33_8 Depth=1
	s_and_saveexec_b32 s9, s0
	s_cbranch_execz .LBB33_146
; %bb.145:                              ;   in Loop: Header=BB33_8 Depth=1
	v_mov_b32_e32 v1, s21
	ds_store_b32 v7, v1 offset:4100
.LBB33_146:                             ;   in Loop: Header=BB33_8 Depth=1
	s_or_b32 exec_lo, exec_lo, s9
	s_waitcnt lgkmcnt(0)
	s_barrier
	buffer_gl0_inv
.LBB33_147:                             ;   in Loop: Header=BB33_8 Depth=1
	s_lshl_b32 s9, 1, s18
	s_and_b32 s23, s83, s19
	s_or_b32 s25, s84, s11
	s_or_b32 s24, s23, s9
	s_mov_b32 s23, 0
	s_mov_b32 s9, 8
.LBB33_148:                             ;   in Loop: Header=BB33_8 Depth=1
	s_and_not1_b32 vcc_lo, exec_lo, s23
	s_cbranch_vccnz .LBB33_150
; %bb.149:                              ;   in Loop: Header=BB33_8 Depth=1
	s_sub_i32 s22, s22, s21
	s_mov_b32 s23, -1
	s_mov_b32 s9, 0
	s_mov_b32 s24, s83
	;; [unrolled: 1-line block ×3, first 2 shown]
.LBB33_150:                             ;   in Loop: Header=BB33_8 Depth=1
	s_delay_alu instid0(SALU_CYCLE_1)
	s_mov_b32 s84, s25
	s_mov_b32 s83, s24
	;; [unrolled: 1-line block ×3, first 2 shown]
	s_and_not1_b32 vcc_lo, exec_lo, s23
	s_mov_b32 s28, -1
	s_cbranch_vccz .LBB33_153
.LBB33_151:                             ;   in Loop: Header=BB33_8 Depth=1
                                        ; implicit-def: $sgpr22
                                        ; implicit-def: $sgpr23
                                        ; implicit-def: $sgpr21
	s_branch .LBB33_235
.LBB33_152:                             ;   in Loop: Header=BB33_8 Depth=1
	s_mov_b32 s9, 1
	s_and_not1_b32 vcc_lo, exec_lo, s23
	s_mov_b32 s28, -1
	s_cbranch_vccnz .LBB33_151
.LBB33_153:                             ;   in Loop: Header=BB33_8 Depth=1
	s_cmp_eq_u32 s16, 1
	s_mov_b32 s27, -1
	s_cselect_b32 s9, -1, 0
	s_cmp_eq_u32 s26, 1
	s_cselect_b32 s21, -1, 0
	s_delay_alu instid0(SALU_CYCLE_1) | instskip(NEXT) | instid1(SALU_CYCLE_1)
	s_and_b32 s25, s9, s21
	s_and_b32 vcc_lo, exec_lo, s25
	s_cbranch_vccz .LBB33_165
; %bb.154:                              ;   in Loop: Header=BB33_8 Depth=1
	ds_load_b32 v1, v7 offset:4096
	s_waitcnt lgkmcnt(0)
	s_barrier
	buffer_gl0_inv
	v_readfirstlane_b32 s24, v1
	s_and_saveexec_b32 s9, s1
	s_cbranch_execz .LBB33_156
; %bb.155:                              ;   in Loop: Header=BB33_8 Depth=1
	ds_store_b16 v18, v7
.LBB33_156:                             ;   in Loop: Header=BB33_8 Depth=1
	s_or_b32 exec_lo, exec_lo, s9
	s_lshl_b32 s9, 2, s18
	s_and_b32 s21, s83, s19
	s_or_b32 s84, s84, s11
	s_or_b32 s83, s21, s9
	s_cmp_gt_i32 s24, 0
	s_waitcnt lgkmcnt(0)
	s_barrier
	buffer_gl0_inv
	s_cbranch_scc1 .LBB33_166
; %bb.157:                              ;   in Loop: Header=BB33_8 Depth=1
	s_mov_b32 s27, 0
                                        ; implicit-def: $vgpr28
	s_and_saveexec_b32 s21, s8
	s_cbranch_execz .LBB33_168
; %bb.158:                              ;   in Loop: Header=BB33_8 Depth=1
	v_mov_b32_e32 v1, v5
	v_mov_b32_e32 v3, v0
	s_mov_b32 s22, 0
                                        ; implicit-def: $sgpr23
	s_set_inst_prefetch_distance 0x1
	s_branch .LBB33_160
	.p2align	6
.LBB33_159:                             ;   in Loop: Header=BB33_160 Depth=2
	s_or_b32 exec_lo, exec_lo, s9
	s_waitcnt vmcnt(0) lgkmcnt(0)
	s_barrier
	buffer_gl0_inv
	ds_load_b32 v2, v7 offset:3072
	v_add_nc_u32_e32 v3, s56, v3
	v_add_nc_u32_e32 v1, s59, v1
	s_waitcnt lgkmcnt(0)
	s_barrier
	buffer_gl0_inv
	v_cmp_le_i32_e32 vcc_lo, s71, v3
	v_cmp_ne_u16_e64 s9, 0, v2
	s_delay_alu instid0(VALU_DEP_1) | instskip(NEXT) | instid1(SALU_CYCLE_1)
	s_or_b32 s27, vcc_lo, s9
	s_and_b32 s27, exec_lo, s27
	s_delay_alu instid0(SALU_CYCLE_1) | instskip(SKIP_2) | instid1(SALU_CYCLE_1)
	s_or_b32 s22, s27, s22
	s_and_not1_b32 s23, s23, exec_lo
	s_and_b32 s9, s9, exec_lo
	s_or_b32 s23, s23, s9
	s_and_not1_b32 exec_lo, exec_lo, s22
	s_cbranch_execz .LBB33_167
.LBB33_160:                             ;   Parent Loop BB33_8 Depth=1
                                        ; =>  This Inner Loop Header: Depth=2
	s_delay_alu instid0(VALU_DEP_1)
	v_cmp_gt_i32_e32 vcc_lo, s36, v3
	v_mov_b32_e32 v2, 0
	s_and_saveexec_b32 s27, vcc_lo
	s_cbranch_execz .LBB33_162
; %bb.161:                              ;   in Loop: Header=BB33_160 Depth=2
	v_ashrrev_i32_e32 v2, 31, v1
	s_delay_alu instid0(VALU_DEP_1) | instskip(NEXT) | instid1(VALU_DEP_1)
	v_lshlrev_b64 v[13:14], 1, v[1:2]
	v_add_co_u32 v13, s9, s54, v13
	s_delay_alu instid0(VALU_DEP_1)
	v_add_co_ci_u32_e64 v14, s9, s55, v14, s9
	global_load_u16 v2, v[13:14], off
.LBB33_162:                             ;   in Loop: Header=BB33_160 Depth=2
	s_or_b32 exec_lo, exec_lo, s27
	s_and_saveexec_b32 s9, vcc_lo
	s_cbranch_execz .LBB33_159
; %bb.163:                              ;   in Loop: Header=BB33_160 Depth=2
	s_waitcnt vmcnt(0)
	v_bfe_i32 v4, v2, 0, 16
	s_delay_alu instid0(VALU_DEP_1) | instskip(NEXT) | instid1(VALU_DEP_1)
	v_add_nc_u32_e32 v4, 0x8000, v4
	v_and_b32_e32 v4, s84, v4
	s_delay_alu instid0(VALU_DEP_1)
	v_cmp_eq_u32_e32 vcc_lo, s83, v4
	s_and_b32 exec_lo, exec_lo, vcc_lo
	s_cbranch_execz .LBB33_159
; %bb.164:                              ;   in Loop: Header=BB33_160 Depth=2
	v_perm_b32 v2, v2, 1, 0x5040100
	ds_store_b32 v7, v2 offset:3072
	s_branch .LBB33_159
.LBB33_165:                             ;   in Loop: Header=BB33_8 Depth=1
                                        ; implicit-def: $sgpr21
                                        ; implicit-def: $sgpr23
                                        ; implicit-def: $sgpr22
	s_branch .LBB33_179
.LBB33_166:                             ;   in Loop: Header=BB33_8 Depth=1
	s_mov_b32 s21, -1
	s_mov_b32 s27, 0
                                        ; implicit-def: $sgpr22
                                        ; implicit-def: $vgpr28
	s_mov_b32 s23, s21
	s_cbranch_execnz .LBB33_169
	s_branch .LBB33_179
.LBB33_167:                             ;   in Loop: Header=BB33_8 Depth=1
	s_set_inst_prefetch_distance 0x2
	s_or_b32 exec_lo, exec_lo, s22
	v_lshrrev_b32_e32 v28, 16, v2
	s_and_b32 s27, s23, exec_lo
.LBB33_168:                             ;   in Loop: Header=BB33_8 Depth=1
	s_or_b32 exec_lo, exec_lo, s21
	s_mov_b32 s22, -1
	s_mov_b32 s21, 0
	s_delay_alu instid0(SALU_CYCLE_1)
	s_mov_b32 s23, s21
	s_branch .LBB33_179
.LBB33_169:                             ;   in Loop: Header=BB33_8 Depth=1
	s_add_i32 s22, s24, s60
	s_mov_b32 s27, 0
	s_abs_i32 s9, s22
                                        ; implicit-def: $vgpr28
	s_delay_alu instid0(SALU_CYCLE_1) | instskip(NEXT) | instid1(SALU_CYCLE_1)
	s_mul_hi_u32 s21, s9, s70
	s_mul_i32 s21, s21, s56
	s_delay_alu instid0(SALU_CYCLE_1) | instskip(SKIP_4) | instid1(SALU_CYCLE_1)
	s_sub_i32 s9, s9, s21
	s_ashr_i32 s21, s22, 31
	s_sub_i32 s23, s9, s56
	s_cmp_ge_u32 s9, s56
	s_cselect_b32 s9, s23, s9
	s_sub_i32 s23, s9, s56
	s_cmp_ge_u32 s9, s56
	s_cselect_b32 s9, s23, s9
	s_delay_alu instid0(SALU_CYCLE_1) | instskip(NEXT) | instid1(SALU_CYCLE_1)
	s_xor_b32 s9, s9, s21
	s_sub_i32 s9, s21, s9
	s_mov_b32 s21, exec_lo
	s_add_i32 s22, s22, s9
	s_delay_alu instid0(SALU_CYCLE_1)
	v_cmpx_gt_i32_e64 s22, v0
	s_cbranch_execz .LBB33_178
; %bb.170:                              ;   in Loop: Header=BB33_8 Depth=1
	v_dual_mov_b32 v1, v17 :: v_dual_mov_b32 v2, v0
	s_mov_b32 s23, 0
                                        ; implicit-def: $sgpr27
	s_set_inst_prefetch_distance 0x1
	s_branch .LBB33_172
	.p2align	6
.LBB33_171:                             ;   in Loop: Header=BB33_172 Depth=2
	s_or_b32 exec_lo, exec_lo, s9
	s_waitcnt lgkmcnt(0)
	s_barrier
	buffer_gl0_inv
	ds_load_b32 v3, v7 offset:3072
	v_add_nc_u32_e32 v2, s56, v2
	v_add_nc_u32_e32 v1, s74, v1
	s_waitcnt lgkmcnt(0)
	s_barrier
	buffer_gl0_inv
	v_cmp_le_i32_e32 vcc_lo, s22, v2
	v_cmp_ne_u16_e64 s9, 0, v3
	s_delay_alu instid0(VALU_DEP_1) | instskip(NEXT) | instid1(SALU_CYCLE_1)
	s_or_b32 s28, vcc_lo, s9
	s_and_b32 s28, exec_lo, s28
	s_delay_alu instid0(SALU_CYCLE_1) | instskip(SKIP_2) | instid1(SALU_CYCLE_1)
	s_or_b32 s23, s28, s23
	s_and_not1_b32 s27, s27, exec_lo
	s_and_b32 s9, s9, exec_lo
	s_or_b32 s27, s27, s9
	s_and_not1_b32 exec_lo, exec_lo, s23
	s_cbranch_execz .LBB33_177
.LBB33_172:                             ;   Parent Loop BB33_8 Depth=1
                                        ; =>  This Inner Loop Header: Depth=2
	s_delay_alu instid0(VALU_DEP_1)
	v_cmp_gt_i32_e32 vcc_lo, s24, v2
	v_mov_b32_e32 v3, 0
	s_and_saveexec_b32 s9, vcc_lo
	s_cbranch_execz .LBB33_174
; %bb.173:                              ;   in Loop: Header=BB33_172 Depth=2
	ds_load_u16 v3, v1
.LBB33_174:                             ;   in Loop: Header=BB33_172 Depth=2
	s_or_b32 exec_lo, exec_lo, s9
	s_and_saveexec_b32 s9, vcc_lo
	s_cbranch_execz .LBB33_171
; %bb.175:                              ;   in Loop: Header=BB33_172 Depth=2
	s_waitcnt lgkmcnt(0)
	v_bfe_i32 v4, v3, 0, 16
	s_delay_alu instid0(VALU_DEP_1) | instskip(NEXT) | instid1(VALU_DEP_1)
	v_add_nc_u32_e32 v4, 0x8000, v4
	v_and_b32_e32 v4, s84, v4
	s_delay_alu instid0(VALU_DEP_1)
	v_cmp_eq_u32_e32 vcc_lo, s83, v4
	s_and_b32 exec_lo, exec_lo, vcc_lo
	s_cbranch_execz .LBB33_171
; %bb.176:                              ;   in Loop: Header=BB33_172 Depth=2
	v_perm_b32 v3, v3, 1, 0x5040100
	ds_store_b32 v7, v3 offset:3072
	s_branch .LBB33_171
.LBB33_177:                             ;   in Loop: Header=BB33_8 Depth=1
	s_set_inst_prefetch_distance 0x2
	s_or_b32 exec_lo, exec_lo, s23
	v_lshrrev_b32_e32 v28, 16, v3
	s_and_b32 s27, s27, exec_lo
.LBB33_178:                             ;   in Loop: Header=BB33_8 Depth=1
	s_or_b32 exec_lo, exec_lo, s21
	s_mov_b32 s23, -1
	s_mov_b32 s21, 0
	s_mov_b32 s22, 0
.LBB33_179:                             ;   in Loop: Header=BB33_8 Depth=1
	s_mov_b32 s28, 0
                                        ; implicit-def: $sgpr9
	s_and_saveexec_b32 s24, s27
	s_cbranch_execz .LBB33_234
; %bb.180:                              ;   in Loop: Header=BB33_8 Depth=1
	s_xor_b32 s9, s25, -1
	s_mov_b32 s27, 0
	s_and_not1_b32 vcc_lo, exec_lo, s9
	s_mov_b32 s25, 1
	s_cbranch_vccnz .LBB33_191
; %bb.181:                              ;   in Loop: Header=BB33_8 Depth=1
	s_cmp_gt_i32 s26, s16
	s_mov_b32 s27, -1
                                        ; implicit-def: $sgpr9
                                        ; implicit-def: $sgpr25
                                        ; implicit-def: $sgpr28
	s_cbranch_scc1 .LBB33_187
; %bb.182:                              ;   in Loop: Header=BB33_8 Depth=1
	ds_load_b32 v1, v7 offset:4096
	s_waitcnt lgkmcnt(0)
	v_cmp_ne_u32_e32 vcc_lo, 0, v1
	s_cbranch_vccnz .LBB33_186
; %bb.183:                              ;   in Loop: Header=BB33_8 Depth=1
	s_and_saveexec_b32 s9, s0
	s_cbranch_execz .LBB33_185
; %bb.184:                              ;   in Loop: Header=BB33_8 Depth=1
	v_mov_b32_e32 v1, s16
	ds_store_b32 v7, v1 offset:4100
.LBB33_185:                             ;   in Loop: Header=BB33_8 Depth=1
	s_or_b32 exec_lo, exec_lo, s9
	s_waitcnt lgkmcnt(0)
	s_barrier
	buffer_gl0_inv
.LBB33_186:                             ;   in Loop: Header=BB33_8 Depth=1
	s_lshl_b32 s9, 2, s18
	s_and_b32 s18, s83, s19
	s_or_b32 s28, s84, s11
	s_or_b32 s25, s18, s9
	s_mov_b32 s27, 0
	s_mov_b32 s9, 8
.LBB33_187:                             ;   in Loop: Header=BB33_8 Depth=1
	s_and_not1_b32 vcc_lo, exec_lo, s27
	s_cbranch_vccnz .LBB33_189
; %bb.188:                              ;   in Loop: Header=BB33_8 Depth=1
	s_sub_i32 s26, s26, s16
	s_mov_b32 s27, -1
	s_mov_b32 s9, 0
	s_mov_b32 s25, s83
	;; [unrolled: 1-line block ×3, first 2 shown]
.LBB33_189:                             ;   in Loop: Header=BB33_8 Depth=1
	s_delay_alu instid0(SALU_CYCLE_1)
	s_mov_b32 s84, s28
	s_mov_b32 s83, s25
	s_mov_b32 s25, s26
	s_and_not1_b32 vcc_lo, exec_lo, s27
	s_mov_b32 s37, -1
	s_cbranch_vccz .LBB33_192
.LBB33_190:                             ;   in Loop: Header=BB33_8 Depth=1
                                        ; implicit-def: $sgpr19
                                        ; implicit-def: $sgpr27
                                        ; implicit-def: $sgpr26
	s_branch .LBB33_233
.LBB33_191:                             ;   in Loop: Header=BB33_8 Depth=1
	s_mov_b32 s9, 1
	s_and_not1_b32 vcc_lo, exec_lo, s27
	s_mov_b32 s37, -1
	s_cbranch_vccnz .LBB33_190
.LBB33_192:                             ;   in Loop: Header=BB33_8 Depth=1
	s_cmp_eq_u32 s10, 1
	s_mov_b32 s28, -1
	s_cselect_b32 s9, -1, 0
	s_cmp_eq_u32 s25, 1
	s_cselect_b32 s16, -1, 0
	s_delay_alu instid0(SALU_CYCLE_1) | instskip(NEXT) | instid1(SALU_CYCLE_1)
	s_and_b32 s16, s9, s16
	s_and_b32 vcc_lo, exec_lo, s16
	s_cbranch_vccz .LBB33_204
; %bb.193:                              ;   in Loop: Header=BB33_8 Depth=1
	ds_load_b32 v1, v7 offset:4096
	s_waitcnt lgkmcnt(0)
	s_barrier
	buffer_gl0_inv
	v_readfirstlane_b32 s18, v1
	s_and_saveexec_b32 s9, s1
	s_cbranch_execz .LBB33_195
; %bb.194:                              ;   in Loop: Header=BB33_8 Depth=1
	ds_store_b16 v18, v7
.LBB33_195:                             ;   in Loop: Header=BB33_8 Depth=1
	s_or_b32 exec_lo, exec_lo, s9
	s_or_b32 s83, s83, s11
	s_or_b32 s84, s84, s11
	s_cmp_gt_i32 s18, 0
	s_waitcnt lgkmcnt(0)
	s_barrier
	buffer_gl0_inv
	s_cbranch_scc1 .LBB33_205
; %bb.196:                              ;   in Loop: Header=BB33_8 Depth=1
	s_mov_b32 s28, 0
                                        ; implicit-def: $vgpr28
	s_and_saveexec_b32 s19, s8
	s_cbranch_execz .LBB33_207
; %bb.197:                              ;   in Loop: Header=BB33_8 Depth=1
	v_mov_b32_e32 v1, v5
	v_mov_b32_e32 v3, v0
	s_mov_b32 s26, 0
                                        ; implicit-def: $sgpr27
	s_set_inst_prefetch_distance 0x1
	s_branch .LBB33_199
	.p2align	6
.LBB33_198:                             ;   in Loop: Header=BB33_199 Depth=2
	s_or_b32 exec_lo, exec_lo, s9
	s_waitcnt vmcnt(0) lgkmcnt(0)
	s_barrier
	buffer_gl0_inv
	ds_load_b32 v2, v7 offset:3072
	v_add_nc_u32_e32 v3, s56, v3
	v_add_nc_u32_e32 v1, s59, v1
	s_waitcnt lgkmcnt(0)
	s_barrier
	buffer_gl0_inv
	v_cmp_le_i32_e32 vcc_lo, s71, v3
	v_cmp_ne_u16_e64 s9, 0, v2
	s_delay_alu instid0(VALU_DEP_1) | instskip(NEXT) | instid1(SALU_CYCLE_1)
	s_or_b32 s28, vcc_lo, s9
	s_and_b32 s28, exec_lo, s28
	s_delay_alu instid0(SALU_CYCLE_1) | instskip(SKIP_2) | instid1(SALU_CYCLE_1)
	s_or_b32 s26, s28, s26
	s_and_not1_b32 s27, s27, exec_lo
	s_and_b32 s9, s9, exec_lo
	s_or_b32 s27, s27, s9
	s_and_not1_b32 exec_lo, exec_lo, s26
	s_cbranch_execz .LBB33_206
.LBB33_199:                             ;   Parent Loop BB33_8 Depth=1
                                        ; =>  This Inner Loop Header: Depth=2
	s_delay_alu instid0(VALU_DEP_1)
	v_cmp_gt_i32_e32 vcc_lo, s36, v3
	v_mov_b32_e32 v2, 0
	s_and_saveexec_b32 s28, vcc_lo
	s_cbranch_execz .LBB33_201
; %bb.200:                              ;   in Loop: Header=BB33_199 Depth=2
	v_ashrrev_i32_e32 v2, 31, v1
	s_delay_alu instid0(VALU_DEP_1) | instskip(NEXT) | instid1(VALU_DEP_1)
	v_lshlrev_b64 v[13:14], 1, v[1:2]
	v_add_co_u32 v13, s9, s54, v13
	s_delay_alu instid0(VALU_DEP_1)
	v_add_co_ci_u32_e64 v14, s9, s55, v14, s9
	global_load_u16 v2, v[13:14], off
.LBB33_201:                             ;   in Loop: Header=BB33_199 Depth=2
	s_or_b32 exec_lo, exec_lo, s28
	s_and_saveexec_b32 s9, vcc_lo
	s_cbranch_execz .LBB33_198
; %bb.202:                              ;   in Loop: Header=BB33_199 Depth=2
	s_waitcnt vmcnt(0)
	v_bfe_i32 v4, v2, 0, 16
	s_delay_alu instid0(VALU_DEP_1) | instskip(NEXT) | instid1(VALU_DEP_1)
	v_add_nc_u32_e32 v4, 0x8000, v4
	v_and_b32_e32 v4, s84, v4
	s_delay_alu instid0(VALU_DEP_1)
	v_cmp_eq_u32_e32 vcc_lo, s83, v4
	s_and_b32 exec_lo, exec_lo, vcc_lo
	s_cbranch_execz .LBB33_198
; %bb.203:                              ;   in Loop: Header=BB33_199 Depth=2
	v_perm_b32 v2, v2, 1, 0x5040100
	ds_store_b32 v7, v2 offset:3072
	s_branch .LBB33_198
.LBB33_204:                             ;   in Loop: Header=BB33_8 Depth=1
                                        ; implicit-def: $sgpr19
                                        ; implicit-def: $sgpr27
                                        ; implicit-def: $sgpr26
	s_branch .LBB33_218
.LBB33_205:                             ;   in Loop: Header=BB33_8 Depth=1
	s_mov_b32 s19, -1
	s_mov_b32 s28, 0
                                        ; implicit-def: $sgpr26
                                        ; implicit-def: $vgpr28
	s_mov_b32 s27, s19
	s_cbranch_execnz .LBB33_208
	s_branch .LBB33_218
.LBB33_206:                             ;   in Loop: Header=BB33_8 Depth=1
	s_set_inst_prefetch_distance 0x2
	s_or_b32 exec_lo, exec_lo, s26
	v_lshrrev_b32_e32 v28, 16, v2
	s_and_b32 s28, s27, exec_lo
.LBB33_207:                             ;   in Loop: Header=BB33_8 Depth=1
	s_or_b32 exec_lo, exec_lo, s19
	s_mov_b32 s26, -1
	s_mov_b32 s19, 0
	s_delay_alu instid0(SALU_CYCLE_1)
	s_mov_b32 s27, s19
	s_branch .LBB33_218
.LBB33_208:                             ;   in Loop: Header=BB33_8 Depth=1
	s_add_i32 s26, s18, s60
	s_mov_b32 s28, 0
	s_abs_i32 s9, s26
                                        ; implicit-def: $vgpr28
	s_delay_alu instid0(SALU_CYCLE_1) | instskip(NEXT) | instid1(SALU_CYCLE_1)
	s_mul_hi_u32 s19, s9, s70
	s_mul_i32 s19, s19, s56
	s_delay_alu instid0(SALU_CYCLE_1) | instskip(SKIP_4) | instid1(SALU_CYCLE_1)
	s_sub_i32 s9, s9, s19
	s_ashr_i32 s19, s26, 31
	s_sub_i32 s27, s9, s56
	s_cmp_ge_u32 s9, s56
	s_cselect_b32 s9, s27, s9
	s_sub_i32 s27, s9, s56
	s_cmp_ge_u32 s9, s56
	s_cselect_b32 s9, s27, s9
	s_delay_alu instid0(SALU_CYCLE_1) | instskip(NEXT) | instid1(SALU_CYCLE_1)
	s_xor_b32 s9, s9, s19
	s_sub_i32 s9, s19, s9
	s_mov_b32 s19, exec_lo
	s_add_i32 s26, s26, s9
	s_delay_alu instid0(SALU_CYCLE_1)
	v_cmpx_gt_i32_e64 s26, v0
	s_cbranch_execz .LBB33_217
; %bb.209:                              ;   in Loop: Header=BB33_8 Depth=1
	v_dual_mov_b32 v1, v17 :: v_dual_mov_b32 v2, v0
	s_mov_b32 s27, 0
                                        ; implicit-def: $sgpr28
	s_set_inst_prefetch_distance 0x1
	s_branch .LBB33_211
	.p2align	6
.LBB33_210:                             ;   in Loop: Header=BB33_211 Depth=2
	s_or_b32 exec_lo, exec_lo, s9
	s_waitcnt lgkmcnt(0)
	s_barrier
	buffer_gl0_inv
	ds_load_b32 v3, v7 offset:3072
	v_add_nc_u32_e32 v2, s56, v2
	v_add_nc_u32_e32 v1, s74, v1
	s_waitcnt lgkmcnt(0)
	s_barrier
	buffer_gl0_inv
	v_cmp_le_i32_e32 vcc_lo, s26, v2
	v_cmp_ne_u16_e64 s9, 0, v3
	s_delay_alu instid0(VALU_DEP_1) | instskip(NEXT) | instid1(SALU_CYCLE_1)
	s_or_b32 s37, vcc_lo, s9
	s_and_b32 s37, exec_lo, s37
	s_delay_alu instid0(SALU_CYCLE_1) | instskip(SKIP_2) | instid1(SALU_CYCLE_1)
	s_or_b32 s27, s37, s27
	s_and_not1_b32 s28, s28, exec_lo
	s_and_b32 s9, s9, exec_lo
	s_or_b32 s28, s28, s9
	s_and_not1_b32 exec_lo, exec_lo, s27
	s_cbranch_execz .LBB33_216
.LBB33_211:                             ;   Parent Loop BB33_8 Depth=1
                                        ; =>  This Inner Loop Header: Depth=2
	s_delay_alu instid0(VALU_DEP_1)
	v_cmp_gt_i32_e32 vcc_lo, s18, v2
	v_mov_b32_e32 v3, 0
	s_and_saveexec_b32 s9, vcc_lo
	s_cbranch_execz .LBB33_213
; %bb.212:                              ;   in Loop: Header=BB33_211 Depth=2
	ds_load_u16 v3, v1
.LBB33_213:                             ;   in Loop: Header=BB33_211 Depth=2
	s_or_b32 exec_lo, exec_lo, s9
	s_and_saveexec_b32 s9, vcc_lo
	s_cbranch_execz .LBB33_210
; %bb.214:                              ;   in Loop: Header=BB33_211 Depth=2
	s_waitcnt lgkmcnt(0)
	v_bfe_i32 v4, v3, 0, 16
	s_delay_alu instid0(VALU_DEP_1) | instskip(NEXT) | instid1(VALU_DEP_1)
	v_add_nc_u32_e32 v4, 0x8000, v4
	v_and_b32_e32 v4, s84, v4
	s_delay_alu instid0(VALU_DEP_1)
	v_cmp_eq_u32_e32 vcc_lo, s83, v4
	s_and_b32 exec_lo, exec_lo, vcc_lo
	s_cbranch_execz .LBB33_210
; %bb.215:                              ;   in Loop: Header=BB33_211 Depth=2
	v_perm_b32 v3, v3, 1, 0x5040100
	ds_store_b32 v7, v3 offset:3072
	s_branch .LBB33_210
.LBB33_216:                             ;   in Loop: Header=BB33_8 Depth=1
	s_set_inst_prefetch_distance 0x2
	s_or_b32 exec_lo, exec_lo, s27
	v_lshrrev_b32_e32 v28, 16, v3
	s_and_b32 s28, s28, exec_lo
.LBB33_217:                             ;   in Loop: Header=BB33_8 Depth=1
	s_or_b32 exec_lo, exec_lo, s19
	s_mov_b32 s27, -1
	s_mov_b32 s19, 0
	s_mov_b32 s26, 0
.LBB33_218:                             ;   in Loop: Header=BB33_8 Depth=1
	s_mov_b32 s37, 0
                                        ; implicit-def: $sgpr9
	s_and_saveexec_b32 s18, s28
	s_cbranch_execz .LBB33_232
; %bb.219:                              ;   in Loop: Header=BB33_8 Depth=1
	s_xor_b32 s9, s16, -1
	s_delay_alu instid0(SALU_CYCLE_1)
	s_and_not1_b32 vcc_lo, exec_lo, s9
	s_mov_b32 s9, 1
	s_cbranch_vccnz .LBB33_226
; %bb.220:                              ;   in Loop: Header=BB33_8 Depth=1
	s_cmp_gt_i32 s25, s10
	s_cbranch_scc1 .LBB33_227
; %bb.221:                              ;   in Loop: Header=BB33_8 Depth=1
	ds_load_b32 v1, v7 offset:4096
	s_waitcnt lgkmcnt(0)
	v_cmp_ne_u32_e32 vcc_lo, 0, v1
	s_cbranch_vccnz .LBB33_225
; %bb.222:                              ;   in Loop: Header=BB33_8 Depth=1
	s_and_saveexec_b32 s9, s0
	s_cbranch_execz .LBB33_224
; %bb.223:                              ;   in Loop: Header=BB33_8 Depth=1
	v_mov_b32_e32 v1, s10
	ds_store_b32 v7, v1 offset:4100
.LBB33_224:                             ;   in Loop: Header=BB33_8 Depth=1
	s_or_b32 exec_lo, exec_lo, s9
	s_waitcnt lgkmcnt(0)
	s_barrier
	buffer_gl0_inv
.LBB33_225:                             ;   in Loop: Header=BB33_8 Depth=1
	s_or_b32 s16, s83, s11
	s_or_b32 s11, s84, s11
	s_mov_b32 s28, 0
	s_mov_b32 s9, 8
	s_branch .LBB33_228
.LBB33_226:                             ;   in Loop: Header=BB33_8 Depth=1
	s_mov_b32 s25, 1
	s_branch .LBB33_231
.LBB33_227:                             ;   in Loop: Header=BB33_8 Depth=1
	s_mov_b32 s28, -1
                                        ; implicit-def: $sgpr9
                                        ; implicit-def: $sgpr16
                                        ; implicit-def: $sgpr11
.LBB33_228:                             ;   in Loop: Header=BB33_8 Depth=1
	s_delay_alu instid0(SALU_CYCLE_1)
	s_and_not1_b32 vcc_lo, exec_lo, s28
	s_cbranch_vccnz .LBB33_230
; %bb.229:                              ;   in Loop: Header=BB33_8 Depth=1
	s_sub_i32 s25, s25, s10
	s_mov_b32 s9, 8
	s_mov_b32 s16, s83
	;; [unrolled: 1-line block ×3, first 2 shown]
.LBB33_230:                             ;   in Loop: Header=BB33_8 Depth=1
	s_mov_b32 s83, s16
	s_mov_b32 s84, s11
.LBB33_231:                             ;   in Loop: Header=BB33_8 Depth=1
	s_mov_b32 s37, exec_lo
.LBB33_232:                             ;   in Loop: Header=BB33_8 Depth=1
	s_or_b32 exec_lo, exec_lo, s18
.LBB33_233:                             ;   in Loop: Header=BB33_8 Depth=1
	s_delay_alu instid0(SALU_CYCLE_1)
	s_and_not1_b32 s10, s21, exec_lo
	s_and_b32 s11, s19, exec_lo
	s_and_not1_b32 s16, s22, exec_lo
	s_or_b32 s21, s10, s11
	s_and_not1_b32 s10, s23, exec_lo
	s_and_b32 s11, s27, exec_lo
	s_and_b32 s18, s26, exec_lo
	s_or_b32 s23, s10, s11
	s_or_b32 s22, s16, s18
	s_and_b32 s28, s37, exec_lo
	s_mov_b32 s26, s25
.LBB33_234:                             ;   in Loop: Header=BB33_8 Depth=1
	s_or_b32 exec_lo, exec_lo, s24
.LBB33_235:                             ;   in Loop: Header=BB33_8 Depth=1
	s_delay_alu instid0(SALU_CYCLE_1)
	s_and_not1_b32 s10, s15, exec_lo
	s_and_b32 s11, s21, exec_lo
	s_and_not1_b32 s14, s14, exec_lo
	s_or_b32 s15, s10, s11
	s_and_not1_b32 s10, s17, exec_lo
	s_and_b32 s11, s23, exec_lo
	s_and_b32 s16, s22, exec_lo
	s_or_b32 s17, s10, s11
	s_or_b32 s14, s14, s16
	s_and_b32 s25, s28, exec_lo
	s_mov_b32 s22, s26
.LBB33_236:                             ;   in Loop: Header=BB33_8 Depth=1
	s_or_b32 exec_lo, exec_lo, s20
	s_and_saveexec_b32 s10, s25
	s_delay_alu instid0(SALU_CYCLE_1)
	s_xor_b32 s10, exec_lo, s10
	s_cbranch_execz .LBB33_6
.LBB33_237:                             ;   in Loop: Header=BB33_8 Depth=1
	s_and_b32 s9, s9, -9
	s_delay_alu instid0(SALU_CYCLE_1)
	s_cmp_eq_u32 s9, 0
	s_cbranch_scc1 .LBB33_4
; %bb.238:                              ;   in Loop: Header=BB33_8 Depth=1
	s_mov_b32 s9, -1
	s_mov_b32 s11, -1
                                        ; implicit-def: $sgpr84
                                        ; implicit-def: $sgpr22
                                        ; implicit-def: $sgpr78
                                        ; implicit-def: $sgpr81
	s_branch .LBB33_5
.LBB33_239:
	s_or_b32 exec_lo, exec_lo, s57
	s_xor_b32 s4, s77, -1
	s_xor_b32 s1, s75, -1
	;; [unrolled: 1-line block ×3, first 2 shown]
	s_mov_b32 s2, 0
	s_and_saveexec_b32 s5, s1
	s_delay_alu instid0(SALU_CYCLE_1)
	s_xor_b32 s1, exec_lo, s5
	s_cbranch_execz .LBB33_260
; %bb.240:
	s_and_saveexec_b32 s2, s4
	s_delay_alu instid0(SALU_CYCLE_1)
	s_xor_b32 s2, exec_lo, s2
	s_cbranch_execz .LBB33_258
; %bb.241:
	s_and_saveexec_b32 s4, s3
	s_delay_alu instid0(SALU_CYCLE_1)
	s_xor_b32 s3, exec_lo, s4
; %bb.242:
	v_xor_b32_e32 v28, 0xffff8000, v1
; %bb.243:
	s_or_b32 exec_lo, exec_lo, s3
	s_and_saveexec_b32 s3, s0
	s_cbranch_execz .LBB33_245
; %bb.244:
	v_dual_mov_b32 v1, 0 :: v_dual_mov_b32 v2, s36
	ds_store_b32 v1, v2 offset:4108
.LBB33_245:
	s_or_b32 exec_lo, exec_lo, s3
	v_mov_b32_e32 v1, 0
	s_waitcnt lgkmcnt(0)
	s_barrier
	buffer_gl0_inv
	s_mov_b32 s3, exec_lo
	ds_load_b32 v1, v1 offset:4108
	s_waitcnt lgkmcnt(0)
	v_min_i32_e32 v1, s36, v1
	s_delay_alu instid0(VALU_DEP_1)
	v_cmpx_lt_i32_e64 v0, v1
	s_cbranch_execz .LBB33_255
; %bb.246:
	s_mov_b32 s4, 0
                                        ; implicit-def: $sgpr5
                                        ; implicit-def: $sgpr7
                                        ; implicit-def: $sgpr6
	s_set_inst_prefetch_distance 0x1
	s_branch .LBB33_248
	.p2align	6
.LBB33_247:                             ;   in Loop: Header=BB33_248 Depth=1
	s_or_b32 exec_lo, exec_lo, s8
	s_delay_alu instid0(SALU_CYCLE_1) | instskip(NEXT) | instid1(SALU_CYCLE_1)
	s_and_b32 s8, exec_lo, s7
	s_or_b32 s4, s8, s4
	s_and_not1_b32 s5, s5, exec_lo
	s_and_b32 s8, s6, exec_lo
	s_delay_alu instid0(SALU_CYCLE_1)
	s_or_b32 s5, s5, s8
	s_and_not1_b32 exec_lo, exec_lo, s4
	s_cbranch_execz .LBB33_250
.LBB33_248:                             ; =>This Inner Loop Header: Depth=1
	v_ashrrev_i32_e32 v6, 31, v5
	s_or_b32 s6, s6, exec_lo
	s_or_b32 s7, s7, exec_lo
	s_mov_b32 s8, exec_lo
	s_delay_alu instid0(VALU_DEP_1) | instskip(NEXT) | instid1(VALU_DEP_1)
	v_lshlrev_b64 v[2:3], 1, v[5:6]
	v_add_co_u32 v2, vcc_lo, s54, v2
	s_delay_alu instid0(VALU_DEP_2)
	v_add_co_ci_u32_e32 v3, vcc_lo, s55, v3, vcc_lo
	global_load_u16 v3, v[2:3], off
	v_mov_b32_e32 v2, v0
                                        ; implicit-def: $vgpr0
	s_waitcnt vmcnt(0)
	v_cmpx_ne_u16_e64 v3, v28
	s_cbranch_execz .LBB33_247
; %bb.249:                              ;   in Loop: Header=BB33_248 Depth=1
	s_delay_alu instid0(VALU_DEP_2) | instskip(SKIP_3) | instid1(VALU_DEP_2)
	v_add_nc_u32_e32 v0, s56, v2
	s_and_not1_b32 s7, s7, exec_lo
	v_add_nc_u32_e32 v5, s59, v5
	s_and_not1_b32 s6, s6, exec_lo
	v_cmp_ge_i32_e32 vcc_lo, v0, v1
	s_and_b32 s9, vcc_lo, exec_lo
	s_delay_alu instid0(SALU_CYCLE_1)
	s_or_b32 s7, s7, s9
	s_branch .LBB33_247
.LBB33_250:
	s_set_inst_prefetch_distance 0x2
	s_or_b32 exec_lo, exec_lo, s4
	s_and_saveexec_b32 s4, s5
	s_delay_alu instid0(SALU_CYCLE_1)
	s_xor_b32 s4, exec_lo, s4
	s_cbranch_execz .LBB33_255
; %bb.251:
	s_mov_b32 s5, exec_lo
	s_brev_b32 s4, -2
.LBB33_252:                             ; =>This Inner Loop Header: Depth=1
	s_ctz_i32_b32 s6, s5
	s_delay_alu instid0(SALU_CYCLE_1) | instskip(SKIP_1) | instid1(SALU_CYCLE_1)
	v_readlane_b32 s7, v2, s6
	s_lshl_b32 s6, 1, s6
	s_and_not1_b32 s5, s5, s6
	s_delay_alu instid0(VALU_DEP_1)
	s_min_i32 s4, s4, s7
	s_cmp_lg_u32 s5, 0
	s_cbranch_scc1 .LBB33_252
; %bb.253:
	v_mbcnt_lo_u32_b32 v0, exec_lo, 0
	s_mov_b32 s5, exec_lo
	s_delay_alu instid0(VALU_DEP_1)
	v_cmpx_eq_u32_e32 0, v0
	s_xor_b32 s5, exec_lo, s5
	s_cbranch_execz .LBB33_255
; %bb.254:
	v_dual_mov_b32 v0, 0 :: v_dual_mov_b32 v1, s4
	ds_min_i32 v0, v1 offset:4108
.LBB33_255:
	s_or_b32 exec_lo, exec_lo, s3
	s_waitcnt lgkmcnt(0)
	s_barrier
	buffer_gl0_inv
	s_and_saveexec_b32 s3, s0
	s_cbranch_execz .LBB33_257
; %bb.256:
	s_mul_i32 s0, s52, s49
	s_xor_b32 s4, s48, s53
	s_sub_i32 s0, s47, s0
	s_add_i32 s5, s52, 1
	s_sub_i32 s6, s0, s49
	s_cmp_ge_u32 s0, s49
	v_mov_b32_e32 v2, 0
	s_cselect_b32 s5, s5, s52
	s_cselect_b32 s0, s6, s0
	s_add_i32 s6, s5, 1
	s_cmp_ge_u32 s0, s49
	s_mul_i32 s0, s50, s46
	s_cselect_b32 s5, s6, s5
	s_sub_i32 s0, s47, s0
	s_xor_b32 s5, s5, s4
	s_xor_b32 s6, s48, s51
	s_sub_i32 s4, s5, s4
	s_add_i32 s7, s50, 1
	s_mul_i32 s5, s4, s38
	s_mul_i32 s4, s4, s42
	s_sub_i32 s5, s29, s5
	s_sub_i32 s8, s0, s46
	s_mul_i32 s5, s5, s43
	ds_load_b32 v0, v2 offset:4108
	s_add_i32 s4, s4, s5
	s_cmp_ge_u32 s0, s46
	s_cselect_b32 s5, s7, s50
	s_cselect_b32 s0, s8, s0
	s_add_i32 s7, s5, 1
	s_cmp_ge_u32 s0, s46
	s_cselect_b32 s0, s7, s5
	s_ashr_i32 s5, s4, 31
	s_xor_b32 s0, s0, s6
	s_lshl_b64 s[4:5], s[4:5], 1
	s_sub_i32 s0, s0, s6
	s_delay_alu instid0(SALU_CYCLE_1) | instskip(SKIP_2) | instid1(SALU_CYCLE_1)
	s_mul_i32 s6, s0, s33
	s_mul_i32 s0, s0, s40
	s_sub_i32 s6, s29, s6
	s_mul_i32 s6, s6, s41
	s_waitcnt lgkmcnt(0)
	v_ashrrev_i32_e32 v1, 31, v0
	s_add_i32 s6, s0, s6
	s_add_u32 s4, s34, s4
	s_addc_u32 s5, s35, s5
	s_ashr_i32 s7, s6, 31
	s_delay_alu instid0(SALU_CYCLE_1) | instskip(NEXT) | instid1(SALU_CYCLE_1)
	s_lshl_b64 s[6:7], s[6:7], 3
	s_add_u32 s6, s30, s6
	s_addc_u32 s7, s31, s7
	s_clause 0x1
	global_store_b64 v2, v[0:1], s[6:7]
	global_store_b16 v2, v28, s[4:5]
.LBB33_257:
	s_or_b32 exec_lo, exec_lo, s3
.LBB33_258:
	s_or_saveexec_b32 s0, s2
	s_mov_b32 s2, 0
	s_xor_b32 exec_lo, exec_lo, s0
	s_cbranch_execnz .LBB33_266
.LBB33_259:
	s_or_b32 exec_lo, exec_lo, s0
	s_delay_alu instid0(SALU_CYCLE_1)
	s_and_b32 s2, s2, exec_lo
.LBB33_260:
	s_and_not1_saveexec_b32 s0, s1
	s_cbranch_execnz .LBB33_264
; %bb.261:
	s_or_b32 exec_lo, exec_lo, s0
	s_and_saveexec_b32 s0, s2
.LBB33_262:
	; divergent unreachable
.LBB33_263:
	s_nop 0
	s_sendmsg sendmsg(MSG_DEALLOC_VGPRS)
	s_endpgm
.LBB33_264:
	s_cbranch_execnz .LBB33_268
; %bb.265:
	s_or_b32 s2, s2, exec_lo
	s_or_b32 exec_lo, exec_lo, s0
	s_and_saveexec_b32 s0, s2
	s_cbranch_execnz .LBB33_262
	s_branch .LBB33_263
.LBB33_266:
	s_cbranch_execnz .LBB33_270
; %bb.267:
	s_mov_b32 s2, exec_lo
	s_branch .LBB33_259
.LBB33_268:
	s_trap 2
	s_sendmsg_rtn_b32 s0, sendmsg(MSG_RTN_GET_DOORBELL)
	s_mov_b32 ttmp2, m0
	s_waitcnt lgkmcnt(0)
	s_and_b32 s0, s0, 0x3ff
	s_delay_alu instid0(SALU_CYCLE_1) | instskip(NEXT) | instid1(SALU_CYCLE_1)
	s_bitset1_b32 s0, 10
	s_mov_b32 m0, s0
	s_sendmsg sendmsg(MSG_INTERRUPT)
	s_mov_b32 m0, ttmp2
.LBB33_269:                             ; =>This Inner Loop Header: Depth=1
	s_sethalt 5
	s_branch .LBB33_269
.LBB33_270:
	s_trap 2
	s_sendmsg_rtn_b32 s0, sendmsg(MSG_RTN_GET_DOORBELL)
	s_mov_b32 ttmp2, m0
	s_waitcnt lgkmcnt(0)
	s_and_b32 s0, s0, 0x3ff
	s_delay_alu instid0(SALU_CYCLE_1) | instskip(NEXT) | instid1(SALU_CYCLE_1)
	s_bitset1_b32 s0, 10
	s_mov_b32 m0, s0
	s_sendmsg sendmsg(MSG_INTERRUPT)
	s_mov_b32 m0, ttmp2
.LBB33_271:                             ; =>This Inner Loop Header: Depth=1
	s_sethalt 5
	s_branch .LBB33_271
	.section	.rodata,"a",@progbits
	.p2align	6, 0x0
	.amdhsa_kernel _ZN2at6native12_GLOBAL__N_114gatherKthValueIsiLi2EEEvNS_4cuda6detail10TensorInfoIKT_T0_EES8_S8_S8_S8_NS5_IS6_S8_EENS5_IlS8_EE
		.amdhsa_group_segment_fixed_size 4112
		.amdhsa_private_segment_fixed_size 0
		.amdhsa_kernarg_size 920
		.amdhsa_user_sgpr_count 13
		.amdhsa_user_sgpr_dispatch_ptr 0
		.amdhsa_user_sgpr_queue_ptr 0
		.amdhsa_user_sgpr_kernarg_segment_ptr 1
		.amdhsa_user_sgpr_dispatch_id 0
		.amdhsa_user_sgpr_private_segment_size 0
		.amdhsa_wavefront_size32 1
		.amdhsa_uses_dynamic_stack 0
		.amdhsa_enable_private_segment 0
		.amdhsa_system_sgpr_workgroup_id_x 1
		.amdhsa_system_sgpr_workgroup_id_y 1
		.amdhsa_system_sgpr_workgroup_id_z 1
		.amdhsa_system_sgpr_workgroup_info 0
		.amdhsa_system_vgpr_workitem_id 0
		.amdhsa_next_free_vgpr 40
		.amdhsa_next_free_sgpr 94
		.amdhsa_reserve_vcc 1
		.amdhsa_float_round_mode_32 0
		.amdhsa_float_round_mode_16_64 0
		.amdhsa_float_denorm_mode_32 3
		.amdhsa_float_denorm_mode_16_64 3
		.amdhsa_dx10_clamp 1
		.amdhsa_ieee_mode 1
		.amdhsa_fp16_overflow 0
		.amdhsa_workgroup_processor_mode 1
		.amdhsa_memory_ordered 1
		.amdhsa_forward_progress 0
		.amdhsa_shared_vgpr_count 0
		.amdhsa_exception_fp_ieee_invalid_op 0
		.amdhsa_exception_fp_denorm_src 0
		.amdhsa_exception_fp_ieee_div_zero 0
		.amdhsa_exception_fp_ieee_overflow 0
		.amdhsa_exception_fp_ieee_underflow 0
		.amdhsa_exception_fp_ieee_inexact 0
		.amdhsa_exception_int_div_zero 0
	.end_amdhsa_kernel
	.section	.text._ZN2at6native12_GLOBAL__N_114gatherKthValueIsiLi2EEEvNS_4cuda6detail10TensorInfoIKT_T0_EES8_S8_S8_S8_NS5_IS6_S8_EENS5_IlS8_EE,"axG",@progbits,_ZN2at6native12_GLOBAL__N_114gatherKthValueIsiLi2EEEvNS_4cuda6detail10TensorInfoIKT_T0_EES8_S8_S8_S8_NS5_IS6_S8_EENS5_IlS8_EE,comdat
.Lfunc_end33:
	.size	_ZN2at6native12_GLOBAL__N_114gatherKthValueIsiLi2EEEvNS_4cuda6detail10TensorInfoIKT_T0_EES8_S8_S8_S8_NS5_IS6_S8_EENS5_IlS8_EE, .Lfunc_end33-_ZN2at6native12_GLOBAL__N_114gatherKthValueIsiLi2EEEvNS_4cuda6detail10TensorInfoIKT_T0_EES8_S8_S8_S8_NS5_IS6_S8_EENS5_IlS8_EE
                                        ; -- End function
	.section	.AMDGPU.csdata,"",@progbits
; Kernel info:
; codeLenInByte = 10228
; NumSgprs: 96
; NumVgprs: 40
; ScratchSize: 0
; MemoryBound: 0
; FloatMode: 240
; IeeeMode: 1
; LDSByteSize: 4112 bytes/workgroup (compile time only)
; SGPRBlocks: 11
; VGPRBlocks: 4
; NumSGPRsForWavesPerEU: 96
; NumVGPRsForWavesPerEU: 40
; Occupancy: 16
; WaveLimiterHint : 1
; COMPUTE_PGM_RSRC2:SCRATCH_EN: 0
; COMPUTE_PGM_RSRC2:USER_SGPR: 13
; COMPUTE_PGM_RSRC2:TRAP_HANDLER: 0
; COMPUTE_PGM_RSRC2:TGID_X_EN: 1
; COMPUTE_PGM_RSRC2:TGID_Y_EN: 1
; COMPUTE_PGM_RSRC2:TGID_Z_EN: 1
; COMPUTE_PGM_RSRC2:TIDIG_COMP_CNT: 0
	.section	.text._ZN2at6native12_GLOBAL__N_114gatherKthValueIsiLi3EEEvNS_4cuda6detail10TensorInfoIKT_T0_EES8_S8_S8_S8_NS5_IS6_S8_EENS5_IlS8_EE,"axG",@progbits,_ZN2at6native12_GLOBAL__N_114gatherKthValueIsiLi3EEEvNS_4cuda6detail10TensorInfoIKT_T0_EES8_S8_S8_S8_NS5_IS6_S8_EENS5_IlS8_EE,comdat
	.globl	_ZN2at6native12_GLOBAL__N_114gatherKthValueIsiLi3EEEvNS_4cuda6detail10TensorInfoIKT_T0_EES8_S8_S8_S8_NS5_IS6_S8_EENS5_IlS8_EE ; -- Begin function _ZN2at6native12_GLOBAL__N_114gatherKthValueIsiLi3EEEvNS_4cuda6detail10TensorInfoIKT_T0_EES8_S8_S8_S8_NS5_IS6_S8_EENS5_IlS8_EE
	.p2align	8
	.type	_ZN2at6native12_GLOBAL__N_114gatherKthValueIsiLi3EEEvNS_4cuda6detail10TensorInfoIKT_T0_EES8_S8_S8_S8_NS5_IS6_S8_EENS5_IlS8_EE,@function
_ZN2at6native12_GLOBAL__N_114gatherKthValueIsiLi3EEEvNS_4cuda6detail10TensorInfoIKT_T0_EES8_S8_S8_S8_NS5_IS6_S8_EENS5_IlS8_EE: ; @_ZN2at6native12_GLOBAL__N_114gatherKthValueIsiLi3EEEvNS_4cuda6detail10TensorInfoIKT_T0_EES8_S8_S8_S8_NS5_IS6_S8_EENS5_IlS8_EE
; %bb.0:
	s_clause 0x1
	s_load_b64 s[8:9], s[0:1], 0x298
	s_load_b128 s[44:47], s[0:1], 0xd8
	s_add_u32 s2, s0, 0x298
	s_addc_u32 s3, s1, 0
	s_waitcnt lgkmcnt(0)
	s_mul_i32 s4, s9, s15
	s_delay_alu instid0(SALU_CYCLE_1) | instskip(NEXT) | instid1(SALU_CYCLE_1)
	s_add_i32 s4, s4, s14
	s_mul_i32 s29, s4, s8
	s_delay_alu instid0(SALU_CYCLE_1) | instskip(NEXT) | instid1(SALU_CYCLE_1)
	s_add_i32 s29, s29, s13
	s_cmp_ge_i32 s29, s46
	s_cbranch_scc1 .LBB34_263
; %bb.1:
	s_clause 0x3
	s_load_b64 s[10:11], s[0:1], 0xc
	s_load_b64 s[30:31], s[0:1], 0xf4
	;; [unrolled: 1-line block ×4, first 2 shown]
	s_abs_i32 s14, s29
	s_mov_b32 s65, 0
	s_waitcnt lgkmcnt(0)
	s_ashr_i32 s4, s11, 31
	s_delay_alu instid0(SALU_CYCLE_1) | instskip(NEXT) | instid1(SALU_CYCLE_1)
	s_add_i32 s5, s11, s4
	s_xor_b32 s5, s5, s4
	s_delay_alu instid0(SALU_CYCLE_1) | instskip(SKIP_1) | instid1(VALU_DEP_1)
	v_cvt_f32_u32_e32 v1, s5
	s_sub_i32 s7, 0, s5
	v_rcp_iflag_f32_e32 v1, v1
	s_waitcnt_depctr 0xfff
	v_mul_f32_e32 v1, 0x4f7ffffe, v1
	s_delay_alu instid0(VALU_DEP_1) | instskip(NEXT) | instid1(VALU_DEP_1)
	v_cvt_u32_f32_e32 v1, v1
	v_readfirstlane_b32 s6, v1
	s_delay_alu instid0(VALU_DEP_1) | instskip(NEXT) | instid1(SALU_CYCLE_1)
	s_mul_i32 s7, s7, s6
	s_mul_hi_u32 s7, s6, s7
	s_delay_alu instid0(SALU_CYCLE_1)
	s_add_i32 s6, s6, s7
	s_ashr_i32 s7, s29, 31
	s_mul_hi_u32 s6, s14, s6
	s_xor_b32 s4, s7, s4
	s_mul_i32 s9, s6, s5
	s_add_i32 s12, s6, 1
	s_sub_i32 s9, s14, s9
	s_delay_alu instid0(SALU_CYCLE_1)
	s_sub_i32 s15, s9, s5
	s_cmp_ge_u32 s9, s5
	s_cselect_b32 s6, s12, s6
	s_cselect_b32 s9, s15, s9
	s_add_i32 s12, s6, 1
	s_cmp_ge_u32 s9, s5
	s_cselect_b32 s5, s12, s6
	s_ashr_i32 s6, s31, 31
	s_abs_i32 s12, s10
	s_add_i32 s9, s31, s6
	v_cvt_f32_u32_e32 v2, s12
	s_xor_b32 s15, s9, s6
	s_xor_b32 s5, s5, s4
	v_cvt_f32_u32_e32 v1, s15
	s_sub_i32 s9, s5, s4
	v_rcp_iflag_f32_e32 v2, v2
	s_xor_b32 s5, s7, s6
	s_sub_i32 s6, 0, s15
	v_rcp_iflag_f32_e32 v1, v1
	s_sub_i32 s19, 0, s12
	s_ashr_i32 s16, s10, 31
	s_ashr_i32 s17, s9, 31
	s_abs_i32 s18, s9
	s_waitcnt_depctr 0xfff
	v_dual_mul_f32 v2, 0x4f7ffffe, v2 :: v_dual_mul_f32 v1, 0x4f7ffffe, v1
	s_delay_alu instid0(VALU_DEP_1) | instskip(NEXT) | instid1(VALU_DEP_2)
	v_cvt_u32_f32_e32 v2, v2
	v_cvt_u32_f32_e32 v1, v1
	s_delay_alu instid0(VALU_DEP_2) | instskip(NEXT) | instid1(VALU_DEP_2)
	v_readfirstlane_b32 s20, v2
	v_readfirstlane_b32 s4, v1
	s_delay_alu instid0(VALU_DEP_2) | instskip(NEXT) | instid1(VALU_DEP_1)
	s_mul_i32 s19, s19, s20
	s_mul_i32 s6, s6, s4
	s_delay_alu instid0(SALU_CYCLE_1) | instskip(NEXT) | instid1(SALU_CYCLE_1)
	s_mul_hi_u32 s6, s4, s6
	s_add_i32 s4, s4, s6
	s_mul_hi_u32 s6, s20, s19
	s_mul_hi_u32 s4, s14, s4
	s_add_i32 s20, s20, s6
	s_mul_i32 s19, s4, s15
	s_delay_alu instid0(SALU_CYCLE_1)
	s_sub_i32 s6, s14, s19
	s_add_i32 s19, s4, 1
	s_sub_i32 s21, s6, s15
	s_cmp_ge_u32 s6, s15
	s_cselect_b32 s4, s19, s4
	s_cselect_b32 s6, s21, s6
	s_add_i32 s19, s4, 1
	s_cmp_ge_u32 s6, s15
	s_cselect_b32 s4, s19, s4
	s_ashr_i32 s6, s35, 31
	s_abs_i32 s54, s30
	s_add_i32 s15, s35, s6
	v_cvt_f32_u32_e32 v2, s54
	s_xor_b32 s15, s15, s6
	s_xor_b32 s22, s7, s6
	v_cvt_f32_u32_e32 v1, s15
	s_sub_i32 s6, 0, s15
	v_rcp_iflag_f32_e32 v2, v2
	s_xor_b32 s4, s4, s5
	s_sub_i32 s21, 0, s54
	v_rcp_iflag_f32_e32 v1, v1
	s_sub_i32 s46, s4, s5
	s_delay_alu instid0(SALU_CYCLE_1) | instskip(SKIP_2) | instid1(VALU_DEP_1)
	s_abs_i32 s55, s46
	s_waitcnt_depctr 0xfff
	v_dual_mul_f32 v2, 0x4f7ffffe, v2 :: v_dual_mul_f32 v1, 0x4f7ffffe, v1
	v_cvt_u32_f32_e32 v2, v2
	s_delay_alu instid0(VALU_DEP_2) | instskip(NEXT) | instid1(VALU_DEP_2)
	v_cvt_u32_f32_e32 v1, v1
	v_readfirstlane_b32 s7, v2
	s_delay_alu instid0(VALU_DEP_2) | instskip(NEXT) | instid1(VALU_DEP_2)
	v_readfirstlane_b32 s19, v1
	s_mul_i32 s21, s21, s7
	s_delay_alu instid0(SALU_CYCLE_1) | instskip(NEXT) | instid1(VALU_DEP_1)
	s_mul_hi_u32 s5, s7, s21
	s_mul_i32 s6, s6, s19
	s_delay_alu instid0(SALU_CYCLE_1) | instskip(NEXT) | instid1(SALU_CYCLE_1)
	s_mul_hi_u32 s4, s19, s6
	s_add_i32 s19, s19, s4
	s_delay_alu instid0(SALU_CYCLE_1)
	s_mul_hi_u32 s4, s14, s19
	s_add_i32 s19, s7, s5
	s_mul_i32 s6, s4, s15
	s_mul_hi_u32 s59, s55, s19
	s_sub_i32 s5, s14, s6
	s_add_i32 s6, s4, 1
	s_sub_i32 s7, s5, s15
	s_cmp_ge_u32 s5, s15
	s_cselect_b32 s4, s6, s4
	s_cselect_b32 s5, s7, s5
	s_add_i32 s6, s4, 1
	s_cmp_ge_u32 s5, s15
	s_clause 0x1
	s_load_b128 s[40:43], s[0:1], 0x154
	s_load_b64 s[14:15], s[0:1], 0x0
	s_cselect_b32 s21, s6, s4
	s_abs_i32 s33, s34
	s_clause 0x2
	s_load_b128 s[36:39], s[0:1], 0x22c
	s_load_b64 s[50:51], s[0:1], 0xe8
	s_load_b128 s[4:7], s[0:1], 0x6c
	v_cvt_f32_u32_e32 v1, s33
	s_mul_hi_u32 s1, s18, s20
	s_sub_i32 s20, 0, s33
	s_xor_b32 s0, s21, s22
	s_delay_alu instid0(VALU_DEP_1)
	v_rcp_iflag_f32_e32 v1, v1
	s_waitcnt lgkmcnt(0)
	s_sub_i32 s39, s0, s22
	v_cmp_eq_u32_e64 s0, 0, v0
	s_abs_i32 s56, s39
	s_waitcnt_depctr 0xfff
	v_mul_f32_e32 v1, 0x4f7ffffe, v1
	s_delay_alu instid0(VALU_DEP_1) | instskip(NEXT) | instid1(VALU_DEP_1)
	v_cvt_u32_f32_e32 v1, v1
	v_readfirstlane_b32 s7, v1
	s_delay_alu instid0(VALU_DEP_1) | instskip(NEXT) | instid1(SALU_CYCLE_1)
	s_mul_i32 s20, s20, s7
	s_mul_hi_u32 s20, s7, s20
	s_delay_alu instid0(SALU_CYCLE_1) | instskip(NEXT) | instid1(SALU_CYCLE_1)
	s_add_i32 s7, s7, s20
	s_mul_hi_u32 s43, s56, s7
	s_and_saveexec_b32 s7, s0
	s_cbranch_execz .LBB34_3
; %bb.2:
	v_dual_mov_b32 v1, 0 :: v_dual_mov_b32 v2, s44
	s_delay_alu instid0(VALU_DEP_1)
	v_mov_b32_e32 v3, v1
	ds_store_b96 v1, v[1:3] offset:4096
.LBB34_3:
	s_or_b32 exec_lo, exec_lo, s7
	s_mul_i32 s7, s9, s11
	s_mul_i32 s11, s1, s12
	s_ashr_i32 s60, s46, 31
	s_sub_i32 s11, s18, s11
	s_ashr_i32 s61, s30, 31
	s_ashr_i32 s57, s39, 31
	;; [unrolled: 1-line block ×3, first 2 shown]
	s_sub_i32 s7, s29, s7
	s_xor_b32 s16, s17, s16
	s_add_i32 s17, s1, 1
	s_sub_i32 s18, s11, s12
	s_cmp_ge_u32 s11, s12
	s_waitcnt lgkmcnt(0)
	s_cselect_b32 s1, s17, s1
	s_cselect_b32 s11, s18, s11
	s_add_i32 s17, s1, 1
	s_cmp_ge_u32 s11, s12
	s_barrier
	s_cselect_b32 s1, s17, s1
	buffer_gl0_inv
	s_load_b32 s11, s[2:3], 0xc
	s_xor_b32 s1, s1, s16
	s_mul_i32 s7, s7, s6
	s_sub_i32 s1, s1, s16
	v_mbcnt_lo_u32_b32 v15, -1, 0
	s_mul_i32 s10, s1, s10
	s_mul_i32 s1, s1, s4
	s_sub_i32 s9, s9, s10
	v_cmp_gt_u32_e32 vcc_lo, 32, v0
	s_mul_i32 s5, s9, s5
	v_dual_mov_b32 v28, 0 :: v_dual_lshlrev_b32 v17, 1, v0
	s_add_i32 s5, s5, s7
	v_mov_b32_e32 v7, 0
	s_add_i32 s4, s5, s1
	s_delay_alu instid0(VALU_DEP_2)
	v_add_nc_u32_e32 v18, 0xc00, v17
	s_ashr_i32 s5, s4, 31
	v_cmp_gt_i32_e64 s1, 4, v15
	s_lshl_b64 s[4:5], s[4:5], 1
	v_mul_lo_u32 v5, v0, s47
	s_add_u32 s62, s14, s4
	s_addc_u32 s63, s15, s5
	s_waitcnt lgkmcnt(0)
	s_and_b32 s64, s11, 0xffff
	s_bfe_u32 s4, s11, 0xb0005
	s_lshl_b32 s66, s64, 2
	s_add_i32 s68, s64, -1
	v_cvt_f32_u32_e32 v1, s66
	s_and_b32 s69, vcc_lo, s1
	s_add_i32 s79, s68, s44
	s_cmpk_gt_i32 s44, 0x600
	s_mov_b32 s10, s47
	v_rcp_iflag_f32_e32 v1, v1
	s_cselect_b32 s70, -1, 0
	s_cmp_gt_u32 s64, 31
	v_lshlrev_b32_e32 v16, 2, v0
	s_cselect_b32 s71, -1, 0
	s_cmp_lt_u32 s13, s8
	v_lshlrev_b32_e32 v24, 2, v5
	s_cselect_b32 s1, 12, 18
	v_mad_u64_u32 v[12:13], null, s47, v16, s[10:11]
	s_waitcnt_depctr 0xfff
	v_mul_f32_e32 v1, 0x4f7ffffe, v1
	s_add_u32 s52, s2, s1
	s_addc_u32 s53, s3, 0
	s_add_i32 s1, s4, -1
	s_bfe_u32 s72, s64, 0x30005
	v_cvt_u32_f32_e32 v1, v1
	s_cmp_gt_u32 s1, 6
	v_cmp_eq_u32_e64 s1, 0, v15
	s_cselect_b32 s73, -1, 0
	s_and_b32 s74, s4, 0x7f8
	v_readfirstlane_b32 s2, v1
	s_cmp_lg_u32 s72, 0
	v_cvt_f32_u32_e32 v1, s64
	s_cselect_b32 s75, -1, 0
	s_sub_i32 s3, 0, s66
	v_lshlrev_b32_e32 v26, 3, v0
	s_mul_i32 s3, s3, s2
	v_rcp_iflag_f32_e32 v3, v1
	s_mul_hi_u32 s3, s2, s3
	v_mov_b32_e32 v6, v7
	s_add_i32 s76, s2, s3
	v_cmp_gt_u32_e64 s2, 2, v0
	s_mul_hi_u32 s3, s44, s76
	v_lshl_or_b32 v27, v15, 2, 0xc00
	s_mul_i32 s3, s3, s66
	s_mul_i32 s67, s47, s64
	s_sub_i32 s3, s44, s3
	s_waitcnt_depctr 0xfff
	v_mul_f32_e32 v3, 0x4f7ffffe, v3
	s_sub_i32 s4, s3, s66
	s_cmp_ge_u32 s3, s66
	v_lshlrev_b64 v[1:2], 1, v[5:6]
	s_cselect_b32 s4, s4, s3
	v_cmp_gt_u32_e64 s3, s44, v0
	s_sub_i32 s5, s4, s66
	s_cmp_ge_u32 s4, s66
	s_mov_b32 s86, 14
	s_cselect_b32 s9, s5, s4
	v_add_co_u32 v8, vcc_lo, s62, v1
	s_sub_i32 s77, s44, s9
	v_cvt_u32_f32_e32 v1, v3
	v_add_nc_u32_e32 v19, s77, v0
	s_sub_i32 s6, 0, s64
	v_add_co_ci_u32_e32 v9, vcc_lo, s63, v2, vcc_lo
	s_delay_alu instid0(VALU_DEP_3) | instskip(NEXT) | instid1(VALU_DEP_3)
	v_readfirstlane_b32 s5, v1
	v_mul_lo_u32 v1, v19, s47
	v_lshrrev_b32_e32 v2, 3, v0
	s_abs_i32 s7, s79
	v_lshlrev_b64 v[3:4], v15, -1
	s_mul_i32 s6, s6, s5
	v_cmp_gt_i32_e64 s4, s44, v0
	s_mul_hi_u32 s6, s5, s6
	v_and_b32_e32 v20, 0x7c, v2
	s_add_i32 s78, s5, s6
	v_ashrrev_i32_e32 v2, 31, v1
	s_mul_hi_u32 s5, s7, s78
	v_not_b32_e32 v21, v3
	s_mul_i32 s5, s5, s64
	v_or_b32_e32 v3, 3, v16
	v_lshlrev_b64 v[1:2], 1, v[1:2]
	s_sub_i32 s5, s7, s5
	s_ashr_i32 s7, s79, 31
	s_sub_i32 s6, s5, s64
	s_cmp_ge_u32 s5, s64
	v_mul_lo_u32 v23, s47, v3
	s_cselect_b32 s5, s6, s5
	v_add_co_u32 v10, vcc_lo, s62, v1
	v_add3_u32 v1, s64, s44, v0
	s_sub_i32 s6, s5, s64
	s_cmp_ge_u32 s5, s64
	v_add_co_ci_u32_e32 v11, vcc_lo, s63, v2, vcc_lo
	s_cselect_b32 s6, s6, s5
	v_or_b32_e32 v2, 2, v16
	v_subrev_nc_u32_e32 v1, s9, v1
	s_xor_b32 s8, s6, s7
	v_cmp_gt_i32_e64 s5, s77, v16
	s_sub_i32 s7, s7, s8
	v_mul_lo_u32 v22, s47, v2
	v_mul_lo_u32 v25, s47, v1
	s_add_i32 s79, s79, s7
	v_cmp_gt_u32_e64 s6, s44, v19
	v_cmp_gt_i32_e64 s7, s44, v19
	v_cmp_gt_i32_e64 s8, s79, v0
	s_lshl_b32 s80, s67, 2
	s_lshl_b32 s81, s64, 3
	;; [unrolled: 1-line block ×3, first 2 shown]
	s_mov_b32 s89, 0
	s_mov_b32 s91, 0
	;; [unrolled: 1-line block ×3, first 2 shown]
                                        ; implicit-def: $sgpr83
                                        ; implicit-def: $sgpr85
                                        ; implicit-def: $sgpr84
                                        ; implicit-def: $sgpr88
                                        ; implicit-def: $sgpr90
                                        ; implicit-def: $sgpr87
	s_branch .LBB34_8
.LBB34_4:                               ;   in Loop: Header=BB34_8 Depth=1
	s_xor_b32 s89, s89, 1
	s_add_i32 s13, s86, -2
	s_cmp_eq_u32 s86, 0
	s_mov_b32 s9, 0
	s_cselect_b32 s11, -1, 0
	s_mov_b32 s86, s13
.LBB34_5:                               ;   in Loop: Header=BB34_8 Depth=1
	s_and_not1_b32 s13, s15, exec_lo
	s_and_b32 s9, s9, exec_lo
	s_and_not1_b32 s17, s17, exec_lo
	s_or_b32 s15, s13, s9
	s_and_not1_b32 s14, s14, exec_lo
	s_or_not1_b32 s13, s11, exec_lo
	s_mov_b32 s45, s22
.LBB34_6:                               ;   in Loop: Header=BB34_8 Depth=1
	s_or_b32 exec_lo, exec_lo, s10
	s_delay_alu instid0(SALU_CYCLE_1)
	s_and_not1_b32 s9, s87, exec_lo
	s_and_b32 s10, s15, exec_lo
	s_and_not1_b32 s11, s88, exec_lo
	s_or_b32 s87, s9, s10
	s_and_not1_b32 s9, s90, exec_lo
	s_and_b32 s10, s17, exec_lo
	s_and_b32 s14, s14, exec_lo
	s_or_b32 s90, s9, s10
	s_or_b32 s88, s11, s14
	s_or_not1_b32 s14, s13, exec_lo
.LBB34_7:                               ;   in Loop: Header=BB34_8 Depth=1
	s_or_b32 exec_lo, exec_lo, s12
	s_delay_alu instid0(SALU_CYCLE_1)
	s_and_b32 s9, exec_lo, s14
	v_mov_b32_e32 v1, s91
	s_or_b32 s65, s9, s65
	s_and_not1_b32 s9, s84, exec_lo
	s_and_b32 s10, s87, exec_lo
	s_and_not1_b32 s11, s83, exec_lo
	s_or_b32 s84, s9, s10
	s_and_not1_b32 s9, s85, exec_lo
	s_and_b32 s10, s90, exec_lo
	s_and_b32 s12, s88, exec_lo
	s_or_b32 s85, s9, s10
	s_or_b32 s83, s11, s12
	s_and_not1_b32 exec_lo, exec_lo, s65
	s_cbranch_execz .LBB34_239
.LBB34_8:                               ; =>This Loop Header: Depth=1
                                        ;     Child Loop BB34_13 Depth 2
                                        ;     Child Loop BB34_32 Depth 2
	;; [unrolled: 1-line block ×16, first 2 shown]
	ds_load_b64 v[1:2], v7 offset:4096
	s_waitcnt lgkmcnt(0)
	v_readfirstlane_b32 s93, v1
	s_delay_alu instid0(VALU_DEP_1)
	s_cmp_gt_i32 s93, 0
	s_cbranch_scc1 .LBB34_39
; %bb.9:                                ;   in Loop: Header=BB34_8 Depth=1
	s_and_b32 vcc_lo, exec_lo, s70
	s_cbranch_vccz .LBB34_21
; %bb.10:                               ;   in Loop: Header=BB34_8 Depth=1
	v_cmp_gt_i32_e32 vcc_lo, 0x601, v2
	s_mov_b32 s10, 0
	s_mov_b32 s9, 0
	s_cbranch_vccz .LBB34_26
; %bb.11:                               ;   in Loop: Header=BB34_8 Depth=1
	global_load_u16 v1, v7, s[52:53]
	global_load_u16 v4, v[8:9], off
	v_mov_b32_e32 v3, v0
	s_mov_b32 s11, 0
	s_waitcnt vmcnt(1)
	v_add_nc_u32_e32 v2, v0, v1
	s_delay_alu instid0(VALU_DEP_1)
	v_mul_lo_u32 v6, s47, v2
	v_mul_lo_u32 v2, s47, v1
	s_branch .LBB34_13
.LBB34_12:                              ;   in Loop: Header=BB34_13 Depth=2
	s_or_b32 exec_lo, exec_lo, s9
	v_cmp_le_i32_e32 vcc_lo, s44, v3
	v_add_nc_u32_e32 v6, v6, v2
	v_mov_b32_e32 v4, v13
	s_or_b32 s11, vcc_lo, s11
	s_delay_alu instid0(SALU_CYCLE_1)
	s_and_not1_b32 exec_lo, exec_lo, s11
	s_cbranch_execz .LBB34_22
.LBB34_13:                              ;   Parent Loop BB34_8 Depth=1
                                        ; =>  This Inner Loop Header: Depth=2
	s_waitcnt lgkmcnt(0)
	v_dual_mov_b32 v14, 0 :: v_dual_add_nc_u32 v3, v3, v1
	v_mov_b32_e32 v13, 0
	s_mov_b32 s9, exec_lo
	s_delay_alu instid0(VALU_DEP_2)
	v_cmpx_gt_u32_e64 s44, v3
	s_cbranch_execz .LBB34_15
; %bb.14:                               ;   in Loop: Header=BB34_13 Depth=2
	v_lshlrev_b64 v[29:30], 1, v[6:7]
	s_delay_alu instid0(VALU_DEP_1) | instskip(NEXT) | instid1(VALU_DEP_2)
	v_add_co_u32 v29, vcc_lo, s62, v29
	v_add_co_ci_u32_e32 v30, vcc_lo, s63, v30, vcc_lo
	global_load_u16 v13, v[29:30], off
.LBB34_15:                              ;   in Loop: Header=BB34_13 Depth=2
	s_or_b32 exec_lo, exec_lo, s9
	s_waitcnt vmcnt(0)
	v_bfe_i32 v29, v4, 0, 16
	s_delay_alu instid0(VALU_DEP_1) | instskip(NEXT) | instid1(VALU_DEP_1)
	v_add_nc_u32_e32 v29, 0x8000, v29
	v_and_b32_e32 v29, s92, v29
	s_delay_alu instid0(VALU_DEP_1) | instskip(SKIP_2) | instid1(SALU_CYCLE_1)
	v_cmp_eq_u32_e32 vcc_lo, s91, v29
	s_cmp_lg_u32 vcc_lo, 0
	s_cselect_b32 s9, -1, 0
	s_and_b32 s9, s1, s9
	s_delay_alu instid0(SALU_CYCLE_1)
	s_and_saveexec_b32 s12, s9
	s_cbranch_execz .LBB34_19
; %bb.16:                               ;   in Loop: Header=BB34_13 Depth=2
	s_mov_b32 s15, exec_lo
	s_bcnt1_i32_b32 s13, vcc_lo
	v_mbcnt_lo_u32_b32 v14, s15, 0
	s_mov_b32 s14, exec_lo
                                        ; implicit-def: $vgpr29
	s_delay_alu instid0(VALU_DEP_1)
	v_cmpx_eq_u32_e32 0, v14
	s_cbranch_execz .LBB34_18
; %bb.17:                               ;   in Loop: Header=BB34_13 Depth=2
	s_bcnt1_i32_b32 s9, s15
	s_delay_alu instid0(SALU_CYCLE_1) | instskip(NEXT) | instid1(SALU_CYCLE_1)
	s_mul_i32 s9, s13, s9
	v_mov_b32_e32 v29, s9
	ds_add_rtn_u32 v29, v7, v29 offset:4104
.LBB34_18:                              ;   in Loop: Header=BB34_13 Depth=2
	s_or_b32 exec_lo, exec_lo, s14
	s_waitcnt lgkmcnt(0)
	v_readfirstlane_b32 s9, v29
	s_delay_alu instid0(VALU_DEP_1)
	v_mad_u32_u24 v14, s13, v14, s9
.LBB34_19:                              ;   in Loop: Header=BB34_13 Depth=2
	s_or_b32 exec_lo, exec_lo, s12
	ds_bpermute_b32 v14, v7, v14
	s_and_saveexec_b32 s9, vcc_lo
	s_cbranch_execz .LBB34_12
; %bb.20:                               ;   in Loop: Header=BB34_13 Depth=2
	v_and_b32_e32 v29, vcc_lo, v21
	s_delay_alu instid0(VALU_DEP_1) | instskip(NEXT) | instid1(VALU_DEP_1)
	v_bcnt_u32_b32 v29, v29, 0
	v_lshlrev_b32_e32 v29, 1, v29
	s_waitcnt lgkmcnt(0)
	s_delay_alu instid0(VALU_DEP_1)
	v_lshl_add_u32 v14, v14, 1, v29
	ds_store_b16 v14, v4
	s_branch .LBB34_12
.LBB34_21:                              ;   in Loop: Header=BB34_8 Depth=1
	s_mov_b32 s10, -1
	s_mov_b32 s9, 0
	s_branch .LBB34_25
.LBB34_22:                              ;   in Loop: Header=BB34_8 Depth=1
	s_or_b32 exec_lo, exec_lo, s11
	s_waitcnt lgkmcnt(0)
	s_barrier
	buffer_gl0_inv
	s_and_saveexec_b32 s9, s0
	s_cbranch_execz .LBB34_24
; %bb.23:                               ;   in Loop: Header=BB34_8 Depth=1
	ds_load_b32 v1, v7 offset:4104
	s_waitcnt lgkmcnt(0)
	ds_store_b32 v7, v1 offset:4096
.LBB34_24:                              ;   in Loop: Header=BB34_8 Depth=1
	s_or_b32 exec_lo, exec_lo, s9
	s_waitcnt lgkmcnt(0)
	s_mov_b32 s9, -1
	s_barrier
.LBB34_25:                              ;   in Loop: Header=BB34_8 Depth=1
                                        ; implicit-def: $sgpr93
.LBB34_26:                              ;   in Loop: Header=BB34_8 Depth=1
	s_and_b32 vcc_lo, exec_lo, s10
	s_cbranch_vccz .LBB34_37
; %bb.27:                               ;   in Loop: Header=BB34_8 Depth=1
	v_mov_b32_e32 v1, 0
	s_and_saveexec_b32 s9, s3
	s_cbranch_execz .LBB34_29
; %bb.28:                               ;   in Loop: Header=BB34_8 Depth=1
	global_load_u16 v1, v[8:9], off
.LBB34_29:                              ;   in Loop: Header=BB34_8 Depth=1
	s_or_b32 exec_lo, exec_lo, s9
	s_and_saveexec_b32 s9, s4
	s_cbranch_execz .LBB34_34
; %bb.30:                               ;   in Loop: Header=BB34_8 Depth=1
	global_load_u16 v2, v7, s[52:53]
	v_mov_b32_e32 v14, v0
	s_mov_b32 s10, 0
	v_mov_b32_e32 v13, v17
	s_waitcnt vmcnt(0)
	v_add_nc_u32_e32 v3, v0, v2
	v_lshlrev_b32_e32 v4, 1, v2
	s_delay_alu instid0(VALU_DEP_2)
	v_mul_lo_u32 v6, s47, v3
	v_mul_lo_u32 v3, s47, v2
	s_branch .LBB34_32
	.p2align	6
.LBB34_31:                              ;   in Loop: Header=BB34_32 Depth=2
	s_or_b32 exec_lo, exec_lo, s11
	v_cmp_le_i32_e32 vcc_lo, s44, v14
	ds_store_b16 v13, v1
	v_add_nc_u32_e32 v13, v13, v4
	s_waitcnt vmcnt(0)
	v_dual_mov_b32 v1, v29 :: v_dual_add_nc_u32 v6, v6, v3
	s_or_b32 s10, vcc_lo, s10
	s_delay_alu instid0(SALU_CYCLE_1)
	s_and_not1_b32 exec_lo, exec_lo, s10
	s_cbranch_execz .LBB34_34
.LBB34_32:                              ;   Parent Loop BB34_8 Depth=1
                                        ; =>  This Inner Loop Header: Depth=2
	v_dual_mov_b32 v29, 0 :: v_dual_add_nc_u32 v14, v14, v2
	s_mov_b32 s11, exec_lo
	s_delay_alu instid0(VALU_DEP_1)
	v_cmpx_gt_u32_e64 s44, v14
	s_cbranch_execz .LBB34_31
; %bb.33:                               ;   in Loop: Header=BB34_32 Depth=2
	s_delay_alu instid0(VALU_DEP_3) | instskip(NEXT) | instid1(VALU_DEP_1)
	v_lshlrev_b64 v[29:30], 1, v[6:7]
	v_add_co_u32 v29, vcc_lo, s62, v29
	s_delay_alu instid0(VALU_DEP_2)
	v_add_co_ci_u32_e32 v30, vcc_lo, s63, v30, vcc_lo
	global_load_u16 v29, v[29:30], off
	s_branch .LBB34_31
.LBB34_34:                              ;   in Loop: Header=BB34_8 Depth=1
	s_or_b32 exec_lo, exec_lo, s9
	s_waitcnt vmcnt(0) lgkmcnt(0)
	s_barrier
	buffer_gl0_inv
	s_and_saveexec_b32 s9, s0
	s_cbranch_execz .LBB34_36
; %bb.35:                               ;   in Loop: Header=BB34_8 Depth=1
	v_mov_b32_e32 v1, s44
	ds_store_b32 v7, v1 offset:4096
.LBB34_36:                              ;   in Loop: Header=BB34_8 Depth=1
	s_or_b32 exec_lo, exec_lo, s9
	s_mov_b32 s9, -1
	s_waitcnt lgkmcnt(0)
	s_barrier
                                        ; implicit-def: $sgpr93
.LBB34_37:                              ;   in Loop: Header=BB34_8 Depth=1
	s_and_b32 vcc_lo, exec_lo, s9
	s_cbranch_vccz .LBB34_39
; %bb.38:                               ;   in Loop: Header=BB34_8 Depth=1
	buffer_gl0_inv
	ds_load_b32 v1, v7 offset:4096
	s_waitcnt lgkmcnt(0)
	v_readfirstlane_b32 s93, v1
.LBB34_39:                              ;   in Loop: Header=BB34_8 Depth=1
	s_delay_alu instid0(VALU_DEP_1)
	s_cmp_lt_i32 s93, 1
	s_cbranch_scc0 .LBB34_43
; %bb.40:                               ;   in Loop: Header=BB34_8 Depth=1
	v_dual_mov_b32 v1, 0 :: v_dual_mov_b32 v2, 0
	v_dual_mov_b32 v3, 0 :: v_dual_mov_b32 v4, 0
	s_mov_b32 s95, 0
	s_and_saveexec_b32 s94, s5
	s_cbranch_execnz .LBB34_44
; %bb.41:                               ;   in Loop: Header=BB34_8 Depth=1
	s_or_b32 exec_lo, exec_lo, s94
	v_mov_b32_e32 v29, 0
	s_and_saveexec_b32 s9, s6
	s_cbranch_execnz .LBB34_47
.LBB34_42:                              ;   in Loop: Header=BB34_8 Depth=1
	s_or_b32 exec_lo, exec_lo, s9
	s_and_saveexec_b32 s13, s7
	s_cbranch_execnz .LBB34_48
	s_branch .LBB34_53
.LBB34_43:                              ;   in Loop: Header=BB34_8 Depth=1
                                        ; implicit-def: $vgpr4
	s_cbranch_execnz .LBB34_54
	s_branch .LBB34_63
.LBB34_44:                              ;   in Loop: Header=BB34_8 Depth=1
	v_mov_b32_e32 v6, v16
	s_and_b32 s96, s86, 0xfe
	s_mov_b32 s97, 0
	s_mov_b32 s98, 0
	;; [unrolled: 1-line block ×5, first 2 shown]
.LBB34_45:                              ;   Parent Loop BB34_8 Depth=1
                                        ; =>  This Inner Loop Header: Depth=2
	v_add_nc_u32_e32 v1, s97, v24
	v_add_nc_u32_e32 v3, s97, v12
	;; [unrolled: 1-line block ×4, first 2 shown]
	s_add_i32 s97, s97, s80
	v_ashrrev_i32_e32 v2, 31, v1
	v_ashrrev_i32_e32 v4, 31, v3
	;; [unrolled: 1-line block ×4, first 2 shown]
	s_delay_alu instid0(VALU_DEP_4) | instskip(NEXT) | instid1(VALU_DEP_4)
	v_lshlrev_b64 v[1:2], 1, v[1:2]
	v_lshlrev_b64 v[3:4], 1, v[3:4]
	s_delay_alu instid0(VALU_DEP_4) | instskip(NEXT) | instid1(VALU_DEP_4)
	v_lshlrev_b64 v[13:14], 1, v[13:14]
	v_lshlrev_b64 v[29:30], 1, v[29:30]
	s_delay_alu instid0(VALU_DEP_4)
	v_add_co_u32 v1, vcc_lo, s62, v1
	v_add_co_ci_u32_e32 v2, vcc_lo, s63, v2, vcc_lo
	v_add_co_u32 v3, vcc_lo, s62, v3
	v_add_co_ci_u32_e32 v4, vcc_lo, s63, v4, vcc_lo
	;; [unrolled: 2-line block ×4, first 2 shown]
	s_clause 0x3
	global_load_i16 v1, v[1:2], off
	global_load_i16 v2, v[3:4], off
	;; [unrolled: 1-line block ×4, first 2 shown]
	s_waitcnt vmcnt(3)
	v_add_nc_u32_e32 v1, 0x8000, v1
	s_waitcnt vmcnt(2)
	v_add_nc_u32_e32 v2, 0x8000, v2
	;; [unrolled: 2-line block ×4, first 2 shown]
	v_and_b32_e32 v13, s92, v1
	v_bfe_u32 v1, v1, s96, 2
	v_and_b32_e32 v14, s92, v2
	v_bfe_u32 v2, v2, s96, 2
	;; [unrolled: 2-line block ×3, first 2 shown]
	v_cmp_eq_u32_e64 s9, s91, v13
	v_cmp_eq_u32_e64 s13, 0, v1
	v_and_b32_e32 v30, s92, v4
	v_bfe_u32 v4, v4, s96, 2
	v_cmp_eq_u32_e64 s10, s91, v14
	v_cmp_eq_u32_e64 s14, 0, v2
	;; [unrolled: 1-line block ×4, first 2 shown]
	s_and_b32 s13, s9, s13
	v_cmp_eq_u32_e64 s12, s91, v30
	v_cmp_eq_u32_e64 s16, 0, v4
	v_cmp_eq_u32_e64 s17, 1, v1
	v_cmp_eq_u32_e64 s21, 2, v1
	v_cmp_eq_u32_e64 s25, 3, v1
	v_cndmask_b32_e64 v1, 0, 1, s13
	s_and_b32 s13, s10, s14
	v_cmp_eq_u32_e64 s18, 1, v2
	v_cmp_eq_u32_e64 s22, 2, v2
	v_cmp_eq_u32_e64 s26, 3, v2
	v_cndmask_b32_e64 v2, 0, 1, s13
	s_and_b32 s13, s11, s15
	v_cmp_eq_u32_e64 s19, 1, v3
	v_cmp_eq_u32_e64 s23, 2, v3
	v_cmp_eq_u32_e64 s27, 3, v3
	;; [unrolled: 5-line block ×3, first 2 shown]
	v_cndmask_b32_e64 v4, 0, 1, s13
	s_and_b32 s13, s9, s17
	s_delay_alu instid0(SALU_CYCLE_1) | instskip(SKIP_1) | instid1(SALU_CYCLE_1)
	v_cndmask_b32_e64 v13, 0, 1, s13
	s_and_b32 s13, s10, s18
	v_cndmask_b32_e64 v14, 0, 1, s13
	s_and_b32 s13, s11, s19
	s_delay_alu instid0(SALU_CYCLE_1) | instskip(SKIP_1) | instid1(VALU_DEP_2)
	v_cndmask_b32_e64 v29, 0, 1, s13
	s_and_b32 s13, s12, s20
	v_cmp_ne_u32_e64 s14, 0, v14
	v_cndmask_b32_e64 v30, 0, 1, s13
	s_and_b32 s13, s9, s21
	s_and_b32 s9, s9, s25
	v_cndmask_b32_e64 v31, 0, 1, s13
	v_cndmask_b32_e64 v35, 0, 1, s9
	s_and_b32 s9, s10, s26
	s_and_b32 s13, s10, s22
	v_cndmask_b32_e64 v36, 0, 1, s9
	s_and_b32 s9, s11, s27
	v_cndmask_b32_e64 v32, 0, 1, s13
	v_cndmask_b32_e64 v37, 0, 1, s9
	s_and_b32 s9, s12, s28
	s_and_b32 s13, s11, s23
	v_cndmask_b32_e64 v38, 0, 1, s9
	v_cmp_ne_u32_e64 s9, 0, v1
	v_cmp_ne_u32_e64 s10, 0, v2
	v_cndmask_b32_e64 v33, 0, 1, s13
	s_and_b32 s13, s12, s24
	v_cmp_ne_u32_e64 s11, 0, v3
	v_cndmask_b32_e64 v34, 0, 1, s13
	v_cmp_ne_u32_e64 s13, 0, v13
	v_cmp_ne_u32_e64 s17, 0, v31
	v_cmp_ne_u32_e64 s21, 0, v35
	s_bcnt1_i32_b32 s9, s9
	v_cmp_ne_u32_e64 s12, 0, v4
	v_cmp_ne_u32_e64 s18, 0, v32
	;; [unrolled: 1-line block ×3, first 2 shown]
	s_bcnt1_i32_b32 s10, s10
	s_add_i32 s9, s9, s101
	v_cmp_ne_u32_e64 s15, 0, v29
	v_cmp_ne_u32_e64 s19, 0, v33
	;; [unrolled: 1-line block ×3, first 2 shown]
	s_bcnt1_i32_b32 s11, s11
	s_add_i32 s9, s9, s10
	s_bcnt1_i32_b32 s13, s13
	s_bcnt1_i32_b32 s17, s17
	;; [unrolled: 1-line block ×3, first 2 shown]
	v_cmp_ne_u32_e64 s16, 0, v30
	v_cmp_ne_u32_e64 s20, 0, v34
	;; [unrolled: 1-line block ×3, first 2 shown]
	s_bcnt1_i32_b32 s12, s12
	s_add_i32 s9, s9, s11
	s_bcnt1_i32_b32 s14, s14
	s_bcnt1_i32_b32 s18, s18
	;; [unrolled: 1-line block ×3, first 2 shown]
	s_add_i32 s13, s13, s100
	s_add_i32 s17, s17, s99
	;; [unrolled: 1-line block ×4, first 2 shown]
	s_delay_alu instid0(SALU_CYCLE_1)
	v_dual_mov_b32 v1, s101 :: v_dual_add_nc_u32 v6, s66, v6
	s_bcnt1_i32_b32 s15, s15
	s_bcnt1_i32_b32 s19, s19
	;; [unrolled: 1-line block ×3, first 2 shown]
	s_add_i32 s10, s13, s14
	s_add_i32 s13, s17, s18
	;; [unrolled: 1-line block ×3, first 2 shown]
	s_bcnt1_i32_b32 s16, s16
	s_bcnt1_i32_b32 s20, s20
	;; [unrolled: 1-line block ×3, first 2 shown]
	s_add_i32 s10, s10, s15
	s_add_i32 s11, s13, s19
	;; [unrolled: 1-line block ×3, first 2 shown]
	v_cmp_le_i32_e32 vcc_lo, s77, v6
	s_add_i32 s100, s10, s16
	s_add_i32 s99, s11, s20
	;; [unrolled: 1-line block ×3, first 2 shown]
	v_dual_mov_b32 v2, s100 :: v_dual_mov_b32 v3, s99
	v_mov_b32_e32 v4, s98
	s_or_b32 s95, vcc_lo, s95
	s_delay_alu instid0(SALU_CYCLE_1)
	s_and_not1_b32 exec_lo, exec_lo, s95
	s_cbranch_execnz .LBB34_45
; %bb.46:                               ;   in Loop: Header=BB34_8 Depth=1
	s_or_b32 exec_lo, exec_lo, s95
	s_delay_alu instid0(SALU_CYCLE_1)
	s_or_b32 exec_lo, exec_lo, s94
	v_mov_b32_e32 v29, 0
	s_and_saveexec_b32 s9, s6
	s_cbranch_execz .LBB34_42
.LBB34_47:                              ;   in Loop: Header=BB34_8 Depth=1
	global_load_u16 v29, v[10:11], off
	s_or_b32 exec_lo, exec_lo, s9
	s_and_saveexec_b32 s13, s7
	s_cbranch_execz .LBB34_53
.LBB34_48:                              ;   in Loop: Header=BB34_8 Depth=1
	v_dual_mov_b32 v13, v25 :: v_dual_mov_b32 v6, v19
	s_and_b32 s15, s86, 0xfe
	s_mov_b32 s14, 0
	s_branch .LBB34_50
.LBB34_49:                              ;   in Loop: Header=BB34_50 Depth=2
	s_or_b32 exec_lo, exec_lo, s9
	s_waitcnt vmcnt(0)
	v_bfe_i32 v29, v29, 0, 16
	v_add_nc_u32_e32 v13, s67, v13
	s_delay_alu instid0(VALU_DEP_2) | instskip(NEXT) | instid1(VALU_DEP_1)
	v_add_nc_u32_e32 v29, 0x8000, v29
	v_and_b32_e32 v30, s92, v29
	v_bfe_u32 v29, v29, s15, 2
	s_delay_alu instid0(VALU_DEP_2) | instskip(NEXT) | instid1(VALU_DEP_2)
	v_cmp_eq_u32_e32 vcc_lo, s91, v30
	v_cmp_eq_u32_e64 s9, 0, v29
	v_cmp_eq_u32_e64 s10, 1, v29
	;; [unrolled: 1-line block ×4, first 2 shown]
	s_delay_alu instid0(VALU_DEP_4) | instskip(NEXT) | instid1(SALU_CYCLE_1)
	s_and_b32 s9, vcc_lo, s9
	v_cndmask_b32_e64 v29, 0, 1, s9
	s_and_b32 s9, vcc_lo, s10
	s_delay_alu instid0(SALU_CYCLE_1) | instskip(SKIP_1) | instid1(SALU_CYCLE_1)
	v_cndmask_b32_e64 v30, 0, 1, s9
	s_and_b32 s9, vcc_lo, s11
	v_cndmask_b32_e64 v31, 0, 1, s9
	s_and_b32 s9, vcc_lo, s12
	v_cmp_ne_u32_e32 vcc_lo, 0, v29
	v_mov_b32_e32 v29, v14
	v_cndmask_b32_e64 v32, 0, 1, s9
	v_cmp_ne_u32_e64 s9, 0, v30
	v_cmp_ne_u32_e64 s10, 0, v31
	v_cmp_le_i32_e64 s12, s44, v6
	s_bcnt1_i32_b32 s16, vcc_lo
	v_cmp_ne_u32_e64 s11, 0, v32
	s_bcnt1_i32_b32 s9, s9
	s_bcnt1_i32_b32 s10, s10
	v_add_nc_u32_e32 v1, s16, v1
	v_add_nc_u32_e32 v2, s9, v2
	s_bcnt1_i32_b32 s11, s11
	v_add_nc_u32_e32 v3, s10, v3
	v_add_nc_u32_e32 v4, s11, v4
	s_or_b32 s14, s12, s14
	s_delay_alu instid0(SALU_CYCLE_1)
	s_and_not1_b32 exec_lo, exec_lo, s14
	s_cbranch_execz .LBB34_52
.LBB34_50:                              ;   Parent Loop BB34_8 Depth=1
                                        ; =>  This Inner Loop Header: Depth=2
	s_delay_alu instid0(VALU_DEP_1) | instskip(SKIP_2) | instid1(VALU_DEP_2)
	v_add_nc_u32_e32 v6, s64, v6
	v_mov_b32_e32 v14, 0
	s_mov_b32 s9, exec_lo
	v_cmpx_gt_u32_e64 s44, v6
	s_cbranch_execz .LBB34_49
; %bb.51:                               ;   in Loop: Header=BB34_50 Depth=2
	v_ashrrev_i32_e32 v14, 31, v13
	s_delay_alu instid0(VALU_DEP_1) | instskip(NEXT) | instid1(VALU_DEP_1)
	v_lshlrev_b64 v[30:31], 1, v[13:14]
	v_add_co_u32 v30, vcc_lo, s62, v30
	s_delay_alu instid0(VALU_DEP_2)
	v_add_co_ci_u32_e32 v31, vcc_lo, s63, v31, vcc_lo
	global_load_u16 v14, v[30:31], off
	s_branch .LBB34_49
.LBB34_52:                              ;   in Loop: Header=BB34_8 Depth=1
	s_or_b32 exec_lo, exec_lo, s14
.LBB34_53:                              ;   in Loop: Header=BB34_8 Depth=1
	s_delay_alu instid0(SALU_CYCLE_1)
	s_or_b32 exec_lo, exec_lo, s13
	s_branch .LBB34_63
.LBB34_54:                              ;   in Loop: Header=BB34_8 Depth=1
	s_mul_hi_u32 s9, s93, s76
	v_dual_mov_b32 v1, 0 :: v_dual_mov_b32 v2, 0
	s_mul_i32 s9, s9, s66
	v_dual_mov_b32 v3, 0 :: v_dual_mov_b32 v4, 0
	s_sub_i32 s9, s93, s9
	s_mov_b32 s96, 0
	s_sub_i32 s10, s9, s66
	s_cmp_ge_u32 s9, s66
	s_mov_b32 s95, exec_lo
	s_cselect_b32 s9, s10, s9
	s_delay_alu instid0(SALU_CYCLE_1) | instskip(SKIP_2) | instid1(SALU_CYCLE_1)
	s_sub_i32 s10, s9, s66
	s_cmp_ge_u32 s9, s66
	s_cselect_b32 s9, s10, s9
	s_sub_i32 s94, s93, s9
	s_delay_alu instid0(SALU_CYCLE_1)
	v_cmpx_gt_u32_e64 s94, v16
	s_cbranch_execz .LBB34_58
; %bb.55:                               ;   in Loop: Header=BB34_8 Depth=1
	v_dual_mov_b32 v6, v26 :: v_dual_mov_b32 v13, v16
	s_and_b32 s97, s86, 0xfe
	s_mov_b32 s98, 0
	s_mov_b32 s99, 0
	;; [unrolled: 1-line block ×4, first 2 shown]
.LBB34_56:                              ;   Parent Loop BB34_8 Depth=1
                                        ; =>  This Inner Loop Header: Depth=2
	ds_load_b64 v[1:2], v6
	s_waitcnt lgkmcnt(0)
	v_bfe_i32 v3, v1, 0, 16
	v_ashrrev_i32_e32 v1, 16, v1
	v_bfe_i32 v4, v2, 0, 16
	v_ashrrev_i32_e32 v2, 16, v2
	s_delay_alu instid0(VALU_DEP_4) | instskip(NEXT) | instid1(VALU_DEP_4)
	v_add_nc_u32_e32 v3, 0x8000, v3
	v_add_nc_u32_e32 v1, 0x8000, v1
	s_delay_alu instid0(VALU_DEP_4) | instskip(NEXT) | instid1(VALU_DEP_4)
	v_add_nc_u32_e32 v4, 0x8000, v4
	v_add_nc_u32_e32 v2, 0x8000, v2
	s_delay_alu instid0(VALU_DEP_4)
	v_and_b32_e32 v14, s92, v3
	v_bfe_u32 v3, v3, s97, 2
	s_waitcnt vmcnt(0)
	v_and_b32_e32 v29, s92, v1
	v_bfe_u32 v1, v1, s97, 2
	v_and_b32_e32 v30, s92, v4
	v_bfe_u32 v4, v4, s97, 2
	v_cmp_eq_u32_e64 s9, s91, v14
	v_cmp_eq_u32_e64 s13, 0, v3
	v_and_b32_e32 v31, s92, v2
	v_bfe_u32 v2, v2, s97, 2
	v_cmp_eq_u32_e64 s10, s91, v29
	v_cmp_eq_u32_e64 s14, 0, v1
	;; [unrolled: 1-line block ×4, first 2 shown]
	s_and_b32 s13, s9, s13
	v_cmp_eq_u32_e64 s12, s91, v31
	v_cmp_eq_u32_e64 s16, 0, v2
	;; [unrolled: 1-line block ×5, first 2 shown]
	v_cndmask_b32_e64 v1, 0, 1, s13
	s_and_b32 s13, s10, s14
	v_cmp_eq_u32_e64 s17, 1, v3
	v_cmp_eq_u32_e64 s20, 1, v2
	;; [unrolled: 1-line block ×4, first 2 shown]
	v_cndmask_b32_e64 v2, 0, 1, s13
	s_and_b32 s13, s11, s15
	v_cmp_eq_u32_e64 s21, 2, v3
	v_cmp_eq_u32_e64 s25, 3, v3
	v_cndmask_b32_e64 v3, 0, 1, s13
	s_and_b32 s13, s12, s16
	v_cmp_eq_u32_e64 s19, 1, v4
	v_cmp_eq_u32_e64 s23, 2, v4
	;; [unrolled: 1-line block ×3, first 2 shown]
	v_cndmask_b32_e64 v4, 0, 1, s13
	s_and_b32 s13, s9, s17
	s_delay_alu instid0(SALU_CYCLE_1) | instskip(SKIP_1) | instid1(SALU_CYCLE_1)
	v_cndmask_b32_e64 v14, 0, 1, s13
	s_and_b32 s13, s10, s18
	v_cndmask_b32_e64 v29, 0, 1, s13
	s_and_b32 s13, s11, s19
	s_delay_alu instid0(SALU_CYCLE_1) | instskip(SKIP_1) | instid1(VALU_DEP_2)
	v_cndmask_b32_e64 v30, 0, 1, s13
	s_and_b32 s13, s12, s20
	v_cmp_ne_u32_e64 s14, 0, v29
	v_cndmask_b32_e64 v31, 0, 1, s13
	s_and_b32 s13, s9, s21
	s_and_b32 s9, s9, s25
	v_cndmask_b32_e64 v32, 0, 1, s13
	s_and_b32 s13, s10, s22
	v_cndmask_b32_e64 v36, 0, 1, s9
	;; [unrolled: 2-line block ×7, first 2 shown]
	v_cndmask_b32_e64 v39, 0, 1, s9
	v_cmp_ne_u32_e64 s9, 0, v1
	v_cmp_ne_u32_e64 s13, 0, v14
	v_cmp_ne_u32_e64 s10, 0, v2
	v_cmp_ne_u32_e64 s15, 0, v30
	v_cmp_ne_u32_e64 s17, 0, v32
	v_cmp_ne_u32_e64 s21, 0, v36
	s_bcnt1_i32_b32 s9, s9
	s_bcnt1_i32_b32 s13, s13
	v_cmp_ne_u32_e64 s16, 0, v31
	v_cmp_ne_u32_e64 s18, 0, v33
	v_cmp_ne_u32_e64 s22, 0, v37
	s_bcnt1_i32_b32 s10, s10
	s_bcnt1_i32_b32 s14, s14
	s_add_i32 s9, s9, s101
	s_add_i32 s13, s13, s100
	v_cmp_ne_u32_e64 s11, 0, v3
	v_cmp_ne_u32_e64 s19, 0, v34
	;; [unrolled: 1-line block ×3, first 2 shown]
	s_bcnt1_i32_b32 s15, s15
	s_add_i32 s9, s9, s10
	s_add_i32 s10, s13, s14
	s_bcnt1_i32_b32 s17, s17
	s_bcnt1_i32_b32 s21, s21
	v_cmp_ne_u32_e64 s12, 0, v4
	v_cmp_ne_u32_e64 s20, 0, v35
	;; [unrolled: 1-line block ×3, first 2 shown]
	s_bcnt1_i32_b32 s16, s16
	s_add_i32 s10, s10, s15
	s_bcnt1_i32_b32 s18, s18
	s_bcnt1_i32_b32 s22, s22
	s_add_i32 s17, s17, s99
	s_add_i32 s21, s21, s98
	;; [unrolled: 1-line block ×3, first 2 shown]
	s_delay_alu instid0(SALU_CYCLE_1)
	v_dual_mov_b32 v2, s100 :: v_dual_add_nc_u32 v13, s66, v13
	s_bcnt1_i32_b32 s11, s11
	s_bcnt1_i32_b32 s19, s19
	;; [unrolled: 1-line block ×3, first 2 shown]
	s_add_i32 s13, s17, s18
	s_add_i32 s14, s21, s22
	s_bcnt1_i32_b32 s12, s12
	s_bcnt1_i32_b32 s20, s20
	;; [unrolled: 1-line block ×3, first 2 shown]
	s_add_i32 s9, s9, s11
	s_add_i32 s11, s13, s19
	;; [unrolled: 1-line block ×3, first 2 shown]
	v_cmp_le_i32_e32 vcc_lo, s94, v13
	s_add_i32 s101, s9, s12
	s_add_i32 s99, s11, s20
	s_add_i32 s98, s13, s24
	v_dual_mov_b32 v1, s101 :: v_dual_add_nc_u32 v6, s81, v6
	v_dual_mov_b32 v3, s99 :: v_dual_mov_b32 v4, s98
	s_or_b32 s96, vcc_lo, s96
	s_delay_alu instid0(SALU_CYCLE_1)
	s_and_not1_b32 exec_lo, exec_lo, s96
	s_cbranch_execnz .LBB34_56
; %bb.57:                               ;   in Loop: Header=BB34_8 Depth=1
	s_or_b32 exec_lo, exec_lo, s96
.LBB34_58:                              ;   in Loop: Header=BB34_8 Depth=1
	s_delay_alu instid0(SALU_CYCLE_1) | instskip(SKIP_2) | instid1(VALU_DEP_1)
	s_or_b32 exec_lo, exec_lo, s95
	v_add_nc_u32_e32 v6, s94, v0
	s_mov_b32 s14, exec_lo
	v_cmpx_gt_i32_e64 s93, v6
	s_cbranch_execz .LBB34_62
; %bb.59:                               ;   in Loop: Header=BB34_8 Depth=1
	v_lshlrev_b32_e32 v13, 1, v6
	s_and_b32 s16, s86, 0xfe
	s_mov_b32 s15, 0
.LBB34_60:                              ;   Parent Loop BB34_8 Depth=1
                                        ; =>  This Inner Loop Header: Depth=2
	ds_load_i16 v14, v13
	v_add_nc_u32_e32 v6, s64, v6
	v_add_nc_u32_e32 v13, s82, v13
	s_delay_alu instid0(VALU_DEP_2) | instskip(SKIP_3) | instid1(VALU_DEP_1)
	v_cmp_le_i32_e32 vcc_lo, s93, v6
	s_waitcnt lgkmcnt(0)
	v_add_nc_u32_e32 v14, 0x8000, v14
	s_waitcnt vmcnt(0)
	v_and_b32_e32 v29, s92, v14
	v_bfe_u32 v14, v14, s16, 2
	s_delay_alu instid0(VALU_DEP_2) | instskip(NEXT) | instid1(VALU_DEP_2)
	v_cmp_eq_u32_e64 s9, s91, v29
	v_cmp_eq_u32_e64 s10, 0, v14
	;; [unrolled: 1-line block ×5, first 2 shown]
	s_delay_alu instid0(VALU_DEP_4) | instskip(NEXT) | instid1(SALU_CYCLE_1)
	s_and_b32 s10, s9, s10
	v_cndmask_b32_e64 v14, 0, 1, s10
	s_and_b32 s10, s9, s11
	s_delay_alu instid0(SALU_CYCLE_1)
	v_cndmask_b32_e64 v29, 0, 1, s10
	s_and_b32 s10, s9, s12
	s_and_b32 s9, s9, s13
	v_cndmask_b32_e64 v30, 0, 1, s10
	v_cndmask_b32_e64 v31, 0, 1, s9
	v_cmp_ne_u32_e64 s9, 0, v14
	v_cmp_ne_u32_e64 s10, 0, v29
	s_delay_alu instid0(VALU_DEP_4) | instskip(NEXT) | instid1(VALU_DEP_4)
	v_cmp_ne_u32_e64 s11, 0, v30
	v_cmp_ne_u32_e64 s12, 0, v31
	s_delay_alu instid0(VALU_DEP_4) | instskip(NEXT) | instid1(VALU_DEP_3)
	s_bcnt1_i32_b32 s9, s9
	s_bcnt1_i32_b32 s10, s10
	v_add_nc_u32_e32 v1, s9, v1
	s_bcnt1_i32_b32 s11, s11
	s_bcnt1_i32_b32 s12, s12
	v_add_nc_u32_e32 v2, s10, v2
	v_add_nc_u32_e32 v3, s11, v3
	;; [unrolled: 1-line block ×3, first 2 shown]
	s_or_b32 s15, vcc_lo, s15
	s_delay_alu instid0(SALU_CYCLE_1)
	s_and_not1_b32 exec_lo, exec_lo, s15
	s_cbranch_execnz .LBB34_60
; %bb.61:                               ;   in Loop: Header=BB34_8 Depth=1
	s_or_b32 exec_lo, exec_lo, s15
.LBB34_62:                              ;   in Loop: Header=BB34_8 Depth=1
	s_delay_alu instid0(SALU_CYCLE_1)
	s_or_b32 exec_lo, exec_lo, s14
.LBB34_63:                              ;   in Loop: Header=BB34_8 Depth=1
	s_lshl_b32 s9, s89, 7
	s_and_saveexec_b32 s10, s1
	s_cbranch_execz .LBB34_65
; %bb.64:                               ;   in Loop: Header=BB34_8 Depth=1
	v_or_b32_e32 v6, s9, v20
	s_delay_alu instid0(VALU_DEP_1)
	v_lshlrev_b32_e32 v6, 2, v6
	ds_store_b128 v6, v[1:4] offset:3072
.LBB34_65:                              ;   in Loop: Header=BB34_8 Depth=1
	s_or_b32 exec_lo, exec_lo, s10
	s_waitcnt vmcnt(0) lgkmcnt(0)
	s_barrier
	buffer_gl0_inv
	s_and_saveexec_b32 s10, s69
	s_cbranch_execz .LBB34_75
; %bb.66:                               ;   in Loop: Header=BB34_8 Depth=1
	v_mov_b32_e32 v1, 0
	s_and_not1_b32 vcc_lo, exec_lo, s71
	s_cbranch_vccnz .LBB34_74
; %bb.67:                               ;   in Loop: Header=BB34_8 Depth=1
	v_mov_b32_e32 v1, 0
	s_and_not1_b32 vcc_lo, exec_lo, s73
	s_mov_b32 s11, 0
	s_cbranch_vccnz .LBB34_71
; %bb.68:                               ;   in Loop: Header=BB34_8 Depth=1
	v_lshl_add_u32 v2, s89, 9, v27
	v_mov_b32_e32 v1, 0
	.p2align	6
.LBB34_69:                              ;   Parent Loop BB34_8 Depth=1
                                        ; =>  This Inner Loop Header: Depth=2
	ds_load_2addr_b32 v[3:4], v2 offset1:4
	ds_load_2addr_b32 v[13:14], v2 offset0:8 offset1:12
	ds_load_2addr_b32 v[29:30], v2 offset0:16 offset1:20
	;; [unrolled: 1-line block ×3, first 2 shown]
	v_add_nc_u32_e32 v2, 0x80, v2
	s_add_i32 s11, s11, 8
	s_delay_alu instid0(SALU_CYCLE_1) | instskip(SKIP_3) | instid1(VALU_DEP_1)
	s_cmp_eq_u32 s74, s11
	s_waitcnt lgkmcnt(3)
	v_add3_u32 v1, v3, v1, v4
	s_waitcnt lgkmcnt(2)
	v_add3_u32 v1, v13, v1, v14
	s_waitcnt lgkmcnt(1)
	s_delay_alu instid0(VALU_DEP_1) | instskip(SKIP_1) | instid1(VALU_DEP_1)
	v_add3_u32 v1, v29, v1, v30
	s_waitcnt lgkmcnt(0)
	v_add3_u32 v1, v31, v1, v32
	s_cbranch_scc0 .LBB34_69
; %bb.70:                               ;   in Loop: Header=BB34_8 Depth=1
	s_mov_b32 s11, s74
.LBB34_71:                              ;   in Loop: Header=BB34_8 Depth=1
	s_and_not1_b32 vcc_lo, exec_lo, s75
	s_cbranch_vccnz .LBB34_74
; %bb.72:                               ;   in Loop: Header=BB34_8 Depth=1
	s_lshl_b32 s12, s89, 9
	s_lshl_b32 s11, s11, 4
	s_delay_alu instid0(SALU_CYCLE_1)
	v_add3_u32 v2, s12, s11, v27
	s_mov_b32 s11, s72
.LBB34_73:                              ;   Parent Loop BB34_8 Depth=1
                                        ; =>  This Inner Loop Header: Depth=2
	ds_load_b32 v3, v2
	v_add_nc_u32_e32 v2, 16, v2
	s_add_i32 s11, s11, -1
	s_delay_alu instid0(SALU_CYCLE_1)
	s_cmp_lg_u32 s11, 0
	s_waitcnt lgkmcnt(0)
	v_add_nc_u32_e32 v1, v3, v1
	s_cbranch_scc1 .LBB34_73
.LBB34_74:                              ;   in Loop: Header=BB34_8 Depth=1
	v_add_lshl_u32 v2, s9, v15, 2
	ds_store_b32 v2, v1 offset:3072
.LBB34_75:                              ;   in Loop: Header=BB34_8 Depth=1
	s_or_b32 exec_lo, exec_lo, s10
	s_lshl_b32 s9, s9, 2
	s_waitcnt lgkmcnt(0)
	v_mov_b32_e32 v1, s9
	s_barrier
	buffer_gl0_inv
	s_and_b32 s18, s86, 0xfe
	s_mov_b32 s14, -1
	ds_load_b128 v[1:4], v1 offset:3072
	s_lshl_b32 s11, 3, s18
	s_delay_alu instid0(SALU_CYCLE_1) | instskip(SKIP_4) | instid1(VALU_DEP_3)
	s_not_b32 s19, s11
	s_waitcnt lgkmcnt(0)
	v_readfirstlane_b32 s13, v1
	v_readfirstlane_b32 s21, v2
	;; [unrolled: 1-line block ×3, first 2 shown]
	s_cmp_eq_u32 s13, 1
	s_cselect_b32 s9, -1, 0
	s_cmp_eq_u32 s45, 1
	s_cselect_b32 s10, -1, 0
	s_delay_alu instid0(SALU_CYCLE_1)
	s_and_b32 s15, s9, s10
	v_readfirstlane_b32 s10, v4
	s_and_b32 vcc_lo, exec_lo, s15
	s_cbranch_vccz .LBB34_87
; %bb.76:                               ;   in Loop: Header=BB34_8 Depth=1
	ds_load_b32 v1, v7 offset:4096
	s_waitcnt lgkmcnt(0)
	s_barrier
	buffer_gl0_inv
	v_readfirstlane_b32 s12, v1
	s_and_saveexec_b32 s9, s2
	s_cbranch_execz .LBB34_78
; %bb.77:                               ;   in Loop: Header=BB34_8 Depth=1
	ds_store_b16 v18, v7
.LBB34_78:                              ;   in Loop: Header=BB34_8 Depth=1
	s_or_b32 exec_lo, exec_lo, s9
	s_and_b32 s91, s91, s19
	s_or_b32 s92, s92, s11
	s_cmp_lt_i32 s12, 1
	s_waitcnt lgkmcnt(0)
	s_barrier
	buffer_gl0_inv
	s_cbranch_scc0 .LBB34_88
; %bb.79:                               ;   in Loop: Header=BB34_8 Depth=1
	s_mov_b32 s9, 0
                                        ; implicit-def: $vgpr28
	s_and_saveexec_b32 s17, s8
	s_cbranch_execz .LBB34_90
; %bb.80:                               ;   in Loop: Header=BB34_8 Depth=1
	v_mov_b32_e32 v1, v5
	v_mov_b32_e32 v3, v0
	s_mov_b32 s20, 0
                                        ; implicit-def: $sgpr22
	s_set_inst_prefetch_distance 0x1
	s_branch .LBB34_82
	.p2align	6
.LBB34_81:                              ;   in Loop: Header=BB34_82 Depth=2
	s_or_b32 exec_lo, exec_lo, s9
	s_waitcnt vmcnt(0) lgkmcnt(0)
	s_barrier
	buffer_gl0_inv
	ds_load_b32 v2, v7 offset:3072
	v_add_nc_u32_e32 v3, s64, v3
	v_add_nc_u32_e32 v1, s67, v1
	s_waitcnt lgkmcnt(0)
	s_barrier
	buffer_gl0_inv
	v_cmp_le_i32_e32 vcc_lo, s79, v3
	v_cmp_ne_u16_e64 s9, 0, v2
	s_delay_alu instid0(VALU_DEP_1) | instskip(NEXT) | instid1(SALU_CYCLE_1)
	s_or_b32 s23, vcc_lo, s9
	s_and_b32 s23, exec_lo, s23
	s_delay_alu instid0(SALU_CYCLE_1) | instskip(SKIP_2) | instid1(SALU_CYCLE_1)
	s_or_b32 s20, s23, s20
	s_and_not1_b32 s22, s22, exec_lo
	s_and_b32 s9, s9, exec_lo
	s_or_b32 s22, s22, s9
	s_and_not1_b32 exec_lo, exec_lo, s20
	s_cbranch_execz .LBB34_89
.LBB34_82:                              ;   Parent Loop BB34_8 Depth=1
                                        ; =>  This Inner Loop Header: Depth=2
	s_delay_alu instid0(VALU_DEP_1)
	v_cmp_gt_i32_e32 vcc_lo, s44, v3
	v_mov_b32_e32 v2, 0
	s_and_saveexec_b32 s23, vcc_lo
	s_cbranch_execz .LBB34_84
; %bb.83:                               ;   in Loop: Header=BB34_82 Depth=2
	v_ashrrev_i32_e32 v2, 31, v1
	s_delay_alu instid0(VALU_DEP_1) | instskip(NEXT) | instid1(VALU_DEP_1)
	v_lshlrev_b64 v[13:14], 1, v[1:2]
	v_add_co_u32 v13, s9, s62, v13
	s_delay_alu instid0(VALU_DEP_1)
	v_add_co_ci_u32_e64 v14, s9, s63, v14, s9
	global_load_u16 v2, v[13:14], off
.LBB34_84:                              ;   in Loop: Header=BB34_82 Depth=2
	s_or_b32 exec_lo, exec_lo, s23
	s_and_saveexec_b32 s9, vcc_lo
	s_cbranch_execz .LBB34_81
; %bb.85:                               ;   in Loop: Header=BB34_82 Depth=2
	s_waitcnt vmcnt(0)
	v_bfe_i32 v4, v2, 0, 16
	s_delay_alu instid0(VALU_DEP_1) | instskip(NEXT) | instid1(VALU_DEP_1)
	v_add_nc_u32_e32 v4, 0x8000, v4
	v_and_b32_e32 v4, s92, v4
	s_delay_alu instid0(VALU_DEP_1)
	v_cmp_eq_u32_e32 vcc_lo, s91, v4
	s_and_b32 exec_lo, exec_lo, vcc_lo
	s_cbranch_execz .LBB34_81
; %bb.86:                               ;   in Loop: Header=BB34_82 Depth=2
	v_perm_b32 v2, v2, 1, 0x5040100
	ds_store_b32 v7, v2 offset:3072
	s_branch .LBB34_81
.LBB34_87:                              ;   in Loop: Header=BB34_8 Depth=1
	s_mov_b32 s9, -1
                                        ; implicit-def: $sgpr17
                                        ; implicit-def: $sgpr22
                                        ; implicit-def: $sgpr20
	s_branch .LBB34_101
.LBB34_88:                              ;   in Loop: Header=BB34_8 Depth=1
	s_mov_b32 s17, -1
	s_mov_b32 s9, 0
                                        ; implicit-def: $sgpr20
                                        ; implicit-def: $vgpr28
	s_mov_b32 s22, s17
	s_cbranch_execnz .LBB34_91
	s_branch .LBB34_101
.LBB34_89:                              ;   in Loop: Header=BB34_8 Depth=1
	s_set_inst_prefetch_distance 0x2
	s_or_b32 exec_lo, exec_lo, s20
	v_lshrrev_b32_e32 v28, 16, v2
	s_and_b32 s9, s22, exec_lo
.LBB34_90:                              ;   in Loop: Header=BB34_8 Depth=1
	s_or_b32 exec_lo, exec_lo, s17
	s_mov_b32 s20, -1
	s_mov_b32 s17, 0
	s_delay_alu instid0(SALU_CYCLE_1)
	s_mov_b32 s22, s17
	s_branch .LBB34_101
.LBB34_91:                              ;   in Loop: Header=BB34_8 Depth=1
	s_add_i32 s20, s12, s68
                                        ; implicit-def: $vgpr28
	s_delay_alu instid0(SALU_CYCLE_1) | instskip(NEXT) | instid1(SALU_CYCLE_1)
	s_abs_i32 s9, s20
	s_mul_hi_u32 s17, s9, s78
	s_delay_alu instid0(SALU_CYCLE_1) | instskip(NEXT) | instid1(SALU_CYCLE_1)
	s_mul_i32 s17, s17, s64
	s_sub_i32 s9, s9, s17
	s_ashr_i32 s17, s20, 31
	s_sub_i32 s22, s9, s64
	s_cmp_ge_u32 s9, s64
	s_cselect_b32 s9, s22, s9
	s_delay_alu instid0(SALU_CYCLE_1) | instskip(SKIP_2) | instid1(SALU_CYCLE_1)
	s_sub_i32 s22, s9, s64
	s_cmp_ge_u32 s9, s64
	s_cselect_b32 s9, s22, s9
	s_xor_b32 s9, s9, s17
	s_delay_alu instid0(SALU_CYCLE_1)
	s_sub_i32 s9, s17, s9
	s_mov_b32 s17, exec_lo
	s_add_i32 s20, s20, s9
	s_mov_b32 s9, 0
	v_cmpx_gt_i32_e64 s20, v0
	s_cbranch_execz .LBB34_100
; %bb.92:                               ;   in Loop: Header=BB34_8 Depth=1
	v_dual_mov_b32 v1, v17 :: v_dual_mov_b32 v2, v0
	s_mov_b32 s22, 0
                                        ; implicit-def: $sgpr23
	s_set_inst_prefetch_distance 0x1
	s_branch .LBB34_94
	.p2align	6
.LBB34_93:                              ;   in Loop: Header=BB34_94 Depth=2
	s_or_b32 exec_lo, exec_lo, s9
	s_waitcnt lgkmcnt(0)
	s_barrier
	buffer_gl0_inv
	ds_load_b32 v3, v7 offset:3072
	v_add_nc_u32_e32 v2, s64, v2
	v_add_nc_u32_e32 v1, s82, v1
	s_waitcnt lgkmcnt(0)
	s_barrier
	buffer_gl0_inv
	v_cmp_le_i32_e32 vcc_lo, s20, v2
	v_cmp_ne_u16_e64 s9, 0, v3
	s_delay_alu instid0(VALU_DEP_1) | instskip(NEXT) | instid1(SALU_CYCLE_1)
	s_or_b32 s24, vcc_lo, s9
	s_and_b32 s24, exec_lo, s24
	s_delay_alu instid0(SALU_CYCLE_1) | instskip(SKIP_2) | instid1(SALU_CYCLE_1)
	s_or_b32 s22, s24, s22
	s_and_not1_b32 s23, s23, exec_lo
	s_and_b32 s9, s9, exec_lo
	s_or_b32 s23, s23, s9
	s_and_not1_b32 exec_lo, exec_lo, s22
	s_cbranch_execz .LBB34_99
.LBB34_94:                              ;   Parent Loop BB34_8 Depth=1
                                        ; =>  This Inner Loop Header: Depth=2
	s_delay_alu instid0(VALU_DEP_1)
	v_cmp_gt_i32_e32 vcc_lo, s12, v2
	v_mov_b32_e32 v3, 0
	s_and_saveexec_b32 s9, vcc_lo
	s_cbranch_execz .LBB34_96
; %bb.95:                               ;   in Loop: Header=BB34_94 Depth=2
	ds_load_u16 v3, v1
.LBB34_96:                              ;   in Loop: Header=BB34_94 Depth=2
	s_or_b32 exec_lo, exec_lo, s9
	s_and_saveexec_b32 s9, vcc_lo
	s_cbranch_execz .LBB34_93
; %bb.97:                               ;   in Loop: Header=BB34_94 Depth=2
	s_waitcnt lgkmcnt(0)
	v_bfe_i32 v4, v3, 0, 16
	s_delay_alu instid0(VALU_DEP_1) | instskip(NEXT) | instid1(VALU_DEP_1)
	v_add_nc_u32_e32 v4, 0x8000, v4
	v_and_b32_e32 v4, s92, v4
	s_delay_alu instid0(VALU_DEP_1)
	v_cmp_eq_u32_e32 vcc_lo, s91, v4
	s_and_b32 exec_lo, exec_lo, vcc_lo
	s_cbranch_execz .LBB34_93
; %bb.98:                               ;   in Loop: Header=BB34_94 Depth=2
	v_perm_b32 v3, v3, 1, 0x5040100
	ds_store_b32 v7, v3 offset:3072
	s_branch .LBB34_93
.LBB34_99:                              ;   in Loop: Header=BB34_8 Depth=1
	s_set_inst_prefetch_distance 0x2
	s_or_b32 exec_lo, exec_lo, s22
	v_lshrrev_b32_e32 v28, 16, v3
	s_and_b32 s9, s23, exec_lo
.LBB34_100:                             ;   in Loop: Header=BB34_8 Depth=1
	s_or_b32 exec_lo, exec_lo, s17
	s_mov_b32 s22, -1
	s_mov_b32 s17, 0
	s_mov_b32 s20, 0
.LBB34_101:                             ;   in Loop: Header=BB34_8 Depth=1
	s_and_not1_b32 s12, s87, exec_lo
	s_and_b32 s17, s17, exec_lo
	s_and_b32 s20, s20, exec_lo
	s_or_b32 s87, s12, s17
	s_and_not1_b32 s12, s90, exec_lo
	s_and_b32 s17, s22, exec_lo
	s_and_not1_b32 s22, s88, exec_lo
	s_or_b32 s90, s12, s17
	s_or_b32 s88, s22, s20
	s_and_saveexec_b32 s12, s9
	s_cbranch_execz .LBB34_7
; %bb.102:                              ;   in Loop: Header=BB34_8 Depth=1
	s_xor_b32 s9, s15, -1
	s_mov_b32 s14, 0
	s_and_not1_b32 vcc_lo, exec_lo, s9
	s_mov_b32 s22, 1
	s_cbranch_vccnz .LBB34_113
; %bb.103:                              ;   in Loop: Header=BB34_8 Depth=1
	s_cmp_gt_i32 s45, s13
	s_mov_b32 s14, -1
                                        ; implicit-def: $sgpr9
                                        ; implicit-def: $sgpr15
                                        ; implicit-def: $sgpr17
	s_cbranch_scc1 .LBB34_109
; %bb.104:                              ;   in Loop: Header=BB34_8 Depth=1
	ds_load_b32 v1, v7 offset:4096
	s_waitcnt lgkmcnt(0)
	v_cmp_ne_u32_e32 vcc_lo, 0, v1
	s_cbranch_vccnz .LBB34_108
; %bb.105:                              ;   in Loop: Header=BB34_8 Depth=1
	s_and_saveexec_b32 s9, s0
	s_cbranch_execz .LBB34_107
; %bb.106:                              ;   in Loop: Header=BB34_8 Depth=1
	v_mov_b32_e32 v1, s13
	ds_store_b32 v7, v1 offset:4100
.LBB34_107:                             ;   in Loop: Header=BB34_8 Depth=1
	s_or_b32 exec_lo, exec_lo, s9
	s_waitcnt lgkmcnt(0)
	s_barrier
	buffer_gl0_inv
.LBB34_108:                             ;   in Loop: Header=BB34_8 Depth=1
	s_and_b32 s15, s91, s19
	s_or_b32 s17, s92, s11
	s_mov_b32 s14, 0
	s_mov_b32 s9, 8
.LBB34_109:                             ;   in Loop: Header=BB34_8 Depth=1
	s_and_not1_b32 vcc_lo, exec_lo, s14
	s_cbranch_vccnz .LBB34_111
; %bb.110:                              ;   in Loop: Header=BB34_8 Depth=1
	s_sub_i32 s45, s45, s13
	s_mov_b32 s14, -1
	s_mov_b32 s9, 0
	s_mov_b32 s15, s91
	s_mov_b32 s17, s92
.LBB34_111:                             ;   in Loop: Header=BB34_8 Depth=1
	s_delay_alu instid0(SALU_CYCLE_1)
	s_mov_b32 s92, s17
	s_mov_b32 s91, s15
	;; [unrolled: 1-line block ×3, first 2 shown]
	s_and_b32 vcc_lo, exec_lo, s14
	s_mov_b32 s13, -1
	s_cbranch_vccnz .LBB34_114
.LBB34_112:                             ;   in Loop: Header=BB34_8 Depth=1
	s_mov_b32 s25, -1
                                        ; implicit-def: $sgpr14
                                        ; implicit-def: $sgpr17
                                        ; implicit-def: $sgpr15
	s_delay_alu instid0(SALU_CYCLE_1) | instskip(NEXT) | instid1(SALU_CYCLE_1)
	s_and_saveexec_b32 s10, s25
	s_xor_b32 s10, exec_lo, s10
	s_cbranch_execz .LBB34_6
	s_branch .LBB34_237
.LBB34_113:                             ;   in Loop: Header=BB34_8 Depth=1
	s_mov_b32 s9, 1
	s_and_b32 vcc_lo, exec_lo, s14
	s_mov_b32 s13, -1
	s_cbranch_vccz .LBB34_112
.LBB34_114:                             ;   in Loop: Header=BB34_8 Depth=1
	s_cmp_eq_u32 s21, 1
	s_mov_b32 s24, -1
	s_cselect_b32 s9, -1, 0
	s_cmp_eq_u32 s22, 1
	s_cselect_b32 s14, -1, 0
	s_delay_alu instid0(SALU_CYCLE_1) | instskip(NEXT) | instid1(SALU_CYCLE_1)
	s_and_b32 s23, s9, s14
	s_and_b32 vcc_lo, exec_lo, s23
	s_cbranch_vccz .LBB34_126
; %bb.115:                              ;   in Loop: Header=BB34_8 Depth=1
	ds_load_b32 v1, v7 offset:4096
	s_waitcnt lgkmcnt(0)
	s_barrier
	buffer_gl0_inv
	v_readfirstlane_b32 s20, v1
	s_and_saveexec_b32 s9, s2
	s_cbranch_execz .LBB34_117
; %bb.116:                              ;   in Loop: Header=BB34_8 Depth=1
	ds_store_b16 v18, v7
.LBB34_117:                             ;   in Loop: Header=BB34_8 Depth=1
	s_or_b32 exec_lo, exec_lo, s9
	s_lshl_b32 s9, 1, s18
	s_and_b32 s14, s91, s19
	s_or_b32 s92, s92, s11
	s_or_b32 s91, s14, s9
	s_cmp_gt_i32 s20, 0
	s_waitcnt lgkmcnt(0)
	s_barrier
	buffer_gl0_inv
	s_cbranch_scc1 .LBB34_127
; %bb.118:                              ;   in Loop: Header=BB34_8 Depth=1
	s_mov_b32 s24, 0
                                        ; implicit-def: $vgpr28
	s_and_saveexec_b32 s14, s8
	s_cbranch_execz .LBB34_129
; %bb.119:                              ;   in Loop: Header=BB34_8 Depth=1
	v_mov_b32_e32 v1, v5
	v_mov_b32_e32 v3, v0
	s_mov_b32 s15, 0
                                        ; implicit-def: $sgpr17
	s_set_inst_prefetch_distance 0x1
	s_branch .LBB34_121
	.p2align	6
.LBB34_120:                             ;   in Loop: Header=BB34_121 Depth=2
	s_or_b32 exec_lo, exec_lo, s9
	s_waitcnt vmcnt(0) lgkmcnt(0)
	s_barrier
	buffer_gl0_inv
	ds_load_b32 v2, v7 offset:3072
	v_add_nc_u32_e32 v3, s64, v3
	v_add_nc_u32_e32 v1, s67, v1
	s_waitcnt lgkmcnt(0)
	s_barrier
	buffer_gl0_inv
	v_cmp_le_i32_e32 vcc_lo, s79, v3
	v_cmp_ne_u16_e64 s9, 0, v2
	s_delay_alu instid0(VALU_DEP_1) | instskip(NEXT) | instid1(SALU_CYCLE_1)
	s_or_b32 s24, vcc_lo, s9
	s_and_b32 s24, exec_lo, s24
	s_delay_alu instid0(SALU_CYCLE_1) | instskip(SKIP_2) | instid1(SALU_CYCLE_1)
	s_or_b32 s15, s24, s15
	s_and_not1_b32 s17, s17, exec_lo
	s_and_b32 s9, s9, exec_lo
	s_or_b32 s17, s17, s9
	s_and_not1_b32 exec_lo, exec_lo, s15
	s_cbranch_execz .LBB34_128
.LBB34_121:                             ;   Parent Loop BB34_8 Depth=1
                                        ; =>  This Inner Loop Header: Depth=2
	s_delay_alu instid0(VALU_DEP_1)
	v_cmp_gt_i32_e32 vcc_lo, s44, v3
	v_mov_b32_e32 v2, 0
	s_and_saveexec_b32 s24, vcc_lo
	s_cbranch_execz .LBB34_123
; %bb.122:                              ;   in Loop: Header=BB34_121 Depth=2
	v_ashrrev_i32_e32 v2, 31, v1
	s_delay_alu instid0(VALU_DEP_1) | instskip(NEXT) | instid1(VALU_DEP_1)
	v_lshlrev_b64 v[13:14], 1, v[1:2]
	v_add_co_u32 v13, s9, s62, v13
	s_delay_alu instid0(VALU_DEP_1)
	v_add_co_ci_u32_e64 v14, s9, s63, v14, s9
	global_load_u16 v2, v[13:14], off
.LBB34_123:                             ;   in Loop: Header=BB34_121 Depth=2
	s_or_b32 exec_lo, exec_lo, s24
	s_and_saveexec_b32 s9, vcc_lo
	s_cbranch_execz .LBB34_120
; %bb.124:                              ;   in Loop: Header=BB34_121 Depth=2
	s_waitcnt vmcnt(0)
	v_bfe_i32 v4, v2, 0, 16
	s_delay_alu instid0(VALU_DEP_1) | instskip(NEXT) | instid1(VALU_DEP_1)
	v_add_nc_u32_e32 v4, 0x8000, v4
	v_and_b32_e32 v4, s92, v4
	s_delay_alu instid0(VALU_DEP_1)
	v_cmp_eq_u32_e32 vcc_lo, s91, v4
	s_and_b32 exec_lo, exec_lo, vcc_lo
	s_cbranch_execz .LBB34_120
; %bb.125:                              ;   in Loop: Header=BB34_121 Depth=2
	v_perm_b32 v2, v2, 1, 0x5040100
	ds_store_b32 v7, v2 offset:3072
	s_branch .LBB34_120
.LBB34_126:                             ;   in Loop: Header=BB34_8 Depth=1
                                        ; implicit-def: $sgpr15
                                        ; implicit-def: $sgpr17
                                        ; implicit-def: $sgpr14
	s_branch .LBB34_140
.LBB34_127:                             ;   in Loop: Header=BB34_8 Depth=1
	s_mov_b32 s15, -1
	s_mov_b32 s24, 0
                                        ; implicit-def: $sgpr14
                                        ; implicit-def: $vgpr28
	s_mov_b32 s17, s15
	s_cbranch_execnz .LBB34_130
	s_branch .LBB34_140
.LBB34_128:                             ;   in Loop: Header=BB34_8 Depth=1
	s_set_inst_prefetch_distance 0x2
	s_or_b32 exec_lo, exec_lo, s15
	v_lshrrev_b32_e32 v28, 16, v2
	s_and_b32 s24, s17, exec_lo
.LBB34_129:                             ;   in Loop: Header=BB34_8 Depth=1
	s_or_b32 exec_lo, exec_lo, s14
	s_mov_b32 s14, -1
	s_mov_b32 s15, 0
	s_delay_alu instid0(SALU_CYCLE_1)
	s_mov_b32 s17, s15
	s_branch .LBB34_140
.LBB34_130:                             ;   in Loop: Header=BB34_8 Depth=1
	s_add_i32 s15, s20, s68
	s_mov_b32 s24, 0
	s_abs_i32 s9, s15
                                        ; implicit-def: $vgpr28
	s_delay_alu instid0(SALU_CYCLE_1) | instskip(NEXT) | instid1(SALU_CYCLE_1)
	s_mul_hi_u32 s14, s9, s78
	s_mul_i32 s14, s14, s64
	s_delay_alu instid0(SALU_CYCLE_1) | instskip(SKIP_4) | instid1(SALU_CYCLE_1)
	s_sub_i32 s9, s9, s14
	s_ashr_i32 s14, s15, 31
	s_sub_i32 s17, s9, s64
	s_cmp_ge_u32 s9, s64
	s_cselect_b32 s9, s17, s9
	s_sub_i32 s17, s9, s64
	s_cmp_ge_u32 s9, s64
	s_cselect_b32 s9, s17, s9
	s_delay_alu instid0(SALU_CYCLE_1) | instskip(NEXT) | instid1(SALU_CYCLE_1)
	s_xor_b32 s9, s9, s14
	s_sub_i32 s9, s14, s9
	s_mov_b32 s14, exec_lo
	s_add_i32 s15, s15, s9
	s_delay_alu instid0(SALU_CYCLE_1)
	v_cmpx_gt_i32_e64 s15, v0
	s_cbranch_execz .LBB34_139
; %bb.131:                              ;   in Loop: Header=BB34_8 Depth=1
	v_dual_mov_b32 v1, v17 :: v_dual_mov_b32 v2, v0
	s_mov_b32 s17, 0
                                        ; implicit-def: $sgpr24
	s_set_inst_prefetch_distance 0x1
	s_branch .LBB34_133
	.p2align	6
.LBB34_132:                             ;   in Loop: Header=BB34_133 Depth=2
	s_or_b32 exec_lo, exec_lo, s9
	s_waitcnt lgkmcnt(0)
	s_barrier
	buffer_gl0_inv
	ds_load_b32 v3, v7 offset:3072
	v_add_nc_u32_e32 v2, s64, v2
	v_add_nc_u32_e32 v1, s82, v1
	s_waitcnt lgkmcnt(0)
	s_barrier
	buffer_gl0_inv
	v_cmp_le_i32_e32 vcc_lo, s15, v2
	v_cmp_ne_u16_e64 s9, 0, v3
	s_delay_alu instid0(VALU_DEP_1) | instskip(NEXT) | instid1(SALU_CYCLE_1)
	s_or_b32 s25, vcc_lo, s9
	s_and_b32 s25, exec_lo, s25
	s_delay_alu instid0(SALU_CYCLE_1) | instskip(SKIP_2) | instid1(SALU_CYCLE_1)
	s_or_b32 s17, s25, s17
	s_and_not1_b32 s24, s24, exec_lo
	s_and_b32 s9, s9, exec_lo
	s_or_b32 s24, s24, s9
	s_and_not1_b32 exec_lo, exec_lo, s17
	s_cbranch_execz .LBB34_138
.LBB34_133:                             ;   Parent Loop BB34_8 Depth=1
                                        ; =>  This Inner Loop Header: Depth=2
	s_delay_alu instid0(VALU_DEP_1)
	v_cmp_gt_i32_e32 vcc_lo, s20, v2
	v_mov_b32_e32 v3, 0
	s_and_saveexec_b32 s9, vcc_lo
	s_cbranch_execz .LBB34_135
; %bb.134:                              ;   in Loop: Header=BB34_133 Depth=2
	ds_load_u16 v3, v1
.LBB34_135:                             ;   in Loop: Header=BB34_133 Depth=2
	s_or_b32 exec_lo, exec_lo, s9
	s_and_saveexec_b32 s9, vcc_lo
	s_cbranch_execz .LBB34_132
; %bb.136:                              ;   in Loop: Header=BB34_133 Depth=2
	s_waitcnt lgkmcnt(0)
	v_bfe_i32 v4, v3, 0, 16
	s_delay_alu instid0(VALU_DEP_1) | instskip(NEXT) | instid1(VALU_DEP_1)
	v_add_nc_u32_e32 v4, 0x8000, v4
	v_and_b32_e32 v4, s92, v4
	s_delay_alu instid0(VALU_DEP_1)
	v_cmp_eq_u32_e32 vcc_lo, s91, v4
	s_and_b32 exec_lo, exec_lo, vcc_lo
	s_cbranch_execz .LBB34_132
; %bb.137:                              ;   in Loop: Header=BB34_133 Depth=2
	v_perm_b32 v3, v3, 1, 0x5040100
	ds_store_b32 v7, v3 offset:3072
	s_branch .LBB34_132
.LBB34_138:                             ;   in Loop: Header=BB34_8 Depth=1
	s_set_inst_prefetch_distance 0x2
	s_or_b32 exec_lo, exec_lo, s17
	v_lshrrev_b32_e32 v28, 16, v3
	s_and_b32 s24, s24, exec_lo
.LBB34_139:                             ;   in Loop: Header=BB34_8 Depth=1
	s_or_b32 exec_lo, exec_lo, s14
	s_mov_b32 s17, -1
	s_mov_b32 s15, 0
	s_mov_b32 s14, 0
.LBB34_140:                             ;   in Loop: Header=BB34_8 Depth=1
	s_mov_b32 s25, 0
                                        ; implicit-def: $sgpr9
	s_and_saveexec_b32 s20, s24
	s_cbranch_execz .LBB34_236
; %bb.141:                              ;   in Loop: Header=BB34_8 Depth=1
	s_xor_b32 s9, s23, -1
	s_mov_b32 s23, 0
	s_and_not1_b32 vcc_lo, exec_lo, s9
	s_mov_b32 s26, 1
	s_cbranch_vccnz .LBB34_152
; %bb.142:                              ;   in Loop: Header=BB34_8 Depth=1
	s_cmp_gt_i32 s22, s21
	s_mov_b32 s23, -1
                                        ; implicit-def: $sgpr9
                                        ; implicit-def: $sgpr24
                                        ; implicit-def: $sgpr25
	s_cbranch_scc1 .LBB34_148
; %bb.143:                              ;   in Loop: Header=BB34_8 Depth=1
	ds_load_b32 v1, v7 offset:4096
	s_waitcnt lgkmcnt(0)
	v_cmp_ne_u32_e32 vcc_lo, 0, v1
	s_cbranch_vccnz .LBB34_147
; %bb.144:                              ;   in Loop: Header=BB34_8 Depth=1
	s_and_saveexec_b32 s9, s0
	s_cbranch_execz .LBB34_146
; %bb.145:                              ;   in Loop: Header=BB34_8 Depth=1
	v_mov_b32_e32 v1, s21
	ds_store_b32 v7, v1 offset:4100
.LBB34_146:                             ;   in Loop: Header=BB34_8 Depth=1
	s_or_b32 exec_lo, exec_lo, s9
	s_waitcnt lgkmcnt(0)
	s_barrier
	buffer_gl0_inv
.LBB34_147:                             ;   in Loop: Header=BB34_8 Depth=1
	s_lshl_b32 s9, 1, s18
	s_and_b32 s23, s91, s19
	s_or_b32 s25, s92, s11
	s_or_b32 s24, s23, s9
	s_mov_b32 s23, 0
	s_mov_b32 s9, 8
.LBB34_148:                             ;   in Loop: Header=BB34_8 Depth=1
	s_and_not1_b32 vcc_lo, exec_lo, s23
	s_cbranch_vccnz .LBB34_150
; %bb.149:                              ;   in Loop: Header=BB34_8 Depth=1
	s_sub_i32 s22, s22, s21
	s_mov_b32 s23, -1
	s_mov_b32 s9, 0
	s_mov_b32 s24, s91
	;; [unrolled: 1-line block ×3, first 2 shown]
.LBB34_150:                             ;   in Loop: Header=BB34_8 Depth=1
	s_delay_alu instid0(SALU_CYCLE_1)
	s_mov_b32 s92, s25
	s_mov_b32 s91, s24
	;; [unrolled: 1-line block ×3, first 2 shown]
	s_and_not1_b32 vcc_lo, exec_lo, s23
	s_mov_b32 s28, -1
	s_cbranch_vccz .LBB34_153
.LBB34_151:                             ;   in Loop: Header=BB34_8 Depth=1
                                        ; implicit-def: $sgpr22
                                        ; implicit-def: $sgpr23
                                        ; implicit-def: $sgpr21
	s_branch .LBB34_235
.LBB34_152:                             ;   in Loop: Header=BB34_8 Depth=1
	s_mov_b32 s9, 1
	s_and_not1_b32 vcc_lo, exec_lo, s23
	s_mov_b32 s28, -1
	s_cbranch_vccnz .LBB34_151
.LBB34_153:                             ;   in Loop: Header=BB34_8 Depth=1
	s_cmp_eq_u32 s16, 1
	s_mov_b32 s27, -1
	s_cselect_b32 s9, -1, 0
	s_cmp_eq_u32 s26, 1
	s_cselect_b32 s21, -1, 0
	s_delay_alu instid0(SALU_CYCLE_1) | instskip(NEXT) | instid1(SALU_CYCLE_1)
	s_and_b32 s25, s9, s21
	s_and_b32 vcc_lo, exec_lo, s25
	s_cbranch_vccz .LBB34_165
; %bb.154:                              ;   in Loop: Header=BB34_8 Depth=1
	ds_load_b32 v1, v7 offset:4096
	s_waitcnt lgkmcnt(0)
	s_barrier
	buffer_gl0_inv
	v_readfirstlane_b32 s24, v1
	s_and_saveexec_b32 s9, s2
	s_cbranch_execz .LBB34_156
; %bb.155:                              ;   in Loop: Header=BB34_8 Depth=1
	ds_store_b16 v18, v7
.LBB34_156:                             ;   in Loop: Header=BB34_8 Depth=1
	s_or_b32 exec_lo, exec_lo, s9
	s_lshl_b32 s9, 2, s18
	s_and_b32 s21, s91, s19
	s_or_b32 s92, s92, s11
	s_or_b32 s91, s21, s9
	s_cmp_gt_i32 s24, 0
	s_waitcnt lgkmcnt(0)
	s_barrier
	buffer_gl0_inv
	s_cbranch_scc1 .LBB34_166
; %bb.157:                              ;   in Loop: Header=BB34_8 Depth=1
	s_mov_b32 s27, 0
                                        ; implicit-def: $vgpr28
	s_and_saveexec_b32 s21, s8
	s_cbranch_execz .LBB34_168
; %bb.158:                              ;   in Loop: Header=BB34_8 Depth=1
	v_mov_b32_e32 v1, v5
	v_mov_b32_e32 v3, v0
	s_mov_b32 s22, 0
                                        ; implicit-def: $sgpr23
	s_set_inst_prefetch_distance 0x1
	s_branch .LBB34_160
	.p2align	6
.LBB34_159:                             ;   in Loop: Header=BB34_160 Depth=2
	s_or_b32 exec_lo, exec_lo, s9
	s_waitcnt vmcnt(0) lgkmcnt(0)
	s_barrier
	buffer_gl0_inv
	ds_load_b32 v2, v7 offset:3072
	v_add_nc_u32_e32 v3, s64, v3
	v_add_nc_u32_e32 v1, s67, v1
	s_waitcnt lgkmcnt(0)
	s_barrier
	buffer_gl0_inv
	v_cmp_le_i32_e32 vcc_lo, s79, v3
	v_cmp_ne_u16_e64 s9, 0, v2
	s_delay_alu instid0(VALU_DEP_1) | instskip(NEXT) | instid1(SALU_CYCLE_1)
	s_or_b32 s27, vcc_lo, s9
	s_and_b32 s27, exec_lo, s27
	s_delay_alu instid0(SALU_CYCLE_1) | instskip(SKIP_2) | instid1(SALU_CYCLE_1)
	s_or_b32 s22, s27, s22
	s_and_not1_b32 s23, s23, exec_lo
	s_and_b32 s9, s9, exec_lo
	s_or_b32 s23, s23, s9
	s_and_not1_b32 exec_lo, exec_lo, s22
	s_cbranch_execz .LBB34_167
.LBB34_160:                             ;   Parent Loop BB34_8 Depth=1
                                        ; =>  This Inner Loop Header: Depth=2
	s_delay_alu instid0(VALU_DEP_1)
	v_cmp_gt_i32_e32 vcc_lo, s44, v3
	v_mov_b32_e32 v2, 0
	s_and_saveexec_b32 s27, vcc_lo
	s_cbranch_execz .LBB34_162
; %bb.161:                              ;   in Loop: Header=BB34_160 Depth=2
	v_ashrrev_i32_e32 v2, 31, v1
	s_delay_alu instid0(VALU_DEP_1) | instskip(NEXT) | instid1(VALU_DEP_1)
	v_lshlrev_b64 v[13:14], 1, v[1:2]
	v_add_co_u32 v13, s9, s62, v13
	s_delay_alu instid0(VALU_DEP_1)
	v_add_co_ci_u32_e64 v14, s9, s63, v14, s9
	global_load_u16 v2, v[13:14], off
.LBB34_162:                             ;   in Loop: Header=BB34_160 Depth=2
	s_or_b32 exec_lo, exec_lo, s27
	s_and_saveexec_b32 s9, vcc_lo
	s_cbranch_execz .LBB34_159
; %bb.163:                              ;   in Loop: Header=BB34_160 Depth=2
	s_waitcnt vmcnt(0)
	v_bfe_i32 v4, v2, 0, 16
	s_delay_alu instid0(VALU_DEP_1) | instskip(NEXT) | instid1(VALU_DEP_1)
	v_add_nc_u32_e32 v4, 0x8000, v4
	v_and_b32_e32 v4, s92, v4
	s_delay_alu instid0(VALU_DEP_1)
	v_cmp_eq_u32_e32 vcc_lo, s91, v4
	s_and_b32 exec_lo, exec_lo, vcc_lo
	s_cbranch_execz .LBB34_159
; %bb.164:                              ;   in Loop: Header=BB34_160 Depth=2
	v_perm_b32 v2, v2, 1, 0x5040100
	ds_store_b32 v7, v2 offset:3072
	s_branch .LBB34_159
.LBB34_165:                             ;   in Loop: Header=BB34_8 Depth=1
                                        ; implicit-def: $sgpr21
                                        ; implicit-def: $sgpr23
                                        ; implicit-def: $sgpr22
	s_branch .LBB34_179
.LBB34_166:                             ;   in Loop: Header=BB34_8 Depth=1
	s_mov_b32 s21, -1
	s_mov_b32 s27, 0
                                        ; implicit-def: $sgpr22
                                        ; implicit-def: $vgpr28
	s_mov_b32 s23, s21
	s_cbranch_execnz .LBB34_169
	s_branch .LBB34_179
.LBB34_167:                             ;   in Loop: Header=BB34_8 Depth=1
	s_set_inst_prefetch_distance 0x2
	s_or_b32 exec_lo, exec_lo, s22
	v_lshrrev_b32_e32 v28, 16, v2
	s_and_b32 s27, s23, exec_lo
.LBB34_168:                             ;   in Loop: Header=BB34_8 Depth=1
	s_or_b32 exec_lo, exec_lo, s21
	s_mov_b32 s22, -1
	s_mov_b32 s21, 0
	s_delay_alu instid0(SALU_CYCLE_1)
	s_mov_b32 s23, s21
	s_branch .LBB34_179
.LBB34_169:                             ;   in Loop: Header=BB34_8 Depth=1
	s_add_i32 s22, s24, s68
	s_mov_b32 s27, 0
	s_abs_i32 s9, s22
                                        ; implicit-def: $vgpr28
	s_delay_alu instid0(SALU_CYCLE_1) | instskip(NEXT) | instid1(SALU_CYCLE_1)
	s_mul_hi_u32 s21, s9, s78
	s_mul_i32 s21, s21, s64
	s_delay_alu instid0(SALU_CYCLE_1) | instskip(SKIP_4) | instid1(SALU_CYCLE_1)
	s_sub_i32 s9, s9, s21
	s_ashr_i32 s21, s22, 31
	s_sub_i32 s23, s9, s64
	s_cmp_ge_u32 s9, s64
	s_cselect_b32 s9, s23, s9
	s_sub_i32 s23, s9, s64
	s_cmp_ge_u32 s9, s64
	s_cselect_b32 s9, s23, s9
	s_delay_alu instid0(SALU_CYCLE_1) | instskip(NEXT) | instid1(SALU_CYCLE_1)
	s_xor_b32 s9, s9, s21
	s_sub_i32 s9, s21, s9
	s_mov_b32 s21, exec_lo
	s_add_i32 s22, s22, s9
	s_delay_alu instid0(SALU_CYCLE_1)
	v_cmpx_gt_i32_e64 s22, v0
	s_cbranch_execz .LBB34_178
; %bb.170:                              ;   in Loop: Header=BB34_8 Depth=1
	v_dual_mov_b32 v1, v17 :: v_dual_mov_b32 v2, v0
	s_mov_b32 s23, 0
                                        ; implicit-def: $sgpr27
	s_set_inst_prefetch_distance 0x1
	s_branch .LBB34_172
	.p2align	6
.LBB34_171:                             ;   in Loop: Header=BB34_172 Depth=2
	s_or_b32 exec_lo, exec_lo, s9
	s_waitcnt lgkmcnt(0)
	s_barrier
	buffer_gl0_inv
	ds_load_b32 v3, v7 offset:3072
	v_add_nc_u32_e32 v2, s64, v2
	v_add_nc_u32_e32 v1, s82, v1
	s_waitcnt lgkmcnt(0)
	s_barrier
	buffer_gl0_inv
	v_cmp_le_i32_e32 vcc_lo, s22, v2
	v_cmp_ne_u16_e64 s9, 0, v3
	s_delay_alu instid0(VALU_DEP_1) | instskip(NEXT) | instid1(SALU_CYCLE_1)
	s_or_b32 s28, vcc_lo, s9
	s_and_b32 s28, exec_lo, s28
	s_delay_alu instid0(SALU_CYCLE_1) | instskip(SKIP_2) | instid1(SALU_CYCLE_1)
	s_or_b32 s23, s28, s23
	s_and_not1_b32 s27, s27, exec_lo
	s_and_b32 s9, s9, exec_lo
	s_or_b32 s27, s27, s9
	s_and_not1_b32 exec_lo, exec_lo, s23
	s_cbranch_execz .LBB34_177
.LBB34_172:                             ;   Parent Loop BB34_8 Depth=1
                                        ; =>  This Inner Loop Header: Depth=2
	s_delay_alu instid0(VALU_DEP_1)
	v_cmp_gt_i32_e32 vcc_lo, s24, v2
	v_mov_b32_e32 v3, 0
	s_and_saveexec_b32 s9, vcc_lo
	s_cbranch_execz .LBB34_174
; %bb.173:                              ;   in Loop: Header=BB34_172 Depth=2
	ds_load_u16 v3, v1
.LBB34_174:                             ;   in Loop: Header=BB34_172 Depth=2
	s_or_b32 exec_lo, exec_lo, s9
	s_and_saveexec_b32 s9, vcc_lo
	s_cbranch_execz .LBB34_171
; %bb.175:                              ;   in Loop: Header=BB34_172 Depth=2
	s_waitcnt lgkmcnt(0)
	v_bfe_i32 v4, v3, 0, 16
	s_delay_alu instid0(VALU_DEP_1) | instskip(NEXT) | instid1(VALU_DEP_1)
	v_add_nc_u32_e32 v4, 0x8000, v4
	v_and_b32_e32 v4, s92, v4
	s_delay_alu instid0(VALU_DEP_1)
	v_cmp_eq_u32_e32 vcc_lo, s91, v4
	s_and_b32 exec_lo, exec_lo, vcc_lo
	s_cbranch_execz .LBB34_171
; %bb.176:                              ;   in Loop: Header=BB34_172 Depth=2
	v_perm_b32 v3, v3, 1, 0x5040100
	ds_store_b32 v7, v3 offset:3072
	s_branch .LBB34_171
.LBB34_177:                             ;   in Loop: Header=BB34_8 Depth=1
	s_set_inst_prefetch_distance 0x2
	s_or_b32 exec_lo, exec_lo, s23
	v_lshrrev_b32_e32 v28, 16, v3
	s_and_b32 s27, s27, exec_lo
.LBB34_178:                             ;   in Loop: Header=BB34_8 Depth=1
	s_or_b32 exec_lo, exec_lo, s21
	s_mov_b32 s23, -1
	s_mov_b32 s21, 0
	s_mov_b32 s22, 0
.LBB34_179:                             ;   in Loop: Header=BB34_8 Depth=1
	s_mov_b32 s28, 0
                                        ; implicit-def: $sgpr9
	s_and_saveexec_b32 s24, s27
	s_cbranch_execz .LBB34_234
; %bb.180:                              ;   in Loop: Header=BB34_8 Depth=1
	s_xor_b32 s9, s25, -1
	s_mov_b32 s27, 0
	s_and_not1_b32 vcc_lo, exec_lo, s9
	s_mov_b32 s25, 1
	s_cbranch_vccnz .LBB34_191
; %bb.181:                              ;   in Loop: Header=BB34_8 Depth=1
	s_cmp_gt_i32 s26, s16
	s_mov_b32 s27, -1
                                        ; implicit-def: $sgpr9
                                        ; implicit-def: $sgpr25
                                        ; implicit-def: $sgpr28
	s_cbranch_scc1 .LBB34_187
; %bb.182:                              ;   in Loop: Header=BB34_8 Depth=1
	ds_load_b32 v1, v7 offset:4096
	s_waitcnt lgkmcnt(0)
	v_cmp_ne_u32_e32 vcc_lo, 0, v1
	s_cbranch_vccnz .LBB34_186
; %bb.183:                              ;   in Loop: Header=BB34_8 Depth=1
	s_and_saveexec_b32 s9, s0
	s_cbranch_execz .LBB34_185
; %bb.184:                              ;   in Loop: Header=BB34_8 Depth=1
	v_mov_b32_e32 v1, s16
	ds_store_b32 v7, v1 offset:4100
.LBB34_185:                             ;   in Loop: Header=BB34_8 Depth=1
	s_or_b32 exec_lo, exec_lo, s9
	s_waitcnt lgkmcnt(0)
	s_barrier
	buffer_gl0_inv
.LBB34_186:                             ;   in Loop: Header=BB34_8 Depth=1
	s_lshl_b32 s9, 2, s18
	s_and_b32 s18, s91, s19
	s_or_b32 s28, s92, s11
	s_or_b32 s25, s18, s9
	s_mov_b32 s27, 0
	s_mov_b32 s9, 8
.LBB34_187:                             ;   in Loop: Header=BB34_8 Depth=1
	s_and_not1_b32 vcc_lo, exec_lo, s27
	s_cbranch_vccnz .LBB34_189
; %bb.188:                              ;   in Loop: Header=BB34_8 Depth=1
	s_sub_i32 s26, s26, s16
	s_mov_b32 s27, -1
	s_mov_b32 s9, 0
	s_mov_b32 s25, s91
	;; [unrolled: 1-line block ×3, first 2 shown]
.LBB34_189:                             ;   in Loop: Header=BB34_8 Depth=1
	s_delay_alu instid0(SALU_CYCLE_1)
	s_mov_b32 s92, s28
	s_mov_b32 s91, s25
	;; [unrolled: 1-line block ×3, first 2 shown]
	s_and_not1_b32 vcc_lo, exec_lo, s27
	s_mov_b32 s45, -1
	s_cbranch_vccz .LBB34_192
.LBB34_190:                             ;   in Loop: Header=BB34_8 Depth=1
                                        ; implicit-def: $sgpr19
                                        ; implicit-def: $sgpr27
                                        ; implicit-def: $sgpr26
	s_branch .LBB34_233
.LBB34_191:                             ;   in Loop: Header=BB34_8 Depth=1
	s_mov_b32 s9, 1
	s_and_not1_b32 vcc_lo, exec_lo, s27
	s_mov_b32 s45, -1
	s_cbranch_vccnz .LBB34_190
.LBB34_192:                             ;   in Loop: Header=BB34_8 Depth=1
	s_cmp_eq_u32 s10, 1
	s_mov_b32 s28, -1
	s_cselect_b32 s9, -1, 0
	s_cmp_eq_u32 s25, 1
	s_cselect_b32 s16, -1, 0
	s_delay_alu instid0(SALU_CYCLE_1) | instskip(NEXT) | instid1(SALU_CYCLE_1)
	s_and_b32 s16, s9, s16
	s_and_b32 vcc_lo, exec_lo, s16
	s_cbranch_vccz .LBB34_204
; %bb.193:                              ;   in Loop: Header=BB34_8 Depth=1
	ds_load_b32 v1, v7 offset:4096
	s_waitcnt lgkmcnt(0)
	s_barrier
	buffer_gl0_inv
	v_readfirstlane_b32 s18, v1
	s_and_saveexec_b32 s9, s2
	s_cbranch_execz .LBB34_195
; %bb.194:                              ;   in Loop: Header=BB34_8 Depth=1
	ds_store_b16 v18, v7
.LBB34_195:                             ;   in Loop: Header=BB34_8 Depth=1
	s_or_b32 exec_lo, exec_lo, s9
	s_or_b32 s91, s91, s11
	s_or_b32 s92, s92, s11
	s_cmp_gt_i32 s18, 0
	s_waitcnt lgkmcnt(0)
	s_barrier
	buffer_gl0_inv
	s_cbranch_scc1 .LBB34_205
; %bb.196:                              ;   in Loop: Header=BB34_8 Depth=1
	s_mov_b32 s28, 0
                                        ; implicit-def: $vgpr28
	s_and_saveexec_b32 s19, s8
	s_cbranch_execz .LBB34_207
; %bb.197:                              ;   in Loop: Header=BB34_8 Depth=1
	v_mov_b32_e32 v1, v5
	v_mov_b32_e32 v3, v0
	s_mov_b32 s26, 0
                                        ; implicit-def: $sgpr27
	s_set_inst_prefetch_distance 0x1
	s_branch .LBB34_199
	.p2align	6
.LBB34_198:                             ;   in Loop: Header=BB34_199 Depth=2
	s_or_b32 exec_lo, exec_lo, s9
	s_waitcnt vmcnt(0) lgkmcnt(0)
	s_barrier
	buffer_gl0_inv
	ds_load_b32 v2, v7 offset:3072
	v_add_nc_u32_e32 v3, s64, v3
	v_add_nc_u32_e32 v1, s67, v1
	s_waitcnt lgkmcnt(0)
	s_barrier
	buffer_gl0_inv
	v_cmp_le_i32_e32 vcc_lo, s79, v3
	v_cmp_ne_u16_e64 s9, 0, v2
	s_delay_alu instid0(VALU_DEP_1) | instskip(NEXT) | instid1(SALU_CYCLE_1)
	s_or_b32 s28, vcc_lo, s9
	s_and_b32 s28, exec_lo, s28
	s_delay_alu instid0(SALU_CYCLE_1) | instskip(SKIP_2) | instid1(SALU_CYCLE_1)
	s_or_b32 s26, s28, s26
	s_and_not1_b32 s27, s27, exec_lo
	s_and_b32 s9, s9, exec_lo
	s_or_b32 s27, s27, s9
	s_and_not1_b32 exec_lo, exec_lo, s26
	s_cbranch_execz .LBB34_206
.LBB34_199:                             ;   Parent Loop BB34_8 Depth=1
                                        ; =>  This Inner Loop Header: Depth=2
	s_delay_alu instid0(VALU_DEP_1)
	v_cmp_gt_i32_e32 vcc_lo, s44, v3
	v_mov_b32_e32 v2, 0
	s_and_saveexec_b32 s28, vcc_lo
	s_cbranch_execz .LBB34_201
; %bb.200:                              ;   in Loop: Header=BB34_199 Depth=2
	v_ashrrev_i32_e32 v2, 31, v1
	s_delay_alu instid0(VALU_DEP_1) | instskip(NEXT) | instid1(VALU_DEP_1)
	v_lshlrev_b64 v[13:14], 1, v[1:2]
	v_add_co_u32 v13, s9, s62, v13
	s_delay_alu instid0(VALU_DEP_1)
	v_add_co_ci_u32_e64 v14, s9, s63, v14, s9
	global_load_u16 v2, v[13:14], off
.LBB34_201:                             ;   in Loop: Header=BB34_199 Depth=2
	s_or_b32 exec_lo, exec_lo, s28
	s_and_saveexec_b32 s9, vcc_lo
	s_cbranch_execz .LBB34_198
; %bb.202:                              ;   in Loop: Header=BB34_199 Depth=2
	s_waitcnt vmcnt(0)
	v_bfe_i32 v4, v2, 0, 16
	s_delay_alu instid0(VALU_DEP_1) | instskip(NEXT) | instid1(VALU_DEP_1)
	v_add_nc_u32_e32 v4, 0x8000, v4
	v_and_b32_e32 v4, s92, v4
	s_delay_alu instid0(VALU_DEP_1)
	v_cmp_eq_u32_e32 vcc_lo, s91, v4
	s_and_b32 exec_lo, exec_lo, vcc_lo
	s_cbranch_execz .LBB34_198
; %bb.203:                              ;   in Loop: Header=BB34_199 Depth=2
	v_perm_b32 v2, v2, 1, 0x5040100
	ds_store_b32 v7, v2 offset:3072
	s_branch .LBB34_198
.LBB34_204:                             ;   in Loop: Header=BB34_8 Depth=1
                                        ; implicit-def: $sgpr19
                                        ; implicit-def: $sgpr27
                                        ; implicit-def: $sgpr26
	s_branch .LBB34_218
.LBB34_205:                             ;   in Loop: Header=BB34_8 Depth=1
	s_mov_b32 s19, -1
	s_mov_b32 s28, 0
                                        ; implicit-def: $sgpr26
                                        ; implicit-def: $vgpr28
	s_mov_b32 s27, s19
	s_cbranch_execnz .LBB34_208
	s_branch .LBB34_218
.LBB34_206:                             ;   in Loop: Header=BB34_8 Depth=1
	s_set_inst_prefetch_distance 0x2
	s_or_b32 exec_lo, exec_lo, s26
	v_lshrrev_b32_e32 v28, 16, v2
	s_and_b32 s28, s27, exec_lo
.LBB34_207:                             ;   in Loop: Header=BB34_8 Depth=1
	s_or_b32 exec_lo, exec_lo, s19
	s_mov_b32 s26, -1
	s_mov_b32 s19, 0
	s_delay_alu instid0(SALU_CYCLE_1)
	s_mov_b32 s27, s19
	s_branch .LBB34_218
.LBB34_208:                             ;   in Loop: Header=BB34_8 Depth=1
	s_add_i32 s26, s18, s68
	s_mov_b32 s28, 0
	s_abs_i32 s9, s26
                                        ; implicit-def: $vgpr28
	s_delay_alu instid0(SALU_CYCLE_1) | instskip(NEXT) | instid1(SALU_CYCLE_1)
	s_mul_hi_u32 s19, s9, s78
	s_mul_i32 s19, s19, s64
	s_delay_alu instid0(SALU_CYCLE_1) | instskip(SKIP_4) | instid1(SALU_CYCLE_1)
	s_sub_i32 s9, s9, s19
	s_ashr_i32 s19, s26, 31
	s_sub_i32 s27, s9, s64
	s_cmp_ge_u32 s9, s64
	s_cselect_b32 s9, s27, s9
	s_sub_i32 s27, s9, s64
	s_cmp_ge_u32 s9, s64
	s_cselect_b32 s9, s27, s9
	s_delay_alu instid0(SALU_CYCLE_1) | instskip(NEXT) | instid1(SALU_CYCLE_1)
	s_xor_b32 s9, s9, s19
	s_sub_i32 s9, s19, s9
	s_mov_b32 s19, exec_lo
	s_add_i32 s26, s26, s9
	s_delay_alu instid0(SALU_CYCLE_1)
	v_cmpx_gt_i32_e64 s26, v0
	s_cbranch_execz .LBB34_217
; %bb.209:                              ;   in Loop: Header=BB34_8 Depth=1
	v_dual_mov_b32 v1, v17 :: v_dual_mov_b32 v2, v0
	s_mov_b32 s27, 0
                                        ; implicit-def: $sgpr28
	s_set_inst_prefetch_distance 0x1
	s_branch .LBB34_211
	.p2align	6
.LBB34_210:                             ;   in Loop: Header=BB34_211 Depth=2
	s_or_b32 exec_lo, exec_lo, s9
	s_waitcnt lgkmcnt(0)
	s_barrier
	buffer_gl0_inv
	ds_load_b32 v3, v7 offset:3072
	v_add_nc_u32_e32 v2, s64, v2
	v_add_nc_u32_e32 v1, s82, v1
	s_waitcnt lgkmcnt(0)
	s_barrier
	buffer_gl0_inv
	v_cmp_le_i32_e32 vcc_lo, s26, v2
	v_cmp_ne_u16_e64 s9, 0, v3
	s_delay_alu instid0(VALU_DEP_1) | instskip(NEXT) | instid1(SALU_CYCLE_1)
	s_or_b32 s45, vcc_lo, s9
	s_and_b32 s45, exec_lo, s45
	s_delay_alu instid0(SALU_CYCLE_1) | instskip(SKIP_2) | instid1(SALU_CYCLE_1)
	s_or_b32 s27, s45, s27
	s_and_not1_b32 s28, s28, exec_lo
	s_and_b32 s9, s9, exec_lo
	s_or_b32 s28, s28, s9
	s_and_not1_b32 exec_lo, exec_lo, s27
	s_cbranch_execz .LBB34_216
.LBB34_211:                             ;   Parent Loop BB34_8 Depth=1
                                        ; =>  This Inner Loop Header: Depth=2
	s_delay_alu instid0(VALU_DEP_1)
	v_cmp_gt_i32_e32 vcc_lo, s18, v2
	v_mov_b32_e32 v3, 0
	s_and_saveexec_b32 s9, vcc_lo
	s_cbranch_execz .LBB34_213
; %bb.212:                              ;   in Loop: Header=BB34_211 Depth=2
	ds_load_u16 v3, v1
.LBB34_213:                             ;   in Loop: Header=BB34_211 Depth=2
	s_or_b32 exec_lo, exec_lo, s9
	s_and_saveexec_b32 s9, vcc_lo
	s_cbranch_execz .LBB34_210
; %bb.214:                              ;   in Loop: Header=BB34_211 Depth=2
	s_waitcnt lgkmcnt(0)
	v_bfe_i32 v4, v3, 0, 16
	s_delay_alu instid0(VALU_DEP_1) | instskip(NEXT) | instid1(VALU_DEP_1)
	v_add_nc_u32_e32 v4, 0x8000, v4
	v_and_b32_e32 v4, s92, v4
	s_delay_alu instid0(VALU_DEP_1)
	v_cmp_eq_u32_e32 vcc_lo, s91, v4
	s_and_b32 exec_lo, exec_lo, vcc_lo
	s_cbranch_execz .LBB34_210
; %bb.215:                              ;   in Loop: Header=BB34_211 Depth=2
	v_perm_b32 v3, v3, 1, 0x5040100
	ds_store_b32 v7, v3 offset:3072
	s_branch .LBB34_210
.LBB34_216:                             ;   in Loop: Header=BB34_8 Depth=1
	s_set_inst_prefetch_distance 0x2
	s_or_b32 exec_lo, exec_lo, s27
	v_lshrrev_b32_e32 v28, 16, v3
	s_and_b32 s28, s28, exec_lo
.LBB34_217:                             ;   in Loop: Header=BB34_8 Depth=1
	s_or_b32 exec_lo, exec_lo, s19
	s_mov_b32 s27, -1
	s_mov_b32 s19, 0
	s_mov_b32 s26, 0
.LBB34_218:                             ;   in Loop: Header=BB34_8 Depth=1
	s_mov_b32 s45, 0
                                        ; implicit-def: $sgpr9
	s_and_saveexec_b32 s18, s28
	s_cbranch_execz .LBB34_232
; %bb.219:                              ;   in Loop: Header=BB34_8 Depth=1
	s_xor_b32 s9, s16, -1
	s_delay_alu instid0(SALU_CYCLE_1)
	s_and_not1_b32 vcc_lo, exec_lo, s9
	s_mov_b32 s9, 1
	s_cbranch_vccnz .LBB34_226
; %bb.220:                              ;   in Loop: Header=BB34_8 Depth=1
	s_cmp_gt_i32 s25, s10
	s_cbranch_scc1 .LBB34_227
; %bb.221:                              ;   in Loop: Header=BB34_8 Depth=1
	ds_load_b32 v1, v7 offset:4096
	s_waitcnt lgkmcnt(0)
	v_cmp_ne_u32_e32 vcc_lo, 0, v1
	s_cbranch_vccnz .LBB34_225
; %bb.222:                              ;   in Loop: Header=BB34_8 Depth=1
	s_and_saveexec_b32 s9, s0
	s_cbranch_execz .LBB34_224
; %bb.223:                              ;   in Loop: Header=BB34_8 Depth=1
	v_mov_b32_e32 v1, s10
	ds_store_b32 v7, v1 offset:4100
.LBB34_224:                             ;   in Loop: Header=BB34_8 Depth=1
	s_or_b32 exec_lo, exec_lo, s9
	s_waitcnt lgkmcnt(0)
	s_barrier
	buffer_gl0_inv
.LBB34_225:                             ;   in Loop: Header=BB34_8 Depth=1
	s_or_b32 s16, s91, s11
	s_or_b32 s11, s92, s11
	s_mov_b32 s28, 0
	s_mov_b32 s9, 8
	s_branch .LBB34_228
.LBB34_226:                             ;   in Loop: Header=BB34_8 Depth=1
	s_mov_b32 s25, 1
	s_branch .LBB34_231
.LBB34_227:                             ;   in Loop: Header=BB34_8 Depth=1
	s_mov_b32 s28, -1
                                        ; implicit-def: $sgpr9
                                        ; implicit-def: $sgpr16
                                        ; implicit-def: $sgpr11
.LBB34_228:                             ;   in Loop: Header=BB34_8 Depth=1
	s_delay_alu instid0(SALU_CYCLE_1)
	s_and_not1_b32 vcc_lo, exec_lo, s28
	s_cbranch_vccnz .LBB34_230
; %bb.229:                              ;   in Loop: Header=BB34_8 Depth=1
	s_sub_i32 s25, s25, s10
	s_mov_b32 s9, 8
	s_mov_b32 s16, s91
	;; [unrolled: 1-line block ×3, first 2 shown]
.LBB34_230:                             ;   in Loop: Header=BB34_8 Depth=1
	s_mov_b32 s91, s16
	s_mov_b32 s92, s11
.LBB34_231:                             ;   in Loop: Header=BB34_8 Depth=1
	s_mov_b32 s45, exec_lo
.LBB34_232:                             ;   in Loop: Header=BB34_8 Depth=1
	s_or_b32 exec_lo, exec_lo, s18
.LBB34_233:                             ;   in Loop: Header=BB34_8 Depth=1
	s_delay_alu instid0(SALU_CYCLE_1)
	s_and_not1_b32 s10, s21, exec_lo
	s_and_b32 s11, s19, exec_lo
	s_and_not1_b32 s16, s22, exec_lo
	s_or_b32 s21, s10, s11
	s_and_not1_b32 s10, s23, exec_lo
	s_and_b32 s11, s27, exec_lo
	s_and_b32 s18, s26, exec_lo
	s_or_b32 s23, s10, s11
	s_or_b32 s22, s16, s18
	s_and_b32 s28, s45, exec_lo
	s_mov_b32 s26, s25
.LBB34_234:                             ;   in Loop: Header=BB34_8 Depth=1
	s_or_b32 exec_lo, exec_lo, s24
.LBB34_235:                             ;   in Loop: Header=BB34_8 Depth=1
	s_delay_alu instid0(SALU_CYCLE_1)
	s_and_not1_b32 s10, s15, exec_lo
	s_and_b32 s11, s21, exec_lo
	s_and_not1_b32 s14, s14, exec_lo
	s_or_b32 s15, s10, s11
	s_and_not1_b32 s10, s17, exec_lo
	s_and_b32 s11, s23, exec_lo
	s_and_b32 s16, s22, exec_lo
	s_or_b32 s17, s10, s11
	s_or_b32 s14, s14, s16
	s_and_b32 s25, s28, exec_lo
	s_mov_b32 s22, s26
.LBB34_236:                             ;   in Loop: Header=BB34_8 Depth=1
	s_or_b32 exec_lo, exec_lo, s20
	s_and_saveexec_b32 s10, s25
	s_delay_alu instid0(SALU_CYCLE_1)
	s_xor_b32 s10, exec_lo, s10
	s_cbranch_execz .LBB34_6
.LBB34_237:                             ;   in Loop: Header=BB34_8 Depth=1
	s_and_b32 s9, s9, -9
	s_delay_alu instid0(SALU_CYCLE_1)
	s_cmp_eq_u32 s9, 0
	s_cbranch_scc1 .LBB34_4
; %bb.238:                              ;   in Loop: Header=BB34_8 Depth=1
	s_mov_b32 s9, -1
	s_mov_b32 s11, -1
                                        ; implicit-def: $sgpr92
                                        ; implicit-def: $sgpr22
                                        ; implicit-def: $sgpr86
                                        ; implicit-def: $sgpr89
	s_branch .LBB34_5
.LBB34_239:
	s_or_b32 exec_lo, exec_lo, s65
	s_xor_b32 s4, s85, -1
	s_xor_b32 s1, s83, -1
	s_xor_b32 s3, s84, -1
	s_mov_b32 s2, 0
	s_and_saveexec_b32 s5, s1
	s_delay_alu instid0(SALU_CYCLE_1)
	s_xor_b32 s1, exec_lo, s5
	s_cbranch_execz .LBB34_260
; %bb.240:
	s_and_saveexec_b32 s2, s4
	s_delay_alu instid0(SALU_CYCLE_1)
	s_xor_b32 s2, exec_lo, s2
	s_cbranch_execz .LBB34_258
; %bb.241:
	s_and_saveexec_b32 s4, s3
	s_delay_alu instid0(SALU_CYCLE_1)
	s_xor_b32 s3, exec_lo, s4
; %bb.242:
	v_xor_b32_e32 v28, 0xffff8000, v1
; %bb.243:
	s_or_b32 exec_lo, exec_lo, s3
	s_and_saveexec_b32 s3, s0
	s_cbranch_execz .LBB34_245
; %bb.244:
	v_dual_mov_b32 v1, 0 :: v_dual_mov_b32 v2, s44
	ds_store_b32 v1, v2 offset:4108
.LBB34_245:
	s_or_b32 exec_lo, exec_lo, s3
	v_mov_b32_e32 v1, 0
	s_waitcnt lgkmcnt(0)
	s_barrier
	buffer_gl0_inv
	s_mov_b32 s3, exec_lo
	ds_load_b32 v1, v1 offset:4108
	s_waitcnt lgkmcnt(0)
	v_min_i32_e32 v1, s44, v1
	s_delay_alu instid0(VALU_DEP_1)
	v_cmpx_lt_i32_e64 v0, v1
	s_cbranch_execz .LBB34_255
; %bb.246:
	s_mov_b32 s4, 0
                                        ; implicit-def: $sgpr5
                                        ; implicit-def: $sgpr7
                                        ; implicit-def: $sgpr6
	s_set_inst_prefetch_distance 0x1
	s_branch .LBB34_248
	.p2align	6
.LBB34_247:                             ;   in Loop: Header=BB34_248 Depth=1
	s_or_b32 exec_lo, exec_lo, s8
	s_delay_alu instid0(SALU_CYCLE_1) | instskip(NEXT) | instid1(SALU_CYCLE_1)
	s_and_b32 s8, exec_lo, s7
	s_or_b32 s4, s8, s4
	s_and_not1_b32 s5, s5, exec_lo
	s_and_b32 s8, s6, exec_lo
	s_delay_alu instid0(SALU_CYCLE_1)
	s_or_b32 s5, s5, s8
	s_and_not1_b32 exec_lo, exec_lo, s4
	s_cbranch_execz .LBB34_250
.LBB34_248:                             ; =>This Inner Loop Header: Depth=1
	v_ashrrev_i32_e32 v6, 31, v5
	s_or_b32 s6, s6, exec_lo
	s_or_b32 s7, s7, exec_lo
	s_mov_b32 s8, exec_lo
	s_delay_alu instid0(VALU_DEP_1) | instskip(NEXT) | instid1(VALU_DEP_1)
	v_lshlrev_b64 v[2:3], 1, v[5:6]
	v_add_co_u32 v2, vcc_lo, s62, v2
	s_delay_alu instid0(VALU_DEP_2)
	v_add_co_ci_u32_e32 v3, vcc_lo, s63, v3, vcc_lo
	global_load_u16 v3, v[2:3], off
	v_mov_b32_e32 v2, v0
                                        ; implicit-def: $vgpr0
	s_waitcnt vmcnt(0)
	v_cmpx_ne_u16_e64 v3, v28
	s_cbranch_execz .LBB34_247
; %bb.249:                              ;   in Loop: Header=BB34_248 Depth=1
	s_delay_alu instid0(VALU_DEP_2) | instskip(SKIP_3) | instid1(VALU_DEP_2)
	v_add_nc_u32_e32 v0, s64, v2
	s_and_not1_b32 s7, s7, exec_lo
	v_add_nc_u32_e32 v5, s67, v5
	s_and_not1_b32 s6, s6, exec_lo
	v_cmp_ge_i32_e32 vcc_lo, v0, v1
	s_and_b32 s9, vcc_lo, exec_lo
	s_delay_alu instid0(SALU_CYCLE_1)
	s_or_b32 s7, s7, s9
	s_branch .LBB34_247
.LBB34_250:
	s_set_inst_prefetch_distance 0x2
	s_or_b32 exec_lo, exec_lo, s4
	s_and_saveexec_b32 s4, s5
	s_delay_alu instid0(SALU_CYCLE_1)
	s_xor_b32 s4, exec_lo, s4
	s_cbranch_execz .LBB34_255
; %bb.251:
	s_mov_b32 s5, exec_lo
	s_brev_b32 s4, -2
.LBB34_252:                             ; =>This Inner Loop Header: Depth=1
	s_ctz_i32_b32 s6, s5
	s_delay_alu instid0(SALU_CYCLE_1) | instskip(SKIP_1) | instid1(SALU_CYCLE_1)
	v_readlane_b32 s7, v2, s6
	s_lshl_b32 s6, 1, s6
	s_and_not1_b32 s5, s5, s6
	s_delay_alu instid0(VALU_DEP_1)
	s_min_i32 s4, s4, s7
	s_cmp_lg_u32 s5, 0
	s_cbranch_scc1 .LBB34_252
; %bb.253:
	v_mbcnt_lo_u32_b32 v0, exec_lo, 0
	s_mov_b32 s5, exec_lo
	s_delay_alu instid0(VALU_DEP_1)
	v_cmpx_eq_u32_e32 0, v0
	s_xor_b32 s5, exec_lo, s5
	s_cbranch_execz .LBB34_255
; %bb.254:
	v_dual_mov_b32 v0, 0 :: v_dual_mov_b32 v1, s4
	ds_min_i32 v0, v1 offset:4108
.LBB34_255:
	s_or_b32 exec_lo, exec_lo, s3
	s_waitcnt lgkmcnt(0)
	s_barrier
	buffer_gl0_inv
	s_and_saveexec_b32 s3, s0
	s_cbranch_execz .LBB34_257
; %bb.256:
	s_mul_i32 s4, s59, s54
	s_mul_i32 s0, s46, s31
	s_sub_i32 s4, s55, s4
	s_sub_i32 s0, s29, s0
	s_xor_b32 s5, s60, s61
	s_add_i32 s6, s59, 1
	s_sub_i32 s7, s4, s54
	s_cmp_ge_u32 s4, s54
	s_mul_i32 s0, s0, s42
	s_cselect_b32 s6, s6, s59
	s_cselect_b32 s4, s7, s4
	s_add_i32 s7, s6, 1
	s_cmp_ge_u32 s4, s54
	v_mov_b32_e32 v2, 0
	s_cselect_b32 s4, s7, s6
	s_mul_i32 s7, s43, s33
	s_xor_b32 s4, s4, s5
	s_mul_i32 s6, s39, s35
	s_sub_i32 s4, s4, s5
	s_sub_i32 s6, s29, s6
	s_mul_i32 s5, s4, s30
	s_mul_i32 s4, s4, s40
	s_sub_i32 s5, s46, s5
	s_xor_b32 s8, s57, s58
	s_mul_i32 s5, s5, s41
	ds_load_b32 v0, v2 offset:4108
	s_add_i32 s0, s5, s0
	s_sub_i32 s5, s56, s7
	s_add_i32 s4, s0, s4
	s_add_i32 s0, s43, 1
	s_sub_i32 s7, s5, s33
	s_cmp_ge_u32 s5, s33
	s_mul_i32 s6, s6, s38
	s_cselect_b32 s0, s0, s43
	s_cselect_b32 s5, s7, s5
	s_add_i32 s7, s0, 1
	s_cmp_ge_u32 s5, s33
	s_cselect_b32 s0, s7, s0
	s_delay_alu instid0(SALU_CYCLE_1) | instskip(NEXT) | instid1(SALU_CYCLE_1)
	s_xor_b32 s0, s0, s8
	s_sub_i32 s0, s0, s8
	s_delay_alu instid0(SALU_CYCLE_1)
	s_mul_i32 s5, s0, s34
	s_mul_i32 s0, s0, s36
	s_sub_i32 s7, s39, s5
	s_ashr_i32 s5, s4, 31
	s_mul_i32 s7, s7, s37
	s_lshl_b64 s[4:5], s[4:5], 1
	s_add_i32 s6, s7, s6
	s_waitcnt lgkmcnt(0)
	v_ashrrev_i32_e32 v1, 31, v0
	s_add_i32 s6, s6, s0
	s_add_u32 s4, s50, s4
	s_addc_u32 s5, s51, s5
	s_ashr_i32 s7, s6, 31
	s_delay_alu instid0(SALU_CYCLE_1) | instskip(NEXT) | instid1(SALU_CYCLE_1)
	s_lshl_b64 s[6:7], s[6:7], 3
	s_add_u32 s6, s48, s6
	s_addc_u32 s7, s49, s7
	s_clause 0x1
	global_store_b64 v2, v[0:1], s[6:7]
	global_store_b16 v2, v28, s[4:5]
.LBB34_257:
	s_or_b32 exec_lo, exec_lo, s3
.LBB34_258:
	s_or_saveexec_b32 s0, s2
	s_mov_b32 s2, 0
	s_xor_b32 exec_lo, exec_lo, s0
	s_cbranch_execnz .LBB34_266
.LBB34_259:
	s_or_b32 exec_lo, exec_lo, s0
	s_delay_alu instid0(SALU_CYCLE_1)
	s_and_b32 s2, s2, exec_lo
.LBB34_260:
	s_and_not1_saveexec_b32 s0, s1
	s_cbranch_execnz .LBB34_264
; %bb.261:
	s_or_b32 exec_lo, exec_lo, s0
	s_and_saveexec_b32 s0, s2
.LBB34_262:
	; divergent unreachable
.LBB34_263:
	s_nop 0
	s_sendmsg sendmsg(MSG_DEALLOC_VGPRS)
	s_endpgm
.LBB34_264:
	s_cbranch_execnz .LBB34_268
; %bb.265:
	s_or_b32 s2, s2, exec_lo
	s_or_b32 exec_lo, exec_lo, s0
	s_and_saveexec_b32 s0, s2
	s_cbranch_execnz .LBB34_262
	s_branch .LBB34_263
.LBB34_266:
	s_cbranch_execnz .LBB34_270
; %bb.267:
	s_mov_b32 s2, exec_lo
	s_branch .LBB34_259
.LBB34_268:
	s_trap 2
	s_sendmsg_rtn_b32 s0, sendmsg(MSG_RTN_GET_DOORBELL)
	s_mov_b32 ttmp2, m0
	s_waitcnt lgkmcnt(0)
	s_and_b32 s0, s0, 0x3ff
	s_delay_alu instid0(SALU_CYCLE_1) | instskip(NEXT) | instid1(SALU_CYCLE_1)
	s_bitset1_b32 s0, 10
	s_mov_b32 m0, s0
	s_sendmsg sendmsg(MSG_INTERRUPT)
	s_mov_b32 m0, ttmp2
.LBB34_269:                             ; =>This Inner Loop Header: Depth=1
	s_sethalt 5
	s_branch .LBB34_269
.LBB34_270:
	s_trap 2
	s_sendmsg_rtn_b32 s0, sendmsg(MSG_RTN_GET_DOORBELL)
	s_mov_b32 ttmp2, m0
	s_waitcnt lgkmcnt(0)
	s_and_b32 s0, s0, 0x3ff
	s_delay_alu instid0(SALU_CYCLE_1) | instskip(NEXT) | instid1(SALU_CYCLE_1)
	s_bitset1_b32 s0, 10
	s_mov_b32 m0, s0
	s_sendmsg sendmsg(MSG_INTERRUPT)
	s_mov_b32 m0, ttmp2
.LBB34_271:                             ; =>This Inner Loop Header: Depth=1
	s_sethalt 5
	s_branch .LBB34_271
	.section	.rodata,"a",@progbits
	.p2align	6, 0x0
	.amdhsa_kernel _ZN2at6native12_GLOBAL__N_114gatherKthValueIsiLi3EEEvNS_4cuda6detail10TensorInfoIKT_T0_EES8_S8_S8_S8_NS5_IS6_S8_EENS5_IlS8_EE
		.amdhsa_group_segment_fixed_size 4112
		.amdhsa_private_segment_fixed_size 0
		.amdhsa_kernarg_size 920
		.amdhsa_user_sgpr_count 13
		.amdhsa_user_sgpr_dispatch_ptr 0
		.amdhsa_user_sgpr_queue_ptr 0
		.amdhsa_user_sgpr_kernarg_segment_ptr 1
		.amdhsa_user_sgpr_dispatch_id 0
		.amdhsa_user_sgpr_private_segment_size 0
		.amdhsa_wavefront_size32 1
		.amdhsa_uses_dynamic_stack 0
		.amdhsa_enable_private_segment 0
		.amdhsa_system_sgpr_workgroup_id_x 1
		.amdhsa_system_sgpr_workgroup_id_y 1
		.amdhsa_system_sgpr_workgroup_id_z 1
		.amdhsa_system_sgpr_workgroup_info 0
		.amdhsa_system_vgpr_workitem_id 0
		.amdhsa_next_free_vgpr 40
		.amdhsa_next_free_sgpr 102
		.amdhsa_reserve_vcc 1
		.amdhsa_float_round_mode_32 0
		.amdhsa_float_round_mode_16_64 0
		.amdhsa_float_denorm_mode_32 3
		.amdhsa_float_denorm_mode_16_64 3
		.amdhsa_dx10_clamp 1
		.amdhsa_ieee_mode 1
		.amdhsa_fp16_overflow 0
		.amdhsa_workgroup_processor_mode 1
		.amdhsa_memory_ordered 1
		.amdhsa_forward_progress 0
		.amdhsa_shared_vgpr_count 0
		.amdhsa_exception_fp_ieee_invalid_op 0
		.amdhsa_exception_fp_denorm_src 0
		.amdhsa_exception_fp_ieee_div_zero 0
		.amdhsa_exception_fp_ieee_overflow 0
		.amdhsa_exception_fp_ieee_underflow 0
		.amdhsa_exception_fp_ieee_inexact 0
		.amdhsa_exception_int_div_zero 0
	.end_amdhsa_kernel
	.section	.text._ZN2at6native12_GLOBAL__N_114gatherKthValueIsiLi3EEEvNS_4cuda6detail10TensorInfoIKT_T0_EES8_S8_S8_S8_NS5_IS6_S8_EENS5_IlS8_EE,"axG",@progbits,_ZN2at6native12_GLOBAL__N_114gatherKthValueIsiLi3EEEvNS_4cuda6detail10TensorInfoIKT_T0_EES8_S8_S8_S8_NS5_IS6_S8_EENS5_IlS8_EE,comdat
.Lfunc_end34:
	.size	_ZN2at6native12_GLOBAL__N_114gatherKthValueIsiLi3EEEvNS_4cuda6detail10TensorInfoIKT_T0_EES8_S8_S8_S8_NS5_IS6_S8_EENS5_IlS8_EE, .Lfunc_end34-_ZN2at6native12_GLOBAL__N_114gatherKthValueIsiLi3EEEvNS_4cuda6detail10TensorInfoIKT_T0_EES8_S8_S8_S8_NS5_IS6_S8_EENS5_IlS8_EE
                                        ; -- End function
	.section	.AMDGPU.csdata,"",@progbits
; Kernel info:
; codeLenInByte = 10720
; NumSgprs: 104
; NumVgprs: 40
; ScratchSize: 0
; MemoryBound: 0
; FloatMode: 240
; IeeeMode: 1
; LDSByteSize: 4112 bytes/workgroup (compile time only)
; SGPRBlocks: 12
; VGPRBlocks: 4
; NumSGPRsForWavesPerEU: 104
; NumVGPRsForWavesPerEU: 40
; Occupancy: 16
; WaveLimiterHint : 1
; COMPUTE_PGM_RSRC2:SCRATCH_EN: 0
; COMPUTE_PGM_RSRC2:USER_SGPR: 13
; COMPUTE_PGM_RSRC2:TRAP_HANDLER: 0
; COMPUTE_PGM_RSRC2:TGID_X_EN: 1
; COMPUTE_PGM_RSRC2:TGID_Y_EN: 1
; COMPUTE_PGM_RSRC2:TGID_Z_EN: 1
; COMPUTE_PGM_RSRC2:TIDIG_COMP_CNT: 0
	.section	.text._ZN2at6native12_GLOBAL__N_114gatherKthValueIsiLin1EEEvNS_4cuda6detail10TensorInfoIKT_T0_EES8_S8_S8_S8_NS5_IS6_S8_EENS5_IlS8_EE,"axG",@progbits,_ZN2at6native12_GLOBAL__N_114gatherKthValueIsiLin1EEEvNS_4cuda6detail10TensorInfoIKT_T0_EES8_S8_S8_S8_NS5_IS6_S8_EENS5_IlS8_EE,comdat
	.globl	_ZN2at6native12_GLOBAL__N_114gatherKthValueIsiLin1EEEvNS_4cuda6detail10TensorInfoIKT_T0_EES8_S8_S8_S8_NS5_IS6_S8_EENS5_IlS8_EE ; -- Begin function _ZN2at6native12_GLOBAL__N_114gatherKthValueIsiLin1EEEvNS_4cuda6detail10TensorInfoIKT_T0_EES8_S8_S8_S8_NS5_IS6_S8_EENS5_IlS8_EE
	.p2align	8
	.type	_ZN2at6native12_GLOBAL__N_114gatherKthValueIsiLin1EEEvNS_4cuda6detail10TensorInfoIKT_T0_EES8_S8_S8_S8_NS5_IS6_S8_EENS5_IlS8_EE,@function
_ZN2at6native12_GLOBAL__N_114gatherKthValueIsiLin1EEEvNS_4cuda6detail10TensorInfoIKT_T0_EES8_S8_S8_S8_NS5_IS6_S8_EENS5_IlS8_EE: ; @_ZN2at6native12_GLOBAL__N_114gatherKthValueIsiLin1EEEvNS_4cuda6detail10TensorInfoIKT_T0_EES8_S8_S8_S8_NS5_IS6_S8_EENS5_IlS8_EE
; %bb.0:
	s_clause 0x1
	s_load_b64 s[6:7], s[0:1], 0x298
	s_load_b128 s[36:39], s[0:1], 0xd8
	s_add_u32 s4, s0, 0x298
	s_addc_u32 s5, s1, 0
	s_waitcnt lgkmcnt(0)
	s_mul_i32 s2, s7, s15
	s_delay_alu instid0(SALU_CYCLE_1) | instskip(NEXT) | instid1(SALU_CYCLE_1)
	s_add_i32 s2, s2, s14
	s_mul_i32 s2, s2, s6
	s_delay_alu instid0(SALU_CYCLE_1) | instskip(NEXT) | instid1(SALU_CYCLE_1)
	s_add_i32 s33, s2, s13
	s_cmp_ge_i32 s33, s38
	s_cbranch_scc1 .LBB35_272
; %bb.1:
	s_load_b32 s8, s[0:1], 0xd0
	s_mov_b32 s3, 0
	s_mov_b32 s7, s33
	s_waitcnt lgkmcnt(0)
	s_cmp_lt_i32 s8, 2
	s_cbranch_scc1 .LBB35_4
; %bb.2:
	s_add_i32 s2, s8, -1
	s_delay_alu instid0(SALU_CYCLE_1)
	s_lshl_b64 s[10:11], s[2:3], 2
	s_add_i32 s2, s8, 1
	s_add_u32 s7, s10, s0
	s_addc_u32 s9, s11, s1
	s_add_u32 s8, s7, 8
	s_addc_u32 s9, s9, 0
	s_mov_b32 s7, s33
	s_set_inst_prefetch_distance 0x1
	.p2align	6
.LBB35_3:                               ; =>This Inner Loop Header: Depth=1
	s_clause 0x1
	s_load_b32 s10, s[8:9], 0x0
	s_load_b32 s11, s[8:9], 0x64
	s_mov_b32 s16, s7
	s_waitcnt lgkmcnt(0)
	s_abs_i32 s12, s10
	s_delay_alu instid0(SALU_CYCLE_1)
	v_cvt_f32_u32_e32 v1, s12
	s_sub_i32 s15, 0, s12
	s_waitcnt_depctr 0xfff
	v_rcp_iflag_f32_e32 v1, v1
	s_waitcnt_depctr 0xfff
	v_mul_f32_e32 v1, 0x4f7ffffe, v1
	s_delay_alu instid0(VALU_DEP_1) | instskip(NEXT) | instid1(VALU_DEP_1)
	v_cvt_u32_f32_e32 v1, v1
	v_readfirstlane_b32 s14, v1
	s_delay_alu instid0(VALU_DEP_1) | instskip(NEXT) | instid1(SALU_CYCLE_1)
	s_mul_i32 s15, s15, s14
	s_mul_hi_u32 s7, s14, s15
	s_abs_i32 s15, s16
	s_add_i32 s14, s14, s7
	s_delay_alu instid0(SALU_CYCLE_1)
	s_mul_hi_u32 s7, s15, s14
	s_xor_b32 s14, s16, s10
	s_mul_i32 s17, s7, s12
	s_ashr_i32 s14, s14, 31
	s_sub_i32 s15, s15, s17
	s_add_i32 s17, s7, 1
	s_sub_i32 s18, s15, s12
	s_cmp_ge_u32 s15, s12
	s_cselect_b32 s7, s17, s7
	s_cselect_b32 s15, s18, s15
	s_add_i32 s17, s7, 1
	s_cmp_ge_u32 s15, s12
	s_cselect_b32 s7, s17, s7
	s_add_i32 s2, s2, -1
	s_xor_b32 s7, s7, s14
	s_delay_alu instid0(SALU_CYCLE_1) | instskip(NEXT) | instid1(SALU_CYCLE_1)
	s_sub_i32 s7, s7, s14
	s_mul_i32 s10, s7, s10
	s_delay_alu instid0(SALU_CYCLE_1) | instskip(NEXT) | instid1(SALU_CYCLE_1)
	s_sub_i32 s10, s16, s10
	s_mul_i32 s10, s11, s10
	s_delay_alu instid0(SALU_CYCLE_1)
	s_add_i32 s3, s10, s3
	s_add_u32 s8, s8, -4
	s_addc_u32 s9, s9, -1
	s_cmp_gt_u32 s2, 2
	s_cbranch_scc1 .LBB35_3
.LBB35_4:
	s_set_inst_prefetch_distance 0x2
	s_load_b32 s2, s[0:1], 0x1b8
	s_add_u32 s8, s0, 0xe8
	s_addc_u32 s9, s1, 0
	s_mov_b32 s29, 0
	s_mov_b32 s38, s33
	s_waitcnt lgkmcnt(0)
	s_cmp_lt_i32 s2, 2
	s_cbranch_scc1 .LBB35_7
; %bb.5:
	s_add_i32 s28, s2, -1
	s_add_i32 s2, s2, 1
	s_lshl_b64 s[10:11], s[28:29], 2
	s_mov_b32 s38, s33
	s_add_u32 s10, s10, s8
	s_addc_u32 s11, s11, s9
	s_add_u32 s10, s10, 8
	s_addc_u32 s11, s11, 0
	s_set_inst_prefetch_distance 0x1
	.p2align	6
.LBB35_6:                               ; =>This Inner Loop Header: Depth=1
	s_clause 0x1
	s_load_b32 s12, s[10:11], 0x0
	s_load_b32 s14, s[10:11], 0x64
	s_abs_i32 s19, s38
	s_mov_b32 s18, s38
	s_waitcnt lgkmcnt(0)
	s_abs_i32 s15, s12
	s_delay_alu instid0(SALU_CYCLE_1)
	v_cvt_f32_u32_e32 v1, s15
	s_sub_i32 s17, 0, s15
	s_waitcnt_depctr 0xfff
	v_rcp_iflag_f32_e32 v1, v1
	s_waitcnt_depctr 0xfff
	v_mul_f32_e32 v1, 0x4f7ffffe, v1
	s_delay_alu instid0(VALU_DEP_1) | instskip(NEXT) | instid1(VALU_DEP_1)
	v_cvt_u32_f32_e32 v1, v1
	v_readfirstlane_b32 s16, v1
	s_delay_alu instid0(VALU_DEP_1) | instskip(NEXT) | instid1(SALU_CYCLE_1)
	s_mul_i32 s17, s17, s16
	s_mul_hi_u32 s17, s16, s17
	s_delay_alu instid0(SALU_CYCLE_1) | instskip(SKIP_4) | instid1(SALU_CYCLE_1)
	s_add_i32 s16, s16, s17
	s_xor_b32 s17, s38, s12
	s_mul_hi_u32 s16, s19, s16
	s_ashr_i32 s17, s17, 31
	s_mul_i32 s20, s16, s15
	s_sub_i32 s19, s19, s20
	s_add_i32 s20, s16, 1
	s_sub_i32 s21, s19, s15
	s_cmp_ge_u32 s19, s15
	s_cselect_b32 s16, s20, s16
	s_cselect_b32 s19, s21, s19
	s_add_i32 s20, s16, 1
	s_cmp_ge_u32 s19, s15
	s_cselect_b32 s15, s20, s16
	s_add_i32 s2, s2, -1
	s_xor_b32 s15, s15, s17
	s_delay_alu instid0(SALU_CYCLE_1) | instskip(NEXT) | instid1(SALU_CYCLE_1)
	s_sub_i32 s38, s15, s17
	s_mul_i32 s12, s38, s12
	s_delay_alu instid0(SALU_CYCLE_1) | instskip(NEXT) | instid1(SALU_CYCLE_1)
	s_sub_i32 s12, s18, s12
	s_mul_i32 s12, s14, s12
	s_delay_alu instid0(SALU_CYCLE_1)
	s_add_i32 s29, s12, s29
	s_add_u32 s10, s10, -4
	s_addc_u32 s11, s11, -1
	s_cmp_gt_u32 s2, 2
	s_cbranch_scc1 .LBB35_6
.LBB35_7:
	s_set_inst_prefetch_distance 0x2
	s_clause 0x1
	s_load_b32 s12, s[0:1], 0x6c
	s_load_b32 s2, s[0:1], 0x290
	s_add_u32 s10, s0, 0x1c0
	s_addc_u32 s11, s1, 0
	s_mov_b32 s31, 0
	s_waitcnt lgkmcnt(0)
	s_cmp_lt_i32 s2, 2
	s_cbranch_scc1 .LBB35_10
; %bb.8:
	s_add_i32 s30, s2, -1
	s_add_i32 s2, s2, 1
	s_lshl_b64 s[14:15], s[30:31], 2
	s_delay_alu instid0(SALU_CYCLE_1)
	s_add_u32 s10, s14, s10
	s_addc_u32 s11, s15, s11
	s_add_u32 s10, s10, 8
	s_addc_u32 s11, s11, 0
	s_set_inst_prefetch_distance 0x1
	.p2align	6
.LBB35_9:                               ; =>This Inner Loop Header: Depth=1
	s_clause 0x1
	s_load_b32 s14, s[10:11], 0x0
	s_load_b32 s15, s[10:11], 0x64
	s_abs_i32 s20, s33
	s_mov_b32 s19, s33
	s_waitcnt lgkmcnt(0)
	s_abs_i32 s16, s14
	s_delay_alu instid0(SALU_CYCLE_1)
	v_cvt_f32_u32_e32 v1, s16
	s_sub_i32 s18, 0, s16
	s_waitcnt_depctr 0xfff
	v_rcp_iflag_f32_e32 v1, v1
	s_waitcnt_depctr 0xfff
	v_mul_f32_e32 v1, 0x4f7ffffe, v1
	s_delay_alu instid0(VALU_DEP_1) | instskip(NEXT) | instid1(VALU_DEP_1)
	v_cvt_u32_f32_e32 v1, v1
	v_readfirstlane_b32 s17, v1
	s_delay_alu instid0(VALU_DEP_1) | instskip(NEXT) | instid1(SALU_CYCLE_1)
	s_mul_i32 s18, s18, s17
	s_mul_hi_u32 s18, s17, s18
	s_delay_alu instid0(SALU_CYCLE_1) | instskip(SKIP_4) | instid1(SALU_CYCLE_1)
	s_add_i32 s17, s17, s18
	s_xor_b32 s18, s33, s14
	s_mul_hi_u32 s17, s20, s17
	s_ashr_i32 s18, s18, 31
	s_mul_i32 s21, s17, s16
	s_sub_i32 s20, s20, s21
	s_add_i32 s21, s17, 1
	s_sub_i32 s22, s20, s16
	s_cmp_ge_u32 s20, s16
	s_cselect_b32 s17, s21, s17
	s_cselect_b32 s20, s22, s20
	s_add_i32 s21, s17, 1
	s_cmp_ge_u32 s20, s16
	s_cselect_b32 s16, s21, s17
	s_add_i32 s2, s2, -1
	s_xor_b32 s16, s16, s18
	s_delay_alu instid0(SALU_CYCLE_1) | instskip(NEXT) | instid1(SALU_CYCLE_1)
	s_sub_i32 s33, s16, s18
	s_mul_i32 s14, s33, s14
	s_delay_alu instid0(SALU_CYCLE_1) | instskip(NEXT) | instid1(SALU_CYCLE_1)
	s_sub_i32 s14, s19, s14
	s_mul_i32 s14, s15, s14
	s_delay_alu instid0(SALU_CYCLE_1)
	s_add_i32 s31, s14, s31
	s_add_u32 s10, s10, -4
	s_addc_u32 s11, s11, -1
	s_cmp_gt_u32 s2, 2
	s_cbranch_scc1 .LBB35_9
.LBB35_10:
	s_set_inst_prefetch_distance 0x2
	s_clause 0x3
	s_load_b32 s30, s[8:9], 0x6c
	s_load_b64 s[8:9], s[0:1], 0x0
	s_load_b64 s[40:41], s[0:1], 0xe8
	;; [unrolled: 1-line block ×3, first 2 shown]
	v_cmp_eq_u32_e64 s2, 0, v0
	s_mov_b32 s48, 0
	s_delay_alu instid0(VALU_DEP_1)
	s_and_saveexec_b32 s10, s2
	s_cbranch_execz .LBB35_12
; %bb.11:
	v_dual_mov_b32 v1, 0 :: v_dual_mov_b32 v2, s36
	s_delay_alu instid0(VALU_DEP_1)
	v_mov_b32_e32 v3, v1
	ds_store_b96 v1, v[1:3] offset:4096
.LBB35_12:
	s_or_b32 exec_lo, exec_lo, s10
	s_waitcnt lgkmcnt(0)
	s_barrier
	buffer_gl0_inv
	s_load_b32 s14, s[4:5], 0xc
	s_load_b32 s44, s[0:1], 0x22c
	s_mul_i32 s0, s12, s7
	v_mbcnt_lo_u32_b32 v15, -1, 0
	s_add_i32 s0, s0, s3
	v_cmp_gt_u32_e32 vcc_lo, 32, v0
	s_ashr_i32 s1, s0, 31
	v_mul_lo_u32 v5, v0, s39
	s_lshl_b64 s[10:11], s[0:1], 1
	v_cmp_gt_i32_e64 s1, 4, v15
	s_add_u32 s45, s8, s10
	s_addc_u32 s46, s9, s11
	v_mov_b32_e32 v7, 0
	v_lshrrev_b32_e32 v3, 3, v0
	s_and_b32 s50, vcc_lo, s1
	v_lshlrev_b32_e32 v17, 1, v0
	s_mov_b32 s10, s39
	v_mov_b32_e32 v6, v7
	v_and_b32_e32 v20, 0x7c, v3
	v_cmp_gt_u32_e64 s0, 2, v0
	s_waitcnt lgkmcnt(0)
	s_and_b32 s47, s14, 0xffff
	s_bfe_u32 s1, s14, 0xb0005
	s_lshl_b32 s49, s47, 2
	s_add_i32 s52, s47, -1
	v_cvt_f32_u32_e32 v1, s49
	s_add_i32 s62, s52, s36
	s_cmpk_gt_i32 s36, 0x600
	v_cvt_f32_u32_e32 v2, s47
	s_cselect_b32 s53, -1, 0
	v_rcp_iflag_f32_e32 v1, v1
	s_cmp_gt_u32 s47, 31
	v_lshlrev_b32_e32 v16, 2, v0
	s_cselect_b32 s54, -1, 0
	s_cmp_lt_u32 s13, s6
	v_rcp_iflag_f32_e32 v2, v2
	s_cselect_b32 s3, 12, 18
	v_lshlrev_b64 v[8:9], 1, v[5:6]
	s_add_u32 s42, s4, s3
	s_addc_u32 s43, s5, 0
	s_waitcnt_depctr 0xfff
	v_mul_f32_e32 v1, 0x4f7ffffe, v1
	s_add_i32 s3, s1, -1
	s_bfe_u32 s55, s47, 0x30005
	s_cmp_gt_u32 s3, 6
	v_add_co_u32 v8, vcc_lo, s45, v8
	v_cvt_u32_f32_e32 v1, v1
	s_cselect_b32 s56, -1, 0
	s_and_b32 s57, s1, 0x7f8
	s_cmp_lg_u32 s55, 0
	v_lshlrev_b32_e32 v24, 2, v5
	v_readfirstlane_b32 s4, v1
	s_cselect_b32 s58, -1, 0
	s_sub_i32 s3, 0, s49
	v_mul_f32_e32 v1, 0x4f7ffffe, v2
	v_add_co_ci_u32_e32 v9, vcc_lo, s46, v9, vcc_lo
	s_mul_i32 s5, s3, s4
	v_mad_u64_u32 v[12:13], null, s39, v16, s[10:11]
	s_mul_hi_u32 s5, s4, s5
	v_cvt_u32_f32_e32 v1, v1
	s_add_i32 s59, s4, s5
	v_cmp_gt_u32_e64 s1, s36, v0
	s_mul_hi_u32 s5, s36, s59
	v_cmp_gt_i32_e64 s3, s36, v0
	s_mul_i32 s5, s5, s49
	v_cmp_eq_u32_e64 s4, 0, v15
	s_sub_i32 s5, s36, s5
	v_add_nc_u32_e32 v18, 0xc00, v17
	s_sub_i32 s6, s5, s49
	s_cmp_ge_u32 s5, s49
	v_lshlrev_b32_e32 v26, 3, v0
	s_cselect_b32 s5, s6, s5
	v_readfirstlane_b32 s6, v1
	s_sub_i32 s7, s5, s49
	s_cmp_ge_u32 s5, s49
	v_lshlrev_b64 v[1:2], v15, -1
	s_cselect_b32 s9, s7, s5
	v_mov_b32_e32 v28, 0
	s_sub_i32 s60, s36, s9
	s_sub_i32 s5, 0, s47
	v_add_nc_u32_e32 v19, s60, v0
	s_mul_i32 s5, s5, s6
	s_abs_i32 s7, s62
	s_mul_hi_u32 s5, s6, s5
	v_not_b32_e32 v21, v1
	v_mul_lo_u32 v2, v19, s39
	s_add_i32 s61, s6, s5
	v_lshl_or_b32 v27, v15, 2, 0xc00
	s_mul_hi_u32 s5, s7, s61
	s_mul_i32 s51, s39, s47
	s_mul_i32 s5, s5, s47
	s_mov_b32 s69, 14
	s_sub_i32 s5, s7, s5
	v_ashrrev_i32_e32 v3, 31, v2
	s_ashr_i32 s7, s62, 31
	s_sub_i32 s6, s5, s47
	s_cmp_ge_u32 s5, s47
	s_mov_b32 s72, 0
	v_lshlrev_b64 v[1:2], 1, v[2:3]
	s_cselect_b32 s5, s6, s5
	v_or_b32_e32 v3, 3, v16
	s_sub_i32 s6, s5, s47
	s_cmp_ge_u32 s5, s47
	s_mov_b32 s74, 0
	v_add_co_u32 v10, vcc_lo, s45, v1
	v_add3_u32 v1, s47, s36, v0
	s_cselect_b32 s6, s6, s5
	v_add_co_ci_u32_e32 v11, vcc_lo, s46, v2, vcc_lo
	v_or_b32_e32 v2, 2, v16
	s_delay_alu instid0(VALU_DEP_3)
	v_subrev_nc_u32_e32 v1, s9, v1
	s_xor_b32 s8, s6, s7
	v_mul_lo_u32 v23, s39, v3
	s_sub_i32 s7, s7, s8
	v_mul_lo_u32 v22, s39, v2
	v_mul_lo_u32 v25, s39, v1
	s_add_i32 s62, s62, s7
	v_cmp_gt_i32_e64 s5, s60, v16
	v_cmp_gt_u32_e64 s6, s36, v19
	v_cmp_gt_i32_e64 s7, s36, v19
	v_cmp_gt_i32_e64 s8, s62, v0
	s_lshl_b32 s63, s51, 2
	s_lshl_b32 s64, s47, 3
	;; [unrolled: 1-line block ×3, first 2 shown]
	s_mov_b32 s75, 0
                                        ; implicit-def: $sgpr66
                                        ; implicit-def: $sgpr68
                                        ; implicit-def: $sgpr67
                                        ; implicit-def: $sgpr71
                                        ; implicit-def: $sgpr73
                                        ; implicit-def: $sgpr70
	s_branch .LBB35_17
.LBB35_13:                              ;   in Loop: Header=BB35_17 Depth=1
	s_xor_b32 s72, s72, 1
	s_add_i32 s13, s69, -2
	s_cmp_eq_u32 s69, 0
	s_mov_b32 s9, 0
	s_cselect_b32 s11, -1, 0
	s_mov_b32 s69, s13
.LBB35_14:                              ;   in Loop: Header=BB35_17 Depth=1
	s_and_not1_b32 s13, s15, exec_lo
	s_and_b32 s9, s9, exec_lo
	s_and_not1_b32 s17, s17, exec_lo
	s_or_b32 s15, s13, s9
	s_and_not1_b32 s14, s14, exec_lo
	s_or_not1_b32 s13, s11, exec_lo
	s_mov_b32 s37, s22
.LBB35_15:                              ;   in Loop: Header=BB35_17 Depth=1
	s_or_b32 exec_lo, exec_lo, s10
	s_delay_alu instid0(SALU_CYCLE_1)
	s_and_not1_b32 s9, s70, exec_lo
	s_and_b32 s10, s15, exec_lo
	s_and_not1_b32 s11, s71, exec_lo
	s_or_b32 s70, s9, s10
	s_and_not1_b32 s9, s73, exec_lo
	s_and_b32 s10, s17, exec_lo
	s_and_b32 s14, s14, exec_lo
	s_or_b32 s73, s9, s10
	s_or_b32 s71, s11, s14
	s_or_not1_b32 s14, s13, exec_lo
.LBB35_16:                              ;   in Loop: Header=BB35_17 Depth=1
	s_or_b32 exec_lo, exec_lo, s12
	s_delay_alu instid0(SALU_CYCLE_1)
	s_and_b32 s9, exec_lo, s14
	v_mov_b32_e32 v1, s74
	s_or_b32 s48, s9, s48
	s_and_not1_b32 s9, s67, exec_lo
	s_and_b32 s10, s70, exec_lo
	s_and_not1_b32 s11, s66, exec_lo
	s_or_b32 s67, s9, s10
	s_and_not1_b32 s9, s68, exec_lo
	s_and_b32 s10, s73, exec_lo
	s_and_b32 s12, s71, exec_lo
	s_or_b32 s68, s9, s10
	s_or_b32 s66, s11, s12
	s_and_not1_b32 exec_lo, exec_lo, s48
	s_cbranch_execz .LBB35_248
.LBB35_17:                              ; =>This Loop Header: Depth=1
                                        ;     Child Loop BB35_22 Depth 2
                                        ;     Child Loop BB35_41 Depth 2
	;; [unrolled: 1-line block ×16, first 2 shown]
	ds_load_b64 v[1:2], v7 offset:4096
	s_waitcnt lgkmcnt(0)
	v_readfirstlane_b32 s76, v1
	s_delay_alu instid0(VALU_DEP_1)
	s_cmp_gt_i32 s76, 0
	s_cbranch_scc1 .LBB35_48
; %bb.18:                               ;   in Loop: Header=BB35_17 Depth=1
	s_and_b32 vcc_lo, exec_lo, s53
	s_cbranch_vccz .LBB35_30
; %bb.19:                               ;   in Loop: Header=BB35_17 Depth=1
	v_cmp_gt_i32_e32 vcc_lo, 0x601, v2
	s_mov_b32 s10, 0
	s_mov_b32 s9, 0
	s_cbranch_vccz .LBB35_35
; %bb.20:                               ;   in Loop: Header=BB35_17 Depth=1
	global_load_u16 v1, v7, s[42:43]
	global_load_u16 v4, v[8:9], off
	v_mov_b32_e32 v3, v0
	s_mov_b32 s11, 0
	s_waitcnt vmcnt(1)
	v_add_nc_u32_e32 v2, v0, v1
	s_delay_alu instid0(VALU_DEP_1)
	v_mul_lo_u32 v6, s39, v2
	v_mul_lo_u32 v2, s39, v1
	s_branch .LBB35_22
.LBB35_21:                              ;   in Loop: Header=BB35_22 Depth=2
	s_or_b32 exec_lo, exec_lo, s9
	v_cmp_le_i32_e32 vcc_lo, s36, v3
	v_add_nc_u32_e32 v6, v6, v2
	v_mov_b32_e32 v4, v13
	s_or_b32 s11, vcc_lo, s11
	s_delay_alu instid0(SALU_CYCLE_1)
	s_and_not1_b32 exec_lo, exec_lo, s11
	s_cbranch_execz .LBB35_31
.LBB35_22:                              ;   Parent Loop BB35_17 Depth=1
                                        ; =>  This Inner Loop Header: Depth=2
	s_waitcnt lgkmcnt(0)
	v_dual_mov_b32 v14, 0 :: v_dual_add_nc_u32 v3, v3, v1
	v_mov_b32_e32 v13, 0
	s_mov_b32 s9, exec_lo
	s_delay_alu instid0(VALU_DEP_2)
	v_cmpx_gt_u32_e64 s36, v3
	s_cbranch_execz .LBB35_24
; %bb.23:                               ;   in Loop: Header=BB35_22 Depth=2
	v_lshlrev_b64 v[29:30], 1, v[6:7]
	s_delay_alu instid0(VALU_DEP_1) | instskip(NEXT) | instid1(VALU_DEP_2)
	v_add_co_u32 v29, vcc_lo, s45, v29
	v_add_co_ci_u32_e32 v30, vcc_lo, s46, v30, vcc_lo
	global_load_u16 v13, v[29:30], off
.LBB35_24:                              ;   in Loop: Header=BB35_22 Depth=2
	s_or_b32 exec_lo, exec_lo, s9
	s_waitcnt vmcnt(0)
	v_bfe_i32 v29, v4, 0, 16
	s_delay_alu instid0(VALU_DEP_1) | instskip(NEXT) | instid1(VALU_DEP_1)
	v_add_nc_u32_e32 v29, 0x8000, v29
	v_and_b32_e32 v29, s75, v29
	s_delay_alu instid0(VALU_DEP_1) | instskip(SKIP_2) | instid1(SALU_CYCLE_1)
	v_cmp_eq_u32_e32 vcc_lo, s74, v29
	s_cmp_lg_u32 vcc_lo, 0
	s_cselect_b32 s9, -1, 0
	s_and_b32 s9, s4, s9
	s_delay_alu instid0(SALU_CYCLE_1)
	s_and_saveexec_b32 s12, s9
	s_cbranch_execz .LBB35_28
; %bb.25:                               ;   in Loop: Header=BB35_22 Depth=2
	s_mov_b32 s15, exec_lo
	s_bcnt1_i32_b32 s13, vcc_lo
	v_mbcnt_lo_u32_b32 v14, s15, 0
	s_mov_b32 s14, exec_lo
                                        ; implicit-def: $vgpr29
	s_delay_alu instid0(VALU_DEP_1)
	v_cmpx_eq_u32_e32 0, v14
	s_cbranch_execz .LBB35_27
; %bb.26:                               ;   in Loop: Header=BB35_22 Depth=2
	s_bcnt1_i32_b32 s9, s15
	s_delay_alu instid0(SALU_CYCLE_1) | instskip(NEXT) | instid1(SALU_CYCLE_1)
	s_mul_i32 s9, s13, s9
	v_mov_b32_e32 v29, s9
	ds_add_rtn_u32 v29, v7, v29 offset:4104
.LBB35_27:                              ;   in Loop: Header=BB35_22 Depth=2
	s_or_b32 exec_lo, exec_lo, s14
	s_waitcnt lgkmcnt(0)
	v_readfirstlane_b32 s9, v29
	s_delay_alu instid0(VALU_DEP_1)
	v_mad_u32_u24 v14, s13, v14, s9
.LBB35_28:                              ;   in Loop: Header=BB35_22 Depth=2
	s_or_b32 exec_lo, exec_lo, s12
	ds_bpermute_b32 v14, v7, v14
	s_and_saveexec_b32 s9, vcc_lo
	s_cbranch_execz .LBB35_21
; %bb.29:                               ;   in Loop: Header=BB35_22 Depth=2
	v_and_b32_e32 v29, vcc_lo, v21
	s_delay_alu instid0(VALU_DEP_1) | instskip(NEXT) | instid1(VALU_DEP_1)
	v_bcnt_u32_b32 v29, v29, 0
	v_lshlrev_b32_e32 v29, 1, v29
	s_waitcnt lgkmcnt(0)
	s_delay_alu instid0(VALU_DEP_1)
	v_lshl_add_u32 v14, v14, 1, v29
	ds_store_b16 v14, v4
	s_branch .LBB35_21
.LBB35_30:                              ;   in Loop: Header=BB35_17 Depth=1
	s_mov_b32 s10, -1
	s_mov_b32 s9, 0
	s_branch .LBB35_34
.LBB35_31:                              ;   in Loop: Header=BB35_17 Depth=1
	s_or_b32 exec_lo, exec_lo, s11
	s_waitcnt lgkmcnt(0)
	s_barrier
	buffer_gl0_inv
	s_and_saveexec_b32 s9, s2
	s_cbranch_execz .LBB35_33
; %bb.32:                               ;   in Loop: Header=BB35_17 Depth=1
	ds_load_b32 v1, v7 offset:4104
	s_waitcnt lgkmcnt(0)
	ds_store_b32 v7, v1 offset:4096
.LBB35_33:                              ;   in Loop: Header=BB35_17 Depth=1
	s_or_b32 exec_lo, exec_lo, s9
	s_waitcnt lgkmcnt(0)
	s_mov_b32 s9, -1
	s_barrier
.LBB35_34:                              ;   in Loop: Header=BB35_17 Depth=1
                                        ; implicit-def: $sgpr76
.LBB35_35:                              ;   in Loop: Header=BB35_17 Depth=1
	s_and_b32 vcc_lo, exec_lo, s10
	s_cbranch_vccz .LBB35_46
; %bb.36:                               ;   in Loop: Header=BB35_17 Depth=1
	v_mov_b32_e32 v1, 0
	s_and_saveexec_b32 s9, s1
	s_cbranch_execz .LBB35_38
; %bb.37:                               ;   in Loop: Header=BB35_17 Depth=1
	global_load_u16 v1, v[8:9], off
.LBB35_38:                              ;   in Loop: Header=BB35_17 Depth=1
	s_or_b32 exec_lo, exec_lo, s9
	s_and_saveexec_b32 s9, s3
	s_cbranch_execz .LBB35_43
; %bb.39:                               ;   in Loop: Header=BB35_17 Depth=1
	global_load_u16 v2, v7, s[42:43]
	v_mov_b32_e32 v14, v0
	s_mov_b32 s10, 0
	v_mov_b32_e32 v13, v17
	s_waitcnt vmcnt(0)
	v_add_nc_u32_e32 v3, v0, v2
	v_lshlrev_b32_e32 v4, 1, v2
	s_delay_alu instid0(VALU_DEP_2)
	v_mul_lo_u32 v6, s39, v3
	v_mul_lo_u32 v3, s39, v2
	s_branch .LBB35_41
	.p2align	6
.LBB35_40:                              ;   in Loop: Header=BB35_41 Depth=2
	s_or_b32 exec_lo, exec_lo, s11
	v_cmp_le_i32_e32 vcc_lo, s36, v14
	ds_store_b16 v13, v1
	v_add_nc_u32_e32 v13, v13, v4
	s_waitcnt vmcnt(0)
	v_dual_mov_b32 v1, v29 :: v_dual_add_nc_u32 v6, v6, v3
	s_or_b32 s10, vcc_lo, s10
	s_delay_alu instid0(SALU_CYCLE_1)
	s_and_not1_b32 exec_lo, exec_lo, s10
	s_cbranch_execz .LBB35_43
.LBB35_41:                              ;   Parent Loop BB35_17 Depth=1
                                        ; =>  This Inner Loop Header: Depth=2
	v_dual_mov_b32 v29, 0 :: v_dual_add_nc_u32 v14, v14, v2
	s_mov_b32 s11, exec_lo
	s_delay_alu instid0(VALU_DEP_1)
	v_cmpx_gt_u32_e64 s36, v14
	s_cbranch_execz .LBB35_40
; %bb.42:                               ;   in Loop: Header=BB35_41 Depth=2
	s_delay_alu instid0(VALU_DEP_3) | instskip(NEXT) | instid1(VALU_DEP_1)
	v_lshlrev_b64 v[29:30], 1, v[6:7]
	v_add_co_u32 v29, vcc_lo, s45, v29
	s_delay_alu instid0(VALU_DEP_2)
	v_add_co_ci_u32_e32 v30, vcc_lo, s46, v30, vcc_lo
	global_load_u16 v29, v[29:30], off
	s_branch .LBB35_40
.LBB35_43:                              ;   in Loop: Header=BB35_17 Depth=1
	s_or_b32 exec_lo, exec_lo, s9
	s_waitcnt vmcnt(0) lgkmcnt(0)
	s_barrier
	buffer_gl0_inv
	s_and_saveexec_b32 s9, s2
	s_cbranch_execz .LBB35_45
; %bb.44:                               ;   in Loop: Header=BB35_17 Depth=1
	v_mov_b32_e32 v1, s36
	ds_store_b32 v7, v1 offset:4096
.LBB35_45:                              ;   in Loop: Header=BB35_17 Depth=1
	s_or_b32 exec_lo, exec_lo, s9
	s_mov_b32 s9, -1
	s_waitcnt lgkmcnt(0)
	s_barrier
                                        ; implicit-def: $sgpr76
.LBB35_46:                              ;   in Loop: Header=BB35_17 Depth=1
	s_and_b32 vcc_lo, exec_lo, s9
	s_cbranch_vccz .LBB35_48
; %bb.47:                               ;   in Loop: Header=BB35_17 Depth=1
	buffer_gl0_inv
	ds_load_b32 v1, v7 offset:4096
	s_waitcnt lgkmcnt(0)
	v_readfirstlane_b32 s76, v1
.LBB35_48:                              ;   in Loop: Header=BB35_17 Depth=1
	s_delay_alu instid0(VALU_DEP_1)
	s_cmp_lt_i32 s76, 1
	s_cbranch_scc0 .LBB35_52
; %bb.49:                               ;   in Loop: Header=BB35_17 Depth=1
	v_dual_mov_b32 v1, 0 :: v_dual_mov_b32 v2, 0
	v_dual_mov_b32 v3, 0 :: v_dual_mov_b32 v4, 0
	s_mov_b32 s78, 0
	s_and_saveexec_b32 s77, s5
	s_cbranch_execnz .LBB35_53
; %bb.50:                               ;   in Loop: Header=BB35_17 Depth=1
	s_or_b32 exec_lo, exec_lo, s77
	v_mov_b32_e32 v29, 0
	s_and_saveexec_b32 s9, s6
	s_cbranch_execnz .LBB35_56
.LBB35_51:                              ;   in Loop: Header=BB35_17 Depth=1
	s_or_b32 exec_lo, exec_lo, s9
	s_and_saveexec_b32 s13, s7
	s_cbranch_execnz .LBB35_57
	s_branch .LBB35_62
.LBB35_52:                              ;   in Loop: Header=BB35_17 Depth=1
                                        ; implicit-def: $vgpr4
	s_cbranch_execnz .LBB35_63
	s_branch .LBB35_72
.LBB35_53:                              ;   in Loop: Header=BB35_17 Depth=1
	v_mov_b32_e32 v6, v16
	s_and_b32 s79, s69, 0xfe
	s_mov_b32 s80, 0
	s_mov_b32 s81, 0
	;; [unrolled: 1-line block ×5, first 2 shown]
.LBB35_54:                              ;   Parent Loop BB35_17 Depth=1
                                        ; =>  This Inner Loop Header: Depth=2
	v_add_nc_u32_e32 v1, s80, v24
	v_add_nc_u32_e32 v3, s80, v12
	;; [unrolled: 1-line block ×4, first 2 shown]
	s_add_i32 s80, s80, s63
	v_ashrrev_i32_e32 v2, 31, v1
	v_ashrrev_i32_e32 v4, 31, v3
	;; [unrolled: 1-line block ×4, first 2 shown]
	s_delay_alu instid0(VALU_DEP_4) | instskip(NEXT) | instid1(VALU_DEP_4)
	v_lshlrev_b64 v[1:2], 1, v[1:2]
	v_lshlrev_b64 v[3:4], 1, v[3:4]
	s_delay_alu instid0(VALU_DEP_4) | instskip(NEXT) | instid1(VALU_DEP_4)
	v_lshlrev_b64 v[13:14], 1, v[13:14]
	v_lshlrev_b64 v[29:30], 1, v[29:30]
	s_delay_alu instid0(VALU_DEP_4)
	v_add_co_u32 v1, vcc_lo, s45, v1
	v_add_co_ci_u32_e32 v2, vcc_lo, s46, v2, vcc_lo
	v_add_co_u32 v3, vcc_lo, s45, v3
	v_add_co_ci_u32_e32 v4, vcc_lo, s46, v4, vcc_lo
	;; [unrolled: 2-line block ×4, first 2 shown]
	s_clause 0x3
	global_load_i16 v1, v[1:2], off
	global_load_i16 v2, v[3:4], off
	;; [unrolled: 1-line block ×4, first 2 shown]
	s_waitcnt vmcnt(3)
	v_add_nc_u32_e32 v1, 0x8000, v1
	s_waitcnt vmcnt(2)
	v_add_nc_u32_e32 v2, 0x8000, v2
	;; [unrolled: 2-line block ×4, first 2 shown]
	v_and_b32_e32 v13, s75, v1
	v_bfe_u32 v1, v1, s79, 2
	v_and_b32_e32 v14, s75, v2
	v_bfe_u32 v2, v2, s79, 2
	;; [unrolled: 2-line block ×3, first 2 shown]
	v_cmp_eq_u32_e64 s9, s74, v13
	v_cmp_eq_u32_e64 s13, 0, v1
	v_and_b32_e32 v30, s75, v4
	v_bfe_u32 v4, v4, s79, 2
	v_cmp_eq_u32_e64 s10, s74, v14
	v_cmp_eq_u32_e64 s14, 0, v2
	v_cmp_eq_u32_e64 s11, s74, v29
	v_cmp_eq_u32_e64 s15, 0, v3
	s_and_b32 s13, s9, s13
	v_cmp_eq_u32_e64 s12, s74, v30
	v_cmp_eq_u32_e64 s16, 0, v4
	;; [unrolled: 1-line block ×5, first 2 shown]
	v_cndmask_b32_e64 v1, 0, 1, s13
	s_and_b32 s13, s10, s14
	v_cmp_eq_u32_e64 s18, 1, v2
	v_cmp_eq_u32_e64 s22, 2, v2
	v_cmp_eq_u32_e64 s26, 3, v2
	v_cndmask_b32_e64 v2, 0, 1, s13
	s_and_b32 s13, s11, s15
	v_cmp_eq_u32_e64 s19, 1, v3
	v_cmp_eq_u32_e64 s23, 2, v3
	v_cmp_eq_u32_e64 s27, 3, v3
	;; [unrolled: 5-line block ×3, first 2 shown]
	v_cndmask_b32_e64 v4, 0, 1, s13
	s_and_b32 s13, s9, s17
	s_delay_alu instid0(SALU_CYCLE_1) | instskip(SKIP_1) | instid1(SALU_CYCLE_1)
	v_cndmask_b32_e64 v13, 0, 1, s13
	s_and_b32 s13, s10, s18
	v_cndmask_b32_e64 v14, 0, 1, s13
	s_and_b32 s13, s11, s19
	s_delay_alu instid0(SALU_CYCLE_1) | instskip(SKIP_1) | instid1(VALU_DEP_2)
	v_cndmask_b32_e64 v29, 0, 1, s13
	s_and_b32 s13, s12, s20
	v_cmp_ne_u32_e64 s14, 0, v14
	v_cndmask_b32_e64 v30, 0, 1, s13
	s_and_b32 s13, s9, s21
	s_and_b32 s9, s9, s25
	v_cndmask_b32_e64 v31, 0, 1, s13
	v_cndmask_b32_e64 v35, 0, 1, s9
	s_and_b32 s9, s10, s26
	s_and_b32 s13, s10, s22
	v_cndmask_b32_e64 v36, 0, 1, s9
	s_and_b32 s9, s11, s27
	v_cndmask_b32_e64 v32, 0, 1, s13
	v_cndmask_b32_e64 v37, 0, 1, s9
	s_and_b32 s9, s12, s28
	s_and_b32 s13, s11, s23
	v_cndmask_b32_e64 v38, 0, 1, s9
	v_cmp_ne_u32_e64 s9, 0, v1
	v_cmp_ne_u32_e64 s10, 0, v2
	v_cndmask_b32_e64 v33, 0, 1, s13
	s_and_b32 s13, s12, s24
	v_cmp_ne_u32_e64 s11, 0, v3
	v_cndmask_b32_e64 v34, 0, 1, s13
	v_cmp_ne_u32_e64 s13, 0, v13
	v_cmp_ne_u32_e64 s17, 0, v31
	;; [unrolled: 1-line block ×3, first 2 shown]
	s_bcnt1_i32_b32 s9, s9
	v_cmp_ne_u32_e64 s12, 0, v4
	v_cmp_ne_u32_e64 s18, 0, v32
	;; [unrolled: 1-line block ×3, first 2 shown]
	s_bcnt1_i32_b32 s10, s10
	s_add_i32 s9, s9, s84
	v_cmp_ne_u32_e64 s15, 0, v29
	v_cmp_ne_u32_e64 s19, 0, v33
	;; [unrolled: 1-line block ×3, first 2 shown]
	s_bcnt1_i32_b32 s11, s11
	s_add_i32 s9, s9, s10
	s_bcnt1_i32_b32 s13, s13
	s_bcnt1_i32_b32 s17, s17
	;; [unrolled: 1-line block ×3, first 2 shown]
	v_cmp_ne_u32_e64 s16, 0, v30
	v_cmp_ne_u32_e64 s20, 0, v34
	v_cmp_ne_u32_e64 s24, 0, v38
	s_bcnt1_i32_b32 s12, s12
	s_add_i32 s9, s9, s11
	s_bcnt1_i32_b32 s14, s14
	s_bcnt1_i32_b32 s18, s18
	;; [unrolled: 1-line block ×3, first 2 shown]
	s_add_i32 s13, s13, s83
	s_add_i32 s17, s17, s82
	;; [unrolled: 1-line block ×4, first 2 shown]
	s_delay_alu instid0(SALU_CYCLE_1)
	v_dual_mov_b32 v1, s84 :: v_dual_add_nc_u32 v6, s49, v6
	s_bcnt1_i32_b32 s15, s15
	s_bcnt1_i32_b32 s19, s19
	;; [unrolled: 1-line block ×3, first 2 shown]
	s_add_i32 s10, s13, s14
	s_add_i32 s13, s17, s18
	;; [unrolled: 1-line block ×3, first 2 shown]
	s_bcnt1_i32_b32 s16, s16
	s_bcnt1_i32_b32 s20, s20
	s_bcnt1_i32_b32 s24, s24
	s_add_i32 s10, s10, s15
	s_add_i32 s11, s13, s19
	;; [unrolled: 1-line block ×3, first 2 shown]
	v_cmp_le_i32_e32 vcc_lo, s60, v6
	s_add_i32 s83, s10, s16
	s_add_i32 s82, s11, s20
	s_add_i32 s81, s13, s24
	v_dual_mov_b32 v2, s83 :: v_dual_mov_b32 v3, s82
	v_mov_b32_e32 v4, s81
	s_or_b32 s78, vcc_lo, s78
	s_delay_alu instid0(SALU_CYCLE_1)
	s_and_not1_b32 exec_lo, exec_lo, s78
	s_cbranch_execnz .LBB35_54
; %bb.55:                               ;   in Loop: Header=BB35_17 Depth=1
	s_or_b32 exec_lo, exec_lo, s78
	s_delay_alu instid0(SALU_CYCLE_1)
	s_or_b32 exec_lo, exec_lo, s77
	v_mov_b32_e32 v29, 0
	s_and_saveexec_b32 s9, s6
	s_cbranch_execz .LBB35_51
.LBB35_56:                              ;   in Loop: Header=BB35_17 Depth=1
	global_load_u16 v29, v[10:11], off
	s_or_b32 exec_lo, exec_lo, s9
	s_and_saveexec_b32 s13, s7
	s_cbranch_execz .LBB35_62
.LBB35_57:                              ;   in Loop: Header=BB35_17 Depth=1
	v_dual_mov_b32 v13, v25 :: v_dual_mov_b32 v6, v19
	s_and_b32 s15, s69, 0xfe
	s_mov_b32 s14, 0
	s_branch .LBB35_59
.LBB35_58:                              ;   in Loop: Header=BB35_59 Depth=2
	s_or_b32 exec_lo, exec_lo, s9
	s_waitcnt vmcnt(0)
	v_bfe_i32 v29, v29, 0, 16
	v_add_nc_u32_e32 v13, s51, v13
	s_delay_alu instid0(VALU_DEP_2) | instskip(NEXT) | instid1(VALU_DEP_1)
	v_add_nc_u32_e32 v29, 0x8000, v29
	v_and_b32_e32 v30, s75, v29
	v_bfe_u32 v29, v29, s15, 2
	s_delay_alu instid0(VALU_DEP_2) | instskip(NEXT) | instid1(VALU_DEP_2)
	v_cmp_eq_u32_e32 vcc_lo, s74, v30
	v_cmp_eq_u32_e64 s9, 0, v29
	v_cmp_eq_u32_e64 s10, 1, v29
	;; [unrolled: 1-line block ×4, first 2 shown]
	s_delay_alu instid0(VALU_DEP_4) | instskip(NEXT) | instid1(SALU_CYCLE_1)
	s_and_b32 s9, vcc_lo, s9
	v_cndmask_b32_e64 v29, 0, 1, s9
	s_and_b32 s9, vcc_lo, s10
	s_delay_alu instid0(SALU_CYCLE_1) | instskip(SKIP_1) | instid1(SALU_CYCLE_1)
	v_cndmask_b32_e64 v30, 0, 1, s9
	s_and_b32 s9, vcc_lo, s11
	v_cndmask_b32_e64 v31, 0, 1, s9
	s_and_b32 s9, vcc_lo, s12
	v_cmp_ne_u32_e32 vcc_lo, 0, v29
	v_mov_b32_e32 v29, v14
	v_cndmask_b32_e64 v32, 0, 1, s9
	v_cmp_ne_u32_e64 s9, 0, v30
	v_cmp_ne_u32_e64 s10, 0, v31
	v_cmp_le_i32_e64 s12, s36, v6
	s_bcnt1_i32_b32 s16, vcc_lo
	v_cmp_ne_u32_e64 s11, 0, v32
	s_bcnt1_i32_b32 s9, s9
	s_bcnt1_i32_b32 s10, s10
	v_add_nc_u32_e32 v1, s16, v1
	v_add_nc_u32_e32 v2, s9, v2
	s_bcnt1_i32_b32 s11, s11
	v_add_nc_u32_e32 v3, s10, v3
	v_add_nc_u32_e32 v4, s11, v4
	s_or_b32 s14, s12, s14
	s_delay_alu instid0(SALU_CYCLE_1)
	s_and_not1_b32 exec_lo, exec_lo, s14
	s_cbranch_execz .LBB35_61
.LBB35_59:                              ;   Parent Loop BB35_17 Depth=1
                                        ; =>  This Inner Loop Header: Depth=2
	s_delay_alu instid0(VALU_DEP_1) | instskip(SKIP_2) | instid1(VALU_DEP_2)
	v_add_nc_u32_e32 v6, s47, v6
	v_mov_b32_e32 v14, 0
	s_mov_b32 s9, exec_lo
	v_cmpx_gt_u32_e64 s36, v6
	s_cbranch_execz .LBB35_58
; %bb.60:                               ;   in Loop: Header=BB35_59 Depth=2
	v_ashrrev_i32_e32 v14, 31, v13
	s_delay_alu instid0(VALU_DEP_1) | instskip(NEXT) | instid1(VALU_DEP_1)
	v_lshlrev_b64 v[30:31], 1, v[13:14]
	v_add_co_u32 v30, vcc_lo, s45, v30
	s_delay_alu instid0(VALU_DEP_2)
	v_add_co_ci_u32_e32 v31, vcc_lo, s46, v31, vcc_lo
	global_load_u16 v14, v[30:31], off
	s_branch .LBB35_58
.LBB35_61:                              ;   in Loop: Header=BB35_17 Depth=1
	s_or_b32 exec_lo, exec_lo, s14
.LBB35_62:                              ;   in Loop: Header=BB35_17 Depth=1
	s_delay_alu instid0(SALU_CYCLE_1)
	s_or_b32 exec_lo, exec_lo, s13
	s_branch .LBB35_72
.LBB35_63:                              ;   in Loop: Header=BB35_17 Depth=1
	s_mul_hi_u32 s9, s76, s59
	v_dual_mov_b32 v1, 0 :: v_dual_mov_b32 v2, 0
	s_mul_i32 s9, s9, s49
	v_dual_mov_b32 v3, 0 :: v_dual_mov_b32 v4, 0
	s_sub_i32 s9, s76, s9
	s_mov_b32 s79, 0
	s_sub_i32 s10, s9, s49
	s_cmp_ge_u32 s9, s49
	s_mov_b32 s78, exec_lo
	s_cselect_b32 s9, s10, s9
	s_delay_alu instid0(SALU_CYCLE_1) | instskip(SKIP_2) | instid1(SALU_CYCLE_1)
	s_sub_i32 s10, s9, s49
	s_cmp_ge_u32 s9, s49
	s_cselect_b32 s9, s10, s9
	s_sub_i32 s77, s76, s9
	s_delay_alu instid0(SALU_CYCLE_1)
	v_cmpx_gt_u32_e64 s77, v16
	s_cbranch_execz .LBB35_67
; %bb.64:                               ;   in Loop: Header=BB35_17 Depth=1
	v_dual_mov_b32 v6, v26 :: v_dual_mov_b32 v13, v16
	s_and_b32 s80, s69, 0xfe
	s_mov_b32 s81, 0
	s_mov_b32 s82, 0
	;; [unrolled: 1-line block ×4, first 2 shown]
.LBB35_65:                              ;   Parent Loop BB35_17 Depth=1
                                        ; =>  This Inner Loop Header: Depth=2
	ds_load_b64 v[1:2], v6
	s_waitcnt lgkmcnt(0)
	v_bfe_i32 v3, v1, 0, 16
	v_ashrrev_i32_e32 v1, 16, v1
	v_bfe_i32 v4, v2, 0, 16
	v_ashrrev_i32_e32 v2, 16, v2
	s_delay_alu instid0(VALU_DEP_4) | instskip(NEXT) | instid1(VALU_DEP_4)
	v_add_nc_u32_e32 v3, 0x8000, v3
	v_add_nc_u32_e32 v1, 0x8000, v1
	s_delay_alu instid0(VALU_DEP_4) | instskip(NEXT) | instid1(VALU_DEP_4)
	v_add_nc_u32_e32 v4, 0x8000, v4
	v_add_nc_u32_e32 v2, 0x8000, v2
	s_delay_alu instid0(VALU_DEP_4)
	v_and_b32_e32 v14, s75, v3
	v_bfe_u32 v3, v3, s80, 2
	s_waitcnt vmcnt(0)
	v_and_b32_e32 v29, s75, v1
	v_bfe_u32 v1, v1, s80, 2
	v_and_b32_e32 v30, s75, v4
	v_bfe_u32 v4, v4, s80, 2
	v_cmp_eq_u32_e64 s9, s74, v14
	v_cmp_eq_u32_e64 s13, 0, v3
	v_and_b32_e32 v31, s75, v2
	v_bfe_u32 v2, v2, s80, 2
	v_cmp_eq_u32_e64 s10, s74, v29
	v_cmp_eq_u32_e64 s14, 0, v1
	v_cmp_eq_u32_e64 s11, s74, v30
	v_cmp_eq_u32_e64 s15, 0, v4
	s_and_b32 s13, s9, s13
	v_cmp_eq_u32_e64 s12, s74, v31
	v_cmp_eq_u32_e64 s16, 0, v2
	;; [unrolled: 1-line block ×5, first 2 shown]
	v_cndmask_b32_e64 v1, 0, 1, s13
	s_and_b32 s13, s10, s14
	v_cmp_eq_u32_e64 s17, 1, v3
	v_cmp_eq_u32_e64 s20, 1, v2
	;; [unrolled: 1-line block ×4, first 2 shown]
	v_cndmask_b32_e64 v2, 0, 1, s13
	s_and_b32 s13, s11, s15
	v_cmp_eq_u32_e64 s21, 2, v3
	v_cmp_eq_u32_e64 s25, 3, v3
	v_cndmask_b32_e64 v3, 0, 1, s13
	s_and_b32 s13, s12, s16
	v_cmp_eq_u32_e64 s19, 1, v4
	v_cmp_eq_u32_e64 s23, 2, v4
	;; [unrolled: 1-line block ×3, first 2 shown]
	v_cndmask_b32_e64 v4, 0, 1, s13
	s_and_b32 s13, s9, s17
	s_delay_alu instid0(SALU_CYCLE_1) | instskip(SKIP_1) | instid1(SALU_CYCLE_1)
	v_cndmask_b32_e64 v14, 0, 1, s13
	s_and_b32 s13, s10, s18
	v_cndmask_b32_e64 v29, 0, 1, s13
	s_and_b32 s13, s11, s19
	s_delay_alu instid0(SALU_CYCLE_1) | instskip(SKIP_1) | instid1(VALU_DEP_2)
	v_cndmask_b32_e64 v30, 0, 1, s13
	s_and_b32 s13, s12, s20
	v_cmp_ne_u32_e64 s14, 0, v29
	v_cndmask_b32_e64 v31, 0, 1, s13
	s_and_b32 s13, s9, s21
	s_and_b32 s9, s9, s25
	v_cndmask_b32_e64 v32, 0, 1, s13
	s_and_b32 s13, s10, s22
	v_cndmask_b32_e64 v36, 0, 1, s9
	;; [unrolled: 2-line block ×7, first 2 shown]
	v_cndmask_b32_e64 v39, 0, 1, s9
	v_cmp_ne_u32_e64 s9, 0, v1
	v_cmp_ne_u32_e64 s13, 0, v14
	;; [unrolled: 1-line block ×6, first 2 shown]
	s_bcnt1_i32_b32 s9, s9
	s_bcnt1_i32_b32 s13, s13
	v_cmp_ne_u32_e64 s16, 0, v31
	v_cmp_ne_u32_e64 s18, 0, v33
	;; [unrolled: 1-line block ×3, first 2 shown]
	s_bcnt1_i32_b32 s10, s10
	s_bcnt1_i32_b32 s14, s14
	s_add_i32 s9, s9, s84
	s_add_i32 s13, s13, s83
	v_cmp_ne_u32_e64 s11, 0, v3
	v_cmp_ne_u32_e64 s19, 0, v34
	;; [unrolled: 1-line block ×3, first 2 shown]
	s_bcnt1_i32_b32 s15, s15
	s_add_i32 s9, s9, s10
	s_add_i32 s10, s13, s14
	s_bcnt1_i32_b32 s17, s17
	s_bcnt1_i32_b32 s21, s21
	v_cmp_ne_u32_e64 s12, 0, v4
	v_cmp_ne_u32_e64 s20, 0, v35
	;; [unrolled: 1-line block ×3, first 2 shown]
	s_bcnt1_i32_b32 s16, s16
	s_add_i32 s10, s10, s15
	s_bcnt1_i32_b32 s18, s18
	s_bcnt1_i32_b32 s22, s22
	s_add_i32 s17, s17, s82
	s_add_i32 s21, s21, s81
	;; [unrolled: 1-line block ×3, first 2 shown]
	s_delay_alu instid0(SALU_CYCLE_1)
	v_dual_mov_b32 v2, s83 :: v_dual_add_nc_u32 v13, s49, v13
	s_bcnt1_i32_b32 s11, s11
	s_bcnt1_i32_b32 s19, s19
	;; [unrolled: 1-line block ×3, first 2 shown]
	s_add_i32 s13, s17, s18
	s_add_i32 s14, s21, s22
	s_bcnt1_i32_b32 s12, s12
	s_bcnt1_i32_b32 s20, s20
	;; [unrolled: 1-line block ×3, first 2 shown]
	s_add_i32 s9, s9, s11
	s_add_i32 s11, s13, s19
	;; [unrolled: 1-line block ×3, first 2 shown]
	v_cmp_le_i32_e32 vcc_lo, s77, v13
	s_add_i32 s84, s9, s12
	s_add_i32 s82, s11, s20
	;; [unrolled: 1-line block ×3, first 2 shown]
	v_dual_mov_b32 v1, s84 :: v_dual_add_nc_u32 v6, s64, v6
	v_dual_mov_b32 v3, s82 :: v_dual_mov_b32 v4, s81
	s_or_b32 s79, vcc_lo, s79
	s_delay_alu instid0(SALU_CYCLE_1)
	s_and_not1_b32 exec_lo, exec_lo, s79
	s_cbranch_execnz .LBB35_65
; %bb.66:                               ;   in Loop: Header=BB35_17 Depth=1
	s_or_b32 exec_lo, exec_lo, s79
.LBB35_67:                              ;   in Loop: Header=BB35_17 Depth=1
	s_delay_alu instid0(SALU_CYCLE_1) | instskip(SKIP_2) | instid1(VALU_DEP_1)
	s_or_b32 exec_lo, exec_lo, s78
	v_add_nc_u32_e32 v6, s77, v0
	s_mov_b32 s14, exec_lo
	v_cmpx_gt_i32_e64 s76, v6
	s_cbranch_execz .LBB35_71
; %bb.68:                               ;   in Loop: Header=BB35_17 Depth=1
	v_lshlrev_b32_e32 v13, 1, v6
	s_and_b32 s16, s69, 0xfe
	s_mov_b32 s15, 0
.LBB35_69:                              ;   Parent Loop BB35_17 Depth=1
                                        ; =>  This Inner Loop Header: Depth=2
	ds_load_i16 v14, v13
	v_add_nc_u32_e32 v6, s47, v6
	v_add_nc_u32_e32 v13, s65, v13
	s_delay_alu instid0(VALU_DEP_2) | instskip(SKIP_3) | instid1(VALU_DEP_1)
	v_cmp_le_i32_e32 vcc_lo, s76, v6
	s_waitcnt lgkmcnt(0)
	v_add_nc_u32_e32 v14, 0x8000, v14
	s_waitcnt vmcnt(0)
	v_and_b32_e32 v29, s75, v14
	v_bfe_u32 v14, v14, s16, 2
	s_delay_alu instid0(VALU_DEP_2) | instskip(NEXT) | instid1(VALU_DEP_2)
	v_cmp_eq_u32_e64 s9, s74, v29
	v_cmp_eq_u32_e64 s10, 0, v14
	;; [unrolled: 1-line block ×5, first 2 shown]
	s_delay_alu instid0(VALU_DEP_4) | instskip(NEXT) | instid1(SALU_CYCLE_1)
	s_and_b32 s10, s9, s10
	v_cndmask_b32_e64 v14, 0, 1, s10
	s_and_b32 s10, s9, s11
	s_delay_alu instid0(SALU_CYCLE_1)
	v_cndmask_b32_e64 v29, 0, 1, s10
	s_and_b32 s10, s9, s12
	s_and_b32 s9, s9, s13
	v_cndmask_b32_e64 v30, 0, 1, s10
	v_cndmask_b32_e64 v31, 0, 1, s9
	v_cmp_ne_u32_e64 s9, 0, v14
	v_cmp_ne_u32_e64 s10, 0, v29
	s_delay_alu instid0(VALU_DEP_4) | instskip(NEXT) | instid1(VALU_DEP_4)
	v_cmp_ne_u32_e64 s11, 0, v30
	v_cmp_ne_u32_e64 s12, 0, v31
	s_delay_alu instid0(VALU_DEP_4) | instskip(NEXT) | instid1(VALU_DEP_3)
	s_bcnt1_i32_b32 s9, s9
	s_bcnt1_i32_b32 s10, s10
	v_add_nc_u32_e32 v1, s9, v1
	s_bcnt1_i32_b32 s11, s11
	s_bcnt1_i32_b32 s12, s12
	v_add_nc_u32_e32 v2, s10, v2
	v_add_nc_u32_e32 v3, s11, v3
	;; [unrolled: 1-line block ×3, first 2 shown]
	s_or_b32 s15, vcc_lo, s15
	s_delay_alu instid0(SALU_CYCLE_1)
	s_and_not1_b32 exec_lo, exec_lo, s15
	s_cbranch_execnz .LBB35_69
; %bb.70:                               ;   in Loop: Header=BB35_17 Depth=1
	s_or_b32 exec_lo, exec_lo, s15
.LBB35_71:                              ;   in Loop: Header=BB35_17 Depth=1
	s_delay_alu instid0(SALU_CYCLE_1)
	s_or_b32 exec_lo, exec_lo, s14
.LBB35_72:                              ;   in Loop: Header=BB35_17 Depth=1
	s_lshl_b32 s9, s72, 7
	s_and_saveexec_b32 s10, s4
	s_cbranch_execz .LBB35_74
; %bb.73:                               ;   in Loop: Header=BB35_17 Depth=1
	v_or_b32_e32 v6, s9, v20
	s_delay_alu instid0(VALU_DEP_1)
	v_lshlrev_b32_e32 v6, 2, v6
	ds_store_b128 v6, v[1:4] offset:3072
.LBB35_74:                              ;   in Loop: Header=BB35_17 Depth=1
	s_or_b32 exec_lo, exec_lo, s10
	s_waitcnt vmcnt(0) lgkmcnt(0)
	s_barrier
	buffer_gl0_inv
	s_and_saveexec_b32 s10, s50
	s_cbranch_execz .LBB35_84
; %bb.75:                               ;   in Loop: Header=BB35_17 Depth=1
	v_mov_b32_e32 v1, 0
	s_and_not1_b32 vcc_lo, exec_lo, s54
	s_cbranch_vccnz .LBB35_83
; %bb.76:                               ;   in Loop: Header=BB35_17 Depth=1
	v_mov_b32_e32 v1, 0
	s_and_not1_b32 vcc_lo, exec_lo, s56
	s_mov_b32 s11, 0
	s_cbranch_vccnz .LBB35_80
; %bb.77:                               ;   in Loop: Header=BB35_17 Depth=1
	v_lshl_add_u32 v2, s72, 9, v27
	v_mov_b32_e32 v1, 0
	.p2align	6
.LBB35_78:                              ;   Parent Loop BB35_17 Depth=1
                                        ; =>  This Inner Loop Header: Depth=2
	ds_load_2addr_b32 v[3:4], v2 offset1:4
	ds_load_2addr_b32 v[13:14], v2 offset0:8 offset1:12
	ds_load_2addr_b32 v[29:30], v2 offset0:16 offset1:20
	;; [unrolled: 1-line block ×3, first 2 shown]
	v_add_nc_u32_e32 v2, 0x80, v2
	s_add_i32 s11, s11, 8
	s_delay_alu instid0(SALU_CYCLE_1) | instskip(SKIP_3) | instid1(VALU_DEP_1)
	s_cmp_eq_u32 s57, s11
	s_waitcnt lgkmcnt(3)
	v_add3_u32 v1, v3, v1, v4
	s_waitcnt lgkmcnt(2)
	v_add3_u32 v1, v13, v1, v14
	s_waitcnt lgkmcnt(1)
	s_delay_alu instid0(VALU_DEP_1) | instskip(SKIP_1) | instid1(VALU_DEP_1)
	v_add3_u32 v1, v29, v1, v30
	s_waitcnt lgkmcnt(0)
	v_add3_u32 v1, v31, v1, v32
	s_cbranch_scc0 .LBB35_78
; %bb.79:                               ;   in Loop: Header=BB35_17 Depth=1
	s_mov_b32 s11, s57
.LBB35_80:                              ;   in Loop: Header=BB35_17 Depth=1
	s_and_not1_b32 vcc_lo, exec_lo, s58
	s_cbranch_vccnz .LBB35_83
; %bb.81:                               ;   in Loop: Header=BB35_17 Depth=1
	s_lshl_b32 s12, s72, 9
	s_lshl_b32 s11, s11, 4
	s_delay_alu instid0(SALU_CYCLE_1)
	v_add3_u32 v2, s12, s11, v27
	s_mov_b32 s11, s55
.LBB35_82:                              ;   Parent Loop BB35_17 Depth=1
                                        ; =>  This Inner Loop Header: Depth=2
	ds_load_b32 v3, v2
	v_add_nc_u32_e32 v2, 16, v2
	s_add_i32 s11, s11, -1
	s_delay_alu instid0(SALU_CYCLE_1)
	s_cmp_lg_u32 s11, 0
	s_waitcnt lgkmcnt(0)
	v_add_nc_u32_e32 v1, v3, v1
	s_cbranch_scc1 .LBB35_82
.LBB35_83:                              ;   in Loop: Header=BB35_17 Depth=1
	v_add_lshl_u32 v2, s9, v15, 2
	ds_store_b32 v2, v1 offset:3072
.LBB35_84:                              ;   in Loop: Header=BB35_17 Depth=1
	s_or_b32 exec_lo, exec_lo, s10
	s_lshl_b32 s9, s9, 2
	s_waitcnt lgkmcnt(0)
	v_mov_b32_e32 v1, s9
	s_barrier
	buffer_gl0_inv
	s_and_b32 s18, s69, 0xfe
	s_mov_b32 s14, -1
	ds_load_b128 v[1:4], v1 offset:3072
	s_lshl_b32 s11, 3, s18
	s_delay_alu instid0(SALU_CYCLE_1) | instskip(SKIP_4) | instid1(VALU_DEP_3)
	s_not_b32 s19, s11
	s_waitcnt lgkmcnt(0)
	v_readfirstlane_b32 s13, v1
	v_readfirstlane_b32 s21, v2
	;; [unrolled: 1-line block ×3, first 2 shown]
	s_cmp_eq_u32 s13, 1
	s_cselect_b32 s9, -1, 0
	s_cmp_eq_u32 s37, 1
	s_cselect_b32 s10, -1, 0
	s_delay_alu instid0(SALU_CYCLE_1)
	s_and_b32 s15, s9, s10
	v_readfirstlane_b32 s10, v4
	s_and_b32 vcc_lo, exec_lo, s15
	s_cbranch_vccz .LBB35_96
; %bb.85:                               ;   in Loop: Header=BB35_17 Depth=1
	ds_load_b32 v1, v7 offset:4096
	s_waitcnt lgkmcnt(0)
	s_barrier
	buffer_gl0_inv
	v_readfirstlane_b32 s12, v1
	s_and_saveexec_b32 s9, s0
	s_cbranch_execz .LBB35_87
; %bb.86:                               ;   in Loop: Header=BB35_17 Depth=1
	ds_store_b16 v18, v7
.LBB35_87:                              ;   in Loop: Header=BB35_17 Depth=1
	s_or_b32 exec_lo, exec_lo, s9
	s_and_b32 s74, s74, s19
	s_or_b32 s75, s75, s11
	s_cmp_lt_i32 s12, 1
	s_waitcnt lgkmcnt(0)
	s_barrier
	buffer_gl0_inv
	s_cbranch_scc0 .LBB35_97
; %bb.88:                               ;   in Loop: Header=BB35_17 Depth=1
	s_mov_b32 s9, 0
                                        ; implicit-def: $vgpr28
	s_and_saveexec_b32 s17, s8
	s_cbranch_execz .LBB35_99
; %bb.89:                               ;   in Loop: Header=BB35_17 Depth=1
	v_mov_b32_e32 v1, v5
	v_mov_b32_e32 v3, v0
	s_mov_b32 s20, 0
                                        ; implicit-def: $sgpr22
	s_set_inst_prefetch_distance 0x1
	s_branch .LBB35_91
	.p2align	6
.LBB35_90:                              ;   in Loop: Header=BB35_91 Depth=2
	s_or_b32 exec_lo, exec_lo, s9
	s_waitcnt vmcnt(0) lgkmcnt(0)
	s_barrier
	buffer_gl0_inv
	ds_load_b32 v2, v7 offset:3072
	v_add_nc_u32_e32 v3, s47, v3
	v_add_nc_u32_e32 v1, s51, v1
	s_waitcnt lgkmcnt(0)
	s_barrier
	buffer_gl0_inv
	v_cmp_le_i32_e32 vcc_lo, s62, v3
	v_cmp_ne_u16_e64 s9, 0, v2
	s_delay_alu instid0(VALU_DEP_1) | instskip(NEXT) | instid1(SALU_CYCLE_1)
	s_or_b32 s23, vcc_lo, s9
	s_and_b32 s23, exec_lo, s23
	s_delay_alu instid0(SALU_CYCLE_1) | instskip(SKIP_2) | instid1(SALU_CYCLE_1)
	s_or_b32 s20, s23, s20
	s_and_not1_b32 s22, s22, exec_lo
	s_and_b32 s9, s9, exec_lo
	s_or_b32 s22, s22, s9
	s_and_not1_b32 exec_lo, exec_lo, s20
	s_cbranch_execz .LBB35_98
.LBB35_91:                              ;   Parent Loop BB35_17 Depth=1
                                        ; =>  This Inner Loop Header: Depth=2
	s_delay_alu instid0(VALU_DEP_1)
	v_cmp_gt_i32_e32 vcc_lo, s36, v3
	v_mov_b32_e32 v2, 0
	s_and_saveexec_b32 s23, vcc_lo
	s_cbranch_execz .LBB35_93
; %bb.92:                               ;   in Loop: Header=BB35_91 Depth=2
	v_ashrrev_i32_e32 v2, 31, v1
	s_delay_alu instid0(VALU_DEP_1) | instskip(NEXT) | instid1(VALU_DEP_1)
	v_lshlrev_b64 v[13:14], 1, v[1:2]
	v_add_co_u32 v13, s9, s45, v13
	s_delay_alu instid0(VALU_DEP_1)
	v_add_co_ci_u32_e64 v14, s9, s46, v14, s9
	global_load_u16 v2, v[13:14], off
.LBB35_93:                              ;   in Loop: Header=BB35_91 Depth=2
	s_or_b32 exec_lo, exec_lo, s23
	s_and_saveexec_b32 s9, vcc_lo
	s_cbranch_execz .LBB35_90
; %bb.94:                               ;   in Loop: Header=BB35_91 Depth=2
	s_waitcnt vmcnt(0)
	v_bfe_i32 v4, v2, 0, 16
	s_delay_alu instid0(VALU_DEP_1) | instskip(NEXT) | instid1(VALU_DEP_1)
	v_add_nc_u32_e32 v4, 0x8000, v4
	v_and_b32_e32 v4, s75, v4
	s_delay_alu instid0(VALU_DEP_1)
	v_cmp_eq_u32_e32 vcc_lo, s74, v4
	s_and_b32 exec_lo, exec_lo, vcc_lo
	s_cbranch_execz .LBB35_90
; %bb.95:                               ;   in Loop: Header=BB35_91 Depth=2
	v_perm_b32 v2, v2, 1, 0x5040100
	ds_store_b32 v7, v2 offset:3072
	s_branch .LBB35_90
.LBB35_96:                              ;   in Loop: Header=BB35_17 Depth=1
	s_mov_b32 s9, -1
                                        ; implicit-def: $sgpr17
                                        ; implicit-def: $sgpr22
                                        ; implicit-def: $sgpr20
	s_branch .LBB35_110
.LBB35_97:                              ;   in Loop: Header=BB35_17 Depth=1
	s_mov_b32 s17, -1
	s_mov_b32 s9, 0
                                        ; implicit-def: $sgpr20
                                        ; implicit-def: $vgpr28
	s_mov_b32 s22, s17
	s_cbranch_execnz .LBB35_100
	s_branch .LBB35_110
.LBB35_98:                              ;   in Loop: Header=BB35_17 Depth=1
	s_set_inst_prefetch_distance 0x2
	s_or_b32 exec_lo, exec_lo, s20
	v_lshrrev_b32_e32 v28, 16, v2
	s_and_b32 s9, s22, exec_lo
.LBB35_99:                              ;   in Loop: Header=BB35_17 Depth=1
	s_or_b32 exec_lo, exec_lo, s17
	s_mov_b32 s20, -1
	s_mov_b32 s17, 0
	s_delay_alu instid0(SALU_CYCLE_1)
	s_mov_b32 s22, s17
	s_branch .LBB35_110
.LBB35_100:                             ;   in Loop: Header=BB35_17 Depth=1
	s_add_i32 s20, s12, s52
                                        ; implicit-def: $vgpr28
	s_delay_alu instid0(SALU_CYCLE_1) | instskip(NEXT) | instid1(SALU_CYCLE_1)
	s_abs_i32 s9, s20
	s_mul_hi_u32 s17, s9, s61
	s_delay_alu instid0(SALU_CYCLE_1) | instskip(NEXT) | instid1(SALU_CYCLE_1)
	s_mul_i32 s17, s17, s47
	s_sub_i32 s9, s9, s17
	s_ashr_i32 s17, s20, 31
	s_sub_i32 s22, s9, s47
	s_cmp_ge_u32 s9, s47
	s_cselect_b32 s9, s22, s9
	s_delay_alu instid0(SALU_CYCLE_1) | instskip(SKIP_2) | instid1(SALU_CYCLE_1)
	s_sub_i32 s22, s9, s47
	s_cmp_ge_u32 s9, s47
	s_cselect_b32 s9, s22, s9
	s_xor_b32 s9, s9, s17
	s_delay_alu instid0(SALU_CYCLE_1)
	s_sub_i32 s9, s17, s9
	s_mov_b32 s17, exec_lo
	s_add_i32 s20, s20, s9
	s_mov_b32 s9, 0
	v_cmpx_gt_i32_e64 s20, v0
	s_cbranch_execz .LBB35_109
; %bb.101:                              ;   in Loop: Header=BB35_17 Depth=1
	v_dual_mov_b32 v1, v17 :: v_dual_mov_b32 v2, v0
	s_mov_b32 s22, 0
                                        ; implicit-def: $sgpr23
	s_set_inst_prefetch_distance 0x1
	s_branch .LBB35_103
	.p2align	6
.LBB35_102:                             ;   in Loop: Header=BB35_103 Depth=2
	s_or_b32 exec_lo, exec_lo, s9
	s_waitcnt lgkmcnt(0)
	s_barrier
	buffer_gl0_inv
	ds_load_b32 v3, v7 offset:3072
	v_add_nc_u32_e32 v2, s47, v2
	v_add_nc_u32_e32 v1, s65, v1
	s_waitcnt lgkmcnt(0)
	s_barrier
	buffer_gl0_inv
	v_cmp_le_i32_e32 vcc_lo, s20, v2
	v_cmp_ne_u16_e64 s9, 0, v3
	s_delay_alu instid0(VALU_DEP_1) | instskip(NEXT) | instid1(SALU_CYCLE_1)
	s_or_b32 s24, vcc_lo, s9
	s_and_b32 s24, exec_lo, s24
	s_delay_alu instid0(SALU_CYCLE_1) | instskip(SKIP_2) | instid1(SALU_CYCLE_1)
	s_or_b32 s22, s24, s22
	s_and_not1_b32 s23, s23, exec_lo
	s_and_b32 s9, s9, exec_lo
	s_or_b32 s23, s23, s9
	s_and_not1_b32 exec_lo, exec_lo, s22
	s_cbranch_execz .LBB35_108
.LBB35_103:                             ;   Parent Loop BB35_17 Depth=1
                                        ; =>  This Inner Loop Header: Depth=2
	s_delay_alu instid0(VALU_DEP_1)
	v_cmp_gt_i32_e32 vcc_lo, s12, v2
	v_mov_b32_e32 v3, 0
	s_and_saveexec_b32 s9, vcc_lo
	s_cbranch_execz .LBB35_105
; %bb.104:                              ;   in Loop: Header=BB35_103 Depth=2
	ds_load_u16 v3, v1
.LBB35_105:                             ;   in Loop: Header=BB35_103 Depth=2
	s_or_b32 exec_lo, exec_lo, s9
	s_and_saveexec_b32 s9, vcc_lo
	s_cbranch_execz .LBB35_102
; %bb.106:                              ;   in Loop: Header=BB35_103 Depth=2
	s_waitcnt lgkmcnt(0)
	v_bfe_i32 v4, v3, 0, 16
	s_delay_alu instid0(VALU_DEP_1) | instskip(NEXT) | instid1(VALU_DEP_1)
	v_add_nc_u32_e32 v4, 0x8000, v4
	v_and_b32_e32 v4, s75, v4
	s_delay_alu instid0(VALU_DEP_1)
	v_cmp_eq_u32_e32 vcc_lo, s74, v4
	s_and_b32 exec_lo, exec_lo, vcc_lo
	s_cbranch_execz .LBB35_102
; %bb.107:                              ;   in Loop: Header=BB35_103 Depth=2
	v_perm_b32 v3, v3, 1, 0x5040100
	ds_store_b32 v7, v3 offset:3072
	s_branch .LBB35_102
.LBB35_108:                             ;   in Loop: Header=BB35_17 Depth=1
	s_set_inst_prefetch_distance 0x2
	s_or_b32 exec_lo, exec_lo, s22
	v_lshrrev_b32_e32 v28, 16, v3
	s_and_b32 s9, s23, exec_lo
.LBB35_109:                             ;   in Loop: Header=BB35_17 Depth=1
	s_or_b32 exec_lo, exec_lo, s17
	s_mov_b32 s22, -1
	s_mov_b32 s17, 0
	s_mov_b32 s20, 0
.LBB35_110:                             ;   in Loop: Header=BB35_17 Depth=1
	s_and_not1_b32 s12, s70, exec_lo
	s_and_b32 s17, s17, exec_lo
	s_and_b32 s20, s20, exec_lo
	s_or_b32 s70, s12, s17
	s_and_not1_b32 s12, s73, exec_lo
	s_and_b32 s17, s22, exec_lo
	s_and_not1_b32 s22, s71, exec_lo
	s_or_b32 s73, s12, s17
	s_or_b32 s71, s22, s20
	s_and_saveexec_b32 s12, s9
	s_cbranch_execz .LBB35_16
; %bb.111:                              ;   in Loop: Header=BB35_17 Depth=1
	s_xor_b32 s9, s15, -1
	s_mov_b32 s14, 0
	s_and_not1_b32 vcc_lo, exec_lo, s9
	s_mov_b32 s22, 1
	s_cbranch_vccnz .LBB35_122
; %bb.112:                              ;   in Loop: Header=BB35_17 Depth=1
	s_cmp_gt_i32 s37, s13
	s_mov_b32 s14, -1
                                        ; implicit-def: $sgpr9
                                        ; implicit-def: $sgpr15
                                        ; implicit-def: $sgpr17
	s_cbranch_scc1 .LBB35_118
; %bb.113:                              ;   in Loop: Header=BB35_17 Depth=1
	ds_load_b32 v1, v7 offset:4096
	s_waitcnt lgkmcnt(0)
	v_cmp_ne_u32_e32 vcc_lo, 0, v1
	s_cbranch_vccnz .LBB35_117
; %bb.114:                              ;   in Loop: Header=BB35_17 Depth=1
	s_and_saveexec_b32 s9, s2
	s_cbranch_execz .LBB35_116
; %bb.115:                              ;   in Loop: Header=BB35_17 Depth=1
	v_mov_b32_e32 v1, s13
	ds_store_b32 v7, v1 offset:4100
.LBB35_116:                             ;   in Loop: Header=BB35_17 Depth=1
	s_or_b32 exec_lo, exec_lo, s9
	s_waitcnt lgkmcnt(0)
	s_barrier
	buffer_gl0_inv
.LBB35_117:                             ;   in Loop: Header=BB35_17 Depth=1
	s_and_b32 s15, s74, s19
	s_or_b32 s17, s75, s11
	s_mov_b32 s14, 0
	s_mov_b32 s9, 8
.LBB35_118:                             ;   in Loop: Header=BB35_17 Depth=1
	s_and_not1_b32 vcc_lo, exec_lo, s14
	s_cbranch_vccnz .LBB35_120
; %bb.119:                              ;   in Loop: Header=BB35_17 Depth=1
	s_sub_i32 s37, s37, s13
	s_mov_b32 s14, -1
	s_mov_b32 s9, 0
	s_mov_b32 s15, s74
	;; [unrolled: 1-line block ×3, first 2 shown]
.LBB35_120:                             ;   in Loop: Header=BB35_17 Depth=1
	s_delay_alu instid0(SALU_CYCLE_1)
	s_mov_b32 s75, s17
	s_mov_b32 s74, s15
	s_mov_b32 s22, s37
	s_and_b32 vcc_lo, exec_lo, s14
	s_mov_b32 s13, -1
	s_cbranch_vccnz .LBB35_123
.LBB35_121:                             ;   in Loop: Header=BB35_17 Depth=1
	s_mov_b32 s25, -1
                                        ; implicit-def: $sgpr14
                                        ; implicit-def: $sgpr17
                                        ; implicit-def: $sgpr15
	s_delay_alu instid0(SALU_CYCLE_1) | instskip(NEXT) | instid1(SALU_CYCLE_1)
	s_and_saveexec_b32 s10, s25
	s_xor_b32 s10, exec_lo, s10
	s_cbranch_execz .LBB35_15
	s_branch .LBB35_246
.LBB35_122:                             ;   in Loop: Header=BB35_17 Depth=1
	s_mov_b32 s9, 1
	s_and_b32 vcc_lo, exec_lo, s14
	s_mov_b32 s13, -1
	s_cbranch_vccz .LBB35_121
.LBB35_123:                             ;   in Loop: Header=BB35_17 Depth=1
	s_cmp_eq_u32 s21, 1
	s_mov_b32 s24, -1
	s_cselect_b32 s9, -1, 0
	s_cmp_eq_u32 s22, 1
	s_cselect_b32 s14, -1, 0
	s_delay_alu instid0(SALU_CYCLE_1) | instskip(NEXT) | instid1(SALU_CYCLE_1)
	s_and_b32 s23, s9, s14
	s_and_b32 vcc_lo, exec_lo, s23
	s_cbranch_vccz .LBB35_135
; %bb.124:                              ;   in Loop: Header=BB35_17 Depth=1
	ds_load_b32 v1, v7 offset:4096
	s_waitcnt lgkmcnt(0)
	s_barrier
	buffer_gl0_inv
	v_readfirstlane_b32 s20, v1
	s_and_saveexec_b32 s9, s0
	s_cbranch_execz .LBB35_126
; %bb.125:                              ;   in Loop: Header=BB35_17 Depth=1
	ds_store_b16 v18, v7
.LBB35_126:                             ;   in Loop: Header=BB35_17 Depth=1
	s_or_b32 exec_lo, exec_lo, s9
	s_lshl_b32 s9, 1, s18
	s_and_b32 s14, s74, s19
	s_or_b32 s75, s75, s11
	s_or_b32 s74, s14, s9
	s_cmp_gt_i32 s20, 0
	s_waitcnt lgkmcnt(0)
	s_barrier
	buffer_gl0_inv
	s_cbranch_scc1 .LBB35_136
; %bb.127:                              ;   in Loop: Header=BB35_17 Depth=1
	s_mov_b32 s24, 0
                                        ; implicit-def: $vgpr28
	s_and_saveexec_b32 s14, s8
	s_cbranch_execz .LBB35_138
; %bb.128:                              ;   in Loop: Header=BB35_17 Depth=1
	v_mov_b32_e32 v1, v5
	v_mov_b32_e32 v3, v0
	s_mov_b32 s15, 0
                                        ; implicit-def: $sgpr17
	s_set_inst_prefetch_distance 0x1
	s_branch .LBB35_130
	.p2align	6
.LBB35_129:                             ;   in Loop: Header=BB35_130 Depth=2
	s_or_b32 exec_lo, exec_lo, s9
	s_waitcnt vmcnt(0) lgkmcnt(0)
	s_barrier
	buffer_gl0_inv
	ds_load_b32 v2, v7 offset:3072
	v_add_nc_u32_e32 v3, s47, v3
	v_add_nc_u32_e32 v1, s51, v1
	s_waitcnt lgkmcnt(0)
	s_barrier
	buffer_gl0_inv
	v_cmp_le_i32_e32 vcc_lo, s62, v3
	v_cmp_ne_u16_e64 s9, 0, v2
	s_delay_alu instid0(VALU_DEP_1) | instskip(NEXT) | instid1(SALU_CYCLE_1)
	s_or_b32 s24, vcc_lo, s9
	s_and_b32 s24, exec_lo, s24
	s_delay_alu instid0(SALU_CYCLE_1) | instskip(SKIP_2) | instid1(SALU_CYCLE_1)
	s_or_b32 s15, s24, s15
	s_and_not1_b32 s17, s17, exec_lo
	s_and_b32 s9, s9, exec_lo
	s_or_b32 s17, s17, s9
	s_and_not1_b32 exec_lo, exec_lo, s15
	s_cbranch_execz .LBB35_137
.LBB35_130:                             ;   Parent Loop BB35_17 Depth=1
                                        ; =>  This Inner Loop Header: Depth=2
	s_delay_alu instid0(VALU_DEP_1)
	v_cmp_gt_i32_e32 vcc_lo, s36, v3
	v_mov_b32_e32 v2, 0
	s_and_saveexec_b32 s24, vcc_lo
	s_cbranch_execz .LBB35_132
; %bb.131:                              ;   in Loop: Header=BB35_130 Depth=2
	v_ashrrev_i32_e32 v2, 31, v1
	s_delay_alu instid0(VALU_DEP_1) | instskip(NEXT) | instid1(VALU_DEP_1)
	v_lshlrev_b64 v[13:14], 1, v[1:2]
	v_add_co_u32 v13, s9, s45, v13
	s_delay_alu instid0(VALU_DEP_1)
	v_add_co_ci_u32_e64 v14, s9, s46, v14, s9
	global_load_u16 v2, v[13:14], off
.LBB35_132:                             ;   in Loop: Header=BB35_130 Depth=2
	s_or_b32 exec_lo, exec_lo, s24
	s_and_saveexec_b32 s9, vcc_lo
	s_cbranch_execz .LBB35_129
; %bb.133:                              ;   in Loop: Header=BB35_130 Depth=2
	s_waitcnt vmcnt(0)
	v_bfe_i32 v4, v2, 0, 16
	s_delay_alu instid0(VALU_DEP_1) | instskip(NEXT) | instid1(VALU_DEP_1)
	v_add_nc_u32_e32 v4, 0x8000, v4
	v_and_b32_e32 v4, s75, v4
	s_delay_alu instid0(VALU_DEP_1)
	v_cmp_eq_u32_e32 vcc_lo, s74, v4
	s_and_b32 exec_lo, exec_lo, vcc_lo
	s_cbranch_execz .LBB35_129
; %bb.134:                              ;   in Loop: Header=BB35_130 Depth=2
	v_perm_b32 v2, v2, 1, 0x5040100
	ds_store_b32 v7, v2 offset:3072
	s_branch .LBB35_129
.LBB35_135:                             ;   in Loop: Header=BB35_17 Depth=1
                                        ; implicit-def: $sgpr15
                                        ; implicit-def: $sgpr17
                                        ; implicit-def: $sgpr14
	s_branch .LBB35_149
.LBB35_136:                             ;   in Loop: Header=BB35_17 Depth=1
	s_mov_b32 s15, -1
	s_mov_b32 s24, 0
                                        ; implicit-def: $sgpr14
                                        ; implicit-def: $vgpr28
	s_mov_b32 s17, s15
	s_cbranch_execnz .LBB35_139
	s_branch .LBB35_149
.LBB35_137:                             ;   in Loop: Header=BB35_17 Depth=1
	s_set_inst_prefetch_distance 0x2
	s_or_b32 exec_lo, exec_lo, s15
	v_lshrrev_b32_e32 v28, 16, v2
	s_and_b32 s24, s17, exec_lo
.LBB35_138:                             ;   in Loop: Header=BB35_17 Depth=1
	s_or_b32 exec_lo, exec_lo, s14
	s_mov_b32 s14, -1
	s_mov_b32 s15, 0
	s_delay_alu instid0(SALU_CYCLE_1)
	s_mov_b32 s17, s15
	s_branch .LBB35_149
.LBB35_139:                             ;   in Loop: Header=BB35_17 Depth=1
	s_add_i32 s15, s20, s52
	s_mov_b32 s24, 0
	s_abs_i32 s9, s15
                                        ; implicit-def: $vgpr28
	s_delay_alu instid0(SALU_CYCLE_1) | instskip(NEXT) | instid1(SALU_CYCLE_1)
	s_mul_hi_u32 s14, s9, s61
	s_mul_i32 s14, s14, s47
	s_delay_alu instid0(SALU_CYCLE_1) | instskip(SKIP_4) | instid1(SALU_CYCLE_1)
	s_sub_i32 s9, s9, s14
	s_ashr_i32 s14, s15, 31
	s_sub_i32 s17, s9, s47
	s_cmp_ge_u32 s9, s47
	s_cselect_b32 s9, s17, s9
	s_sub_i32 s17, s9, s47
	s_cmp_ge_u32 s9, s47
	s_cselect_b32 s9, s17, s9
	s_delay_alu instid0(SALU_CYCLE_1) | instskip(NEXT) | instid1(SALU_CYCLE_1)
	s_xor_b32 s9, s9, s14
	s_sub_i32 s9, s14, s9
	s_mov_b32 s14, exec_lo
	s_add_i32 s15, s15, s9
	s_delay_alu instid0(SALU_CYCLE_1)
	v_cmpx_gt_i32_e64 s15, v0
	s_cbranch_execz .LBB35_148
; %bb.140:                              ;   in Loop: Header=BB35_17 Depth=1
	v_dual_mov_b32 v1, v17 :: v_dual_mov_b32 v2, v0
	s_mov_b32 s17, 0
                                        ; implicit-def: $sgpr24
	s_set_inst_prefetch_distance 0x1
	s_branch .LBB35_142
	.p2align	6
.LBB35_141:                             ;   in Loop: Header=BB35_142 Depth=2
	s_or_b32 exec_lo, exec_lo, s9
	s_waitcnt lgkmcnt(0)
	s_barrier
	buffer_gl0_inv
	ds_load_b32 v3, v7 offset:3072
	v_add_nc_u32_e32 v2, s47, v2
	v_add_nc_u32_e32 v1, s65, v1
	s_waitcnt lgkmcnt(0)
	s_barrier
	buffer_gl0_inv
	v_cmp_le_i32_e32 vcc_lo, s15, v2
	v_cmp_ne_u16_e64 s9, 0, v3
	s_delay_alu instid0(VALU_DEP_1) | instskip(NEXT) | instid1(SALU_CYCLE_1)
	s_or_b32 s25, vcc_lo, s9
	s_and_b32 s25, exec_lo, s25
	s_delay_alu instid0(SALU_CYCLE_1) | instskip(SKIP_2) | instid1(SALU_CYCLE_1)
	s_or_b32 s17, s25, s17
	s_and_not1_b32 s24, s24, exec_lo
	s_and_b32 s9, s9, exec_lo
	s_or_b32 s24, s24, s9
	s_and_not1_b32 exec_lo, exec_lo, s17
	s_cbranch_execz .LBB35_147
.LBB35_142:                             ;   Parent Loop BB35_17 Depth=1
                                        ; =>  This Inner Loop Header: Depth=2
	s_delay_alu instid0(VALU_DEP_1)
	v_cmp_gt_i32_e32 vcc_lo, s20, v2
	v_mov_b32_e32 v3, 0
	s_and_saveexec_b32 s9, vcc_lo
	s_cbranch_execz .LBB35_144
; %bb.143:                              ;   in Loop: Header=BB35_142 Depth=2
	ds_load_u16 v3, v1
.LBB35_144:                             ;   in Loop: Header=BB35_142 Depth=2
	s_or_b32 exec_lo, exec_lo, s9
	s_and_saveexec_b32 s9, vcc_lo
	s_cbranch_execz .LBB35_141
; %bb.145:                              ;   in Loop: Header=BB35_142 Depth=2
	s_waitcnt lgkmcnt(0)
	v_bfe_i32 v4, v3, 0, 16
	s_delay_alu instid0(VALU_DEP_1) | instskip(NEXT) | instid1(VALU_DEP_1)
	v_add_nc_u32_e32 v4, 0x8000, v4
	v_and_b32_e32 v4, s75, v4
	s_delay_alu instid0(VALU_DEP_1)
	v_cmp_eq_u32_e32 vcc_lo, s74, v4
	s_and_b32 exec_lo, exec_lo, vcc_lo
	s_cbranch_execz .LBB35_141
; %bb.146:                              ;   in Loop: Header=BB35_142 Depth=2
	v_perm_b32 v3, v3, 1, 0x5040100
	ds_store_b32 v7, v3 offset:3072
	s_branch .LBB35_141
.LBB35_147:                             ;   in Loop: Header=BB35_17 Depth=1
	s_set_inst_prefetch_distance 0x2
	s_or_b32 exec_lo, exec_lo, s17
	v_lshrrev_b32_e32 v28, 16, v3
	s_and_b32 s24, s24, exec_lo
.LBB35_148:                             ;   in Loop: Header=BB35_17 Depth=1
	s_or_b32 exec_lo, exec_lo, s14
	s_mov_b32 s17, -1
	s_mov_b32 s15, 0
	s_mov_b32 s14, 0
.LBB35_149:                             ;   in Loop: Header=BB35_17 Depth=1
	s_mov_b32 s25, 0
                                        ; implicit-def: $sgpr9
	s_and_saveexec_b32 s20, s24
	s_cbranch_execz .LBB35_245
; %bb.150:                              ;   in Loop: Header=BB35_17 Depth=1
	s_xor_b32 s9, s23, -1
	s_mov_b32 s23, 0
	s_and_not1_b32 vcc_lo, exec_lo, s9
	s_mov_b32 s26, 1
	s_cbranch_vccnz .LBB35_161
; %bb.151:                              ;   in Loop: Header=BB35_17 Depth=1
	s_cmp_gt_i32 s22, s21
	s_mov_b32 s23, -1
                                        ; implicit-def: $sgpr9
                                        ; implicit-def: $sgpr24
                                        ; implicit-def: $sgpr25
	s_cbranch_scc1 .LBB35_157
; %bb.152:                              ;   in Loop: Header=BB35_17 Depth=1
	ds_load_b32 v1, v7 offset:4096
	s_waitcnt lgkmcnt(0)
	v_cmp_ne_u32_e32 vcc_lo, 0, v1
	s_cbranch_vccnz .LBB35_156
; %bb.153:                              ;   in Loop: Header=BB35_17 Depth=1
	s_and_saveexec_b32 s9, s2
	s_cbranch_execz .LBB35_155
; %bb.154:                              ;   in Loop: Header=BB35_17 Depth=1
	v_mov_b32_e32 v1, s21
	ds_store_b32 v7, v1 offset:4100
.LBB35_155:                             ;   in Loop: Header=BB35_17 Depth=1
	s_or_b32 exec_lo, exec_lo, s9
	s_waitcnt lgkmcnt(0)
	s_barrier
	buffer_gl0_inv
.LBB35_156:                             ;   in Loop: Header=BB35_17 Depth=1
	s_lshl_b32 s9, 1, s18
	s_and_b32 s23, s74, s19
	s_or_b32 s25, s75, s11
	s_or_b32 s24, s23, s9
	s_mov_b32 s23, 0
	s_mov_b32 s9, 8
.LBB35_157:                             ;   in Loop: Header=BB35_17 Depth=1
	s_and_not1_b32 vcc_lo, exec_lo, s23
	s_cbranch_vccnz .LBB35_159
; %bb.158:                              ;   in Loop: Header=BB35_17 Depth=1
	s_sub_i32 s22, s22, s21
	s_mov_b32 s23, -1
	s_mov_b32 s9, 0
	s_mov_b32 s24, s74
	;; [unrolled: 1-line block ×3, first 2 shown]
.LBB35_159:                             ;   in Loop: Header=BB35_17 Depth=1
	s_delay_alu instid0(SALU_CYCLE_1)
	s_mov_b32 s75, s25
	s_mov_b32 s74, s24
	;; [unrolled: 1-line block ×3, first 2 shown]
	s_and_not1_b32 vcc_lo, exec_lo, s23
	s_mov_b32 s28, -1
	s_cbranch_vccz .LBB35_162
.LBB35_160:                             ;   in Loop: Header=BB35_17 Depth=1
                                        ; implicit-def: $sgpr22
                                        ; implicit-def: $sgpr23
                                        ; implicit-def: $sgpr21
	s_branch .LBB35_244
.LBB35_161:                             ;   in Loop: Header=BB35_17 Depth=1
	s_mov_b32 s9, 1
	s_and_not1_b32 vcc_lo, exec_lo, s23
	s_mov_b32 s28, -1
	s_cbranch_vccnz .LBB35_160
.LBB35_162:                             ;   in Loop: Header=BB35_17 Depth=1
	s_cmp_eq_u32 s16, 1
	s_mov_b32 s27, -1
	s_cselect_b32 s9, -1, 0
	s_cmp_eq_u32 s26, 1
	s_cselect_b32 s21, -1, 0
	s_delay_alu instid0(SALU_CYCLE_1) | instskip(NEXT) | instid1(SALU_CYCLE_1)
	s_and_b32 s25, s9, s21
	s_and_b32 vcc_lo, exec_lo, s25
	s_cbranch_vccz .LBB35_174
; %bb.163:                              ;   in Loop: Header=BB35_17 Depth=1
	ds_load_b32 v1, v7 offset:4096
	s_waitcnt lgkmcnt(0)
	s_barrier
	buffer_gl0_inv
	v_readfirstlane_b32 s24, v1
	s_and_saveexec_b32 s9, s0
	s_cbranch_execz .LBB35_165
; %bb.164:                              ;   in Loop: Header=BB35_17 Depth=1
	ds_store_b16 v18, v7
.LBB35_165:                             ;   in Loop: Header=BB35_17 Depth=1
	s_or_b32 exec_lo, exec_lo, s9
	s_lshl_b32 s9, 2, s18
	s_and_b32 s21, s74, s19
	s_or_b32 s75, s75, s11
	s_or_b32 s74, s21, s9
	s_cmp_gt_i32 s24, 0
	s_waitcnt lgkmcnt(0)
	s_barrier
	buffer_gl0_inv
	s_cbranch_scc1 .LBB35_175
; %bb.166:                              ;   in Loop: Header=BB35_17 Depth=1
	s_mov_b32 s27, 0
                                        ; implicit-def: $vgpr28
	s_and_saveexec_b32 s21, s8
	s_cbranch_execz .LBB35_177
; %bb.167:                              ;   in Loop: Header=BB35_17 Depth=1
	v_mov_b32_e32 v1, v5
	v_mov_b32_e32 v3, v0
	s_mov_b32 s22, 0
                                        ; implicit-def: $sgpr23
	s_set_inst_prefetch_distance 0x1
	s_branch .LBB35_169
	.p2align	6
.LBB35_168:                             ;   in Loop: Header=BB35_169 Depth=2
	s_or_b32 exec_lo, exec_lo, s9
	s_waitcnt vmcnt(0) lgkmcnt(0)
	s_barrier
	buffer_gl0_inv
	ds_load_b32 v2, v7 offset:3072
	v_add_nc_u32_e32 v3, s47, v3
	v_add_nc_u32_e32 v1, s51, v1
	s_waitcnt lgkmcnt(0)
	s_barrier
	buffer_gl0_inv
	v_cmp_le_i32_e32 vcc_lo, s62, v3
	v_cmp_ne_u16_e64 s9, 0, v2
	s_delay_alu instid0(VALU_DEP_1) | instskip(NEXT) | instid1(SALU_CYCLE_1)
	s_or_b32 s27, vcc_lo, s9
	s_and_b32 s27, exec_lo, s27
	s_delay_alu instid0(SALU_CYCLE_1) | instskip(SKIP_2) | instid1(SALU_CYCLE_1)
	s_or_b32 s22, s27, s22
	s_and_not1_b32 s23, s23, exec_lo
	s_and_b32 s9, s9, exec_lo
	s_or_b32 s23, s23, s9
	s_and_not1_b32 exec_lo, exec_lo, s22
	s_cbranch_execz .LBB35_176
.LBB35_169:                             ;   Parent Loop BB35_17 Depth=1
                                        ; =>  This Inner Loop Header: Depth=2
	s_delay_alu instid0(VALU_DEP_1)
	v_cmp_gt_i32_e32 vcc_lo, s36, v3
	v_mov_b32_e32 v2, 0
	s_and_saveexec_b32 s27, vcc_lo
	s_cbranch_execz .LBB35_171
; %bb.170:                              ;   in Loop: Header=BB35_169 Depth=2
	v_ashrrev_i32_e32 v2, 31, v1
	s_delay_alu instid0(VALU_DEP_1) | instskip(NEXT) | instid1(VALU_DEP_1)
	v_lshlrev_b64 v[13:14], 1, v[1:2]
	v_add_co_u32 v13, s9, s45, v13
	s_delay_alu instid0(VALU_DEP_1)
	v_add_co_ci_u32_e64 v14, s9, s46, v14, s9
	global_load_u16 v2, v[13:14], off
.LBB35_171:                             ;   in Loop: Header=BB35_169 Depth=2
	s_or_b32 exec_lo, exec_lo, s27
	s_and_saveexec_b32 s9, vcc_lo
	s_cbranch_execz .LBB35_168
; %bb.172:                              ;   in Loop: Header=BB35_169 Depth=2
	s_waitcnt vmcnt(0)
	v_bfe_i32 v4, v2, 0, 16
	s_delay_alu instid0(VALU_DEP_1) | instskip(NEXT) | instid1(VALU_DEP_1)
	v_add_nc_u32_e32 v4, 0x8000, v4
	v_and_b32_e32 v4, s75, v4
	s_delay_alu instid0(VALU_DEP_1)
	v_cmp_eq_u32_e32 vcc_lo, s74, v4
	s_and_b32 exec_lo, exec_lo, vcc_lo
	s_cbranch_execz .LBB35_168
; %bb.173:                              ;   in Loop: Header=BB35_169 Depth=2
	v_perm_b32 v2, v2, 1, 0x5040100
	ds_store_b32 v7, v2 offset:3072
	s_branch .LBB35_168
.LBB35_174:                             ;   in Loop: Header=BB35_17 Depth=1
                                        ; implicit-def: $sgpr21
                                        ; implicit-def: $sgpr23
                                        ; implicit-def: $sgpr22
	s_branch .LBB35_188
.LBB35_175:                             ;   in Loop: Header=BB35_17 Depth=1
	s_mov_b32 s21, -1
	s_mov_b32 s27, 0
                                        ; implicit-def: $sgpr22
                                        ; implicit-def: $vgpr28
	s_mov_b32 s23, s21
	s_cbranch_execnz .LBB35_178
	s_branch .LBB35_188
.LBB35_176:                             ;   in Loop: Header=BB35_17 Depth=1
	s_set_inst_prefetch_distance 0x2
	s_or_b32 exec_lo, exec_lo, s22
	v_lshrrev_b32_e32 v28, 16, v2
	s_and_b32 s27, s23, exec_lo
.LBB35_177:                             ;   in Loop: Header=BB35_17 Depth=1
	s_or_b32 exec_lo, exec_lo, s21
	s_mov_b32 s22, -1
	s_mov_b32 s21, 0
	s_delay_alu instid0(SALU_CYCLE_1)
	s_mov_b32 s23, s21
	s_branch .LBB35_188
.LBB35_178:                             ;   in Loop: Header=BB35_17 Depth=1
	s_add_i32 s22, s24, s52
	s_mov_b32 s27, 0
	s_abs_i32 s9, s22
                                        ; implicit-def: $vgpr28
	s_delay_alu instid0(SALU_CYCLE_1) | instskip(NEXT) | instid1(SALU_CYCLE_1)
	s_mul_hi_u32 s21, s9, s61
	s_mul_i32 s21, s21, s47
	s_delay_alu instid0(SALU_CYCLE_1) | instskip(SKIP_4) | instid1(SALU_CYCLE_1)
	s_sub_i32 s9, s9, s21
	s_ashr_i32 s21, s22, 31
	s_sub_i32 s23, s9, s47
	s_cmp_ge_u32 s9, s47
	s_cselect_b32 s9, s23, s9
	s_sub_i32 s23, s9, s47
	s_cmp_ge_u32 s9, s47
	s_cselect_b32 s9, s23, s9
	s_delay_alu instid0(SALU_CYCLE_1) | instskip(NEXT) | instid1(SALU_CYCLE_1)
	s_xor_b32 s9, s9, s21
	s_sub_i32 s9, s21, s9
	s_mov_b32 s21, exec_lo
	s_add_i32 s22, s22, s9
	s_delay_alu instid0(SALU_CYCLE_1)
	v_cmpx_gt_i32_e64 s22, v0
	s_cbranch_execz .LBB35_187
; %bb.179:                              ;   in Loop: Header=BB35_17 Depth=1
	v_dual_mov_b32 v1, v17 :: v_dual_mov_b32 v2, v0
	s_mov_b32 s23, 0
                                        ; implicit-def: $sgpr27
	s_set_inst_prefetch_distance 0x1
	s_branch .LBB35_181
	.p2align	6
.LBB35_180:                             ;   in Loop: Header=BB35_181 Depth=2
	s_or_b32 exec_lo, exec_lo, s9
	s_waitcnt lgkmcnt(0)
	s_barrier
	buffer_gl0_inv
	ds_load_b32 v3, v7 offset:3072
	v_add_nc_u32_e32 v2, s47, v2
	v_add_nc_u32_e32 v1, s65, v1
	s_waitcnt lgkmcnt(0)
	s_barrier
	buffer_gl0_inv
	v_cmp_le_i32_e32 vcc_lo, s22, v2
	v_cmp_ne_u16_e64 s9, 0, v3
	s_delay_alu instid0(VALU_DEP_1) | instskip(NEXT) | instid1(SALU_CYCLE_1)
	s_or_b32 s28, vcc_lo, s9
	s_and_b32 s28, exec_lo, s28
	s_delay_alu instid0(SALU_CYCLE_1) | instskip(SKIP_2) | instid1(SALU_CYCLE_1)
	s_or_b32 s23, s28, s23
	s_and_not1_b32 s27, s27, exec_lo
	s_and_b32 s9, s9, exec_lo
	s_or_b32 s27, s27, s9
	s_and_not1_b32 exec_lo, exec_lo, s23
	s_cbranch_execz .LBB35_186
.LBB35_181:                             ;   Parent Loop BB35_17 Depth=1
                                        ; =>  This Inner Loop Header: Depth=2
	s_delay_alu instid0(VALU_DEP_1)
	v_cmp_gt_i32_e32 vcc_lo, s24, v2
	v_mov_b32_e32 v3, 0
	s_and_saveexec_b32 s9, vcc_lo
	s_cbranch_execz .LBB35_183
; %bb.182:                              ;   in Loop: Header=BB35_181 Depth=2
	ds_load_u16 v3, v1
.LBB35_183:                             ;   in Loop: Header=BB35_181 Depth=2
	s_or_b32 exec_lo, exec_lo, s9
	s_and_saveexec_b32 s9, vcc_lo
	s_cbranch_execz .LBB35_180
; %bb.184:                              ;   in Loop: Header=BB35_181 Depth=2
	s_waitcnt lgkmcnt(0)
	v_bfe_i32 v4, v3, 0, 16
	s_delay_alu instid0(VALU_DEP_1) | instskip(NEXT) | instid1(VALU_DEP_1)
	v_add_nc_u32_e32 v4, 0x8000, v4
	v_and_b32_e32 v4, s75, v4
	s_delay_alu instid0(VALU_DEP_1)
	v_cmp_eq_u32_e32 vcc_lo, s74, v4
	s_and_b32 exec_lo, exec_lo, vcc_lo
	s_cbranch_execz .LBB35_180
; %bb.185:                              ;   in Loop: Header=BB35_181 Depth=2
	v_perm_b32 v3, v3, 1, 0x5040100
	ds_store_b32 v7, v3 offset:3072
	s_branch .LBB35_180
.LBB35_186:                             ;   in Loop: Header=BB35_17 Depth=1
	s_set_inst_prefetch_distance 0x2
	s_or_b32 exec_lo, exec_lo, s23
	v_lshrrev_b32_e32 v28, 16, v3
	s_and_b32 s27, s27, exec_lo
.LBB35_187:                             ;   in Loop: Header=BB35_17 Depth=1
	s_or_b32 exec_lo, exec_lo, s21
	s_mov_b32 s23, -1
	s_mov_b32 s21, 0
	s_mov_b32 s22, 0
.LBB35_188:                             ;   in Loop: Header=BB35_17 Depth=1
	s_mov_b32 s28, 0
                                        ; implicit-def: $sgpr9
	s_and_saveexec_b32 s24, s27
	s_cbranch_execz .LBB35_243
; %bb.189:                              ;   in Loop: Header=BB35_17 Depth=1
	s_xor_b32 s9, s25, -1
	s_mov_b32 s27, 0
	s_and_not1_b32 vcc_lo, exec_lo, s9
	s_mov_b32 s25, 1
	s_cbranch_vccnz .LBB35_200
; %bb.190:                              ;   in Loop: Header=BB35_17 Depth=1
	s_cmp_gt_i32 s26, s16
	s_mov_b32 s27, -1
                                        ; implicit-def: $sgpr9
                                        ; implicit-def: $sgpr25
                                        ; implicit-def: $sgpr28
	s_cbranch_scc1 .LBB35_196
; %bb.191:                              ;   in Loop: Header=BB35_17 Depth=1
	ds_load_b32 v1, v7 offset:4096
	s_waitcnt lgkmcnt(0)
	v_cmp_ne_u32_e32 vcc_lo, 0, v1
	s_cbranch_vccnz .LBB35_195
; %bb.192:                              ;   in Loop: Header=BB35_17 Depth=1
	s_and_saveexec_b32 s9, s2
	s_cbranch_execz .LBB35_194
; %bb.193:                              ;   in Loop: Header=BB35_17 Depth=1
	v_mov_b32_e32 v1, s16
	ds_store_b32 v7, v1 offset:4100
.LBB35_194:                             ;   in Loop: Header=BB35_17 Depth=1
	s_or_b32 exec_lo, exec_lo, s9
	s_waitcnt lgkmcnt(0)
	s_barrier
	buffer_gl0_inv
.LBB35_195:                             ;   in Loop: Header=BB35_17 Depth=1
	s_lshl_b32 s9, 2, s18
	s_and_b32 s18, s74, s19
	s_or_b32 s28, s75, s11
	s_or_b32 s25, s18, s9
	s_mov_b32 s27, 0
	s_mov_b32 s9, 8
.LBB35_196:                             ;   in Loop: Header=BB35_17 Depth=1
	s_and_not1_b32 vcc_lo, exec_lo, s27
	s_cbranch_vccnz .LBB35_198
; %bb.197:                              ;   in Loop: Header=BB35_17 Depth=1
	s_sub_i32 s26, s26, s16
	s_mov_b32 s27, -1
	s_mov_b32 s9, 0
	s_mov_b32 s25, s74
	;; [unrolled: 1-line block ×3, first 2 shown]
.LBB35_198:                             ;   in Loop: Header=BB35_17 Depth=1
	s_delay_alu instid0(SALU_CYCLE_1)
	s_mov_b32 s75, s28
	s_mov_b32 s74, s25
	;; [unrolled: 1-line block ×3, first 2 shown]
	s_and_not1_b32 vcc_lo, exec_lo, s27
	s_mov_b32 s37, -1
	s_cbranch_vccz .LBB35_201
.LBB35_199:                             ;   in Loop: Header=BB35_17 Depth=1
                                        ; implicit-def: $sgpr19
                                        ; implicit-def: $sgpr27
                                        ; implicit-def: $sgpr26
	s_branch .LBB35_242
.LBB35_200:                             ;   in Loop: Header=BB35_17 Depth=1
	s_mov_b32 s9, 1
	s_and_not1_b32 vcc_lo, exec_lo, s27
	s_mov_b32 s37, -1
	s_cbranch_vccnz .LBB35_199
.LBB35_201:                             ;   in Loop: Header=BB35_17 Depth=1
	s_cmp_eq_u32 s10, 1
	s_mov_b32 s28, -1
	s_cselect_b32 s9, -1, 0
	s_cmp_eq_u32 s25, 1
	s_cselect_b32 s16, -1, 0
	s_delay_alu instid0(SALU_CYCLE_1) | instskip(NEXT) | instid1(SALU_CYCLE_1)
	s_and_b32 s16, s9, s16
	s_and_b32 vcc_lo, exec_lo, s16
	s_cbranch_vccz .LBB35_213
; %bb.202:                              ;   in Loop: Header=BB35_17 Depth=1
	ds_load_b32 v1, v7 offset:4096
	s_waitcnt lgkmcnt(0)
	s_barrier
	buffer_gl0_inv
	v_readfirstlane_b32 s18, v1
	s_and_saveexec_b32 s9, s0
	s_cbranch_execz .LBB35_204
; %bb.203:                              ;   in Loop: Header=BB35_17 Depth=1
	ds_store_b16 v18, v7
.LBB35_204:                             ;   in Loop: Header=BB35_17 Depth=1
	s_or_b32 exec_lo, exec_lo, s9
	s_or_b32 s74, s74, s11
	s_or_b32 s75, s75, s11
	s_cmp_gt_i32 s18, 0
	s_waitcnt lgkmcnt(0)
	s_barrier
	buffer_gl0_inv
	s_cbranch_scc1 .LBB35_214
; %bb.205:                              ;   in Loop: Header=BB35_17 Depth=1
	s_mov_b32 s28, 0
                                        ; implicit-def: $vgpr28
	s_and_saveexec_b32 s19, s8
	s_cbranch_execz .LBB35_216
; %bb.206:                              ;   in Loop: Header=BB35_17 Depth=1
	v_mov_b32_e32 v1, v5
	v_mov_b32_e32 v3, v0
	s_mov_b32 s26, 0
                                        ; implicit-def: $sgpr27
	s_set_inst_prefetch_distance 0x1
	s_branch .LBB35_208
	.p2align	6
.LBB35_207:                             ;   in Loop: Header=BB35_208 Depth=2
	s_or_b32 exec_lo, exec_lo, s9
	s_waitcnt vmcnt(0) lgkmcnt(0)
	s_barrier
	buffer_gl0_inv
	ds_load_b32 v2, v7 offset:3072
	v_add_nc_u32_e32 v3, s47, v3
	v_add_nc_u32_e32 v1, s51, v1
	s_waitcnt lgkmcnt(0)
	s_barrier
	buffer_gl0_inv
	v_cmp_le_i32_e32 vcc_lo, s62, v3
	v_cmp_ne_u16_e64 s9, 0, v2
	s_delay_alu instid0(VALU_DEP_1) | instskip(NEXT) | instid1(SALU_CYCLE_1)
	s_or_b32 s28, vcc_lo, s9
	s_and_b32 s28, exec_lo, s28
	s_delay_alu instid0(SALU_CYCLE_1) | instskip(SKIP_2) | instid1(SALU_CYCLE_1)
	s_or_b32 s26, s28, s26
	s_and_not1_b32 s27, s27, exec_lo
	s_and_b32 s9, s9, exec_lo
	s_or_b32 s27, s27, s9
	s_and_not1_b32 exec_lo, exec_lo, s26
	s_cbranch_execz .LBB35_215
.LBB35_208:                             ;   Parent Loop BB35_17 Depth=1
                                        ; =>  This Inner Loop Header: Depth=2
	s_delay_alu instid0(VALU_DEP_1)
	v_cmp_gt_i32_e32 vcc_lo, s36, v3
	v_mov_b32_e32 v2, 0
	s_and_saveexec_b32 s28, vcc_lo
	s_cbranch_execz .LBB35_210
; %bb.209:                              ;   in Loop: Header=BB35_208 Depth=2
	v_ashrrev_i32_e32 v2, 31, v1
	s_delay_alu instid0(VALU_DEP_1) | instskip(NEXT) | instid1(VALU_DEP_1)
	v_lshlrev_b64 v[13:14], 1, v[1:2]
	v_add_co_u32 v13, s9, s45, v13
	s_delay_alu instid0(VALU_DEP_1)
	v_add_co_ci_u32_e64 v14, s9, s46, v14, s9
	global_load_u16 v2, v[13:14], off
.LBB35_210:                             ;   in Loop: Header=BB35_208 Depth=2
	s_or_b32 exec_lo, exec_lo, s28
	s_and_saveexec_b32 s9, vcc_lo
	s_cbranch_execz .LBB35_207
; %bb.211:                              ;   in Loop: Header=BB35_208 Depth=2
	s_waitcnt vmcnt(0)
	v_bfe_i32 v4, v2, 0, 16
	s_delay_alu instid0(VALU_DEP_1) | instskip(NEXT) | instid1(VALU_DEP_1)
	v_add_nc_u32_e32 v4, 0x8000, v4
	v_and_b32_e32 v4, s75, v4
	s_delay_alu instid0(VALU_DEP_1)
	v_cmp_eq_u32_e32 vcc_lo, s74, v4
	s_and_b32 exec_lo, exec_lo, vcc_lo
	s_cbranch_execz .LBB35_207
; %bb.212:                              ;   in Loop: Header=BB35_208 Depth=2
	v_perm_b32 v2, v2, 1, 0x5040100
	ds_store_b32 v7, v2 offset:3072
	s_branch .LBB35_207
.LBB35_213:                             ;   in Loop: Header=BB35_17 Depth=1
                                        ; implicit-def: $sgpr19
                                        ; implicit-def: $sgpr27
                                        ; implicit-def: $sgpr26
	s_branch .LBB35_227
.LBB35_214:                             ;   in Loop: Header=BB35_17 Depth=1
	s_mov_b32 s19, -1
	s_mov_b32 s28, 0
                                        ; implicit-def: $sgpr26
                                        ; implicit-def: $vgpr28
	s_mov_b32 s27, s19
	s_cbranch_execnz .LBB35_217
	s_branch .LBB35_227
.LBB35_215:                             ;   in Loop: Header=BB35_17 Depth=1
	s_set_inst_prefetch_distance 0x2
	s_or_b32 exec_lo, exec_lo, s26
	v_lshrrev_b32_e32 v28, 16, v2
	s_and_b32 s28, s27, exec_lo
.LBB35_216:                             ;   in Loop: Header=BB35_17 Depth=1
	s_or_b32 exec_lo, exec_lo, s19
	s_mov_b32 s26, -1
	s_mov_b32 s19, 0
	s_delay_alu instid0(SALU_CYCLE_1)
	s_mov_b32 s27, s19
	s_branch .LBB35_227
.LBB35_217:                             ;   in Loop: Header=BB35_17 Depth=1
	s_add_i32 s26, s18, s52
	s_mov_b32 s28, 0
	s_abs_i32 s9, s26
                                        ; implicit-def: $vgpr28
	s_delay_alu instid0(SALU_CYCLE_1) | instskip(NEXT) | instid1(SALU_CYCLE_1)
	s_mul_hi_u32 s19, s9, s61
	s_mul_i32 s19, s19, s47
	s_delay_alu instid0(SALU_CYCLE_1) | instskip(SKIP_4) | instid1(SALU_CYCLE_1)
	s_sub_i32 s9, s9, s19
	s_ashr_i32 s19, s26, 31
	s_sub_i32 s27, s9, s47
	s_cmp_ge_u32 s9, s47
	s_cselect_b32 s9, s27, s9
	s_sub_i32 s27, s9, s47
	s_cmp_ge_u32 s9, s47
	s_cselect_b32 s9, s27, s9
	s_delay_alu instid0(SALU_CYCLE_1) | instskip(NEXT) | instid1(SALU_CYCLE_1)
	s_xor_b32 s9, s9, s19
	s_sub_i32 s9, s19, s9
	s_mov_b32 s19, exec_lo
	s_add_i32 s26, s26, s9
	s_delay_alu instid0(SALU_CYCLE_1)
	v_cmpx_gt_i32_e64 s26, v0
	s_cbranch_execz .LBB35_226
; %bb.218:                              ;   in Loop: Header=BB35_17 Depth=1
	v_dual_mov_b32 v1, v17 :: v_dual_mov_b32 v2, v0
	s_mov_b32 s27, 0
                                        ; implicit-def: $sgpr28
	s_set_inst_prefetch_distance 0x1
	s_branch .LBB35_220
	.p2align	6
.LBB35_219:                             ;   in Loop: Header=BB35_220 Depth=2
	s_or_b32 exec_lo, exec_lo, s9
	s_waitcnt lgkmcnt(0)
	s_barrier
	buffer_gl0_inv
	ds_load_b32 v3, v7 offset:3072
	v_add_nc_u32_e32 v2, s47, v2
	v_add_nc_u32_e32 v1, s65, v1
	s_waitcnt lgkmcnt(0)
	s_barrier
	buffer_gl0_inv
	v_cmp_le_i32_e32 vcc_lo, s26, v2
	v_cmp_ne_u16_e64 s9, 0, v3
	s_delay_alu instid0(VALU_DEP_1) | instskip(NEXT) | instid1(SALU_CYCLE_1)
	s_or_b32 s37, vcc_lo, s9
	s_and_b32 s37, exec_lo, s37
	s_delay_alu instid0(SALU_CYCLE_1) | instskip(SKIP_2) | instid1(SALU_CYCLE_1)
	s_or_b32 s27, s37, s27
	s_and_not1_b32 s28, s28, exec_lo
	s_and_b32 s9, s9, exec_lo
	s_or_b32 s28, s28, s9
	s_and_not1_b32 exec_lo, exec_lo, s27
	s_cbranch_execz .LBB35_225
.LBB35_220:                             ;   Parent Loop BB35_17 Depth=1
                                        ; =>  This Inner Loop Header: Depth=2
	s_delay_alu instid0(VALU_DEP_1)
	v_cmp_gt_i32_e32 vcc_lo, s18, v2
	v_mov_b32_e32 v3, 0
	s_and_saveexec_b32 s9, vcc_lo
	s_cbranch_execz .LBB35_222
; %bb.221:                              ;   in Loop: Header=BB35_220 Depth=2
	ds_load_u16 v3, v1
.LBB35_222:                             ;   in Loop: Header=BB35_220 Depth=2
	s_or_b32 exec_lo, exec_lo, s9
	s_and_saveexec_b32 s9, vcc_lo
	s_cbranch_execz .LBB35_219
; %bb.223:                              ;   in Loop: Header=BB35_220 Depth=2
	s_waitcnt lgkmcnt(0)
	v_bfe_i32 v4, v3, 0, 16
	s_delay_alu instid0(VALU_DEP_1) | instskip(NEXT) | instid1(VALU_DEP_1)
	v_add_nc_u32_e32 v4, 0x8000, v4
	v_and_b32_e32 v4, s75, v4
	s_delay_alu instid0(VALU_DEP_1)
	v_cmp_eq_u32_e32 vcc_lo, s74, v4
	s_and_b32 exec_lo, exec_lo, vcc_lo
	s_cbranch_execz .LBB35_219
; %bb.224:                              ;   in Loop: Header=BB35_220 Depth=2
	v_perm_b32 v3, v3, 1, 0x5040100
	ds_store_b32 v7, v3 offset:3072
	s_branch .LBB35_219
.LBB35_225:                             ;   in Loop: Header=BB35_17 Depth=1
	s_set_inst_prefetch_distance 0x2
	s_or_b32 exec_lo, exec_lo, s27
	v_lshrrev_b32_e32 v28, 16, v3
	s_and_b32 s28, s28, exec_lo
.LBB35_226:                             ;   in Loop: Header=BB35_17 Depth=1
	s_or_b32 exec_lo, exec_lo, s19
	s_mov_b32 s27, -1
	s_mov_b32 s19, 0
	s_mov_b32 s26, 0
.LBB35_227:                             ;   in Loop: Header=BB35_17 Depth=1
	s_mov_b32 s37, 0
                                        ; implicit-def: $sgpr9
	s_and_saveexec_b32 s18, s28
	s_cbranch_execz .LBB35_241
; %bb.228:                              ;   in Loop: Header=BB35_17 Depth=1
	s_xor_b32 s9, s16, -1
	s_delay_alu instid0(SALU_CYCLE_1)
	s_and_not1_b32 vcc_lo, exec_lo, s9
	s_mov_b32 s9, 1
	s_cbranch_vccnz .LBB35_235
; %bb.229:                              ;   in Loop: Header=BB35_17 Depth=1
	s_cmp_gt_i32 s25, s10
	s_cbranch_scc1 .LBB35_236
; %bb.230:                              ;   in Loop: Header=BB35_17 Depth=1
	ds_load_b32 v1, v7 offset:4096
	s_waitcnt lgkmcnt(0)
	v_cmp_ne_u32_e32 vcc_lo, 0, v1
	s_cbranch_vccnz .LBB35_234
; %bb.231:                              ;   in Loop: Header=BB35_17 Depth=1
	s_and_saveexec_b32 s9, s2
	s_cbranch_execz .LBB35_233
; %bb.232:                              ;   in Loop: Header=BB35_17 Depth=1
	v_mov_b32_e32 v1, s10
	ds_store_b32 v7, v1 offset:4100
.LBB35_233:                             ;   in Loop: Header=BB35_17 Depth=1
	s_or_b32 exec_lo, exec_lo, s9
	s_waitcnt lgkmcnt(0)
	s_barrier
	buffer_gl0_inv
.LBB35_234:                             ;   in Loop: Header=BB35_17 Depth=1
	s_or_b32 s16, s74, s11
	s_or_b32 s11, s75, s11
	s_mov_b32 s28, 0
	s_mov_b32 s9, 8
	s_branch .LBB35_237
.LBB35_235:                             ;   in Loop: Header=BB35_17 Depth=1
	s_mov_b32 s25, 1
	s_branch .LBB35_240
.LBB35_236:                             ;   in Loop: Header=BB35_17 Depth=1
	s_mov_b32 s28, -1
                                        ; implicit-def: $sgpr9
                                        ; implicit-def: $sgpr16
                                        ; implicit-def: $sgpr11
.LBB35_237:                             ;   in Loop: Header=BB35_17 Depth=1
	s_delay_alu instid0(SALU_CYCLE_1)
	s_and_not1_b32 vcc_lo, exec_lo, s28
	s_cbranch_vccnz .LBB35_239
; %bb.238:                              ;   in Loop: Header=BB35_17 Depth=1
	s_sub_i32 s25, s25, s10
	s_mov_b32 s9, 8
	s_mov_b32 s16, s74
	;; [unrolled: 1-line block ×3, first 2 shown]
.LBB35_239:                             ;   in Loop: Header=BB35_17 Depth=1
	s_mov_b32 s74, s16
	s_mov_b32 s75, s11
.LBB35_240:                             ;   in Loop: Header=BB35_17 Depth=1
	s_mov_b32 s37, exec_lo
.LBB35_241:                             ;   in Loop: Header=BB35_17 Depth=1
	s_or_b32 exec_lo, exec_lo, s18
.LBB35_242:                             ;   in Loop: Header=BB35_17 Depth=1
	s_delay_alu instid0(SALU_CYCLE_1)
	s_and_not1_b32 s10, s21, exec_lo
	s_and_b32 s11, s19, exec_lo
	s_and_not1_b32 s16, s22, exec_lo
	s_or_b32 s21, s10, s11
	s_and_not1_b32 s10, s23, exec_lo
	s_and_b32 s11, s27, exec_lo
	s_and_b32 s18, s26, exec_lo
	s_or_b32 s23, s10, s11
	s_or_b32 s22, s16, s18
	s_and_b32 s28, s37, exec_lo
	s_mov_b32 s26, s25
.LBB35_243:                             ;   in Loop: Header=BB35_17 Depth=1
	s_or_b32 exec_lo, exec_lo, s24
.LBB35_244:                             ;   in Loop: Header=BB35_17 Depth=1
	s_delay_alu instid0(SALU_CYCLE_1)
	s_and_not1_b32 s10, s15, exec_lo
	s_and_b32 s11, s21, exec_lo
	s_and_not1_b32 s14, s14, exec_lo
	s_or_b32 s15, s10, s11
	s_and_not1_b32 s10, s17, exec_lo
	s_and_b32 s11, s23, exec_lo
	s_and_b32 s16, s22, exec_lo
	s_or_b32 s17, s10, s11
	s_or_b32 s14, s14, s16
	s_and_b32 s25, s28, exec_lo
	s_mov_b32 s22, s26
.LBB35_245:                             ;   in Loop: Header=BB35_17 Depth=1
	s_or_b32 exec_lo, exec_lo, s20
	s_and_saveexec_b32 s10, s25
	s_delay_alu instid0(SALU_CYCLE_1)
	s_xor_b32 s10, exec_lo, s10
	s_cbranch_execz .LBB35_15
.LBB35_246:                             ;   in Loop: Header=BB35_17 Depth=1
	s_and_b32 s9, s9, -9
	s_delay_alu instid0(SALU_CYCLE_1)
	s_cmp_eq_u32 s9, 0
	s_cbranch_scc1 .LBB35_13
; %bb.247:                              ;   in Loop: Header=BB35_17 Depth=1
	s_mov_b32 s9, -1
	s_mov_b32 s11, -1
                                        ; implicit-def: $sgpr75
                                        ; implicit-def: $sgpr22
                                        ; implicit-def: $sgpr69
                                        ; implicit-def: $sgpr72
	s_branch .LBB35_14
.LBB35_248:
	s_or_b32 exec_lo, exec_lo, s48
	s_xor_b32 s4, s68, -1
	s_xor_b32 s0, s66, -1
	;; [unrolled: 1-line block ×3, first 2 shown]
	s_mov_b32 s1, 0
	s_and_saveexec_b32 s5, s0
	s_delay_alu instid0(SALU_CYCLE_1)
	s_xor_b32 s0, exec_lo, s5
	s_cbranch_execz .LBB35_269
; %bb.249:
	s_and_saveexec_b32 s1, s4
	s_delay_alu instid0(SALU_CYCLE_1)
	s_xor_b32 s1, exec_lo, s1
	s_cbranch_execz .LBB35_267
; %bb.250:
	s_and_saveexec_b32 s4, s3
	s_delay_alu instid0(SALU_CYCLE_1)
	s_xor_b32 s3, exec_lo, s4
; %bb.251:
	v_xor_b32_e32 v28, 0xffff8000, v1
; %bb.252:
	s_or_b32 exec_lo, exec_lo, s3
	s_and_saveexec_b32 s3, s2
	s_cbranch_execz .LBB35_254
; %bb.253:
	v_dual_mov_b32 v1, 0 :: v_dual_mov_b32 v2, s36
	ds_store_b32 v1, v2 offset:4108
.LBB35_254:
	s_or_b32 exec_lo, exec_lo, s3
	v_mov_b32_e32 v1, 0
	s_waitcnt lgkmcnt(0)
	s_barrier
	buffer_gl0_inv
	s_mov_b32 s3, exec_lo
	ds_load_b32 v1, v1 offset:4108
	s_waitcnt lgkmcnt(0)
	v_min_i32_e32 v1, s36, v1
	s_delay_alu instid0(VALU_DEP_1)
	v_cmpx_lt_i32_e64 v0, v1
	s_cbranch_execz .LBB35_264
; %bb.255:
	s_mov_b32 s4, 0
                                        ; implicit-def: $sgpr5
                                        ; implicit-def: $sgpr7
                                        ; implicit-def: $sgpr6
	s_set_inst_prefetch_distance 0x1
	s_branch .LBB35_257
	.p2align	6
.LBB35_256:                             ;   in Loop: Header=BB35_257 Depth=1
	s_or_b32 exec_lo, exec_lo, s8
	s_delay_alu instid0(SALU_CYCLE_1) | instskip(NEXT) | instid1(SALU_CYCLE_1)
	s_and_b32 s8, exec_lo, s7
	s_or_b32 s4, s8, s4
	s_and_not1_b32 s5, s5, exec_lo
	s_and_b32 s8, s6, exec_lo
	s_delay_alu instid0(SALU_CYCLE_1)
	s_or_b32 s5, s5, s8
	s_and_not1_b32 exec_lo, exec_lo, s4
	s_cbranch_execz .LBB35_259
.LBB35_257:                             ; =>This Inner Loop Header: Depth=1
	v_ashrrev_i32_e32 v6, 31, v5
	s_or_b32 s6, s6, exec_lo
	s_or_b32 s7, s7, exec_lo
	s_mov_b32 s8, exec_lo
	s_delay_alu instid0(VALU_DEP_1) | instskip(NEXT) | instid1(VALU_DEP_1)
	v_lshlrev_b64 v[2:3], 1, v[5:6]
	v_add_co_u32 v2, vcc_lo, s45, v2
	s_delay_alu instid0(VALU_DEP_2)
	v_add_co_ci_u32_e32 v3, vcc_lo, s46, v3, vcc_lo
	global_load_u16 v3, v[2:3], off
	v_mov_b32_e32 v2, v0
                                        ; implicit-def: $vgpr0
	s_waitcnt vmcnt(0)
	v_cmpx_ne_u16_e64 v3, v28
	s_cbranch_execz .LBB35_256
; %bb.258:                              ;   in Loop: Header=BB35_257 Depth=1
	s_delay_alu instid0(VALU_DEP_2) | instskip(SKIP_3) | instid1(VALU_DEP_2)
	v_add_nc_u32_e32 v0, s47, v2
	s_and_not1_b32 s7, s7, exec_lo
	v_add_nc_u32_e32 v5, s51, v5
	s_and_not1_b32 s6, s6, exec_lo
	v_cmp_ge_i32_e32 vcc_lo, v0, v1
	s_and_b32 s9, vcc_lo, exec_lo
	s_delay_alu instid0(SALU_CYCLE_1)
	s_or_b32 s7, s7, s9
	s_branch .LBB35_256
.LBB35_259:
	s_set_inst_prefetch_distance 0x2
	s_or_b32 exec_lo, exec_lo, s4
	s_and_saveexec_b32 s4, s5
	s_delay_alu instid0(SALU_CYCLE_1)
	s_xor_b32 s4, exec_lo, s4
	s_cbranch_execz .LBB35_264
; %bb.260:
	s_mov_b32 s5, exec_lo
	s_brev_b32 s4, -2
.LBB35_261:                             ; =>This Inner Loop Header: Depth=1
	s_ctz_i32_b32 s6, s5
	s_delay_alu instid0(SALU_CYCLE_1) | instskip(SKIP_1) | instid1(SALU_CYCLE_1)
	v_readlane_b32 s7, v2, s6
	s_lshl_b32 s6, 1, s6
	s_and_not1_b32 s5, s5, s6
	s_delay_alu instid0(VALU_DEP_1)
	s_min_i32 s4, s4, s7
	s_cmp_lg_u32 s5, 0
	s_cbranch_scc1 .LBB35_261
; %bb.262:
	v_mbcnt_lo_u32_b32 v0, exec_lo, 0
	s_mov_b32 s5, exec_lo
	s_delay_alu instid0(VALU_DEP_1)
	v_cmpx_eq_u32_e32 0, v0
	s_xor_b32 s5, exec_lo, s5
	s_cbranch_execz .LBB35_264
; %bb.263:
	v_dual_mov_b32 v0, 0 :: v_dual_mov_b32 v1, s4
	ds_min_i32 v0, v1 offset:4108
.LBB35_264:
	s_or_b32 exec_lo, exec_lo, s3
	s_waitcnt lgkmcnt(0)
	s_barrier
	buffer_gl0_inv
	s_and_saveexec_b32 s3, s2
	s_cbranch_execz .LBB35_266
; %bb.265:
	v_mov_b32_e32 v2, 0
	s_mul_i32 s2, s30, s38
	s_delay_alu instid0(SALU_CYCLE_1)
	s_add_i32 s4, s2, s29
	s_mul_i32 s2, s44, s33
	ds_load_b32 v0, v2 offset:4108
	s_ashr_i32 s5, s4, 31
	s_add_i32 s6, s2, s31
	s_lshl_b64 s[4:5], s[4:5], 1
	s_delay_alu instid0(SALU_CYCLE_1) | instskip(SKIP_2) | instid1(SALU_CYCLE_1)
	s_add_u32 s4, s40, s4
	s_addc_u32 s5, s41, s5
	s_ashr_i32 s7, s6, 31
	s_lshl_b64 s[6:7], s[6:7], 3
	s_delay_alu instid0(SALU_CYCLE_1)
	s_add_u32 s6, s34, s6
	s_addc_u32 s7, s35, s7
	s_waitcnt lgkmcnt(0)
	v_ashrrev_i32_e32 v1, 31, v0
	s_clause 0x1
	global_store_b64 v2, v[0:1], s[6:7]
	global_store_b16 v2, v28, s[4:5]
.LBB35_266:
	s_or_b32 exec_lo, exec_lo, s3
.LBB35_267:
	s_or_saveexec_b32 s1, s1
	s_mov_b32 s2, 0
	s_xor_b32 exec_lo, exec_lo, s1
	s_cbranch_execnz .LBB35_275
.LBB35_268:
	s_or_b32 exec_lo, exec_lo, s1
	s_delay_alu instid0(SALU_CYCLE_1)
	s_and_b32 s1, s2, exec_lo
.LBB35_269:
	s_and_not1_saveexec_b32 s0, s0
	s_cbranch_execnz .LBB35_273
; %bb.270:
	s_or_b32 exec_lo, exec_lo, s0
	s_and_saveexec_b32 s0, s1
.LBB35_271:
	; divergent unreachable
.LBB35_272:
	s_nop 0
	s_sendmsg sendmsg(MSG_DEALLOC_VGPRS)
	s_endpgm
.LBB35_273:
	s_cbranch_execnz .LBB35_277
; %bb.274:
	s_or_b32 s1, s1, exec_lo
	s_or_b32 exec_lo, exec_lo, s0
	s_and_saveexec_b32 s0, s1
	s_cbranch_execnz .LBB35_271
	s_branch .LBB35_272
.LBB35_275:
	s_cbranch_execnz .LBB35_279
; %bb.276:
	s_mov_b32 s2, exec_lo
	s_branch .LBB35_268
.LBB35_277:
	s_trap 2
	s_sendmsg_rtn_b32 s0, sendmsg(MSG_RTN_GET_DOORBELL)
	s_mov_b32 ttmp2, m0
	s_waitcnt lgkmcnt(0)
	s_and_b32 s0, s0, 0x3ff
	s_delay_alu instid0(SALU_CYCLE_1) | instskip(NEXT) | instid1(SALU_CYCLE_1)
	s_bitset1_b32 s0, 10
	s_mov_b32 m0, s0
	s_sendmsg sendmsg(MSG_INTERRUPT)
	s_mov_b32 m0, ttmp2
.LBB35_278:                             ; =>This Inner Loop Header: Depth=1
	s_sethalt 5
	s_branch .LBB35_278
.LBB35_279:
	s_trap 2
	s_sendmsg_rtn_b32 s0, sendmsg(MSG_RTN_GET_DOORBELL)
	s_mov_b32 ttmp2, m0
	s_waitcnt lgkmcnt(0)
	s_and_b32 s0, s0, 0x3ff
	s_delay_alu instid0(SALU_CYCLE_1) | instskip(NEXT) | instid1(SALU_CYCLE_1)
	s_bitset1_b32 s0, 10
	s_mov_b32 m0, s0
	s_sendmsg sendmsg(MSG_INTERRUPT)
	s_mov_b32 m0, ttmp2
.LBB35_280:                             ; =>This Inner Loop Header: Depth=1
	s_sethalt 5
	s_branch .LBB35_280
	.section	.rodata,"a",@progbits
	.p2align	6, 0x0
	.amdhsa_kernel _ZN2at6native12_GLOBAL__N_114gatherKthValueIsiLin1EEEvNS_4cuda6detail10TensorInfoIKT_T0_EES8_S8_S8_S8_NS5_IS6_S8_EENS5_IlS8_EE
		.amdhsa_group_segment_fixed_size 4112
		.amdhsa_private_segment_fixed_size 0
		.amdhsa_kernarg_size 920
		.amdhsa_user_sgpr_count 13
		.amdhsa_user_sgpr_dispatch_ptr 0
		.amdhsa_user_sgpr_queue_ptr 0
		.amdhsa_user_sgpr_kernarg_segment_ptr 1
		.amdhsa_user_sgpr_dispatch_id 0
		.amdhsa_user_sgpr_private_segment_size 0
		.amdhsa_wavefront_size32 1
		.amdhsa_uses_dynamic_stack 0
		.amdhsa_enable_private_segment 0
		.amdhsa_system_sgpr_workgroup_id_x 1
		.amdhsa_system_sgpr_workgroup_id_y 1
		.amdhsa_system_sgpr_workgroup_id_z 1
		.amdhsa_system_sgpr_workgroup_info 0
		.amdhsa_system_vgpr_workitem_id 0
		.amdhsa_next_free_vgpr 40
		.amdhsa_next_free_sgpr 85
		.amdhsa_reserve_vcc 1
		.amdhsa_float_round_mode_32 0
		.amdhsa_float_round_mode_16_64 0
		.amdhsa_float_denorm_mode_32 3
		.amdhsa_float_denorm_mode_16_64 3
		.amdhsa_dx10_clamp 1
		.amdhsa_ieee_mode 1
		.amdhsa_fp16_overflow 0
		.amdhsa_workgroup_processor_mode 1
		.amdhsa_memory_ordered 1
		.amdhsa_forward_progress 0
		.amdhsa_shared_vgpr_count 0
		.amdhsa_exception_fp_ieee_invalid_op 0
		.amdhsa_exception_fp_denorm_src 0
		.amdhsa_exception_fp_ieee_div_zero 0
		.amdhsa_exception_fp_ieee_overflow 0
		.amdhsa_exception_fp_ieee_underflow 0
		.amdhsa_exception_fp_ieee_inexact 0
		.amdhsa_exception_int_div_zero 0
	.end_amdhsa_kernel
	.section	.text._ZN2at6native12_GLOBAL__N_114gatherKthValueIsiLin1EEEvNS_4cuda6detail10TensorInfoIKT_T0_EES8_S8_S8_S8_NS5_IS6_S8_EENS5_IlS8_EE,"axG",@progbits,_ZN2at6native12_GLOBAL__N_114gatherKthValueIsiLin1EEEvNS_4cuda6detail10TensorInfoIKT_T0_EES8_S8_S8_S8_NS5_IS6_S8_EENS5_IlS8_EE,comdat
.Lfunc_end35:
	.size	_ZN2at6native12_GLOBAL__N_114gatherKthValueIsiLin1EEEvNS_4cuda6detail10TensorInfoIKT_T0_EES8_S8_S8_S8_NS5_IS6_S8_EENS5_IlS8_EE, .Lfunc_end35-_ZN2at6native12_GLOBAL__N_114gatherKthValueIsiLin1EEEvNS_4cuda6detail10TensorInfoIKT_T0_EES8_S8_S8_S8_NS5_IS6_S8_EENS5_IlS8_EE
                                        ; -- End function
	.section	.AMDGPU.csdata,"",@progbits
; Kernel info:
; codeLenInByte = 10688
; NumSgprs: 87
; NumVgprs: 40
; ScratchSize: 0
; MemoryBound: 0
; FloatMode: 240
; IeeeMode: 1
; LDSByteSize: 4112 bytes/workgroup (compile time only)
; SGPRBlocks: 10
; VGPRBlocks: 4
; NumSGPRsForWavesPerEU: 87
; NumVGPRsForWavesPerEU: 40
; Occupancy: 16
; WaveLimiterHint : 1
; COMPUTE_PGM_RSRC2:SCRATCH_EN: 0
; COMPUTE_PGM_RSRC2:USER_SGPR: 13
; COMPUTE_PGM_RSRC2:TRAP_HANDLER: 0
; COMPUTE_PGM_RSRC2:TGID_X_EN: 1
; COMPUTE_PGM_RSRC2:TGID_Y_EN: 1
; COMPUTE_PGM_RSRC2:TGID_Z_EN: 1
; COMPUTE_PGM_RSRC2:TIDIG_COMP_CNT: 0
	.section	.text._ZN2at6native12_GLOBAL__N_114gatherKthValueIslLi1EEEvNS_4cuda6detail10TensorInfoIKT_T0_EES8_S8_S8_S8_NS5_IS6_S8_EENS5_IlS8_EE,"axG",@progbits,_ZN2at6native12_GLOBAL__N_114gatherKthValueIslLi1EEEvNS_4cuda6detail10TensorInfoIKT_T0_EES8_S8_S8_S8_NS5_IS6_S8_EENS5_IlS8_EE,comdat
	.globl	_ZN2at6native12_GLOBAL__N_114gatherKthValueIslLi1EEEvNS_4cuda6detail10TensorInfoIKT_T0_EES8_S8_S8_S8_NS5_IS6_S8_EENS5_IlS8_EE ; -- Begin function _ZN2at6native12_GLOBAL__N_114gatherKthValueIslLi1EEEvNS_4cuda6detail10TensorInfoIKT_T0_EES8_S8_S8_S8_NS5_IS6_S8_EENS5_IlS8_EE
	.p2align	8
	.type	_ZN2at6native12_GLOBAL__N_114gatherKthValueIslLi1EEEvNS_4cuda6detail10TensorInfoIKT_T0_EES8_S8_S8_S8_NS5_IS6_S8_EENS5_IlS8_EE,@function
_ZN2at6native12_GLOBAL__N_114gatherKthValueIslLi1EEEvNS_4cuda6detail10TensorInfoIKT_T0_EES8_S8_S8_S8_NS5_IS6_S8_EENS5_IlS8_EE: ; @_ZN2at6native12_GLOBAL__N_114gatherKthValueIslLi1EEEvNS_4cuda6detail10TensorInfoIKT_T0_EES8_S8_S8_S8_NS5_IS6_S8_EENS5_IlS8_EE
; %bb.0:
	s_clause 0x1
	s_load_b64 s[6:7], s[0:1], 0x500
	s_load_b256 s[24:31], s[0:1], 0x1a0
	s_add_u32 s4, s0, 0x500
	s_addc_u32 s5, s1, 0
	s_mov_b32 s35, 0
	s_waitcnt lgkmcnt(0)
	s_mul_i32 s2, s7, s15
	s_delay_alu instid0(SALU_CYCLE_1) | instskip(NEXT) | instid1(SALU_CYCLE_1)
	s_add_i32 s2, s2, s14
	s_mul_i32 s2, s2, s6
	s_delay_alu instid0(SALU_CYCLE_1) | instskip(NEXT) | instid1(SALU_CYCLE_1)
	s_add_i32 s34, s2, s13
	v_cmp_ge_i64_e64 s2, s[34:35], s[28:29]
	s_delay_alu instid0(VALU_DEP_1)
	s_and_b32 vcc_lo, exec_lo, s2
	s_cbranch_vccnz .LBB36_300
; %bb.1:
	s_clause 0x5
	s_load_b64 s[38:39], s[0:1], 0x430
	s_load_b64 s[28:29], s[0:1], 0x360
	s_load_b64 s[40:41], s[0:1], 0x290
	s_load_b64 s[36:37], s[0:1], 0x1c0
	s_load_b64 s[2:3], s[0:1], 0xd0
	s_load_b64 s[8:9], s[0:1], 0x0
	v_cmp_eq_u32_e64 s0, 0, v0
	s_delay_alu instid0(VALU_DEP_1)
	s_and_saveexec_b32 s1, s0
	s_cbranch_execz .LBB36_3
; %bb.2:
	v_dual_mov_b32 v1, 0 :: v_dual_mov_b32 v4, s25
	s_delay_alu instid0(VALU_DEP_1)
	v_dual_mov_b32 v3, s24 :: v_dual_mov_b32 v2, v1
	ds_store_b32 v1, v1 offset:5136
	ds_store_b128 v1, v[1:4] offset:5120
.LBB36_3:
	s_or_b32 exec_lo, exec_lo, s1
	v_mad_u64_u32 v[2:3], null, v0, s30, 0
	v_lshlrev_b32_e32 v33, 3, v0
	v_mbcnt_lo_u32_b32 v29, -1, 0
	v_dual_mov_b32 v13, 0 :: v_dual_lshlrev_b32 v14, 2, v0
	v_lshrrev_b32_e32 v6, 3, v0
	s_delay_alu instid0(VALU_DEP_4)
	v_or_b32_e32 v22, 2, v33
	v_dual_mov_b32 v1, v3 :: v_dual_lshlrev_b32 v30, 1, v0
	s_waitcnt lgkmcnt(0)
	s_mul_i32 s1, s3, s34
	s_mul_hi_u32 s3, s2, s34
	v_mad_u64_u32 v[20:21], null, s30, v22, 0
	v_mad_u64_u32 v[3:4], null, v0, s31, v[1:2]
	s_barrier
	buffer_gl0_inv
	s_load_b32 s7, s[4:5], 0xc
	s_mul_i32 s10, s2, s34
	s_add_i32 s11, s3, s1
	v_lshlrev_b64 v[4:5], 1, v[2:3]
	v_cmp_gt_u32_e32 vcc_lo, 32, v0
	v_cmp_gt_i32_e64 s1, 4, v29
	v_dual_mov_b32 v1, v13 :: v_dual_and_b32 v32, 0x7c, v6
	v_mov_b32_e32 v6, v21
	v_or_b32_e32 v9, 6, v33
	v_or_b32_e32 v12, 4, v33
	s_lshl_b64 s[10:11], s[10:11], 1
	v_cmp_lt_i64_e64 s35, 0x600, s[24:25]
	s_add_u32 s46, s8, s10
	s_addc_u32 s47, s9, s11
	s_and_b32 s68, vcc_lo, s1
	v_add_co_u32 v10, vcc_lo, s46, v4
	v_mad_u64_u32 v[16:17], null, s30, v9, 0
	v_mad_u64_u32 v[18:19], null, s30, v12, 0
	v_add_co_ci_u32_e32 v11, vcc_lo, s47, v5, vcc_lo
	v_lshlrev_b64 v[4:5], v29, -1
	v_add_nc_u32_e32 v31, 0xc00, v30
	s_waitcnt lgkmcnt(0)
	s_and_b32 s33, s7, 0xffff
	s_bfe_u32 s8, s7, 0xb0005
	s_delay_alu instid0(VALU_DEP_4)
	v_mov_b32_e32 v5, v19
	s_add_u32 s69, s33, -1
	v_not_b32_e32 v34, v4
	v_mov_b32_e32 v4, v17
	s_addc_u32 s70, 0, -1
	s_add_u32 s71, s69, s24
	s_addc_u32 s49, s70, s25
	s_cmp_lt_u32 s13, s6
	v_mad_u64_u32 v[7:8], null, s31, v9, v[4:5]
	s_cselect_b32 s6, 12, 18
	v_mad_u64_u32 v[8:9], null, s31, v12, v[5:6]
	s_add_u32 s50, s4, s6
	s_addc_u32 s51, s5, 0
	s_add_i32 s4, s8, -1
	s_delay_alu instid0(VALU_DEP_2)
	v_mad_u64_u32 v[4:5], null, s31, v22, v[6:7]
	s_bfe_u32 s72, s33, 0x30005
	s_cmp_gt_u32 s4, 6
	v_add_co_u32 v36, s6, s24, v0
	s_cselect_b32 s73, -1, 0
	s_and_b32 s74, s8, 0x7f8
	v_cmp_gt_i64_e64 s1, s[24:25], v[0:1]
	s_cmp_lg_u32 s72, 0
	v_lshlrev_b64 v[21:22], 3, v[2:3]
	s_mul_i32 s4, s31, s33
	s_mul_hi_u32 s5, s30, s33
	v_cmp_gt_u32_e64 s2, 2, v0
	v_cmp_eq_u32_e64 s3, 0, v29
	v_dual_mov_b32 v15, v13 :: v_dual_mov_b32 v40, 0
	v_cmp_gt_u16_e64 s75, s7, 31
	v_mov_b32_e32 v17, v7
	v_mov_b32_e32 v19, v8
	;; [unrolled: 1-line block ×3, first 2 shown]
	v_add_co_ci_u32_e64 v37, null, s25, 0, s6
	v_lshl_or_b32 v38, v29, 3, 0xc00
	v_cvt_f32_ubyte0_e32 v39, 0
	s_cselect_b32 s76, -1, 0
	s_add_i32 s5, s5, s4
	s_mul_i32 s4, s30, s33
	s_mov_b32 s45, 0
	s_lshl_b64 s[52:53], s[30:31], 1
	s_lshl_b64 s[54:55], s[30:31], 3
	;; [unrolled: 1-line block ×3, first 2 shown]
	s_lshl_b32 s77, s33, 1
	s_mov_b32 s82, 14
	s_mov_b32 s78, 0
	;; [unrolled: 1-line block ×5, first 2 shown]
                                        ; implicit-def: $sgpr79
                                        ; implicit-def: $sgpr81
                                        ; implicit-def: $sgpr80
                                        ; implicit-def: $sgpr85
                                        ; implicit-def: $sgpr86
                                        ; implicit-def: $sgpr84
	s_branch .LBB36_8
.LBB36_4:                               ;   in Loop: Header=BB36_8 Depth=1
	s_xor_b32 s83, s83, 1
	s_add_i32 s7, s82, -2
	s_cmp_eq_u32 s82, 0
	s_mov_b32 s5, 0
	s_cselect_b32 s6, -1, 0
	s_mov_b32 s82, s7
.LBB36_5:                               ;   in Loop: Header=BB36_8 Depth=1
	s_and_not1_b32 s7, s20, exec_lo
	s_and_b32 s5, s5, exec_lo
	s_and_not1_b32 s21, s21, exec_lo
	s_or_b32 s20, s7, s5
	s_and_not1_b32 s19, s19, exec_lo
	s_or_not1_b32 s15, s6, exec_lo
.LBB36_6:                               ;   in Loop: Header=BB36_8 Depth=1
	s_or_b32 exec_lo, exec_lo, s4
	s_delay_alu instid0(SALU_CYCLE_1)
	s_and_not1_b32 s4, s84, exec_lo
	s_and_b32 s5, s20, exec_lo
	s_and_not1_b32 s6, s85, exec_lo
	s_or_b32 s84, s4, s5
	s_and_not1_b32 s4, s86, exec_lo
	s_and_b32 s5, s21, exec_lo
	s_and_b32 s7, s19, exec_lo
	s_or_b32 s86, s4, s5
	s_or_b32 s85, s6, s7
	s_or_not1_b32 s19, s15, exec_lo
.LBB36_7:                               ;   in Loop: Header=BB36_8 Depth=1
	s_or_b32 exec_lo, exec_lo, s14
	s_delay_alu instid0(SALU_CYCLE_1)
	s_and_b32 s4, exec_lo, s19
	v_mov_b32_e32 v2, s88
	s_or_b32 s78, s4, s78
	s_and_not1_b32 s4, s80, exec_lo
	s_and_b32 s5, s84, exec_lo
	s_and_not1_b32 s6, s79, exec_lo
	s_or_b32 s80, s4, s5
	s_and_not1_b32 s4, s81, exec_lo
	s_and_b32 s5, s86, exec_lo
	s_and_b32 s7, s85, exec_lo
	s_or_b32 s81, s4, s5
	s_or_b32 s79, s6, s7
	s_and_not1_b32 exec_lo, exec_lo, s78
	s_cbranch_execz .LBB36_274
.LBB36_8:                               ; =>This Loop Header: Depth=1
                                        ;     Child Loop BB36_13 Depth 2
                                        ;     Child Loop BB36_32 Depth 2
	;; [unrolled: 1-line block ×16, first 2 shown]
	ds_load_b128 v[2:5], v13 offset:5120
	s_waitcnt lgkmcnt(0)
	v_readfirstlane_b32 s57, v3
	v_readfirstlane_b32 s56, v2
	s_delay_alu instid0(VALU_DEP_1) | instskip(NEXT) | instid1(VALU_DEP_1)
	v_cmp_gt_i64_e64 s4, s[56:57], 0
	s_and_b32 vcc_lo, exec_lo, s4
	s_cbranch_vccnz .LBB36_39
; %bb.9:                                ;   in Loop: Header=BB36_8 Depth=1
	s_and_b32 vcc_lo, exec_lo, s35
	s_cbranch_vccz .LBB36_21
; %bb.10:                               ;   in Loop: Header=BB36_8 Depth=1
	v_cmp_gt_i64_e32 vcc_lo, 0x601, v[4:5]
	s_mov_b32 s6, 0
	s_mov_b32 s4, 0
	s_cbranch_vccz .LBB36_26
; %bb.11:                               ;   in Loop: Header=BB36_8 Depth=1
	global_load_u16 v6, v13, s[50:51]
	global_load_u16 v7, v[10:11], off
	s_mov_b32 s8, 0
	s_waitcnt vmcnt(1)
	v_readfirstlane_b32 s4, v6
	v_and_b32_e32 v6, 0xffff, v6
	s_delay_alu instid0(VALU_DEP_2) | instskip(NEXT) | instid1(SALU_CYCLE_1)
	s_and_b32 s4, 0xffff, s4
	v_add_nc_u32_e32 v8, s4, v0
	s_mul_i32 s5, s53, s4
	s_mul_hi_u32 s7, s52, s4
	s_mul_i32 s9, s52, s4
	s_add_i32 s7, s7, s5
	v_mad_u64_u32 v[2:3], null, s52, v8, s[46:47]
	s_delay_alu instid0(VALU_DEP_1) | instskip(NEXT) | instid1(VALU_DEP_1)
	v_mad_u64_u32 v[4:5], null, s53, v8, v[3:4]
	v_mov_b32_e32 v3, v4
	v_dual_mov_b32 v5, v1 :: v_dual_mov_b32 v4, v0
	s_branch .LBB36_13
.LBB36_12:                              ;   in Loop: Header=BB36_13 Depth=2
	s_or_b32 exec_lo, exec_lo, s5
	v_add_co_u32 v2, vcc_lo, v2, s9
	v_add_co_ci_u32_e32 v3, vcc_lo, s7, v3, vcc_lo
	v_mov_b32_e32 v7, v8
	s_and_not1_b32 exec_lo, exec_lo, s8
	s_cbranch_execz .LBB36_22
.LBB36_13:                              ;   Parent Loop BB36_8 Depth=1
                                        ; =>  This Inner Loop Header: Depth=2
	s_delay_alu instid0(VALU_DEP_1) | instskip(NEXT) | instid1(VALU_DEP_2)
	v_add_co_u32 v4, vcc_lo, v4, v6
	v_add_co_ci_u32_e32 v5, vcc_lo, 0, v5, vcc_lo
	s_waitcnt lgkmcnt(0)
	v_dual_mov_b32 v9, 0 :: v_dual_mov_b32 v8, 0
	s_mov_b32 s5, exec_lo
	s_delay_alu instid0(VALU_DEP_2)
	v_cmp_le_i64_e32 vcc_lo, s[24:25], v[4:5]
	v_cmpx_gt_i64_e64 s[24:25], v[4:5]
	s_cbranch_execz .LBB36_15
; %bb.14:                               ;   in Loop: Header=BB36_13 Depth=2
	global_load_u16 v8, v[2:3], off
.LBB36_15:                              ;   in Loop: Header=BB36_13 Depth=2
	s_or_b32 exec_lo, exec_lo, s5
	s_waitcnt vmcnt(0)
	v_bfe_i32 v12, v7, 0, 16
	s_delay_alu instid0(VALU_DEP_1) | instskip(NEXT) | instid1(VALU_DEP_1)
	v_add_nc_u32_e32 v12, 0x8000, v12
	v_and_b32_e32 v12, s87, v12
	s_delay_alu instid0(VALU_DEP_1) | instskip(NEXT) | instid1(VALU_DEP_1)
	v_cmp_eq_u32_e64 s4, s88, v12
	s_cmp_lg_u32 s4, 0
	s_cselect_b32 s5, -1, 0
	s_delay_alu instid0(SALU_CYCLE_1) | instskip(NEXT) | instid1(SALU_CYCLE_1)
	s_and_b32 s5, s3, s5
	s_and_saveexec_b32 s10, s5
	s_cbranch_execz .LBB36_19
; %bb.16:                               ;   in Loop: Header=BB36_13 Depth=2
	s_mov_b32 s13, exec_lo
	s_bcnt1_i32_b32 s11, s4
	v_mbcnt_lo_u32_b32 v9, s13, 0
	s_mov_b32 s12, exec_lo
                                        ; implicit-def: $vgpr12
	s_delay_alu instid0(VALU_DEP_1)
	v_cmpx_eq_u32_e32 0, v9
	s_cbranch_execz .LBB36_18
; %bb.17:                               ;   in Loop: Header=BB36_13 Depth=2
	s_bcnt1_i32_b32 s5, s13
	s_delay_alu instid0(SALU_CYCLE_1) | instskip(NEXT) | instid1(SALU_CYCLE_1)
	s_mul_i32 s5, s11, s5
	v_mov_b32_e32 v12, s5
	ds_add_rtn_u32 v12, v13, v12 offset:5136
.LBB36_18:                              ;   in Loop: Header=BB36_13 Depth=2
	s_or_b32 exec_lo, exec_lo, s12
	s_waitcnt lgkmcnt(0)
	v_readfirstlane_b32 s5, v12
	s_delay_alu instid0(VALU_DEP_1)
	v_mad_u32_u24 v9, s11, v9, s5
.LBB36_19:                              ;   in Loop: Header=BB36_13 Depth=2
	s_or_b32 exec_lo, exec_lo, s10
	ds_bpermute_b32 v9, v13, v9
	s_and_b32 s5, exec_lo, vcc_lo
	s_delay_alu instid0(SALU_CYCLE_1)
	s_or_b32 s8, s5, s8
	s_and_saveexec_b32 s5, s4
	s_cbranch_execz .LBB36_12
; %bb.20:                               ;   in Loop: Header=BB36_13 Depth=2
	v_and_b32_e32 v12, s4, v34
	s_delay_alu instid0(VALU_DEP_1) | instskip(NEXT) | instid1(VALU_DEP_1)
	v_bcnt_u32_b32 v12, v12, 0
	v_lshlrev_b32_e32 v12, 1, v12
	s_waitcnt lgkmcnt(0)
	s_delay_alu instid0(VALU_DEP_1)
	v_lshl_add_u32 v9, v9, 1, v12
	ds_store_b16 v9, v7
	s_branch .LBB36_12
.LBB36_21:                              ;   in Loop: Header=BB36_8 Depth=1
	s_mov_b32 s6, -1
	s_mov_b32 s4, 0
	s_branch .LBB36_25
.LBB36_22:                              ;   in Loop: Header=BB36_8 Depth=1
	s_or_b32 exec_lo, exec_lo, s8
	s_waitcnt lgkmcnt(0)
	s_barrier
	buffer_gl0_inv
	s_and_saveexec_b32 s4, s0
	s_cbranch_execz .LBB36_24
; %bb.23:                               ;   in Loop: Header=BB36_8 Depth=1
	ds_load_b32 v2, v13 offset:5136
	s_waitcnt lgkmcnt(0)
	v_ashrrev_i32_e32 v3, 31, v2
	ds_store_b64 v13, v[2:3] offset:5120
.LBB36_24:                              ;   in Loop: Header=BB36_8 Depth=1
	s_or_b32 exec_lo, exec_lo, s4
	s_waitcnt lgkmcnt(0)
	s_mov_b32 s4, -1
	s_barrier
.LBB36_25:                              ;   in Loop: Header=BB36_8 Depth=1
                                        ; implicit-def: $sgpr56_sgpr57
.LBB36_26:                              ;   in Loop: Header=BB36_8 Depth=1
	s_and_b32 vcc_lo, exec_lo, s6
	s_cbranch_vccz .LBB36_37
; %bb.27:                               ;   in Loop: Header=BB36_8 Depth=1
	v_mov_b32_e32 v6, 0
	s_and_saveexec_b32 s4, s1
	s_cbranch_execz .LBB36_29
; %bb.28:                               ;   in Loop: Header=BB36_8 Depth=1
	global_load_u16 v6, v[10:11], off
.LBB36_29:                              ;   in Loop: Header=BB36_8 Depth=1
	s_or_b32 exec_lo, exec_lo, s4
	s_and_saveexec_b32 s5, s1
	s_cbranch_execz .LBB36_34
; %bb.30:                               ;   in Loop: Header=BB36_8 Depth=1
	global_load_u16 v8, v13, s[50:51]
	s_mov_b32 s9, 0
	s_waitcnt vmcnt(0)
	v_readfirstlane_b32 s4, v8
	v_and_b32_e32 v8, 0xffff, v8
	s_delay_alu instid0(VALU_DEP_2) | instskip(NEXT) | instid1(SALU_CYCLE_1)
	s_and_b32 s4, 0xffff, s4
	v_add_nc_u32_e32 v7, s4, v0
	s_mul_i32 s7, s53, s4
	s_mul_hi_u32 s8, s52, s4
	s_lshl_b32 s6, s4, 1
	s_add_i32 s7, s8, s7
	v_mad_u64_u32 v[2:3], null, s52, v7, s[46:47]
	s_mul_i32 s8, s52, s4
	s_delay_alu instid0(VALU_DEP_1) | instskip(SKIP_1) | instid1(VALU_DEP_2)
	v_mad_u64_u32 v[4:5], null, s53, v7, v[3:4]
	v_mov_b32_e32 v7, v30
	v_mov_b32_e32 v3, v4
	v_dual_mov_b32 v5, v1 :: v_dual_mov_b32 v4, v0
	s_branch .LBB36_32
	.p2align	6
.LBB36_31:                              ;   in Loop: Header=BB36_32 Depth=2
	s_or_b32 exec_lo, exec_lo, s10
	s_delay_alu instid0(SALU_CYCLE_1)
	s_and_b32 s4, exec_lo, vcc_lo
	v_add_co_u32 v2, vcc_lo, v2, s8
	ds_store_b16 v7, v6
	s_waitcnt vmcnt(0)
	v_dual_mov_b32 v6, v9 :: v_dual_add_nc_u32 v7, s6, v7
	v_add_co_ci_u32_e32 v3, vcc_lo, s7, v3, vcc_lo
	s_or_b32 s9, s4, s9
	s_delay_alu instid0(SALU_CYCLE_1)
	s_and_not1_b32 exec_lo, exec_lo, s9
	s_cbranch_execz .LBB36_34
.LBB36_32:                              ;   Parent Loop BB36_8 Depth=1
                                        ; =>  This Inner Loop Header: Depth=2
	s_delay_alu instid0(VALU_DEP_1) | instskip(NEXT) | instid1(VALU_DEP_2)
	v_add_co_u32 v4, vcc_lo, v4, v8
	v_add_co_ci_u32_e32 v5, vcc_lo, 0, v5, vcc_lo
	v_mov_b32_e32 v9, 0
	s_mov_b32 s10, exec_lo
	s_delay_alu instid0(VALU_DEP_2)
	v_cmp_le_i64_e32 vcc_lo, s[24:25], v[4:5]
	v_cmpx_gt_i64_e64 s[24:25], v[4:5]
	s_cbranch_execz .LBB36_31
; %bb.33:                               ;   in Loop: Header=BB36_32 Depth=2
	global_load_u16 v9, v[2:3], off
	s_branch .LBB36_31
.LBB36_34:                              ;   in Loop: Header=BB36_8 Depth=1
	s_or_b32 exec_lo, exec_lo, s5
	s_waitcnt vmcnt(0) lgkmcnt(0)
	s_barrier
	buffer_gl0_inv
	s_and_saveexec_b32 s4, s0
	s_cbranch_execz .LBB36_36
; %bb.35:                               ;   in Loop: Header=BB36_8 Depth=1
	v_dual_mov_b32 v2, s24 :: v_dual_mov_b32 v3, s25
	ds_store_b64 v13, v[2:3] offset:5120
.LBB36_36:                              ;   in Loop: Header=BB36_8 Depth=1
	s_or_b32 exec_lo, exec_lo, s4
	s_mov_b32 s4, -1
	s_waitcnt lgkmcnt(0)
	s_barrier
                                        ; implicit-def: $sgpr56_sgpr57
.LBB36_37:                              ;   in Loop: Header=BB36_8 Depth=1
	s_and_b32 vcc_lo, exec_lo, s4
	s_cbranch_vccz .LBB36_39
; %bb.38:                               ;   in Loop: Header=BB36_8 Depth=1
	buffer_gl0_inv
	ds_load_b64 v[2:3], v13 offset:5120
	s_waitcnt lgkmcnt(0)
	v_readfirstlane_b32 s56, v2
.LBB36_39:                              ;   in Loop: Header=BB36_8 Depth=1
	s_delay_alu instid0(VALU_DEP_1)
	s_cmp_lt_i32 s56, 1
	s_cbranch_scc0 .LBB36_54
; %bb.40:                               ;   in Loop: Header=BB36_8 Depth=1
	global_load_u16 v2, v13, s[50:51]
	s_mov_b32 s5, s25
	s_waitcnt vmcnt(0)
	v_readfirstlane_b32 s4, v2
	s_delay_alu instid0(VALU_DEP_1)
	s_and_b32 s44, s4, 0xffff
	s_mov_b32 s4, s45
	s_lshl_b32 s48, s44, 2
	s_cmp_lg_u64 s[4:5], 0
	s_cbranch_scc0 .LBB36_74
; %bb.41:                               ;   in Loop: Header=BB36_8 Depth=1
	v_cvt_f32_u32_e32 v2, s48
	s_sub_u32 s6, 0, s48
	s_subb_u32 s7, 0, 0
	s_delay_alu instid0(VALU_DEP_1) | instskip(NEXT) | instid1(VALU_DEP_1)
	v_fmac_f32_e32 v2, 0x4f800000, v39
	v_rcp_f32_e32 v2, v2
	s_waitcnt_depctr 0xfff
	v_mul_f32_e32 v2, 0x5f7ffffc, v2
	s_delay_alu instid0(VALU_DEP_1) | instskip(NEXT) | instid1(VALU_DEP_1)
	v_mul_f32_e32 v3, 0x2f800000, v2
	v_trunc_f32_e32 v3, v3
	s_delay_alu instid0(VALU_DEP_1) | instskip(SKIP_1) | instid1(VALU_DEP_2)
	v_fmac_f32_e32 v2, 0xcf800000, v3
	v_cvt_u32_f32_e32 v3, v3
	v_cvt_u32_f32_e32 v2, v2
	s_delay_alu instid0(VALU_DEP_2) | instskip(NEXT) | instid1(VALU_DEP_2)
	v_readfirstlane_b32 s4, v3
	v_readfirstlane_b32 s5, v2
	s_delay_alu instid0(VALU_DEP_2) | instskip(NEXT) | instid1(VALU_DEP_1)
	s_mul_i32 s8, s6, s4
	s_mul_hi_u32 s10, s6, s5
	s_mul_i32 s9, s7, s5
	s_add_i32 s8, s10, s8
	s_mul_i32 s11, s6, s5
	s_add_i32 s8, s8, s9
	s_mul_hi_u32 s10, s5, s11
	s_mul_hi_u32 s12, s4, s11
	s_mul_i32 s9, s4, s11
	s_mul_hi_u32 s11, s5, s8
	s_mul_i32 s5, s5, s8
	s_mul_hi_u32 s13, s4, s8
	s_add_u32 s5, s10, s5
	s_addc_u32 s10, 0, s11
	s_add_u32 s5, s5, s9
	s_mul_i32 s8, s4, s8
	s_addc_u32 s5, s10, s12
	s_addc_u32 s9, s13, 0
	s_add_u32 s5, s5, s8
	s_addc_u32 s8, 0, s9
	v_add_co_u32 v2, s5, v2, s5
	s_delay_alu instid0(VALU_DEP_1) | instskip(SKIP_1) | instid1(VALU_DEP_1)
	s_cmp_lg_u32 s5, 0
	s_addc_u32 s4, s4, s8
	v_readfirstlane_b32 s5, v2
	s_mul_i32 s8, s6, s4
	s_delay_alu instid0(VALU_DEP_1)
	s_mul_hi_u32 s9, s6, s5
	s_mul_i32 s7, s7, s5
	s_add_i32 s8, s9, s8
	s_mul_i32 s6, s6, s5
	s_add_i32 s8, s8, s7
	s_mul_hi_u32 s9, s4, s6
	s_mul_i32 s10, s4, s6
	s_mul_hi_u32 s6, s5, s6
	s_mul_hi_u32 s11, s5, s8
	s_mul_i32 s5, s5, s8
	s_mul_hi_u32 s7, s4, s8
	s_add_u32 s5, s6, s5
	s_addc_u32 s6, 0, s11
	s_add_u32 s5, s5, s10
	s_mul_i32 s8, s4, s8
	s_addc_u32 s5, s6, s9
	s_addc_u32 s6, s7, 0
	s_add_u32 s5, s5, s8
	s_addc_u32 s6, 0, s6
	v_add_co_u32 v2, s5, v2, s5
	s_delay_alu instid0(VALU_DEP_1) | instskip(SKIP_2) | instid1(VALU_DEP_1)
	s_cmp_lg_u32 s5, 0
	s_addc_u32 s8, s4, s6
	s_ashr_i32 s6, s25, 31
	v_readfirstlane_b32 s9, v2
	s_add_u32 s4, s24, s6
	s_mov_b32 s7, s6
	s_addc_u32 s5, s25, s6
	s_delay_alu instid0(SALU_CYCLE_1) | instskip(NEXT) | instid1(SALU_CYCLE_1)
	s_xor_b64 s[4:5], s[4:5], s[6:7]
	s_mul_i32 s10, s4, s8
	s_mul_hi_u32 s11, s4, s9
	s_mul_hi_u32 s7, s4, s8
	;; [unrolled: 1-line block ×3, first 2 shown]
	s_mul_i32 s9, s5, s9
	s_add_u32 s10, s11, s10
	s_addc_u32 s7, 0, s7
	s_mul_hi_u32 s12, s5, s8
	s_add_u32 s9, s10, s9
	s_mul_i32 s8, s5, s8
	s_addc_u32 s7, s7, s13
	s_addc_u32 s9, s12, 0
	s_add_u32 s7, s7, s8
	s_addc_u32 s8, 0, s9
	s_mul_hi_u32 s9, s48, s7
	s_mul_i32 s7, s48, s7
	s_mul_i32 s8, s48, s8
	v_sub_co_u32 v2, s4, s4, s7
	s_add_i32 s9, s9, s8
	s_cmp_lg_u32 s4, 0
	s_delay_alu instid0(VALU_DEP_1) | instskip(SKIP_2) | instid1(VALU_DEP_1)
	v_sub_co_u32 v3, s4, v2, s48
	s_subb_u32 s5, s5, s9
	s_cmp_lg_u32 s4, 0
	v_cmp_le_u32_e32 vcc_lo, s48, v3
	v_sub_co_u32 v4, s4, v3, s48
	s_subb_u32 s7, s5, 0
	s_cmp_lg_u32 s4, 0
	v_cndmask_b32_e64 v5, 0, -1, vcc_lo
	s_subb_u32 s4, s7, 0
	s_cmp_eq_u32 s7, 0
	v_mov_b32_e32 v7, s4
	s_cselect_b32 vcc_lo, -1, 0
	s_cmp_eq_u32 s5, 0
	v_cndmask_b32_e32 v5, -1, v5, vcc_lo
	v_cmp_le_u32_e32 vcc_lo, s48, v2
	s_cselect_b32 s4, -1, 0
	v_cndmask_b32_e64 v6, 0, -1, vcc_lo
	s_delay_alu instid0(VALU_DEP_3) | instskip(NEXT) | instid1(VALU_DEP_2)
	v_cmp_ne_u32_e32 vcc_lo, 0, v5
	v_cndmask_b32_e64 v5, -1, v6, s4
	v_cndmask_b32_e32 v3, v3, v4, vcc_lo
	v_cndmask_b32_e32 v6, s7, v7, vcc_lo
	s_delay_alu instid0(VALU_DEP_3) | instskip(NEXT) | instid1(VALU_DEP_3)
	v_cmp_ne_u32_e32 vcc_lo, 0, v5
	v_cndmask_b32_e32 v2, v2, v3, vcc_lo
	s_delay_alu instid0(VALU_DEP_3) | instskip(NEXT) | instid1(VALU_DEP_2)
	v_cndmask_b32_e32 v4, s5, v6, vcc_lo
	v_xor_b32_e32 v2, s6, v2
	s_delay_alu instid0(VALU_DEP_2) | instskip(NEXT) | instid1(VALU_DEP_2)
	v_xor_b32_e32 v3, s6, v4
	v_sub_co_u32 v23, vcc_lo, v2, s6
	s_delay_alu instid0(VALU_DEP_2)
	v_subrev_co_ci_u32_e32 v24, vcc_lo, s6, v3, vcc_lo
	s_cbranch_execnz .LBB36_43
.LBB36_42:                              ;   in Loop: Header=BB36_8 Depth=1
	v_cvt_f32_u32_e32 v2, s48
	s_sub_i32 s4, 0, s48
	s_delay_alu instid0(VALU_DEP_1) | instskip(SKIP_2) | instid1(VALU_DEP_1)
	v_rcp_iflag_f32_e32 v2, v2
	s_waitcnt_depctr 0xfff
	v_mul_f32_e32 v2, 0x4f7ffffe, v2
	v_cvt_u32_f32_e32 v2, v2
	s_delay_alu instid0(VALU_DEP_1) | instskip(NEXT) | instid1(VALU_DEP_1)
	v_mul_lo_u32 v3, s4, v2
	v_mul_hi_u32 v3, v2, v3
	s_delay_alu instid0(VALU_DEP_1) | instskip(NEXT) | instid1(VALU_DEP_1)
	v_add_nc_u32_e32 v2, v2, v3
	v_mul_hi_u32 v2, s24, v2
	s_delay_alu instid0(VALU_DEP_1) | instskip(NEXT) | instid1(VALU_DEP_1)
	v_mul_lo_u32 v2, v2, s48
	v_sub_nc_u32_e32 v2, s24, v2
	s_delay_alu instid0(VALU_DEP_1) | instskip(SKIP_1) | instid1(VALU_DEP_2)
	v_subrev_nc_u32_e32 v3, s48, v2
	v_cmp_le_u32_e32 vcc_lo, s48, v2
	v_cndmask_b32_e32 v2, v2, v3, vcc_lo
	s_delay_alu instid0(VALU_DEP_1) | instskip(SKIP_1) | instid1(VALU_DEP_2)
	v_subrev_nc_u32_e32 v3, s48, v2
	v_cmp_le_u32_e32 vcc_lo, s48, v2
	v_cndmask_b32_e32 v12, v2, v3, vcc_lo
	s_delay_alu instid0(VALU_DEP_1)
	v_dual_mov_b32 v24, v13 :: v_dual_mov_b32 v23, v12
.LBB36_43:                              ;   in Loop: Header=BB36_8 Depth=1
	v_mov_b32_e32 v2, 0
	v_mov_b32_e32 v3, 0
	s_delay_alu instid0(VALU_DEP_3) | instskip(NEXT) | instid1(VALU_DEP_4)
	v_sub_co_u32 v25, vcc_lo, s24, v23
	v_sub_co_ci_u32_e32 v26, vcc_lo, s25, v24, vcc_lo
	s_delay_alu instid0(VALU_DEP_3)
	v_dual_mov_b32 v5, v3 :: v_dual_mov_b32 v4, v2
	v_dual_mov_b32 v7, v3 :: v_dual_mov_b32 v6, v2
	;; [unrolled: 1-line block ×3, first 2 shown]
	s_mov_b64 s[58:59], 0
	s_mov_b32 s57, exec_lo
	v_cmpx_gt_i64_e64 v[25:26], v[14:15]
	s_cbranch_execz .LBB36_47
; %bb.44:                               ;   in Loop: Header=BB36_8 Depth=1
	v_dual_mov_b32 v28, v15 :: v_dual_mov_b32 v27, v14
	s_mul_i32 s4, s55, s44
	s_mul_hi_u32 s5, s54, s44
	s_and_b32 s89, s82, 0xfe
	s_add_i32 s90, s5, s4
	s_mul_i32 s91, s54, s44
	s_mov_b32 s92, 0
	s_mov_b64 s[60:61], s[46:47]
	s_mov_b64 s[62:63], 0
	s_mov_b64 s[64:65], 0
	s_mov_b64 s[66:67], 0
.LBB36_45:                              ;   Parent Loop BB36_8 Depth=1
                                        ; =>  This Inner Loop Header: Depth=2
	v_add_co_u32 v2, vcc_lo, s60, v21
	v_add_co_ci_u32_e32 v3, vcc_lo, s61, v22, vcc_lo
	v_add_co_u32 v4, vcc_lo, s60, v20
	v_add_co_ci_u32_e32 v5, vcc_lo, s61, v35, vcc_lo
	;; [unrolled: 2-line block ×4, first 2 shown]
	s_clause 0x3
	global_load_i16 v2, v[2:3], off
	global_load_i16 v3, v[4:5], off
	;; [unrolled: 1-line block ×4, first 2 shown]
	v_add_co_u32 v27, vcc_lo, v27, s48
	v_add_co_ci_u32_e32 v28, vcc_lo, 0, v28, vcc_lo
	s_delay_alu instid0(VALU_DEP_1)
	v_cmp_ge_i64_e32 vcc_lo, v[27:28], v[25:26]
	s_waitcnt vmcnt(3)
	v_add_nc_u32_e32 v2, 0x8000, v2
	s_waitcnt vmcnt(2)
	v_add_nc_u32_e32 v3, 0x8000, v3
	;; [unrolled: 2-line block ×4, first 2 shown]
	v_and_b32_e32 v6, s87, v2
	v_bfe_u32 v2, v2, s89, 2
	v_and_b32_e32 v7, s87, v3
	v_bfe_u32 v3, v3, s89, 2
	v_and_b32_e32 v8, s87, v4
	v_bfe_u32 v4, v4, s89, 2
	v_cmp_eq_u32_e64 s4, s88, v6
	v_cmp_eq_u32_e64 s8, 0, v2
	v_and_b32_e32 v9, s87, v5
	v_bfe_u32 v5, v5, s89, 2
	v_cmp_eq_u32_e64 s5, s88, v7
	v_cmp_eq_u32_e64 s9, 0, v3
	;; [unrolled: 1-line block ×4, first 2 shown]
	s_and_b32 s8, s4, s8
	v_cmp_eq_u32_e64 s7, s88, v9
	v_cmp_eq_u32_e64 s11, 0, v5
	;; [unrolled: 1-line block ×5, first 2 shown]
	v_cndmask_b32_e64 v2, 0, 1, s8
	s_and_b32 s8, s5, s9
	v_cmp_eq_u32_e64 s13, 1, v3
	v_cmp_eq_u32_e64 s17, 2, v3
	v_cmp_eq_u32_e64 s21, 3, v3
	v_cndmask_b32_e64 v3, 0, 1, s8
	s_and_b32 s8, s6, s10
	v_cmp_eq_u32_e64 s14, 1, v4
	v_cmp_eq_u32_e64 s18, 2, v4
	v_cmp_eq_u32_e64 s22, 3, v4
	v_cndmask_b32_e64 v4, 0, 1, s8
	s_and_b32 s8, s7, s11
	v_cmp_eq_u32_e64 s15, 1, v5
	v_cmp_eq_u32_e64 s19, 2, v5
	v_cmp_eq_u32_e64 s23, 3, v5
	v_cndmask_b32_e64 v5, 0, 1, s8
	v_cmp_ne_u32_e64 s8, 0, v2
	v_cmp_ne_u32_e64 s9, 0, v3
	;; [unrolled: 1-line block ×3, first 2 shown]
	s_delay_alu instid0(VALU_DEP_4) | instskip(NEXT) | instid1(VALU_DEP_4)
	v_cmp_ne_u32_e64 s11, 0, v5
	s_bcnt1_i32_b32 s8, s8
	s_delay_alu instid0(VALU_DEP_3) | instskip(NEXT) | instid1(VALU_DEP_2)
	s_bcnt1_i32_b32 s9, s9
	s_bcnt1_i32_b32 s10, s10
	s_add_i32 s8, s9, s8
	s_bcnt1_i32_b32 s11, s11
	s_add_i32 s8, s8, s10
	s_delay_alu instid0(SALU_CYCLE_1) | instskip(NEXT) | instid1(SALU_CYCLE_1)
	s_add_i32 s8, s8, s11
	s_add_u32 s66, s66, s8
	s_addc_u32 s67, s67, 0
	s_and_b32 s8, s4, s12
	v_mov_b32_e32 v2, s66
	v_cndmask_b32_e64 v4, 0, 1, s8
	s_and_b32 s8, s5, s13
	v_mov_b32_e32 v3, s67
	v_cndmask_b32_e64 v5, 0, 1, s8
	s_and_b32 s8, s6, s14
	s_delay_alu instid0(SALU_CYCLE_1) | instskip(SKIP_1) | instid1(VALU_DEP_2)
	v_cndmask_b32_e64 v6, 0, 1, s8
	s_and_b32 s8, s7, s15
	v_cmp_ne_u32_e64 s9, 0, v5
	v_cndmask_b32_e64 v7, 0, 1, s8
	v_cmp_ne_u32_e64 s8, 0, v4
	v_cmp_ne_u32_e64 s10, 0, v6
	s_delay_alu instid0(VALU_DEP_4) | instskip(NEXT) | instid1(VALU_DEP_3)
	s_bcnt1_i32_b32 s9, s9
	v_cmp_ne_u32_e64 s11, 0, v7
	s_delay_alu instid0(VALU_DEP_3) | instskip(NEXT) | instid1(VALU_DEP_2)
	s_bcnt1_i32_b32 s8, s8
	s_bcnt1_i32_b32 s10, s10
	s_add_i32 s8, s9, s8
	s_delay_alu instid0(VALU_DEP_1) | instskip(SKIP_1) | instid1(SALU_CYCLE_1)
	s_bcnt1_i32_b32 s11, s11
	s_add_i32 s8, s8, s10
	s_add_i32 s8, s8, s11
	s_delay_alu instid0(SALU_CYCLE_1) | instskip(SKIP_2) | instid1(SALU_CYCLE_1)
	s_add_u32 s64, s64, s8
	s_addc_u32 s65, s65, 0
	s_and_b32 s8, s4, s16
	v_cndmask_b32_e64 v4, 0, 1, s8
	s_and_b32 s8, s5, s17
	s_delay_alu instid0(SALU_CYCLE_1) | instskip(SKIP_1) | instid1(SALU_CYCLE_1)
	v_cndmask_b32_e64 v5, 0, 1, s8
	s_and_b32 s8, s6, s18
	v_cndmask_b32_e64 v6, 0, 1, s8
	s_and_b32 s8, s7, s19
	s_delay_alu instid0(VALU_DEP_2) | instskip(SKIP_3) | instid1(VALU_DEP_4)
	v_cmp_ne_u32_e64 s9, 0, v5
	v_cndmask_b32_e64 v7, 0, 1, s8
	v_cmp_ne_u32_e64 s8, 0, v4
	v_cmp_ne_u32_e64 s10, 0, v6
	s_bcnt1_i32_b32 s9, s9
	s_delay_alu instid0(VALU_DEP_3) | instskip(NEXT) | instid1(VALU_DEP_3)
	v_cmp_ne_u32_e64 s11, 0, v7
	s_bcnt1_i32_b32 s8, s8
	s_delay_alu instid0(VALU_DEP_2) | instskip(SKIP_1) | instid1(VALU_DEP_1)
	s_bcnt1_i32_b32 s10, s10
	s_add_i32 s8, s9, s8
	s_bcnt1_i32_b32 s11, s11
	s_add_i32 s8, s8, s10
	s_delay_alu instid0(SALU_CYCLE_1) | instskip(NEXT) | instid1(SALU_CYCLE_1)
	s_add_i32 s8, s8, s11
	s_add_u32 s62, s62, s8
	s_addc_u32 s63, s63, 0
	s_and_b32 s4, s4, s20
	s_delay_alu instid0(SALU_CYCLE_1) | instskip(SKIP_1) | instid1(SALU_CYCLE_1)
	v_cndmask_b32_e64 v4, 0, 1, s4
	s_and_b32 s4, s5, s21
	v_cndmask_b32_e64 v5, 0, 1, s4
	s_and_b32 s4, s6, s22
	s_delay_alu instid0(SALU_CYCLE_1) | instskip(SKIP_1) | instid1(VALU_DEP_2)
	v_cndmask_b32_e64 v6, 0, 1, s4
	s_and_b32 s4, s7, s23
	v_cmp_ne_u32_e64 s5, 0, v5
	v_cndmask_b32_e64 v7, 0, 1, s4
	v_cmp_ne_u32_e64 s4, 0, v4
	v_cmp_ne_u32_e64 s6, 0, v6
	v_mov_b32_e32 v4, s64
	s_bcnt1_i32_b32 s5, s5
	v_cmp_ne_u32_e64 s7, 0, v7
	v_mov_b32_e32 v6, s62
	s_bcnt1_i32_b32 s4, s4
	s_bcnt1_i32_b32 s6, s6
	s_add_i32 s4, s5, s4
	s_bcnt1_i32_b32 s5, s7
	s_add_i32 s4, s4, s6
	v_mov_b32_e32 v5, s65
	s_add_i32 s4, s4, s5
	v_mov_b32_e32 v7, s63
	s_add_u32 s58, s58, s4
	s_addc_u32 s59, s59, 0
	s_delay_alu instid0(SALU_CYCLE_1) | instskip(SKIP_3) | instid1(SALU_CYCLE_1)
	v_dual_mov_b32 v8, s58 :: v_dual_mov_b32 v9, s59
	s_add_u32 s60, s60, s91
	s_addc_u32 s61, s61, s90
	s_or_b32 s92, vcc_lo, s92
	s_and_not1_b32 exec_lo, exec_lo, s92
	s_cbranch_execnz .LBB36_45
; %bb.46:                               ;   in Loop: Header=BB36_8 Depth=1
	s_or_b32 exec_lo, exec_lo, s92
.LBB36_47:                              ;   in Loop: Header=BB36_8 Depth=1
	s_delay_alu instid0(SALU_CYCLE_1) | instskip(SKIP_3) | instid1(VALU_DEP_2)
	s_or_b32 exec_lo, exec_lo, s57
	v_add_co_u32 v25, vcc_lo, v25, v0
	v_add_co_ci_u32_e32 v26, vcc_lo, 0, v26, vcc_lo
	v_mov_b32_e32 v12, 0
	v_cmp_gt_i64_e32 vcc_lo, s[24:25], v[25:26]
	s_and_saveexec_b32 s5, vcc_lo
	s_cbranch_execz .LBB36_49
; %bb.48:                               ;   in Loop: Header=BB36_8 Depth=1
	v_mul_lo_u32 v12, v26, s30
	v_mul_lo_u32 v41, v25, s31
	v_mad_u64_u32 v[27:28], null, v25, s30, 0
	s_delay_alu instid0(VALU_DEP_1) | instskip(NEXT) | instid1(VALU_DEP_1)
	v_add3_u32 v28, v28, v41, v12
	v_lshlrev_b64 v[27:28], 1, v[27:28]
	s_delay_alu instid0(VALU_DEP_1) | instskip(NEXT) | instid1(VALU_DEP_1)
	v_add_co_u32 v27, s4, s46, v27
	v_add_co_ci_u32_e64 v28, s4, s47, v28, s4
	global_load_u16 v12, v[27:28], off
.LBB36_49:                              ;   in Loop: Header=BB36_8 Depth=1
	s_or_b32 exec_lo, exec_lo, s5
	s_and_saveexec_b32 s8, vcc_lo
	s_cbranch_execz .LBB36_56
; %bb.50:                               ;   in Loop: Header=BB36_8 Depth=1
	v_add_co_u32 v27, vcc_lo, v36, s44
	v_add_co_ci_u32_e32 v28, vcc_lo, 0, v37, vcc_lo
	s_mul_i32 s4, s53, s44
	s_delay_alu instid0(VALU_DEP_2) | instskip(NEXT) | instid1(VALU_DEP_2)
	v_sub_co_u32 v27, vcc_lo, v27, v23
	v_sub_co_ci_u32_e32 v23, vcc_lo, v28, v24, vcc_lo
	s_mul_hi_u32 s5, s52, s44
	s_delay_alu instid0(VALU_DEP_2) | instskip(SKIP_1) | instid1(VALU_DEP_2)
	v_mul_lo_u32 v41, s53, v27
	s_and_b32 s9, s82, 0xfe
	v_mul_lo_u32 v28, s52, v23
	v_mad_u64_u32 v[23:24], null, s52, v27, s[46:47]
	s_add_i32 s10, s5, s4
	s_mul_i32 s11, s52, s44
	s_mov_b32 s12, 0
	s_delay_alu instid0(VALU_DEP_1)
	v_add3_u32 v24, v41, v24, v28
	s_branch .LBB36_52
.LBB36_51:                              ;   in Loop: Header=BB36_52 Depth=2
	s_or_b32 exec_lo, exec_lo, s5
	s_waitcnt vmcnt(0)
	v_bfe_i32 v12, v12, 0, 16
	s_and_b32 s6, exec_lo, vcc_lo
	s_delay_alu instid0(SALU_CYCLE_1) | instskip(NEXT) | instid1(VALU_DEP_1)
	s_or_b32 s12, s6, s12
	v_add_nc_u32_e32 v12, 0x8000, v12
	s_delay_alu instid0(VALU_DEP_1) | instskip(SKIP_1) | instid1(VALU_DEP_2)
	v_and_b32_e32 v28, s87, v12
	v_bfe_u32 v12, v12, s9, 2
	v_cmp_eq_u32_e64 s4, s88, v28
	s_delay_alu instid0(VALU_DEP_2) | instskip(SKIP_2) | instid1(VALU_DEP_3)
	v_cmp_eq_u32_e64 s5, 0, v12
	v_cmp_eq_u32_e32 vcc_lo, 1, v12
	v_cmp_eq_u32_e64 s6, 2, v12
	s_and_b32 s5, s4, s5
	s_delay_alu instid0(SALU_CYCLE_1) | instskip(SKIP_4) | instid1(SALU_CYCLE_1)
	v_cndmask_b32_e64 v28, 0, 1, s5
	s_and_b32 s5, s4, vcc_lo
	v_cmp_eq_u32_e32 vcc_lo, 3, v12
	v_cndmask_b32_e64 v41, 0, 1, s5
	s_and_b32 s5, s4, s6
	v_cndmask_b32_e64 v42, 0, 1, s5
	v_cmp_ne_u32_e64 s5, 0, v28
	s_delay_alu instid0(VALU_DEP_3) | instskip(SKIP_1) | instid1(SALU_CYCLE_1)
	v_cmp_ne_u32_e64 s6, 0, v41
	s_and_b32 s4, s4, vcc_lo
	v_cndmask_b32_e64 v12, 0, 1, s4
	s_delay_alu instid0(VALU_DEP_3)
	s_bcnt1_i32_b32 s4, s5
	v_cmp_ne_u32_e64 s7, 0, v42
	v_add_co_u32 v2, vcc_lo, v2, s4
	s_bcnt1_i32_b32 s5, s6
	v_add_co_ci_u32_e32 v3, vcc_lo, 0, v3, vcc_lo
	v_add_co_u32 v4, vcc_lo, v4, s5
	v_add_co_ci_u32_e32 v5, vcc_lo, 0, v5, vcc_lo
	s_bcnt1_i32_b32 s6, s7
	v_cmp_ne_u32_e32 vcc_lo, 0, v12
	v_add_co_u32 v6, s4, v6, s6
	s_delay_alu instid0(VALU_DEP_1)
	v_add_co_ci_u32_e64 v7, s4, 0, v7, s4
	s_bcnt1_i32_b32 s4, vcc_lo
	v_mov_b32_e32 v12, v27
	v_add_co_u32 v8, vcc_lo, v8, s4
	v_add_co_ci_u32_e32 v9, vcc_lo, 0, v9, vcc_lo
	v_add_co_u32 v23, vcc_lo, v23, s11
	v_add_co_ci_u32_e32 v24, vcc_lo, s10, v24, vcc_lo
	s_and_not1_b32 exec_lo, exec_lo, s12
	s_cbranch_execz .LBB36_55
.LBB36_52:                              ;   Parent Loop BB36_8 Depth=1
                                        ; =>  This Inner Loop Header: Depth=2
	v_add_co_u32 v25, vcc_lo, v25, s44
	v_add_co_ci_u32_e32 v26, vcc_lo, 0, v26, vcc_lo
	v_mov_b32_e32 v27, 0
	s_mov_b32 s5, exec_lo
	s_delay_alu instid0(VALU_DEP_2)
	v_cmp_le_i64_e32 vcc_lo, s[24:25], v[25:26]
	v_cmpx_gt_i64_e64 s[24:25], v[25:26]
	s_cbranch_execz .LBB36_51
; %bb.53:                               ;   in Loop: Header=BB36_52 Depth=2
	global_load_u16 v27, v[23:24], off
	s_branch .LBB36_51
.LBB36_54:                              ;   in Loop: Header=BB36_8 Depth=1
                                        ; implicit-def: $vgpr8_vgpr9
                                        ; implicit-def: $vgpr4_vgpr5
	s_cbranch_execnz .LBB36_57
	s_branch .LBB36_66
.LBB36_55:                              ;   in Loop: Header=BB36_8 Depth=1
	s_or_b32 exec_lo, exec_lo, s12
.LBB36_56:                              ;   in Loop: Header=BB36_8 Depth=1
	s_delay_alu instid0(SALU_CYCLE_1)
	s_or_b32 exec_lo, exec_lo, s8
	s_branch .LBB36_66
.LBB36_57:                              ;   in Loop: Header=BB36_8 Depth=1
	global_load_u16 v8, v13, s[50:51]
	s_mov_b64 s[58:59], 0
	s_mov_b32 s57, exec_lo
	s_waitcnt vmcnt(0)
	v_readfirstlane_b32 s4, v8
	v_and_b32_e32 v25, 0xffff, v8
	s_delay_alu instid0(VALU_DEP_2) | instskip(NEXT) | instid1(SALU_CYCLE_1)
	s_and_b32 s4, 0xffff, s4
	s_lshl_b32 s48, s4, 2
	s_delay_alu instid0(SALU_CYCLE_1) | instskip(SKIP_1) | instid1(VALU_DEP_1)
	v_cvt_f32_u32_e32 v2, s48
	s_sub_i32 s5, 0, s48
	v_rcp_iflag_f32_e32 v2, v2
	s_waitcnt_depctr 0xfff
	v_mul_f32_e32 v2, 0x4f7ffffe, v2
	s_delay_alu instid0(VALU_DEP_1) | instskip(NEXT) | instid1(VALU_DEP_1)
	v_cvt_u32_f32_e32 v2, v2
	v_readfirstlane_b32 s4, v2
	v_mov_b32_e32 v2, 0
	v_mov_b32_e32 v3, 0
	s_delay_alu instid0(VALU_DEP_3) | instskip(NEXT) | instid1(VALU_DEP_1)
	s_mul_i32 s5, s5, s4
	v_dual_mov_b32 v5, v3 :: v_dual_mov_b32 v4, v2
	s_mul_hi_u32 s5, s4, s5
	v_dual_mov_b32 v7, v3 :: v_dual_mov_b32 v6, v2
	s_add_i32 s4, s4, s5
	v_dual_mov_b32 v9, v3 :: v_dual_mov_b32 v8, v2
	s_mul_hi_u32 s4, s56, s4
	s_delay_alu instid0(SALU_CYCLE_1) | instskip(NEXT) | instid1(SALU_CYCLE_1)
	s_mul_i32 s4, s4, s48
	s_sub_i32 s4, s56, s4
	s_delay_alu instid0(SALU_CYCLE_1) | instskip(SKIP_2) | instid1(SALU_CYCLE_1)
	s_sub_i32 s5, s4, s48
	s_cmp_ge_u32 s4, s48
	s_cselect_b32 s4, s5, s4
	s_sub_i32 s5, s4, s48
	s_cmp_ge_u32 s4, s48
	s_cselect_b32 s4, s5, s4
	s_delay_alu instid0(SALU_CYCLE_1) | instskip(NEXT) | instid1(SALU_CYCLE_1)
	s_sub_i32 s44, s56, s4
	v_cmpx_gt_u32_e64 s44, v14
	s_cbranch_execz .LBB36_61
; %bb.58:                               ;   in Loop: Header=BB36_8 Depth=1
	v_mov_b32_e32 v24, v15
	v_dual_mov_b32 v23, v14 :: v_dual_lshlrev_b32 v12, 3, v25
	v_mov_b32_e32 v26, v33
	s_and_b32 s66, s82, 0xfe
	s_mov_b32 s67, 0
	s_mov_b64 s[60:61], 0
	s_mov_b64 s[62:63], 0
	;; [unrolled: 1-line block ×3, first 2 shown]
.LBB36_59:                              ;   Parent Loop BB36_8 Depth=1
                                        ; =>  This Inner Loop Header: Depth=2
	ds_load_b64 v[2:3], v26
	v_add_co_u32 v23, vcc_lo, v23, s48
	v_add_co_ci_u32_e32 v24, vcc_lo, 0, v24, vcc_lo
	s_delay_alu instid0(VALU_DEP_1)
	v_cmp_le_u64_e32 vcc_lo, s[44:45], v[23:24]
	s_waitcnt lgkmcnt(0)
	v_bfe_i32 v4, v2, 0, 16
	v_ashrrev_i32_e32 v2, 16, v2
	v_bfe_i32 v5, v3, 0, 16
	v_ashrrev_i32_e32 v3, 16, v3
	s_delay_alu instid0(VALU_DEP_4) | instskip(NEXT) | instid1(VALU_DEP_4)
	v_add_nc_u32_e32 v4, 0x8000, v4
	v_add_nc_u32_e32 v2, 0x8000, v2
	s_delay_alu instid0(VALU_DEP_4) | instskip(NEXT) | instid1(VALU_DEP_4)
	v_add_nc_u32_e32 v5, 0x8000, v5
	v_add_nc_u32_e32 v3, 0x8000, v3
	s_delay_alu instid0(VALU_DEP_4)
	v_and_b32_e32 v6, s87, v4
	v_bfe_u32 v4, v4, s66, 2
	v_and_b32_e32 v7, s87, v2
	v_bfe_u32 v2, v2, s66, 2
	;; [unrolled: 2-line block ×3, first 2 shown]
	v_cmp_eq_u32_e64 s4, s88, v6
	v_cmp_eq_u32_e64 s8, 0, v4
	v_and_b32_e32 v9, s87, v3
	v_bfe_u32 v3, v3, s66, 2
	v_cmp_eq_u32_e64 s5, s88, v7
	v_cmp_eq_u32_e64 s9, 0, v2
	;; [unrolled: 1-line block ×4, first 2 shown]
	s_and_b32 s8, s4, s8
	v_cmp_eq_u32_e64 s7, s88, v9
	v_cmp_eq_u32_e64 s11, 0, v3
	;; [unrolled: 1-line block ×5, first 2 shown]
	v_cndmask_b32_e64 v2, 0, 1, s8
	s_and_b32 s8, s5, s9
	v_cmp_eq_u32_e64 s15, 1, v3
	v_cmp_eq_u32_e64 s19, 2, v3
	v_cmp_eq_u32_e64 s23, 3, v3
	v_cndmask_b32_e64 v3, 0, 1, s8
	s_and_b32 s8, s6, s10
	v_cmp_eq_u32_e64 s12, 1, v4
	v_cmp_eq_u32_e64 s16, 2, v4
	v_cmp_eq_u32_e64 s20, 3, v4
	;; [unrolled: 5-line block ×3, first 2 shown]
	v_cndmask_b32_e64 v5, 0, 1, s8
	v_cmp_ne_u32_e64 s8, 0, v2
	v_cmp_ne_u32_e64 s9, 0, v3
	;; [unrolled: 1-line block ×3, first 2 shown]
	s_delay_alu instid0(VALU_DEP_4) | instskip(NEXT) | instid1(VALU_DEP_4)
	v_cmp_ne_u32_e64 s11, 0, v5
	s_bcnt1_i32_b32 s8, s8
	s_delay_alu instid0(VALU_DEP_3) | instskip(NEXT) | instid1(VALU_DEP_2)
	s_bcnt1_i32_b32 s9, s9
	s_bcnt1_i32_b32 s10, s10
	s_add_i32 s8, s9, s8
	s_bcnt1_i32_b32 s11, s11
	s_add_i32 s8, s8, s10
	s_delay_alu instid0(SALU_CYCLE_1) | instskip(NEXT) | instid1(SALU_CYCLE_1)
	s_add_i32 s8, s8, s11
	s_add_u32 s64, s64, s8
	s_addc_u32 s65, s65, 0
	s_and_b32 s8, s4, s12
	v_add_nc_u32_e32 v26, v26, v12
	v_cndmask_b32_e64 v2, 0, 1, s8
	s_and_b32 s8, s5, s13
	s_delay_alu instid0(SALU_CYCLE_1) | instskip(SKIP_1) | instid1(SALU_CYCLE_1)
	v_cndmask_b32_e64 v3, 0, 1, s8
	s_and_b32 s8, s6, s14
	v_cndmask_b32_e64 v4, 0, 1, s8
	s_and_b32 s8, s7, s15
	s_delay_alu instid0(VALU_DEP_2) | instskip(SKIP_3) | instid1(VALU_DEP_4)
	v_cmp_ne_u32_e64 s9, 0, v3
	v_cndmask_b32_e64 v5, 0, 1, s8
	v_cmp_ne_u32_e64 s8, 0, v2
	v_cmp_ne_u32_e64 s10, 0, v4
	s_bcnt1_i32_b32 s9, s9
	s_delay_alu instid0(VALU_DEP_3) | instskip(NEXT) | instid1(VALU_DEP_3)
	v_cmp_ne_u32_e64 s11, 0, v5
	s_bcnt1_i32_b32 s8, s8
	s_delay_alu instid0(VALU_DEP_2) | instskip(SKIP_1) | instid1(VALU_DEP_1)
	s_bcnt1_i32_b32 s10, s10
	s_add_i32 s8, s9, s8
	s_bcnt1_i32_b32 s11, s11
	s_add_i32 s8, s8, s10
	s_delay_alu instid0(SALU_CYCLE_1) | instskip(NEXT) | instid1(SALU_CYCLE_1)
	s_add_i32 s8, s8, s11
	s_add_u32 s62, s62, s8
	s_addc_u32 s63, s63, 0
	s_and_b32 s8, s4, s16
	s_delay_alu instid0(SALU_CYCLE_1) | instskip(SKIP_1) | instid1(SALU_CYCLE_1)
	v_cndmask_b32_e64 v2, 0, 1, s8
	s_and_b32 s8, s5, s17
	v_cndmask_b32_e64 v3, 0, 1, s8
	s_and_b32 s8, s6, s18
	s_delay_alu instid0(SALU_CYCLE_1) | instskip(SKIP_1) | instid1(VALU_DEP_2)
	v_cndmask_b32_e64 v4, 0, 1, s8
	s_and_b32 s8, s7, s19
	v_cmp_ne_u32_e64 s9, 0, v3
	v_cndmask_b32_e64 v5, 0, 1, s8
	v_cmp_ne_u32_e64 s8, 0, v2
	v_cmp_ne_u32_e64 s10, 0, v4
	s_delay_alu instid0(VALU_DEP_4) | instskip(NEXT) | instid1(VALU_DEP_3)
	s_bcnt1_i32_b32 s9, s9
	v_cmp_ne_u32_e64 s11, 0, v5
	s_delay_alu instid0(VALU_DEP_3) | instskip(NEXT) | instid1(VALU_DEP_2)
	s_bcnt1_i32_b32 s8, s8
	s_bcnt1_i32_b32 s10, s10
	s_add_i32 s8, s9, s8
	s_delay_alu instid0(VALU_DEP_1) | instskip(SKIP_1) | instid1(SALU_CYCLE_1)
	s_bcnt1_i32_b32 s11, s11
	s_add_i32 s8, s8, s10
	s_add_i32 s8, s8, s11
	s_delay_alu instid0(SALU_CYCLE_1)
	s_add_u32 s60, s60, s8
	s_addc_u32 s61, s61, 0
	s_and_b32 s4, s4, s20
	v_mov_b32_e32 v6, s60
	v_cndmask_b32_e64 v2, 0, 1, s4
	s_and_b32 s4, s5, s21
	v_mov_b32_e32 v7, s61
	v_cndmask_b32_e64 v3, 0, 1, s4
	s_and_b32 s4, s6, s22
	s_delay_alu instid0(SALU_CYCLE_1) | instskip(SKIP_1) | instid1(VALU_DEP_2)
	v_cndmask_b32_e64 v4, 0, 1, s4
	s_and_b32 s4, s7, s23
	v_cmp_ne_u32_e64 s5, 0, v3
	v_cndmask_b32_e64 v5, 0, 1, s4
	v_cmp_ne_u32_e64 s4, 0, v2
	v_cmp_ne_u32_e64 s6, 0, v4
	v_dual_mov_b32 v2, s64 :: v_dual_mov_b32 v3, s65
	s_delay_alu instid0(VALU_DEP_4) | instskip(NEXT) | instid1(VALU_DEP_4)
	v_cmp_ne_u32_e64 s7, 0, v5
	s_bcnt1_i32_b32 s4, s4
	s_bcnt1_i32_b32 s5, s5
	;; [unrolled: 1-line block ×3, first 2 shown]
	s_add_i32 s4, s5, s4
	s_bcnt1_i32_b32 s5, s7
	s_add_i32 s4, s4, s6
	v_mov_b32_e32 v4, s62
	s_add_i32 s4, s4, s5
	v_mov_b32_e32 v5, s63
	s_add_u32 s58, s58, s4
	s_addc_u32 s59, s59, 0
	s_delay_alu instid0(SALU_CYCLE_1) | instskip(SKIP_1) | instid1(SALU_CYCLE_1)
	v_dual_mov_b32 v8, s58 :: v_dual_mov_b32 v9, s59
	s_or_b32 s67, vcc_lo, s67
	s_and_not1_b32 exec_lo, exec_lo, s67
	s_cbranch_execnz .LBB36_59
; %bb.60:                               ;   in Loop: Header=BB36_8 Depth=1
	s_or_b32 exec_lo, exec_lo, s67
.LBB36_61:                              ;   in Loop: Header=BB36_8 Depth=1
	s_delay_alu instid0(SALU_CYCLE_1) | instskip(SKIP_2) | instid1(VALU_DEP_1)
	s_or_b32 exec_lo, exec_lo, s57
	v_add_nc_u32_e32 v12, s44, v0
	s_mov_b32 s9, exec_lo
	v_cmpx_gt_u32_e64 s56, v12
	s_cbranch_execz .LBB36_65
; %bb.62:                               ;   in Loop: Header=BB36_8 Depth=1
	v_dual_mov_b32 v24, v13 :: v_dual_lshlrev_b32 v27, 1, v25
	v_dual_mov_b32 v23, v12 :: v_dual_lshlrev_b32 v26, 1, v12
	s_mov_b32 s11, 0
	s_and_b32 s10, s56, 0x7fffffff
	s_and_b32 s13, s82, 0xfe
	s_mov_b32 s12, s11
.LBB36_63:                              ;   Parent Loop BB36_8 Depth=1
                                        ; =>  This Inner Loop Header: Depth=2
	ds_load_i16 v12, v26
	v_add_co_u32 v23, vcc_lo, v23, v25
	v_add_co_ci_u32_e32 v24, vcc_lo, 0, v24, vcc_lo
	v_add_nc_u32_e32 v26, v26, v27
	s_delay_alu instid0(VALU_DEP_2) | instskip(SKIP_2) | instid1(VALU_DEP_1)
	v_cmp_le_u64_e32 vcc_lo, s[10:11], v[23:24]
	s_waitcnt lgkmcnt(0)
	v_add_nc_u32_e32 v12, 0x8000, v12
	v_and_b32_e32 v28, s87, v12
	v_bfe_u32 v12, v12, s13, 2
	s_delay_alu instid0(VALU_DEP_2) | instskip(NEXT) | instid1(VALU_DEP_2)
	v_cmp_eq_u32_e64 s4, s88, v28
	v_cmp_eq_u32_e64 s5, 0, v12
	v_cmp_eq_u32_e64 s6, 1, v12
	v_cmp_eq_u32_e64 s7, 2, v12
	v_cmp_eq_u32_e64 s8, 3, v12
	s_delay_alu instid0(VALU_DEP_4) | instskip(NEXT) | instid1(SALU_CYCLE_1)
	s_and_b32 s5, s4, s5
	v_cndmask_b32_e64 v12, 0, 1, s5
	s_and_b32 s5, s4, s6
	s_delay_alu instid0(SALU_CYCLE_1)
	v_cndmask_b32_e64 v28, 0, 1, s5
	s_and_b32 s5, s4, s7
	s_and_b32 s4, s4, s8
	v_cndmask_b32_e64 v41, 0, 1, s5
	v_cndmask_b32_e64 v42, 0, 1, s4
	v_cmp_ne_u32_e64 s4, 0, v12
	v_cmp_ne_u32_e64 s5, 0, v28
	s_delay_alu instid0(VALU_DEP_4) | instskip(NEXT) | instid1(VALU_DEP_4)
	v_cmp_ne_u32_e64 s6, 0, v41
	v_cmp_ne_u32_e64 s7, 0, v42
	s_delay_alu instid0(VALU_DEP_4) | instskip(NEXT) | instid1(VALU_DEP_3)
	s_bcnt1_i32_b32 s4, s4
	s_bcnt1_i32_b32 s5, s5
	v_add_co_u32 v2, s4, v2, s4
	s_delay_alu instid0(VALU_DEP_1)
	v_add_co_ci_u32_e64 v3, s4, 0, v3, s4
	v_add_co_u32 v4, s4, v4, s5
	s_bcnt1_i32_b32 s6, s6
	v_add_co_ci_u32_e64 v5, s4, 0, v5, s4
	v_add_co_u32 v6, s4, v6, s6
	s_bcnt1_i32_b32 s7, s7
	v_add_co_ci_u32_e64 v7, s4, 0, v7, s4
	v_add_co_u32 v8, s4, v8, s7
	s_delay_alu instid0(VALU_DEP_1) | instskip(SKIP_1) | instid1(SALU_CYCLE_1)
	v_add_co_ci_u32_e64 v9, s4, 0, v9, s4
	s_or_b32 s12, vcc_lo, s12
	s_and_not1_b32 exec_lo, exec_lo, s12
	s_cbranch_execnz .LBB36_63
; %bb.64:                               ;   in Loop: Header=BB36_8 Depth=1
	s_or_b32 exec_lo, exec_lo, s12
.LBB36_65:                              ;   in Loop: Header=BB36_8 Depth=1
	s_delay_alu instid0(SALU_CYCLE_1)
	s_or_b32 exec_lo, exec_lo, s9
.LBB36_66:                              ;   in Loop: Header=BB36_8 Depth=1
	s_lshl_b32 s4, s83, 7
	s_and_saveexec_b32 s5, s3
	s_cbranch_execz .LBB36_68
; %bb.67:                               ;   in Loop: Header=BB36_8 Depth=1
	s_waitcnt vmcnt(0)
	v_or_b32_e32 v12, s4, v32
	s_delay_alu instid0(VALU_DEP_1)
	v_lshlrev_b32_e32 v12, 3, v12
	ds_store_b128 v12, v[2:5] offset:3072
	ds_store_b128 v12, v[6:9] offset:3088
.LBB36_68:                              ;   in Loop: Header=BB36_8 Depth=1
	s_or_b32 exec_lo, exec_lo, s5
	s_waitcnt vmcnt(0) lgkmcnt(0)
	s_barrier
	buffer_gl0_inv
	s_and_saveexec_b32 s5, s68
	s_cbranch_execz .LBB36_79
; %bb.69:                               ;   in Loop: Header=BB36_8 Depth=1
	v_mov_b32_e32 v2, 0
	v_mov_b32_e32 v3, 0
	s_and_not1_b32 vcc_lo, exec_lo, s75
	s_cbranch_vccnz .LBB36_78
; %bb.70:                               ;   in Loop: Header=BB36_8 Depth=1
	v_mov_b32_e32 v2, 0
	v_mov_b32_e32 v3, 0
	s_and_not1_b32 vcc_lo, exec_lo, s73
	s_cbranch_vccnz .LBB36_75
; %bb.71:                               ;   in Loop: Header=BB36_8 Depth=1
	v_lshl_add_u32 v4, s83, 10, v38
	s_mov_b32 s6, 0
	s_set_inst_prefetch_distance 0x1
	.p2align	6
.LBB36_72:                              ;   Parent Loop BB36_8 Depth=1
                                        ; =>  This Inner Loop Header: Depth=2
	ds_load_2addr_b64 v[5:8], v4 offset1:4
	ds_load_2addr_b64 v[23:26], v4 offset0:8 offset1:12
	ds_load_2addr_b64 v[41:44], v4 offset0:16 offset1:20
	s_add_i32 s6, s6, 8
	s_delay_alu instid0(SALU_CYCLE_1) | instskip(SKIP_3) | instid1(VALU_DEP_2)
	s_cmp_eq_u32 s74, s6
	s_waitcnt lgkmcnt(2)
	v_add_co_u32 v2, vcc_lo, v5, v2
	v_add_co_ci_u32_e32 v3, vcc_lo, v6, v3, vcc_lo
	v_add_co_u32 v2, vcc_lo, v7, v2
	s_delay_alu instid0(VALU_DEP_2)
	v_add_co_ci_u32_e32 v3, vcc_lo, v8, v3, vcc_lo
	ds_load_2addr_b64 v[5:8], v4 offset0:24 offset1:28
	s_waitcnt lgkmcnt(2)
	v_add_co_u32 v2, vcc_lo, v23, v2
	v_add_co_ci_u32_e32 v3, vcc_lo, v24, v3, vcc_lo
	v_add_nc_u32_e32 v4, 0x100, v4
	s_delay_alu instid0(VALU_DEP_3) | instskip(NEXT) | instid1(VALU_DEP_3)
	v_add_co_u32 v2, vcc_lo, v25, v2
	v_add_co_ci_u32_e32 v3, vcc_lo, v26, v3, vcc_lo
	s_waitcnt lgkmcnt(1)
	s_delay_alu instid0(VALU_DEP_2) | instskip(NEXT) | instid1(VALU_DEP_2)
	v_add_co_u32 v2, vcc_lo, v41, v2
	v_add_co_ci_u32_e32 v3, vcc_lo, v42, v3, vcc_lo
	s_delay_alu instid0(VALU_DEP_2) | instskip(NEXT) | instid1(VALU_DEP_2)
	v_add_co_u32 v2, vcc_lo, v43, v2
	v_add_co_ci_u32_e32 v3, vcc_lo, v44, v3, vcc_lo
	s_waitcnt lgkmcnt(0)
	s_delay_alu instid0(VALU_DEP_2) | instskip(NEXT) | instid1(VALU_DEP_2)
	v_add_co_u32 v2, vcc_lo, v5, v2
	v_add_co_ci_u32_e32 v3, vcc_lo, v6, v3, vcc_lo
	s_delay_alu instid0(VALU_DEP_2) | instskip(NEXT) | instid1(VALU_DEP_2)
	v_add_co_u32 v2, vcc_lo, v7, v2
	v_add_co_ci_u32_e32 v3, vcc_lo, v8, v3, vcc_lo
	s_cbranch_scc0 .LBB36_72
; %bb.73:                               ;   in Loop: Header=BB36_8 Depth=1
	s_set_inst_prefetch_distance 0x2
	s_mov_b32 s6, s74
	s_and_not1_b32 vcc_lo, exec_lo, s76
	s_cbranch_vccz .LBB36_76
	s_branch .LBB36_78
.LBB36_74:                              ;   in Loop: Header=BB36_8 Depth=1
                                        ; implicit-def: $vgpr23_vgpr24
	s_branch .LBB36_42
.LBB36_75:                              ;   in Loop: Header=BB36_8 Depth=1
	s_mov_b32 s6, 0
	s_and_not1_b32 vcc_lo, exec_lo, s76
	s_cbranch_vccnz .LBB36_78
.LBB36_76:                              ;   in Loop: Header=BB36_8 Depth=1
	s_lshl_b32 s7, s83, 10
	s_lshl_b32 s6, s6, 5
	s_delay_alu instid0(SALU_CYCLE_1)
	v_add3_u32 v4, s7, s6, v38
	s_mov_b32 s6, s72
.LBB36_77:                              ;   Parent Loop BB36_8 Depth=1
                                        ; =>  This Inner Loop Header: Depth=2
	ds_load_b64 v[5:6], v4
	v_add_nc_u32_e32 v4, 32, v4
	s_add_i32 s6, s6, -1
	s_delay_alu instid0(SALU_CYCLE_1)
	s_cmp_lg_u32 s6, 0
	s_waitcnt lgkmcnt(0)
	v_add_co_u32 v2, vcc_lo, v5, v2
	v_add_co_ci_u32_e32 v3, vcc_lo, v6, v3, vcc_lo
	s_cbranch_scc1 .LBB36_77
.LBB36_78:                              ;   in Loop: Header=BB36_8 Depth=1
	v_add_lshl_u32 v4, s4, v29, 3
	ds_store_b64 v4, v[2:3] offset:3072
.LBB36_79:                              ;   in Loop: Header=BB36_8 Depth=1
	s_or_b32 exec_lo, exec_lo, s5
	s_lshl_b32 s4, s4, 3
	s_waitcnt lgkmcnt(0)
	v_mov_b32_e32 v6, s4
	s_barrier
	buffer_gl0_inv
	s_and_b32 s17, s82, 0xfe
	s_mov_b32 s19, -1
	ds_load_b128 v[2:5], v6 offset:3072
	ds_load_b128 v[6:9], v6 offset:3088
	s_lshl_b32 s16, 3, s17
	s_delay_alu instid0(SALU_CYCLE_1)
	s_not_b32 s18, s16
	s_waitcnt lgkmcnt(1)
	v_readfirstlane_b32 s13, v3
	v_readfirstlane_b32 s12, v2
	;; [unrolled: 1-line block ×4, first 2 shown]
	s_waitcnt lgkmcnt(0)
	v_readfirstlane_b32 s8, v6
	v_readfirstlane_b32 s9, v7
	s_cmp_eq_u64 s[12:13], 1
	v_readfirstlane_b32 s6, v8
	s_cselect_b32 s4, -1, 0
	s_cmp_eq_u64 s[26:27], 1
	v_readfirstlane_b32 s7, v9
	s_cselect_b32 s5, -1, 0
	s_delay_alu instid0(SALU_CYCLE_1) | instskip(NEXT) | instid1(SALU_CYCLE_1)
	s_and_b32 s20, s4, s5
	s_and_b32 vcc_lo, exec_lo, s20
	s_cbranch_vccz .LBB36_94
; %bb.80:                               ;   in Loop: Header=BB36_8 Depth=1
	ds_load_b64 v[2:3], v13 offset:5120
	s_waitcnt lgkmcnt(0)
	s_barrier
	buffer_gl0_inv
	v_readfirstlane_b32 s14, v2
	v_readfirstlane_b32 s15, v3
	s_and_saveexec_b32 s4, s2
	s_cbranch_execz .LBB36_82
; %bb.81:                               ;   in Loop: Header=BB36_8 Depth=1
	ds_store_b16 v31, v13
.LBB36_82:                              ;   in Loop: Header=BB36_8 Depth=1
	s_or_b32 exec_lo, exec_lo, s4
	s_delay_alu instid0(VALU_DEP_1)
	v_cmp_lt_i64_e64 s4, s[14:15], 1
	s_and_b32 s88, s88, s18
	s_or_b32 s87, s87, s16
	s_waitcnt lgkmcnt(0)
	s_barrier
	buffer_gl0_inv
	s_and_b32 vcc_lo, exec_lo, s4
	s_cbranch_vccz .LBB36_95
; %bb.83:                               ;   in Loop: Header=BB36_8 Depth=1
	s_mov_b32 s48, s45
	s_delay_alu instid0(SALU_CYCLE_1)
	s_cmp_lg_u64 s[48:49], 0
	s_cbranch_scc0 .LBB36_140
; %bb.84:                               ;   in Loop: Header=BB36_8 Depth=1
	v_cvt_f32_u32_e32 v2, s33
	s_sub_u32 s21, 0, s33
	s_subb_u32 s22, 0, 0
	s_delay_alu instid0(VALU_DEP_1) | instskip(NEXT) | instid1(VALU_DEP_1)
	v_fmac_f32_e32 v2, 0x4f800000, v39
	v_rcp_f32_e32 v2, v2
	s_waitcnt_depctr 0xfff
	v_mul_f32_e32 v2, 0x5f7ffffc, v2
	s_delay_alu instid0(VALU_DEP_1) | instskip(NEXT) | instid1(VALU_DEP_1)
	v_mul_f32_e32 v3, 0x2f800000, v2
	v_trunc_f32_e32 v3, v3
	s_delay_alu instid0(VALU_DEP_1) | instskip(SKIP_1) | instid1(VALU_DEP_2)
	v_fmac_f32_e32 v2, 0xcf800000, v3
	v_cvt_u32_f32_e32 v3, v3
	v_cvt_u32_f32_e32 v2, v2
	s_delay_alu instid0(VALU_DEP_2) | instskip(NEXT) | instid1(VALU_DEP_2)
	v_readfirstlane_b32 s4, v3
	v_readfirstlane_b32 s5, v2
	s_delay_alu instid0(VALU_DEP_2) | instskip(NEXT) | instid1(VALU_DEP_1)
	s_mul_i32 s23, s21, s4
	s_mul_hi_u32 s48, s21, s5
	s_mul_i32 s44, s22, s5
	s_add_i32 s23, s48, s23
	s_mul_i32 s56, s21, s5
	s_add_i32 s23, s23, s44
	s_mul_hi_u32 s48, s5, s56
	s_mul_hi_u32 s57, s4, s56
	s_mul_i32 s44, s4, s56
	s_mul_hi_u32 s56, s5, s23
	s_mul_i32 s5, s5, s23
	s_mul_hi_u32 s58, s4, s23
	s_add_u32 s5, s48, s5
	s_addc_u32 s48, 0, s56
	s_add_u32 s5, s5, s44
	s_mul_i32 s23, s4, s23
	s_addc_u32 s5, s48, s57
	s_addc_u32 s44, s58, 0
	s_add_u32 s5, s5, s23
	s_addc_u32 s23, 0, s44
	v_add_co_u32 v2, s5, v2, s5
	s_delay_alu instid0(VALU_DEP_1) | instskip(SKIP_1) | instid1(VALU_DEP_1)
	s_cmp_lg_u32 s5, 0
	s_addc_u32 s4, s4, s23
	v_readfirstlane_b32 s5, v2
	s_mul_i32 s23, s21, s4
	s_delay_alu instid0(VALU_DEP_1)
	s_mul_hi_u32 s44, s21, s5
	s_mul_i32 s22, s22, s5
	s_add_i32 s23, s44, s23
	s_mul_i32 s21, s21, s5
	s_add_i32 s23, s23, s22
	s_mul_hi_u32 s44, s4, s21
	s_mul_i32 s48, s4, s21
	s_mul_hi_u32 s21, s5, s21
	s_mul_hi_u32 s56, s5, s23
	s_mul_i32 s5, s5, s23
	s_mul_hi_u32 s22, s4, s23
	s_add_u32 s5, s21, s5
	s_addc_u32 s21, 0, s56
	s_add_u32 s5, s5, s48
	s_mul_i32 s23, s4, s23
	s_addc_u32 s5, s21, s44
	s_addc_u32 s21, s22, 0
	s_add_u32 s5, s5, s23
	s_addc_u32 s21, 0, s21
	v_add_co_u32 v2, s5, v2, s5
	s_delay_alu instid0(VALU_DEP_1) | instskip(SKIP_2) | instid1(VALU_DEP_1)
	s_cmp_lg_u32 s5, 0
	s_addc_u32 s21, s4, s21
	s_ashr_i32 s22, s49, 31
	v_readfirstlane_b32 s44, v2
	s_add_u32 s4, s71, s22
	s_mov_b32 s23, s22
	s_addc_u32 s5, s49, s22
	s_delay_alu instid0(SALU_CYCLE_1) | instskip(NEXT) | instid1(SALU_CYCLE_1)
	s_xor_b64 s[4:5], s[4:5], s[22:23]
	s_mul_i32 s48, s4, s21
	s_mul_hi_u32 s56, s4, s44
	s_mul_hi_u32 s23, s4, s21
	;; [unrolled: 1-line block ×3, first 2 shown]
	s_mul_i32 s44, s5, s44
	s_add_u32 s48, s56, s48
	s_addc_u32 s23, 0, s23
	s_mul_hi_u32 s57, s5, s21
	s_add_u32 s44, s48, s44
	s_mul_i32 s21, s5, s21
	s_addc_u32 s23, s23, s58
	s_addc_u32 s44, s57, 0
	s_add_u32 s21, s23, s21
	s_addc_u32 s23, 0, s44
	s_mul_hi_u32 s44, s33, s21
	s_mul_i32 s21, s33, s21
	s_mul_i32 s23, s33, s23
	v_sub_co_u32 v2, s4, s4, s21
	s_add_i32 s44, s44, s23
	s_cmp_lg_u32 s4, 0
	s_delay_alu instid0(VALU_DEP_1) | instskip(SKIP_2) | instid1(VALU_DEP_1)
	v_sub_co_u32 v3, s4, v2, s33
	s_subb_u32 s5, s5, s44
	s_cmp_lg_u32 s4, 0
	v_cmp_le_u32_e32 vcc_lo, s33, v3
	v_sub_co_u32 v4, s4, v3, s33
	s_subb_u32 s21, s5, 0
	s_cmp_lg_u32 s4, 0
	v_cndmask_b32_e64 v5, 0, -1, vcc_lo
	s_subb_u32 s4, s21, 0
	s_cmp_eq_u32 s21, 0
	v_mov_b32_e32 v7, s4
	s_cselect_b32 vcc_lo, -1, 0
	s_cmp_eq_u32 s5, 0
	v_cndmask_b32_e32 v5, -1, v5, vcc_lo
	v_cmp_le_u32_e32 vcc_lo, s33, v2
	s_cselect_b32 s4, -1, 0
	v_cndmask_b32_e64 v6, 0, -1, vcc_lo
	s_delay_alu instid0(VALU_DEP_3) | instskip(NEXT) | instid1(VALU_DEP_2)
	v_cmp_ne_u32_e32 vcc_lo, 0, v5
	v_cndmask_b32_e64 v5, -1, v6, s4
	v_cndmask_b32_e32 v3, v3, v4, vcc_lo
	v_cndmask_b32_e32 v6, s21, v7, vcc_lo
	s_delay_alu instid0(VALU_DEP_3) | instskip(NEXT) | instid1(VALU_DEP_3)
	v_cmp_ne_u32_e32 vcc_lo, 0, v5
	v_cndmask_b32_e32 v2, v2, v3, vcc_lo
	s_delay_alu instid0(VALU_DEP_3) | instskip(NEXT) | instid1(VALU_DEP_2)
	v_cndmask_b32_e32 v4, s5, v6, vcc_lo
	v_xor_b32_e32 v2, s22, v2
	s_delay_alu instid0(VALU_DEP_2) | instskip(NEXT) | instid1(VALU_DEP_2)
	v_xor_b32_e32 v3, s22, v4
	v_sub_co_u32 v2, vcc_lo, v2, s22
	s_delay_alu instid0(VALU_DEP_2)
	v_subrev_co_ci_u32_e32 v3, vcc_lo, s22, v3, vcc_lo
	s_cbranch_execnz .LBB36_86
.LBB36_85:                              ;   in Loop: Header=BB36_8 Depth=1
	v_cvt_f32_u32_e32 v2, s33
	s_sub_i32 s4, 0, s33
	s_delay_alu instid0(VALU_DEP_1) | instskip(SKIP_2) | instid1(VALU_DEP_1)
	v_rcp_iflag_f32_e32 v2, v2
	s_waitcnt_depctr 0xfff
	v_mul_f32_e32 v2, 0x4f7ffffe, v2
	v_cvt_u32_f32_e32 v2, v2
	s_delay_alu instid0(VALU_DEP_1) | instskip(NEXT) | instid1(VALU_DEP_1)
	v_mul_lo_u32 v3, s4, v2
	v_mul_hi_u32 v3, v2, v3
	s_delay_alu instid0(VALU_DEP_1) | instskip(NEXT) | instid1(VALU_DEP_1)
	v_add_nc_u32_e32 v2, v2, v3
	v_mul_hi_u32 v2, s71, v2
	s_delay_alu instid0(VALU_DEP_1) | instskip(NEXT) | instid1(VALU_DEP_1)
	v_mul_lo_u32 v2, v2, s33
	v_sub_nc_u32_e32 v2, s71, v2
	s_delay_alu instid0(VALU_DEP_1) | instskip(SKIP_1) | instid1(VALU_DEP_2)
	v_subrev_nc_u32_e32 v3, s33, v2
	v_cmp_le_u32_e32 vcc_lo, s33, v2
	v_cndmask_b32_e32 v2, v2, v3, vcc_lo
	s_delay_alu instid0(VALU_DEP_1) | instskip(SKIP_1) | instid1(VALU_DEP_2)
	v_subrev_nc_u32_e32 v3, s33, v2
	v_cmp_le_u32_e32 vcc_lo, s33, v2
	v_cndmask_b32_e32 v12, v2, v3, vcc_lo
	s_delay_alu instid0(VALU_DEP_1)
	v_dual_mov_b32 v2, v12 :: v_dual_mov_b32 v3, v13
.LBB36_86:                              ;   in Loop: Header=BB36_8 Depth=1
	s_delay_alu instid0(VALU_DEP_1) | instskip(NEXT) | instid1(VALU_DEP_2)
	v_sub_co_u32 v2, vcc_lo, s71, v2
	v_sub_co_ci_u32_e32 v3, vcc_lo, s49, v3, vcc_lo
	s_mov_b32 s4, 0
	s_mov_b32 s5, exec_lo
                                        ; implicit-def: $vgpr40
	s_delay_alu instid0(VALU_DEP_1)
	v_cmpx_gt_i64_e64 v[2:3], v[0:1]
	s_cbranch_execz .LBB36_97
; %bb.87:                               ;   in Loop: Header=BB36_8 Depth=1
	v_dual_mov_b32 v4, v10 :: v_dual_mov_b32 v5, v11
	v_dual_mov_b32 v7, v1 :: v_dual_mov_b32 v6, v0
	s_mov_b32 s21, 0
                                        ; implicit-def: $sgpr22
	s_set_inst_prefetch_distance 0x1
	s_branch .LBB36_89
	.p2align	6
.LBB36_88:                              ;   in Loop: Header=BB36_89 Depth=2
	s_or_b32 exec_lo, exec_lo, s4
	s_waitcnt vmcnt(0) lgkmcnt(0)
	s_barrier
	buffer_gl0_inv
	ds_load_b32 v8, v13 offset:3072
	v_add_co_u32 v6, vcc_lo, v6, s33
	v_add_co_ci_u32_e32 v7, vcc_lo, 0, v7, vcc_lo
	s_waitcnt lgkmcnt(0)
	s_barrier
	buffer_gl0_inv
	v_cmp_ge_i64_e32 vcc_lo, v[6:7], v[2:3]
	v_cmp_ne_u16_e64 s4, 0, v8
	s_delay_alu instid0(VALU_DEP_1)
	s_or_b32 s23, s4, vcc_lo
	v_add_co_u32 v4, vcc_lo, v4, s42
	s_and_b32 s23, exec_lo, s23
	v_add_co_ci_u32_e32 v5, vcc_lo, s43, v5, vcc_lo
	s_or_b32 s21, s23, s21
	s_and_not1_b32 s22, s22, exec_lo
	s_and_b32 s4, s4, exec_lo
	s_delay_alu instid0(SALU_CYCLE_1)
	s_or_b32 s22, s22, s4
	s_and_not1_b32 exec_lo, exec_lo, s21
	s_cbranch_execz .LBB36_96
.LBB36_89:                              ;   Parent Loop BB36_8 Depth=1
                                        ; =>  This Inner Loop Header: Depth=2
	s_delay_alu instid0(VALU_DEP_1)
	v_cmp_gt_i64_e32 vcc_lo, s[24:25], v[6:7]
	v_mov_b32_e32 v8, 0
	s_and_saveexec_b32 s4, vcc_lo
	s_cbranch_execz .LBB36_91
; %bb.90:                               ;   in Loop: Header=BB36_89 Depth=2
	global_load_u16 v8, v[4:5], off
.LBB36_91:                              ;   in Loop: Header=BB36_89 Depth=2
	s_or_b32 exec_lo, exec_lo, s4
	s_and_saveexec_b32 s4, vcc_lo
	s_cbranch_execz .LBB36_88
; %bb.92:                               ;   in Loop: Header=BB36_89 Depth=2
	s_waitcnt vmcnt(0)
	v_bfe_i32 v9, v8, 0, 16
	s_delay_alu instid0(VALU_DEP_1) | instskip(NEXT) | instid1(VALU_DEP_1)
	v_add_nc_u32_e32 v9, 0x8000, v9
	v_and_b32_e32 v9, s87, v9
	s_delay_alu instid0(VALU_DEP_1)
	v_cmp_eq_u32_e32 vcc_lo, s88, v9
	s_and_b32 exec_lo, exec_lo, vcc_lo
	s_cbranch_execz .LBB36_88
; %bb.93:                               ;   in Loop: Header=BB36_89 Depth=2
	v_perm_b32 v8, v8, 1, 0x5040100
	ds_store_b32 v13, v8 offset:3072
	s_branch .LBB36_88
.LBB36_94:                              ;   in Loop: Header=BB36_8 Depth=1
	s_mov_b32 s4, -1
                                        ; implicit-def: $sgpr5
                                        ; implicit-def: $sgpr22
                                        ; implicit-def: $sgpr21
	s_branch .LBB36_111
.LBB36_95:                              ;   in Loop: Header=BB36_8 Depth=1
	s_mov_b32 s5, -1
	s_mov_b32 s4, 0
                                        ; implicit-def: $sgpr21
                                        ; implicit-def: $vgpr40
	s_mov_b32 s22, s5
	s_cbranch_execnz .LBB36_98
	s_branch .LBB36_111
.LBB36_96:                              ;   in Loop: Header=BB36_8 Depth=1
	s_set_inst_prefetch_distance 0x2
	s_or_b32 exec_lo, exec_lo, s21
	v_lshrrev_b32_e32 v40, 16, v8
	s_and_b32 s4, s22, exec_lo
.LBB36_97:                              ;   in Loop: Header=BB36_8 Depth=1
	s_or_b32 exec_lo, exec_lo, s5
	s_mov_b32 s21, -1
	s_mov_b32 s5, 0
	s_delay_alu instid0(SALU_CYCLE_1)
	s_mov_b32 s22, s5
	s_branch .LBB36_111
.LBB36_98:                              ;   in Loop: Header=BB36_8 Depth=1
	s_add_u32 s21, s69, s14
	s_addc_u32 s5, s70, s15
	s_mov_b32 s4, s45
	s_delay_alu instid0(SALU_CYCLE_1)
	s_cmp_lg_u64 s[4:5], 0
	s_cbranch_scc0 .LBB36_141
; %bb.99:                               ;   in Loop: Header=BB36_8 Depth=1
	v_cvt_f32_u32_e32 v2, s33
	s_sub_u32 s23, 0, s33
	s_subb_u32 s44, 0, 0
	s_delay_alu instid0(VALU_DEP_1) | instskip(NEXT) | instid1(VALU_DEP_1)
	v_fmac_f32_e32 v2, 0x4f800000, v39
	v_rcp_f32_e32 v2, v2
	s_waitcnt_depctr 0xfff
	v_mul_f32_e32 v2, 0x5f7ffffc, v2
	s_delay_alu instid0(VALU_DEP_1) | instskip(NEXT) | instid1(VALU_DEP_1)
	v_mul_f32_e32 v3, 0x2f800000, v2
	v_trunc_f32_e32 v3, v3
	s_delay_alu instid0(VALU_DEP_1) | instskip(SKIP_1) | instid1(VALU_DEP_2)
	v_fmac_f32_e32 v2, 0xcf800000, v3
	v_cvt_u32_f32_e32 v3, v3
	v_cvt_u32_f32_e32 v2, v2
	s_delay_alu instid0(VALU_DEP_2) | instskip(NEXT) | instid1(VALU_DEP_2)
	v_readfirstlane_b32 s4, v3
	v_readfirstlane_b32 s22, v2
	s_delay_alu instid0(VALU_DEP_2) | instskip(NEXT) | instid1(VALU_DEP_1)
	s_mul_i32 s48, s23, s4
	s_mul_hi_u32 s57, s23, s22
	s_mul_i32 s56, s44, s22
	s_add_i32 s48, s57, s48
	s_mul_i32 s58, s23, s22
	s_add_i32 s48, s48, s56
	s_mul_hi_u32 s57, s22, s58
	s_mul_hi_u32 s59, s4, s58
	s_mul_i32 s56, s4, s58
	s_mul_hi_u32 s58, s22, s48
	s_mul_i32 s22, s22, s48
	s_mul_hi_u32 s60, s4, s48
	s_add_u32 s22, s57, s22
	s_addc_u32 s57, 0, s58
	s_add_u32 s22, s22, s56
	s_mul_i32 s48, s4, s48
	s_addc_u32 s22, s57, s59
	s_addc_u32 s56, s60, 0
	s_add_u32 s22, s22, s48
	s_addc_u32 s48, 0, s56
	v_add_co_u32 v2, s22, v2, s22
	s_delay_alu instid0(VALU_DEP_1) | instskip(SKIP_1) | instid1(VALU_DEP_1)
	s_cmp_lg_u32 s22, 0
	s_addc_u32 s4, s4, s48
	v_readfirstlane_b32 s22, v2
	s_mul_i32 s48, s23, s4
	s_delay_alu instid0(VALU_DEP_1)
	s_mul_hi_u32 s56, s23, s22
	s_mul_i32 s44, s44, s22
	s_add_i32 s48, s56, s48
	s_mul_i32 s23, s23, s22
	s_add_i32 s48, s48, s44
	s_mul_hi_u32 s56, s4, s23
	s_mul_i32 s57, s4, s23
	s_mul_hi_u32 s23, s22, s23
	s_mul_hi_u32 s58, s22, s48
	s_mul_i32 s22, s22, s48
	s_mul_hi_u32 s44, s4, s48
	s_add_u32 s22, s23, s22
	s_addc_u32 s23, 0, s58
	s_add_u32 s22, s22, s57
	s_mul_i32 s48, s4, s48
	s_addc_u32 s22, s23, s56
	s_addc_u32 s23, s44, 0
	s_add_u32 s22, s22, s48
	s_addc_u32 s23, 0, s23
	v_add_co_u32 v2, s22, v2, s22
	s_delay_alu instid0(VALU_DEP_1) | instskip(SKIP_2) | instid1(VALU_DEP_1)
	s_cmp_lg_u32 s22, 0
	s_addc_u32 s4, s4, s23
	s_ashr_i32 s22, s5, 31
	v_readfirstlane_b32 s44, v2
	s_add_u32 s56, s21, s22
	s_mov_b32 s23, s22
	s_addc_u32 s57, s5, s22
	s_delay_alu instid0(SALU_CYCLE_1) | instskip(NEXT) | instid1(SALU_CYCLE_1)
	s_xor_b64 s[56:57], s[56:57], s[22:23]
	s_mul_i32 s48, s56, s4
	s_mul_hi_u32 s58, s56, s44
	s_mul_hi_u32 s23, s56, s4
	;; [unrolled: 1-line block ×3, first 2 shown]
	s_mul_i32 s44, s57, s44
	s_add_u32 s48, s58, s48
	s_addc_u32 s23, 0, s23
	s_mul_hi_u32 s59, s57, s4
	s_add_u32 s44, s48, s44
	s_mul_i32 s4, s57, s4
	s_addc_u32 s23, s23, s60
	s_addc_u32 s44, s59, 0
	s_add_u32 s4, s23, s4
	s_addc_u32 s23, 0, s44
	s_mul_hi_u32 s44, s33, s4
	s_mul_i32 s4, s33, s4
	s_mul_i32 s23, s33, s23
	v_sub_co_u32 v2, s4, s56, s4
	s_add_i32 s44, s44, s23
	s_cmp_lg_u32 s4, 0
	s_delay_alu instid0(VALU_DEP_1) | instskip(SKIP_2) | instid1(VALU_DEP_1)
	v_sub_co_u32 v3, s4, v2, s33
	s_subb_u32 s23, s57, s44
	s_cmp_lg_u32 s4, 0
	v_cmp_le_u32_e32 vcc_lo, s33, v3
	v_sub_co_u32 v4, s4, v3, s33
	s_subb_u32 s44, s23, 0
	s_cmp_lg_u32 s4, 0
	v_cndmask_b32_e64 v5, 0, -1, vcc_lo
	s_subb_u32 s4, s44, 0
	s_cmp_eq_u32 s44, 0
	v_mov_b32_e32 v7, s4
	s_cselect_b32 vcc_lo, -1, 0
	s_cmp_eq_u32 s23, 0
	v_cndmask_b32_e32 v5, -1, v5, vcc_lo
	v_cmp_le_u32_e32 vcc_lo, s33, v2
	s_cselect_b32 s4, -1, 0
	v_cndmask_b32_e64 v6, 0, -1, vcc_lo
	s_delay_alu instid0(VALU_DEP_3) | instskip(NEXT) | instid1(VALU_DEP_2)
	v_cmp_ne_u32_e32 vcc_lo, 0, v5
	v_cndmask_b32_e64 v5, -1, v6, s4
	v_cndmask_b32_e32 v3, v3, v4, vcc_lo
	v_cndmask_b32_e32 v6, s44, v7, vcc_lo
	s_delay_alu instid0(VALU_DEP_3) | instskip(NEXT) | instid1(VALU_DEP_3)
	v_cmp_ne_u32_e32 vcc_lo, 0, v5
	v_cndmask_b32_e32 v2, v2, v3, vcc_lo
	s_delay_alu instid0(VALU_DEP_3) | instskip(NEXT) | instid1(VALU_DEP_2)
	v_cndmask_b32_e32 v4, s23, v6, vcc_lo
	v_xor_b32_e32 v2, s22, v2
	s_delay_alu instid0(VALU_DEP_2) | instskip(NEXT) | instid1(VALU_DEP_2)
	v_xor_b32_e32 v3, s22, v4
	v_sub_co_u32 v2, vcc_lo, v2, s22
	s_delay_alu instid0(VALU_DEP_2)
	v_subrev_co_ci_u32_e32 v3, vcc_lo, s22, v3, vcc_lo
	s_cbranch_execnz .LBB36_101
.LBB36_100:                             ;   in Loop: Header=BB36_8 Depth=1
	v_cvt_f32_u32_e32 v2, s33
	s_sub_i32 s4, 0, s33
	s_delay_alu instid0(VALU_DEP_1) | instskip(SKIP_2) | instid1(VALU_DEP_1)
	v_rcp_iflag_f32_e32 v2, v2
	s_waitcnt_depctr 0xfff
	v_mul_f32_e32 v2, 0x4f7ffffe, v2
	v_cvt_u32_f32_e32 v2, v2
	s_delay_alu instid0(VALU_DEP_1) | instskip(NEXT) | instid1(VALU_DEP_1)
	v_mul_lo_u32 v3, s4, v2
	v_mul_hi_u32 v3, v2, v3
	s_delay_alu instid0(VALU_DEP_1) | instskip(NEXT) | instid1(VALU_DEP_1)
	v_add_nc_u32_e32 v2, v2, v3
	v_mul_hi_u32 v2, s21, v2
	s_delay_alu instid0(VALU_DEP_1) | instskip(NEXT) | instid1(VALU_DEP_1)
	v_mul_lo_u32 v2, v2, s33
	v_sub_nc_u32_e32 v2, s21, v2
	s_delay_alu instid0(VALU_DEP_1) | instskip(SKIP_1) | instid1(VALU_DEP_2)
	v_subrev_nc_u32_e32 v3, s33, v2
	v_cmp_le_u32_e32 vcc_lo, s33, v2
	v_cndmask_b32_e32 v2, v2, v3, vcc_lo
	s_delay_alu instid0(VALU_DEP_1) | instskip(SKIP_1) | instid1(VALU_DEP_2)
	v_subrev_nc_u32_e32 v3, s33, v2
	v_cmp_le_u32_e32 vcc_lo, s33, v2
	v_cndmask_b32_e32 v12, v2, v3, vcc_lo
	s_delay_alu instid0(VALU_DEP_1)
	v_dual_mov_b32 v2, v12 :: v_dual_mov_b32 v3, v13
.LBB36_101:                             ;   in Loop: Header=BB36_8 Depth=1
	s_delay_alu instid0(VALU_DEP_1) | instskip(NEXT) | instid1(VALU_DEP_2)
	v_sub_co_u32 v2, vcc_lo, s21, v2
	v_sub_co_ci_u32_e32 v3, vcc_lo, s5, v3, vcc_lo
	s_mov_b32 s4, 0
	s_mov_b32 s5, exec_lo
                                        ; implicit-def: $vgpr40
	s_delay_alu instid0(VALU_DEP_1)
	v_cmpx_gt_i64_e64 v[2:3], v[0:1]
	s_cbranch_execz .LBB36_110
; %bb.102:                              ;   in Loop: Header=BB36_8 Depth=1
	v_dual_mov_b32 v6, v30 :: v_dual_mov_b32 v5, v1
	v_mov_b32_e32 v4, v0
	s_mov_b32 s21, 0
                                        ; implicit-def: $sgpr22
	s_set_inst_prefetch_distance 0x1
	s_branch .LBB36_104
	.p2align	6
.LBB36_103:                             ;   in Loop: Header=BB36_104 Depth=2
	s_or_b32 exec_lo, exec_lo, s4
	s_waitcnt lgkmcnt(0)
	s_barrier
	buffer_gl0_inv
	ds_load_b32 v7, v13 offset:3072
	v_add_co_u32 v4, vcc_lo, v4, s33
	v_add_co_ci_u32_e32 v5, vcc_lo, 0, v5, vcc_lo
	v_add_nc_u32_e32 v6, s77, v6
	s_waitcnt lgkmcnt(0)
	s_barrier
	s_delay_alu instid0(VALU_DEP_2) | instskip(SKIP_2) | instid1(VALU_DEP_1)
	v_cmp_ge_i64_e32 vcc_lo, v[4:5], v[2:3]
	buffer_gl0_inv
	v_cmp_ne_u16_e64 s4, 0, v7
	s_or_b32 s23, s4, vcc_lo
	s_delay_alu instid0(SALU_CYCLE_1) | instskip(NEXT) | instid1(SALU_CYCLE_1)
	s_and_b32 s23, exec_lo, s23
	s_or_b32 s21, s23, s21
	s_and_not1_b32 s22, s22, exec_lo
	s_and_b32 s4, s4, exec_lo
	s_delay_alu instid0(SALU_CYCLE_1)
	s_or_b32 s22, s22, s4
	s_and_not1_b32 exec_lo, exec_lo, s21
	s_cbranch_execz .LBB36_109
.LBB36_104:                             ;   Parent Loop BB36_8 Depth=1
                                        ; =>  This Inner Loop Header: Depth=2
	s_delay_alu instid0(VALU_DEP_1)
	v_cmp_gt_i64_e32 vcc_lo, s[14:15], v[4:5]
	v_mov_b32_e32 v7, 0
	s_and_saveexec_b32 s4, vcc_lo
	s_cbranch_execz .LBB36_106
; %bb.105:                              ;   in Loop: Header=BB36_104 Depth=2
	ds_load_u16 v7, v6
.LBB36_106:                             ;   in Loop: Header=BB36_104 Depth=2
	s_or_b32 exec_lo, exec_lo, s4
	s_and_saveexec_b32 s4, vcc_lo
	s_cbranch_execz .LBB36_103
; %bb.107:                              ;   in Loop: Header=BB36_104 Depth=2
	s_waitcnt lgkmcnt(0)
	v_bfe_i32 v8, v7, 0, 16
	s_delay_alu instid0(VALU_DEP_1) | instskip(NEXT) | instid1(VALU_DEP_1)
	v_add_nc_u32_e32 v8, 0x8000, v8
	v_and_b32_e32 v8, s87, v8
	s_delay_alu instid0(VALU_DEP_1)
	v_cmp_eq_u32_e32 vcc_lo, s88, v8
	s_and_b32 exec_lo, exec_lo, vcc_lo
	s_cbranch_execz .LBB36_103
; %bb.108:                              ;   in Loop: Header=BB36_104 Depth=2
	v_perm_b32 v7, v7, 1, 0x5040100
	ds_store_b32 v13, v7 offset:3072
	s_branch .LBB36_103
.LBB36_109:                             ;   in Loop: Header=BB36_8 Depth=1
	s_set_inst_prefetch_distance 0x2
	s_or_b32 exec_lo, exec_lo, s21
	v_lshrrev_b32_e32 v40, 16, v7
	s_and_b32 s4, s22, exec_lo
.LBB36_110:                             ;   in Loop: Header=BB36_8 Depth=1
	s_or_b32 exec_lo, exec_lo, s5
	s_mov_b32 s22, -1
	s_mov_b32 s5, 0
	s_mov_b32 s21, 0
.LBB36_111:                             ;   in Loop: Header=BB36_8 Depth=1
	s_and_not1_b32 s14, s84, exec_lo
	s_and_b32 s5, s5, exec_lo
	s_and_not1_b32 s15, s85, exec_lo
	s_or_b32 s84, s14, s5
	s_and_not1_b32 s5, s86, exec_lo
	s_and_b32 s14, s22, exec_lo
	s_and_b32 s21, s21, exec_lo
	s_or_b32 s86, s5, s14
	s_or_b32 s85, s15, s21
	s_and_saveexec_b32 s14, s4
	s_cbranch_execz .LBB36_7
; %bb.112:                              ;   in Loop: Header=BB36_8 Depth=1
	s_xor_b32 s4, s20, -1
	s_mov_b32 s48, 1
	s_and_not1_b32 vcc_lo, exec_lo, s4
	s_cbranch_vccnz .LBB36_123
; %bb.113:                              ;   in Loop: Header=BB36_8 Depth=1
	v_cmp_gt_i64_e64 s4, s[26:27], s[12:13]
                                        ; implicit-def: $sgpr48
                                        ; implicit-def: $sgpr5
                                        ; implicit-def: $sgpr15
	s_delay_alu instid0(VALU_DEP_1)
	s_and_b32 vcc_lo, exec_lo, s4
	s_mov_b32 s4, -1
	s_cbranch_vccnz .LBB36_119
; %bb.114:                              ;   in Loop: Header=BB36_8 Depth=1
	ds_load_b64 v[2:3], v13 offset:5120
	s_waitcnt lgkmcnt(0)
	v_cmp_ne_u64_e32 vcc_lo, 0, v[2:3]
	s_cbranch_vccnz .LBB36_118
; %bb.115:                              ;   in Loop: Header=BB36_8 Depth=1
	s_and_saveexec_b32 s4, s0
	s_cbranch_execz .LBB36_117
; %bb.116:                              ;   in Loop: Header=BB36_8 Depth=1
	v_dual_mov_b32 v2, s12 :: v_dual_mov_b32 v3, s13
	ds_store_b64 v13, v[2:3] offset:5128
.LBB36_117:                             ;   in Loop: Header=BB36_8 Depth=1
	s_or_b32 exec_lo, exec_lo, s4
	s_waitcnt lgkmcnt(0)
	s_barrier
	buffer_gl0_inv
.LBB36_118:                             ;   in Loop: Header=BB36_8 Depth=1
	s_and_b32 s5, s88, s18
	s_or_b32 s15, s87, s16
	s_mov_b32 s4, 0
	s_mov_b32 s48, 8
.LBB36_119:                             ;   in Loop: Header=BB36_8 Depth=1
	s_and_not1_b32 vcc_lo, exec_lo, s4
	s_cbranch_vccnz .LBB36_121
; %bb.120:                              ;   in Loop: Header=BB36_8 Depth=1
	s_sub_u32 s26, s26, s12
	s_subb_u32 s27, s27, s13
	s_mov_b32 s4, -1
	s_mov_b32 s48, 0
	s_mov_b32 s5, s88
	;; [unrolled: 1-line block ×3, first 2 shown]
.LBB36_121:                             ;   in Loop: Header=BB36_8 Depth=1
	s_delay_alu instid0(SALU_CYCLE_1)
	s_mov_b32 s87, s15
	s_mov_b32 s88, s5
	s_and_b32 vcc_lo, exec_lo, s4
	s_mov_b32 s15, -1
	s_cbranch_vccnz .LBB36_124
.LBB36_122:                             ;   in Loop: Header=BB36_8 Depth=1
	s_mov_b32 s5, -1
                                        ; implicit-def: $sgpr19
                                        ; implicit-def: $sgpr21
                                        ; implicit-def: $sgpr20
	s_delay_alu instid0(SALU_CYCLE_1) | instskip(NEXT) | instid1(SALU_CYCLE_1)
	s_and_saveexec_b32 s4, s5
	s_xor_b32 s4, exec_lo, s4
	s_cbranch_execz .LBB36_6
	s_branch .LBB36_270
.LBB36_123:                             ;   in Loop: Header=BB36_8 Depth=1
	s_mov_b64 s[26:27], 1
	s_mov_b32 s15, -1
	s_branch .LBB36_122
.LBB36_124:                             ;   in Loop: Header=BB36_8 Depth=1
	s_cmp_eq_u64 s[10:11], 1
	s_cselect_b32 s4, -1, 0
	s_cmp_eq_u64 s[26:27], 1
	s_cselect_b32 s5, -1, 0
	s_delay_alu instid0(SALU_CYCLE_1)
	s_and_b32 s22, s4, s5
	s_mov_b32 s4, -1
	s_and_b32 vcc_lo, exec_lo, s22
	s_cbranch_vccz .LBB36_139
; %bb.125:                              ;   in Loop: Header=BB36_8 Depth=1
	ds_load_b64 v[2:3], v13 offset:5120
	s_waitcnt lgkmcnt(0)
	s_barrier
	buffer_gl0_inv
	v_readfirstlane_b32 s12, v2
	v_readfirstlane_b32 s13, v3
	s_and_saveexec_b32 s4, s2
	s_cbranch_execz .LBB36_127
; %bb.126:                              ;   in Loop: Header=BB36_8 Depth=1
	ds_store_b16 v31, v13
.LBB36_127:                             ;   in Loop: Header=BB36_8 Depth=1
	s_or_b32 exec_lo, exec_lo, s4
	s_delay_alu instid0(VALU_DEP_1)
	v_cmp_gt_i64_e64 s19, s[12:13], 0
	s_lshl_b32 s4, 1, s17
	s_and_b32 s5, s88, s18
	s_or_b32 s87, s87, s16
	s_or_b32 s88, s5, s4
	s_waitcnt lgkmcnt(0)
	s_and_b32 vcc_lo, exec_lo, s19
	s_barrier
	buffer_gl0_inv
	s_cbranch_vccnz .LBB36_142
; %bb.128:                              ;   in Loop: Header=BB36_8 Depth=1
	s_mov_b32 s48, s45
	s_delay_alu instid0(SALU_CYCLE_1)
	s_cmp_lg_u64 s[48:49], 0
	s_cbranch_scc0 .LBB36_187
; %bb.129:                              ;   in Loop: Header=BB36_8 Depth=1
	v_cvt_f32_u32_e32 v2, s33
	s_sub_u32 s19, 0, s33
	s_subb_u32 s20, 0, 0
	s_delay_alu instid0(VALU_DEP_1) | instskip(NEXT) | instid1(VALU_DEP_1)
	v_fmac_f32_e32 v2, 0x4f800000, v39
	v_rcp_f32_e32 v2, v2
	s_waitcnt_depctr 0xfff
	v_mul_f32_e32 v2, 0x5f7ffffc, v2
	s_delay_alu instid0(VALU_DEP_1) | instskip(NEXT) | instid1(VALU_DEP_1)
	v_mul_f32_e32 v3, 0x2f800000, v2
	v_trunc_f32_e32 v3, v3
	s_delay_alu instid0(VALU_DEP_1) | instskip(SKIP_1) | instid1(VALU_DEP_2)
	v_fmac_f32_e32 v2, 0xcf800000, v3
	v_cvt_u32_f32_e32 v3, v3
	v_cvt_u32_f32_e32 v2, v2
	s_delay_alu instid0(VALU_DEP_2) | instskip(NEXT) | instid1(VALU_DEP_2)
	v_readfirstlane_b32 s4, v3
	v_readfirstlane_b32 s5, v2
	s_delay_alu instid0(VALU_DEP_2) | instskip(NEXT) | instid1(VALU_DEP_1)
	s_mul_i32 s21, s19, s4
	s_mul_hi_u32 s44, s19, s5
	s_mul_i32 s23, s20, s5
	s_add_i32 s21, s44, s21
	s_mul_i32 s48, s19, s5
	s_add_i32 s21, s21, s23
	s_mul_hi_u32 s44, s5, s48
	s_mul_hi_u32 s56, s4, s48
	s_mul_i32 s23, s4, s48
	s_mul_hi_u32 s48, s5, s21
	s_mul_i32 s5, s5, s21
	s_mul_hi_u32 s57, s4, s21
	s_add_u32 s5, s44, s5
	s_addc_u32 s44, 0, s48
	s_add_u32 s5, s5, s23
	s_mul_i32 s21, s4, s21
	s_addc_u32 s5, s44, s56
	s_addc_u32 s23, s57, 0
	s_add_u32 s5, s5, s21
	s_addc_u32 s21, 0, s23
	v_add_co_u32 v2, s5, v2, s5
	s_delay_alu instid0(VALU_DEP_1) | instskip(SKIP_1) | instid1(VALU_DEP_1)
	s_cmp_lg_u32 s5, 0
	s_addc_u32 s4, s4, s21
	v_readfirstlane_b32 s5, v2
	s_mul_i32 s21, s19, s4
	s_delay_alu instid0(VALU_DEP_1)
	s_mul_hi_u32 s23, s19, s5
	s_mul_i32 s20, s20, s5
	s_add_i32 s21, s23, s21
	s_mul_i32 s19, s19, s5
	s_add_i32 s21, s21, s20
	s_mul_hi_u32 s23, s4, s19
	s_mul_i32 s44, s4, s19
	s_mul_hi_u32 s19, s5, s19
	s_mul_hi_u32 s48, s5, s21
	s_mul_i32 s5, s5, s21
	s_mul_hi_u32 s20, s4, s21
	s_add_u32 s5, s19, s5
	s_addc_u32 s19, 0, s48
	s_add_u32 s5, s5, s44
	s_mul_i32 s21, s4, s21
	s_addc_u32 s5, s19, s23
	s_addc_u32 s19, s20, 0
	s_add_u32 s5, s5, s21
	s_addc_u32 s19, 0, s19
	v_add_co_u32 v2, s5, v2, s5
	s_delay_alu instid0(VALU_DEP_1) | instskip(SKIP_2) | instid1(VALU_DEP_1)
	s_cmp_lg_u32 s5, 0
	s_addc_u32 s19, s4, s19
	s_ashr_i32 s20, s49, 31
	v_readfirstlane_b32 s23, v2
	s_add_u32 s4, s71, s20
	s_mov_b32 s21, s20
	s_addc_u32 s5, s49, s20
	s_delay_alu instid0(SALU_CYCLE_1) | instskip(NEXT) | instid1(SALU_CYCLE_1)
	s_xor_b64 s[4:5], s[4:5], s[20:21]
	s_mul_i32 s44, s4, s19
	s_mul_hi_u32 s48, s4, s23
	s_mul_hi_u32 s21, s4, s19
	;; [unrolled: 1-line block ×3, first 2 shown]
	s_mul_i32 s23, s5, s23
	s_add_u32 s44, s48, s44
	s_addc_u32 s21, 0, s21
	s_mul_hi_u32 s56, s5, s19
	s_add_u32 s23, s44, s23
	s_mul_i32 s19, s5, s19
	s_addc_u32 s21, s21, s57
	s_addc_u32 s23, s56, 0
	s_add_u32 s19, s21, s19
	s_addc_u32 s21, 0, s23
	s_mul_hi_u32 s23, s33, s19
	s_mul_i32 s19, s33, s19
	s_mul_i32 s21, s33, s21
	v_sub_co_u32 v2, s4, s4, s19
	s_add_i32 s23, s23, s21
	s_cmp_lg_u32 s4, 0
	s_delay_alu instid0(VALU_DEP_1) | instskip(SKIP_2) | instid1(VALU_DEP_1)
	v_sub_co_u32 v3, s4, v2, s33
	s_subb_u32 s5, s5, s23
	s_cmp_lg_u32 s4, 0
	v_cmp_le_u32_e32 vcc_lo, s33, v3
	v_sub_co_u32 v4, s4, v3, s33
	s_subb_u32 s19, s5, 0
	s_cmp_lg_u32 s4, 0
	v_cndmask_b32_e64 v5, 0, -1, vcc_lo
	s_subb_u32 s4, s19, 0
	s_cmp_eq_u32 s19, 0
	v_mov_b32_e32 v7, s4
	s_cselect_b32 vcc_lo, -1, 0
	s_cmp_eq_u32 s5, 0
	v_cndmask_b32_e32 v5, -1, v5, vcc_lo
	v_cmp_le_u32_e32 vcc_lo, s33, v2
	s_cselect_b32 s4, -1, 0
	v_cndmask_b32_e64 v6, 0, -1, vcc_lo
	s_delay_alu instid0(VALU_DEP_3) | instskip(NEXT) | instid1(VALU_DEP_2)
	v_cmp_ne_u32_e32 vcc_lo, 0, v5
	v_cndmask_b32_e64 v5, -1, v6, s4
	v_cndmask_b32_e32 v3, v3, v4, vcc_lo
	v_cndmask_b32_e32 v6, s19, v7, vcc_lo
	s_delay_alu instid0(VALU_DEP_3) | instskip(NEXT) | instid1(VALU_DEP_3)
	v_cmp_ne_u32_e32 vcc_lo, 0, v5
	v_cndmask_b32_e32 v2, v2, v3, vcc_lo
	s_delay_alu instid0(VALU_DEP_3) | instskip(NEXT) | instid1(VALU_DEP_2)
	v_cndmask_b32_e32 v4, s5, v6, vcc_lo
	v_xor_b32_e32 v2, s20, v2
	s_delay_alu instid0(VALU_DEP_2) | instskip(NEXT) | instid1(VALU_DEP_2)
	v_xor_b32_e32 v3, s20, v4
	v_sub_co_u32 v2, vcc_lo, v2, s20
	s_delay_alu instid0(VALU_DEP_2)
	v_subrev_co_ci_u32_e32 v3, vcc_lo, s20, v3, vcc_lo
	s_cbranch_execnz .LBB36_131
.LBB36_130:                             ;   in Loop: Header=BB36_8 Depth=1
	v_cvt_f32_u32_e32 v2, s33
	s_sub_i32 s4, 0, s33
	s_delay_alu instid0(VALU_DEP_1) | instskip(SKIP_2) | instid1(VALU_DEP_1)
	v_rcp_iflag_f32_e32 v2, v2
	s_waitcnt_depctr 0xfff
	v_mul_f32_e32 v2, 0x4f7ffffe, v2
	v_cvt_u32_f32_e32 v2, v2
	s_delay_alu instid0(VALU_DEP_1) | instskip(NEXT) | instid1(VALU_DEP_1)
	v_mul_lo_u32 v3, s4, v2
	v_mul_hi_u32 v3, v2, v3
	s_delay_alu instid0(VALU_DEP_1) | instskip(NEXT) | instid1(VALU_DEP_1)
	v_add_nc_u32_e32 v2, v2, v3
	v_mul_hi_u32 v2, s71, v2
	s_delay_alu instid0(VALU_DEP_1) | instskip(NEXT) | instid1(VALU_DEP_1)
	v_mul_lo_u32 v2, v2, s33
	v_sub_nc_u32_e32 v2, s71, v2
	s_delay_alu instid0(VALU_DEP_1) | instskip(SKIP_1) | instid1(VALU_DEP_2)
	v_subrev_nc_u32_e32 v3, s33, v2
	v_cmp_le_u32_e32 vcc_lo, s33, v2
	v_cndmask_b32_e32 v2, v2, v3, vcc_lo
	s_delay_alu instid0(VALU_DEP_1) | instskip(SKIP_1) | instid1(VALU_DEP_2)
	v_subrev_nc_u32_e32 v3, s33, v2
	v_cmp_le_u32_e32 vcc_lo, s33, v2
	v_cndmask_b32_e32 v12, v2, v3, vcc_lo
	s_delay_alu instid0(VALU_DEP_1)
	v_dual_mov_b32 v2, v12 :: v_dual_mov_b32 v3, v13
.LBB36_131:                             ;   in Loop: Header=BB36_8 Depth=1
	s_delay_alu instid0(VALU_DEP_1) | instskip(NEXT) | instid1(VALU_DEP_2)
	v_sub_co_u32 v2, vcc_lo, s71, v2
	v_sub_co_ci_u32_e32 v3, vcc_lo, s49, v3, vcc_lo
	s_mov_b32 s4, 0
	s_mov_b32 s5, exec_lo
                                        ; implicit-def: $vgpr40
	s_delay_alu instid0(VALU_DEP_1)
	v_cmpx_gt_i64_e64 v[2:3], v[0:1]
	s_cbranch_execz .LBB36_144
; %bb.132:                              ;   in Loop: Header=BB36_8 Depth=1
	v_dual_mov_b32 v4, v10 :: v_dual_mov_b32 v5, v11
	v_dual_mov_b32 v7, v1 :: v_dual_mov_b32 v6, v0
	s_mov_b32 s19, 0
                                        ; implicit-def: $sgpr20
	s_set_inst_prefetch_distance 0x1
	s_branch .LBB36_134
	.p2align	6
.LBB36_133:                             ;   in Loop: Header=BB36_134 Depth=2
	s_or_b32 exec_lo, exec_lo, s4
	s_waitcnt vmcnt(0) lgkmcnt(0)
	s_barrier
	buffer_gl0_inv
	ds_load_b32 v8, v13 offset:3072
	v_add_co_u32 v6, vcc_lo, v6, s33
	v_add_co_ci_u32_e32 v7, vcc_lo, 0, v7, vcc_lo
	s_waitcnt lgkmcnt(0)
	s_barrier
	buffer_gl0_inv
	v_cmp_ge_i64_e32 vcc_lo, v[6:7], v[2:3]
	v_cmp_ne_u16_e64 s4, 0, v8
	s_delay_alu instid0(VALU_DEP_1)
	s_or_b32 s21, s4, vcc_lo
	v_add_co_u32 v4, vcc_lo, v4, s42
	s_and_b32 s21, exec_lo, s21
	v_add_co_ci_u32_e32 v5, vcc_lo, s43, v5, vcc_lo
	s_or_b32 s19, s21, s19
	s_and_not1_b32 s20, s20, exec_lo
	s_and_b32 s4, s4, exec_lo
	s_delay_alu instid0(SALU_CYCLE_1)
	s_or_b32 s20, s20, s4
	s_and_not1_b32 exec_lo, exec_lo, s19
	s_cbranch_execz .LBB36_143
.LBB36_134:                             ;   Parent Loop BB36_8 Depth=1
                                        ; =>  This Inner Loop Header: Depth=2
	s_delay_alu instid0(VALU_DEP_1)
	v_cmp_gt_i64_e32 vcc_lo, s[24:25], v[6:7]
	v_mov_b32_e32 v8, 0
	s_and_saveexec_b32 s4, vcc_lo
	s_cbranch_execz .LBB36_136
; %bb.135:                              ;   in Loop: Header=BB36_134 Depth=2
	global_load_u16 v8, v[4:5], off
.LBB36_136:                             ;   in Loop: Header=BB36_134 Depth=2
	s_or_b32 exec_lo, exec_lo, s4
	s_and_saveexec_b32 s4, vcc_lo
	s_cbranch_execz .LBB36_133
; %bb.137:                              ;   in Loop: Header=BB36_134 Depth=2
	s_waitcnt vmcnt(0)
	v_bfe_i32 v9, v8, 0, 16
	s_delay_alu instid0(VALU_DEP_1) | instskip(NEXT) | instid1(VALU_DEP_1)
	v_add_nc_u32_e32 v9, 0x8000, v9
	v_and_b32_e32 v9, s87, v9
	s_delay_alu instid0(VALU_DEP_1)
	v_cmp_eq_u32_e32 vcc_lo, s88, v9
	s_and_b32 exec_lo, exec_lo, vcc_lo
	s_cbranch_execz .LBB36_133
; %bb.138:                              ;   in Loop: Header=BB36_134 Depth=2
	v_perm_b32 v8, v8, 1, 0x5040100
	ds_store_b32 v13, v8 offset:3072
	s_branch .LBB36_133
.LBB36_139:                             ;   in Loop: Header=BB36_8 Depth=1
                                        ; implicit-def: $sgpr20
                                        ; implicit-def: $sgpr21
                                        ; implicit-def: $sgpr19
	s_branch .LBB36_158
.LBB36_140:                             ;   in Loop: Header=BB36_8 Depth=1
                                        ; implicit-def: $vgpr2_vgpr3
	s_branch .LBB36_85
.LBB36_141:                             ;   in Loop: Header=BB36_8 Depth=1
                                        ; implicit-def: $vgpr2_vgpr3
	s_branch .LBB36_100
.LBB36_142:                             ;   in Loop: Header=BB36_8 Depth=1
	s_mov_b32 s20, -1
	s_mov_b32 s4, 0
                                        ; implicit-def: $sgpr19
                                        ; implicit-def: $vgpr40
	s_mov_b32 s21, s20
	s_cbranch_execnz .LBB36_145
	s_branch .LBB36_158
.LBB36_143:                             ;   in Loop: Header=BB36_8 Depth=1
	s_set_inst_prefetch_distance 0x2
	s_or_b32 exec_lo, exec_lo, s19
	v_lshrrev_b32_e32 v40, 16, v8
	s_and_b32 s4, s20, exec_lo
.LBB36_144:                             ;   in Loop: Header=BB36_8 Depth=1
	s_or_b32 exec_lo, exec_lo, s5
	s_mov_b32 s19, -1
	s_mov_b32 s20, 0
	s_delay_alu instid0(SALU_CYCLE_1)
	s_mov_b32 s21, s20
	s_branch .LBB36_158
.LBB36_145:                             ;   in Loop: Header=BB36_8 Depth=1
	s_add_u32 s19, s69, s12
	s_addc_u32 s5, s70, s13
	s_mov_b32 s4, s45
	s_delay_alu instid0(SALU_CYCLE_1)
	s_cmp_lg_u64 s[4:5], 0
	s_cbranch_scc0 .LBB36_188
; %bb.146:                              ;   in Loop: Header=BB36_8 Depth=1
	v_cvt_f32_u32_e32 v2, s33
	s_sub_u32 s21, 0, s33
	s_subb_u32 s23, 0, 0
	s_delay_alu instid0(VALU_DEP_1) | instskip(NEXT) | instid1(VALU_DEP_1)
	v_fmac_f32_e32 v2, 0x4f800000, v39
	v_rcp_f32_e32 v2, v2
	s_waitcnt_depctr 0xfff
	v_mul_f32_e32 v2, 0x5f7ffffc, v2
	s_delay_alu instid0(VALU_DEP_1) | instskip(NEXT) | instid1(VALU_DEP_1)
	v_mul_f32_e32 v3, 0x2f800000, v2
	v_trunc_f32_e32 v3, v3
	s_delay_alu instid0(VALU_DEP_1) | instskip(SKIP_1) | instid1(VALU_DEP_2)
	v_fmac_f32_e32 v2, 0xcf800000, v3
	v_cvt_u32_f32_e32 v3, v3
	v_cvt_u32_f32_e32 v2, v2
	s_delay_alu instid0(VALU_DEP_2) | instskip(NEXT) | instid1(VALU_DEP_2)
	v_readfirstlane_b32 s4, v3
	v_readfirstlane_b32 s20, v2
	s_delay_alu instid0(VALU_DEP_2) | instskip(NEXT) | instid1(VALU_DEP_1)
	s_mul_i32 s44, s21, s4
	s_mul_hi_u32 s56, s21, s20
	s_mul_i32 s48, s23, s20
	s_add_i32 s44, s56, s44
	s_mul_i32 s57, s21, s20
	s_add_i32 s44, s44, s48
	s_mul_hi_u32 s56, s20, s57
	s_mul_hi_u32 s58, s4, s57
	s_mul_i32 s48, s4, s57
	s_mul_hi_u32 s57, s20, s44
	s_mul_i32 s20, s20, s44
	s_mul_hi_u32 s59, s4, s44
	s_add_u32 s20, s56, s20
	s_addc_u32 s56, 0, s57
	s_add_u32 s20, s20, s48
	s_mul_i32 s44, s4, s44
	s_addc_u32 s20, s56, s58
	s_addc_u32 s48, s59, 0
	s_add_u32 s20, s20, s44
	s_addc_u32 s44, 0, s48
	v_add_co_u32 v2, s20, v2, s20
	s_delay_alu instid0(VALU_DEP_1) | instskip(SKIP_1) | instid1(VALU_DEP_1)
	s_cmp_lg_u32 s20, 0
	s_addc_u32 s4, s4, s44
	v_readfirstlane_b32 s20, v2
	s_mul_i32 s44, s21, s4
	s_delay_alu instid0(VALU_DEP_1)
	s_mul_hi_u32 s48, s21, s20
	s_mul_i32 s23, s23, s20
	s_add_i32 s44, s48, s44
	s_mul_i32 s21, s21, s20
	s_add_i32 s44, s44, s23
	s_mul_hi_u32 s48, s4, s21
	s_mul_i32 s56, s4, s21
	s_mul_hi_u32 s21, s20, s21
	s_mul_hi_u32 s57, s20, s44
	s_mul_i32 s20, s20, s44
	s_mul_hi_u32 s23, s4, s44
	s_add_u32 s20, s21, s20
	s_addc_u32 s21, 0, s57
	s_add_u32 s20, s20, s56
	s_mul_i32 s44, s4, s44
	s_addc_u32 s20, s21, s48
	s_addc_u32 s21, s23, 0
	s_add_u32 s20, s20, s44
	s_addc_u32 s21, 0, s21
	v_add_co_u32 v2, s20, v2, s20
	s_delay_alu instid0(VALU_DEP_1) | instskip(SKIP_2) | instid1(VALU_DEP_1)
	s_cmp_lg_u32 s20, 0
	s_addc_u32 s4, s4, s21
	s_ashr_i32 s20, s5, 31
	v_readfirstlane_b32 s23, v2
	s_add_u32 s56, s19, s20
	s_mov_b32 s21, s20
	s_addc_u32 s57, s5, s20
	s_delay_alu instid0(SALU_CYCLE_1) | instskip(NEXT) | instid1(SALU_CYCLE_1)
	s_xor_b64 s[56:57], s[56:57], s[20:21]
	s_mul_i32 s44, s56, s4
	s_mul_hi_u32 s48, s56, s23
	s_mul_hi_u32 s21, s56, s4
	;; [unrolled: 1-line block ×3, first 2 shown]
	s_mul_i32 s23, s57, s23
	s_add_u32 s44, s48, s44
	s_addc_u32 s21, 0, s21
	s_mul_hi_u32 s58, s57, s4
	s_add_u32 s23, s44, s23
	s_mul_i32 s4, s57, s4
	s_addc_u32 s21, s21, s59
	s_addc_u32 s23, s58, 0
	s_add_u32 s4, s21, s4
	s_addc_u32 s21, 0, s23
	s_mul_hi_u32 s23, s33, s4
	s_mul_i32 s4, s33, s4
	s_mul_i32 s21, s33, s21
	v_sub_co_u32 v2, s4, s56, s4
	s_add_i32 s23, s23, s21
	s_cmp_lg_u32 s4, 0
	s_delay_alu instid0(VALU_DEP_1) | instskip(SKIP_2) | instid1(VALU_DEP_1)
	v_sub_co_u32 v3, s4, v2, s33
	s_subb_u32 s21, s57, s23
	s_cmp_lg_u32 s4, 0
	v_cmp_le_u32_e32 vcc_lo, s33, v3
	v_sub_co_u32 v4, s4, v3, s33
	s_subb_u32 s23, s21, 0
	s_cmp_lg_u32 s4, 0
	v_cndmask_b32_e64 v5, 0, -1, vcc_lo
	s_subb_u32 s4, s23, 0
	s_cmp_eq_u32 s23, 0
	v_mov_b32_e32 v7, s4
	s_cselect_b32 vcc_lo, -1, 0
	s_cmp_eq_u32 s21, 0
	v_cndmask_b32_e32 v5, -1, v5, vcc_lo
	v_cmp_le_u32_e32 vcc_lo, s33, v2
	s_cselect_b32 s4, -1, 0
	v_cndmask_b32_e64 v6, 0, -1, vcc_lo
	s_delay_alu instid0(VALU_DEP_3) | instskip(NEXT) | instid1(VALU_DEP_2)
	v_cmp_ne_u32_e32 vcc_lo, 0, v5
	v_cndmask_b32_e64 v5, -1, v6, s4
	v_cndmask_b32_e32 v3, v3, v4, vcc_lo
	v_cndmask_b32_e32 v6, s23, v7, vcc_lo
	s_delay_alu instid0(VALU_DEP_3) | instskip(NEXT) | instid1(VALU_DEP_3)
	v_cmp_ne_u32_e32 vcc_lo, 0, v5
	v_cndmask_b32_e32 v2, v2, v3, vcc_lo
	s_delay_alu instid0(VALU_DEP_3) | instskip(NEXT) | instid1(VALU_DEP_2)
	v_cndmask_b32_e32 v4, s21, v6, vcc_lo
	v_xor_b32_e32 v2, s20, v2
	s_delay_alu instid0(VALU_DEP_2) | instskip(NEXT) | instid1(VALU_DEP_2)
	v_xor_b32_e32 v3, s20, v4
	v_sub_co_u32 v2, vcc_lo, v2, s20
	s_delay_alu instid0(VALU_DEP_2)
	v_subrev_co_ci_u32_e32 v3, vcc_lo, s20, v3, vcc_lo
	s_cbranch_execnz .LBB36_148
.LBB36_147:                             ;   in Loop: Header=BB36_8 Depth=1
	v_cvt_f32_u32_e32 v2, s33
	s_sub_i32 s4, 0, s33
	s_delay_alu instid0(VALU_DEP_1) | instskip(SKIP_2) | instid1(VALU_DEP_1)
	v_rcp_iflag_f32_e32 v2, v2
	s_waitcnt_depctr 0xfff
	v_mul_f32_e32 v2, 0x4f7ffffe, v2
	v_cvt_u32_f32_e32 v2, v2
	s_delay_alu instid0(VALU_DEP_1) | instskip(NEXT) | instid1(VALU_DEP_1)
	v_mul_lo_u32 v3, s4, v2
	v_mul_hi_u32 v3, v2, v3
	s_delay_alu instid0(VALU_DEP_1) | instskip(NEXT) | instid1(VALU_DEP_1)
	v_add_nc_u32_e32 v2, v2, v3
	v_mul_hi_u32 v2, s19, v2
	s_delay_alu instid0(VALU_DEP_1) | instskip(NEXT) | instid1(VALU_DEP_1)
	v_mul_lo_u32 v2, v2, s33
	v_sub_nc_u32_e32 v2, s19, v2
	s_delay_alu instid0(VALU_DEP_1) | instskip(SKIP_1) | instid1(VALU_DEP_2)
	v_subrev_nc_u32_e32 v3, s33, v2
	v_cmp_le_u32_e32 vcc_lo, s33, v2
	v_cndmask_b32_e32 v2, v2, v3, vcc_lo
	s_delay_alu instid0(VALU_DEP_1) | instskip(SKIP_1) | instid1(VALU_DEP_2)
	v_subrev_nc_u32_e32 v3, s33, v2
	v_cmp_le_u32_e32 vcc_lo, s33, v2
	v_cndmask_b32_e32 v12, v2, v3, vcc_lo
	s_delay_alu instid0(VALU_DEP_1)
	v_dual_mov_b32 v2, v12 :: v_dual_mov_b32 v3, v13
.LBB36_148:                             ;   in Loop: Header=BB36_8 Depth=1
	s_delay_alu instid0(VALU_DEP_1) | instskip(NEXT) | instid1(VALU_DEP_2)
	v_sub_co_u32 v2, vcc_lo, s19, v2
	v_sub_co_ci_u32_e32 v3, vcc_lo, s5, v3, vcc_lo
	s_mov_b32 s4, 0
	s_mov_b32 s5, exec_lo
                                        ; implicit-def: $vgpr40
	s_delay_alu instid0(VALU_DEP_1)
	v_cmpx_gt_i64_e64 v[2:3], v[0:1]
	s_cbranch_execz .LBB36_157
; %bb.149:                              ;   in Loop: Header=BB36_8 Depth=1
	v_dual_mov_b32 v6, v30 :: v_dual_mov_b32 v5, v1
	v_mov_b32_e32 v4, v0
	s_mov_b32 s19, 0
                                        ; implicit-def: $sgpr20
	s_set_inst_prefetch_distance 0x1
	s_branch .LBB36_151
	.p2align	6
.LBB36_150:                             ;   in Loop: Header=BB36_151 Depth=2
	s_or_b32 exec_lo, exec_lo, s4
	s_waitcnt lgkmcnt(0)
	s_barrier
	buffer_gl0_inv
	ds_load_b32 v7, v13 offset:3072
	v_add_co_u32 v4, vcc_lo, v4, s33
	v_add_co_ci_u32_e32 v5, vcc_lo, 0, v5, vcc_lo
	v_add_nc_u32_e32 v6, s77, v6
	s_waitcnt lgkmcnt(0)
	s_barrier
	s_delay_alu instid0(VALU_DEP_2) | instskip(SKIP_2) | instid1(VALU_DEP_1)
	v_cmp_ge_i64_e32 vcc_lo, v[4:5], v[2:3]
	buffer_gl0_inv
	v_cmp_ne_u16_e64 s4, 0, v7
	s_or_b32 s21, s4, vcc_lo
	s_delay_alu instid0(SALU_CYCLE_1) | instskip(NEXT) | instid1(SALU_CYCLE_1)
	s_and_b32 s21, exec_lo, s21
	s_or_b32 s19, s21, s19
	s_and_not1_b32 s20, s20, exec_lo
	s_and_b32 s4, s4, exec_lo
	s_delay_alu instid0(SALU_CYCLE_1)
	s_or_b32 s20, s20, s4
	s_and_not1_b32 exec_lo, exec_lo, s19
	s_cbranch_execz .LBB36_156
.LBB36_151:                             ;   Parent Loop BB36_8 Depth=1
                                        ; =>  This Inner Loop Header: Depth=2
	s_delay_alu instid0(VALU_DEP_1)
	v_cmp_gt_i64_e32 vcc_lo, s[12:13], v[4:5]
	v_mov_b32_e32 v7, 0
	s_and_saveexec_b32 s4, vcc_lo
	s_cbranch_execz .LBB36_153
; %bb.152:                              ;   in Loop: Header=BB36_151 Depth=2
	ds_load_u16 v7, v6
.LBB36_153:                             ;   in Loop: Header=BB36_151 Depth=2
	s_or_b32 exec_lo, exec_lo, s4
	s_and_saveexec_b32 s4, vcc_lo
	s_cbranch_execz .LBB36_150
; %bb.154:                              ;   in Loop: Header=BB36_151 Depth=2
	s_waitcnt lgkmcnt(0)
	v_bfe_i32 v8, v7, 0, 16
	s_delay_alu instid0(VALU_DEP_1) | instskip(NEXT) | instid1(VALU_DEP_1)
	v_add_nc_u32_e32 v8, 0x8000, v8
	v_and_b32_e32 v8, s87, v8
	s_delay_alu instid0(VALU_DEP_1)
	v_cmp_eq_u32_e32 vcc_lo, s88, v8
	s_and_b32 exec_lo, exec_lo, vcc_lo
	s_cbranch_execz .LBB36_150
; %bb.155:                              ;   in Loop: Header=BB36_151 Depth=2
	v_perm_b32 v7, v7, 1, 0x5040100
	ds_store_b32 v13, v7 offset:3072
	s_branch .LBB36_150
.LBB36_156:                             ;   in Loop: Header=BB36_8 Depth=1
	s_set_inst_prefetch_distance 0x2
	s_or_b32 exec_lo, exec_lo, s19
	v_lshrrev_b32_e32 v40, 16, v7
	s_and_b32 s4, s20, exec_lo
.LBB36_157:                             ;   in Loop: Header=BB36_8 Depth=1
	s_or_b32 exec_lo, exec_lo, s5
	s_mov_b32 s21, -1
	s_mov_b32 s20, 0
	s_mov_b32 s19, 0
.LBB36_158:                             ;   in Loop: Header=BB36_8 Depth=1
	s_mov_b32 s5, 0
                                        ; implicit-def: $sgpr48
	s_and_saveexec_b32 s12, s4
	s_cbranch_execz .LBB36_269
; %bb.159:                              ;   in Loop: Header=BB36_8 Depth=1
	s_xor_b32 s4, s22, -1
	s_mov_b32 s48, 1
	s_and_not1_b32 vcc_lo, exec_lo, s4
	s_cbranch_vccnz .LBB36_170
; %bb.160:                              ;   in Loop: Header=BB36_8 Depth=1
	v_cmp_gt_i64_e64 s4, s[26:27], s[10:11]
                                        ; implicit-def: $sgpr48
                                        ; implicit-def: $sgpr5
                                        ; implicit-def: $sgpr13
	s_delay_alu instid0(VALU_DEP_1)
	s_and_b32 vcc_lo, exec_lo, s4
	s_mov_b32 s4, -1
	s_cbranch_vccnz .LBB36_166
; %bb.161:                              ;   in Loop: Header=BB36_8 Depth=1
	ds_load_b64 v[2:3], v13 offset:5120
	s_waitcnt lgkmcnt(0)
	v_cmp_ne_u64_e32 vcc_lo, 0, v[2:3]
	s_cbranch_vccnz .LBB36_165
; %bb.162:                              ;   in Loop: Header=BB36_8 Depth=1
	s_and_saveexec_b32 s4, s0
	s_cbranch_execz .LBB36_164
; %bb.163:                              ;   in Loop: Header=BB36_8 Depth=1
	v_dual_mov_b32 v2, s10 :: v_dual_mov_b32 v3, s11
	ds_store_b64 v13, v[2:3] offset:5128
.LBB36_164:                             ;   in Loop: Header=BB36_8 Depth=1
	s_or_b32 exec_lo, exec_lo, s4
	s_waitcnt lgkmcnt(0)
	s_barrier
	buffer_gl0_inv
.LBB36_165:                             ;   in Loop: Header=BB36_8 Depth=1
	s_lshl_b32 s4, 1, s17
	s_and_b32 s5, s88, s18
	s_or_b32 s13, s87, s16
	s_or_b32 s5, s5, s4
	s_mov_b32 s4, 0
	s_mov_b32 s48, 8
.LBB36_166:                             ;   in Loop: Header=BB36_8 Depth=1
	s_and_not1_b32 vcc_lo, exec_lo, s4
	s_cbranch_vccnz .LBB36_168
; %bb.167:                              ;   in Loop: Header=BB36_8 Depth=1
	s_sub_u32 s26, s26, s10
	s_subb_u32 s27, s27, s11
	s_mov_b32 s4, -1
	s_mov_b32 s48, 0
	s_mov_b32 s5, s88
	;; [unrolled: 1-line block ×3, first 2 shown]
.LBB36_168:                             ;   in Loop: Header=BB36_8 Depth=1
	s_delay_alu instid0(SALU_CYCLE_1)
	s_mov_b32 s87, s13
	s_mov_b32 s88, s5
	s_and_not1_b32 vcc_lo, exec_lo, s4
	s_mov_b32 s5, -1
	s_cbranch_vccz .LBB36_171
.LBB36_169:                             ;   in Loop: Header=BB36_8 Depth=1
                                        ; implicit-def: $sgpr22
                                        ; implicit-def: $sgpr23
                                        ; implicit-def: $sgpr13
	s_branch .LBB36_268
.LBB36_170:                             ;   in Loop: Header=BB36_8 Depth=1
	s_mov_b64 s[26:27], 1
	s_mov_b32 s5, -1
	s_cbranch_execnz .LBB36_169
.LBB36_171:                             ;   in Loop: Header=BB36_8 Depth=1
	s_cmp_eq_u64 s[8:9], 1
	s_cselect_b32 s4, -1, 0
	s_cmp_eq_u64 s[26:27], 1
	s_cselect_b32 s5, -1, 0
	s_delay_alu instid0(SALU_CYCLE_1)
	s_and_b32 s44, s4, s5
	s_mov_b32 s4, -1
	s_and_b32 vcc_lo, exec_lo, s44
	s_cbranch_vccz .LBB36_186
; %bb.172:                              ;   in Loop: Header=BB36_8 Depth=1
	ds_load_b64 v[2:3], v13 offset:5120
	s_waitcnt lgkmcnt(0)
	s_barrier
	buffer_gl0_inv
	v_readfirstlane_b32 s10, v2
	v_readfirstlane_b32 s11, v3
	s_and_saveexec_b32 s4, s2
	s_cbranch_execz .LBB36_174
; %bb.173:                              ;   in Loop: Header=BB36_8 Depth=1
	ds_store_b16 v31, v13
.LBB36_174:                             ;   in Loop: Header=BB36_8 Depth=1
	s_or_b32 exec_lo, exec_lo, s4
	s_delay_alu instid0(VALU_DEP_1)
	v_cmp_gt_i64_e64 s13, s[10:11], 0
	s_lshl_b32 s4, 2, s17
	s_and_b32 s5, s88, s18
	s_or_b32 s87, s87, s16
	s_or_b32 s88, s5, s4
	s_waitcnt lgkmcnt(0)
	s_and_b32 vcc_lo, exec_lo, s13
	s_barrier
	buffer_gl0_inv
	s_cbranch_vccnz .LBB36_189
; %bb.175:                              ;   in Loop: Header=BB36_8 Depth=1
	s_mov_b32 s48, s45
	s_delay_alu instid0(SALU_CYCLE_1)
	s_cmp_lg_u64 s[48:49], 0
	s_cbranch_scc0 .LBB36_234
; %bb.176:                              ;   in Loop: Header=BB36_8 Depth=1
	v_cvt_f32_u32_e32 v2, s33
	s_sub_u32 s13, 0, s33
	s_subb_u32 s22, 0, 0
	s_delay_alu instid0(VALU_DEP_1) | instskip(NEXT) | instid1(VALU_DEP_1)
	v_fmac_f32_e32 v2, 0x4f800000, v39
	v_rcp_f32_e32 v2, v2
	s_waitcnt_depctr 0xfff
	v_mul_f32_e32 v2, 0x5f7ffffc, v2
	s_delay_alu instid0(VALU_DEP_1) | instskip(NEXT) | instid1(VALU_DEP_1)
	v_mul_f32_e32 v3, 0x2f800000, v2
	v_trunc_f32_e32 v3, v3
	s_delay_alu instid0(VALU_DEP_1) | instskip(SKIP_1) | instid1(VALU_DEP_2)
	v_fmac_f32_e32 v2, 0xcf800000, v3
	v_cvt_u32_f32_e32 v3, v3
	v_cvt_u32_f32_e32 v2, v2
	s_delay_alu instid0(VALU_DEP_2) | instskip(NEXT) | instid1(VALU_DEP_2)
	v_readfirstlane_b32 s4, v3
	v_readfirstlane_b32 s5, v2
	s_delay_alu instid0(VALU_DEP_2) | instskip(NEXT) | instid1(VALU_DEP_1)
	s_mul_i32 s23, s13, s4
	s_mul_hi_u32 s56, s13, s5
	s_mul_i32 s48, s22, s5
	s_add_i32 s23, s56, s23
	s_mul_i32 s57, s13, s5
	s_add_i32 s23, s23, s48
	s_mul_hi_u32 s56, s5, s57
	s_mul_hi_u32 s58, s4, s57
	s_mul_i32 s48, s4, s57
	s_mul_hi_u32 s57, s5, s23
	s_mul_i32 s5, s5, s23
	s_mul_hi_u32 s59, s4, s23
	s_add_u32 s5, s56, s5
	s_addc_u32 s56, 0, s57
	s_add_u32 s5, s5, s48
	s_mul_i32 s23, s4, s23
	s_addc_u32 s5, s56, s58
	s_addc_u32 s48, s59, 0
	s_add_u32 s5, s5, s23
	s_addc_u32 s23, 0, s48
	v_add_co_u32 v2, s5, v2, s5
	s_delay_alu instid0(VALU_DEP_1) | instskip(SKIP_1) | instid1(VALU_DEP_1)
	s_cmp_lg_u32 s5, 0
	s_addc_u32 s4, s4, s23
	v_readfirstlane_b32 s5, v2
	s_mul_i32 s23, s13, s4
	s_delay_alu instid0(VALU_DEP_1)
	s_mul_hi_u32 s48, s13, s5
	s_mul_i32 s22, s22, s5
	s_add_i32 s23, s48, s23
	s_mul_i32 s13, s13, s5
	s_add_i32 s23, s23, s22
	s_mul_hi_u32 s48, s4, s13
	s_mul_i32 s56, s4, s13
	s_mul_hi_u32 s13, s5, s13
	s_mul_hi_u32 s57, s5, s23
	s_mul_i32 s5, s5, s23
	s_mul_hi_u32 s22, s4, s23
	s_add_u32 s5, s13, s5
	s_addc_u32 s13, 0, s57
	s_add_u32 s5, s5, s56
	s_mul_i32 s23, s4, s23
	s_addc_u32 s5, s13, s48
	s_addc_u32 s13, s22, 0
	s_add_u32 s5, s5, s23
	s_addc_u32 s13, 0, s13
	v_add_co_u32 v2, s5, v2, s5
	s_delay_alu instid0(VALU_DEP_1) | instskip(SKIP_2) | instid1(VALU_DEP_1)
	s_cmp_lg_u32 s5, 0
	s_addc_u32 s13, s4, s13
	s_ashr_i32 s22, s49, 31
	v_readfirstlane_b32 s48, v2
	s_add_u32 s4, s71, s22
	s_mov_b32 s23, s22
	s_addc_u32 s5, s49, s22
	s_delay_alu instid0(SALU_CYCLE_1) | instskip(NEXT) | instid1(SALU_CYCLE_1)
	s_xor_b64 s[4:5], s[4:5], s[22:23]
	s_mul_i32 s56, s4, s13
	s_mul_hi_u32 s57, s4, s48
	s_mul_hi_u32 s23, s4, s13
	;; [unrolled: 1-line block ×3, first 2 shown]
	s_mul_i32 s48, s5, s48
	s_add_u32 s56, s57, s56
	s_addc_u32 s23, 0, s23
	s_mul_hi_u32 s58, s5, s13
	s_add_u32 s48, s56, s48
	s_mul_i32 s13, s5, s13
	s_addc_u32 s23, s23, s59
	s_addc_u32 s48, s58, 0
	s_add_u32 s13, s23, s13
	s_addc_u32 s23, 0, s48
	s_mul_hi_u32 s48, s33, s13
	s_mul_i32 s13, s33, s13
	s_mul_i32 s23, s33, s23
	v_sub_co_u32 v2, s4, s4, s13
	s_add_i32 s48, s48, s23
	s_cmp_lg_u32 s4, 0
	s_delay_alu instid0(VALU_DEP_1) | instskip(SKIP_2) | instid1(VALU_DEP_1)
	v_sub_co_u32 v3, s4, v2, s33
	s_subb_u32 s5, s5, s48
	s_cmp_lg_u32 s4, 0
	v_cmp_le_u32_e32 vcc_lo, s33, v3
	v_sub_co_u32 v4, s4, v3, s33
	s_subb_u32 s13, s5, 0
	s_cmp_lg_u32 s4, 0
	v_cndmask_b32_e64 v5, 0, -1, vcc_lo
	s_subb_u32 s4, s13, 0
	s_cmp_eq_u32 s13, 0
	v_mov_b32_e32 v7, s4
	s_cselect_b32 vcc_lo, -1, 0
	s_cmp_eq_u32 s5, 0
	v_cndmask_b32_e32 v5, -1, v5, vcc_lo
	v_cmp_le_u32_e32 vcc_lo, s33, v2
	s_cselect_b32 s4, -1, 0
	v_cndmask_b32_e64 v6, 0, -1, vcc_lo
	s_delay_alu instid0(VALU_DEP_3) | instskip(NEXT) | instid1(VALU_DEP_2)
	v_cmp_ne_u32_e32 vcc_lo, 0, v5
	v_cndmask_b32_e64 v5, -1, v6, s4
	v_cndmask_b32_e32 v3, v3, v4, vcc_lo
	v_cndmask_b32_e32 v6, s13, v7, vcc_lo
	s_delay_alu instid0(VALU_DEP_3) | instskip(NEXT) | instid1(VALU_DEP_3)
	v_cmp_ne_u32_e32 vcc_lo, 0, v5
	v_cndmask_b32_e32 v2, v2, v3, vcc_lo
	s_delay_alu instid0(VALU_DEP_3) | instskip(NEXT) | instid1(VALU_DEP_2)
	v_cndmask_b32_e32 v4, s5, v6, vcc_lo
	v_xor_b32_e32 v2, s22, v2
	s_delay_alu instid0(VALU_DEP_2) | instskip(NEXT) | instid1(VALU_DEP_2)
	v_xor_b32_e32 v3, s22, v4
	v_sub_co_u32 v2, vcc_lo, v2, s22
	s_delay_alu instid0(VALU_DEP_2)
	v_subrev_co_ci_u32_e32 v3, vcc_lo, s22, v3, vcc_lo
	s_cbranch_execnz .LBB36_178
.LBB36_177:                             ;   in Loop: Header=BB36_8 Depth=1
	v_cvt_f32_u32_e32 v2, s33
	s_sub_i32 s4, 0, s33
	s_delay_alu instid0(VALU_DEP_1) | instskip(SKIP_2) | instid1(VALU_DEP_1)
	v_rcp_iflag_f32_e32 v2, v2
	s_waitcnt_depctr 0xfff
	v_mul_f32_e32 v2, 0x4f7ffffe, v2
	v_cvt_u32_f32_e32 v2, v2
	s_delay_alu instid0(VALU_DEP_1) | instskip(NEXT) | instid1(VALU_DEP_1)
	v_mul_lo_u32 v3, s4, v2
	v_mul_hi_u32 v3, v2, v3
	s_delay_alu instid0(VALU_DEP_1) | instskip(NEXT) | instid1(VALU_DEP_1)
	v_add_nc_u32_e32 v2, v2, v3
	v_mul_hi_u32 v2, s71, v2
	s_delay_alu instid0(VALU_DEP_1) | instskip(NEXT) | instid1(VALU_DEP_1)
	v_mul_lo_u32 v2, v2, s33
	v_sub_nc_u32_e32 v2, s71, v2
	s_delay_alu instid0(VALU_DEP_1) | instskip(SKIP_1) | instid1(VALU_DEP_2)
	v_subrev_nc_u32_e32 v3, s33, v2
	v_cmp_le_u32_e32 vcc_lo, s33, v2
	v_cndmask_b32_e32 v2, v2, v3, vcc_lo
	s_delay_alu instid0(VALU_DEP_1) | instskip(SKIP_1) | instid1(VALU_DEP_2)
	v_subrev_nc_u32_e32 v3, s33, v2
	v_cmp_le_u32_e32 vcc_lo, s33, v2
	v_cndmask_b32_e32 v12, v2, v3, vcc_lo
	s_delay_alu instid0(VALU_DEP_1)
	v_dual_mov_b32 v2, v12 :: v_dual_mov_b32 v3, v13
.LBB36_178:                             ;   in Loop: Header=BB36_8 Depth=1
	s_delay_alu instid0(VALU_DEP_1) | instskip(NEXT) | instid1(VALU_DEP_2)
	v_sub_co_u32 v2, vcc_lo, s71, v2
	v_sub_co_ci_u32_e32 v3, vcc_lo, s49, v3, vcc_lo
	s_mov_b32 s4, 0
	s_mov_b32 s5, exec_lo
                                        ; implicit-def: $vgpr40
	s_delay_alu instid0(VALU_DEP_1)
	v_cmpx_gt_i64_e64 v[2:3], v[0:1]
	s_cbranch_execz .LBB36_191
; %bb.179:                              ;   in Loop: Header=BB36_8 Depth=1
	v_dual_mov_b32 v4, v10 :: v_dual_mov_b32 v5, v11
	v_dual_mov_b32 v7, v1 :: v_dual_mov_b32 v6, v0
	s_mov_b32 s13, 0
                                        ; implicit-def: $sgpr22
	s_set_inst_prefetch_distance 0x1
	s_branch .LBB36_181
	.p2align	6
.LBB36_180:                             ;   in Loop: Header=BB36_181 Depth=2
	s_or_b32 exec_lo, exec_lo, s4
	s_waitcnt vmcnt(0) lgkmcnt(0)
	s_barrier
	buffer_gl0_inv
	ds_load_b32 v8, v13 offset:3072
	v_add_co_u32 v6, vcc_lo, v6, s33
	v_add_co_ci_u32_e32 v7, vcc_lo, 0, v7, vcc_lo
	s_waitcnt lgkmcnt(0)
	s_barrier
	buffer_gl0_inv
	v_cmp_ge_i64_e32 vcc_lo, v[6:7], v[2:3]
	v_cmp_ne_u16_e64 s4, 0, v8
	s_delay_alu instid0(VALU_DEP_1)
	s_or_b32 s23, s4, vcc_lo
	v_add_co_u32 v4, vcc_lo, v4, s42
	s_and_b32 s23, exec_lo, s23
	v_add_co_ci_u32_e32 v5, vcc_lo, s43, v5, vcc_lo
	s_or_b32 s13, s23, s13
	s_and_not1_b32 s22, s22, exec_lo
	s_and_b32 s4, s4, exec_lo
	s_delay_alu instid0(SALU_CYCLE_1)
	s_or_b32 s22, s22, s4
	s_and_not1_b32 exec_lo, exec_lo, s13
	s_cbranch_execz .LBB36_190
.LBB36_181:                             ;   Parent Loop BB36_8 Depth=1
                                        ; =>  This Inner Loop Header: Depth=2
	s_delay_alu instid0(VALU_DEP_1)
	v_cmp_gt_i64_e32 vcc_lo, s[24:25], v[6:7]
	v_mov_b32_e32 v8, 0
	s_and_saveexec_b32 s4, vcc_lo
	s_cbranch_execz .LBB36_183
; %bb.182:                              ;   in Loop: Header=BB36_181 Depth=2
	global_load_u16 v8, v[4:5], off
.LBB36_183:                             ;   in Loop: Header=BB36_181 Depth=2
	s_or_b32 exec_lo, exec_lo, s4
	s_and_saveexec_b32 s4, vcc_lo
	s_cbranch_execz .LBB36_180
; %bb.184:                              ;   in Loop: Header=BB36_181 Depth=2
	s_waitcnt vmcnt(0)
	v_bfe_i32 v9, v8, 0, 16
	s_delay_alu instid0(VALU_DEP_1) | instskip(NEXT) | instid1(VALU_DEP_1)
	v_add_nc_u32_e32 v9, 0x8000, v9
	v_and_b32_e32 v9, s87, v9
	s_delay_alu instid0(VALU_DEP_1)
	v_cmp_eq_u32_e32 vcc_lo, s88, v9
	s_and_b32 exec_lo, exec_lo, vcc_lo
	s_cbranch_execz .LBB36_180
; %bb.185:                              ;   in Loop: Header=BB36_181 Depth=2
	v_perm_b32 v8, v8, 1, 0x5040100
	ds_store_b32 v13, v8 offset:3072
	s_branch .LBB36_180
.LBB36_186:                             ;   in Loop: Header=BB36_8 Depth=1
                                        ; implicit-def: $sgpr13
                                        ; implicit-def: $sgpr23
                                        ; implicit-def: $sgpr22
	s_branch .LBB36_205
.LBB36_187:                             ;   in Loop: Header=BB36_8 Depth=1
                                        ; implicit-def: $vgpr2_vgpr3
	s_branch .LBB36_130
.LBB36_188:                             ;   in Loop: Header=BB36_8 Depth=1
                                        ; implicit-def: $vgpr2_vgpr3
	s_branch .LBB36_147
.LBB36_189:                             ;   in Loop: Header=BB36_8 Depth=1
	s_mov_b32 s13, -1
	s_mov_b32 s4, 0
                                        ; implicit-def: $sgpr22
                                        ; implicit-def: $vgpr40
	s_mov_b32 s23, s13
	s_cbranch_execnz .LBB36_192
	s_branch .LBB36_205
.LBB36_190:                             ;   in Loop: Header=BB36_8 Depth=1
	s_set_inst_prefetch_distance 0x2
	s_or_b32 exec_lo, exec_lo, s13
	v_lshrrev_b32_e32 v40, 16, v8
	s_and_b32 s4, s22, exec_lo
.LBB36_191:                             ;   in Loop: Header=BB36_8 Depth=1
	s_or_b32 exec_lo, exec_lo, s5
	s_mov_b32 s22, -1
	s_mov_b32 s13, 0
	s_delay_alu instid0(SALU_CYCLE_1)
	s_mov_b32 s23, s13
	s_branch .LBB36_205
.LBB36_192:                             ;   in Loop: Header=BB36_8 Depth=1
	s_add_u32 s13, s69, s10
	s_addc_u32 s5, s70, s11
	s_mov_b32 s4, s45
	s_delay_alu instid0(SALU_CYCLE_1)
	s_cmp_lg_u64 s[4:5], 0
	s_cbranch_scc0 .LBB36_235
; %bb.193:                              ;   in Loop: Header=BB36_8 Depth=1
	v_cvt_f32_u32_e32 v2, s33
	s_sub_u32 s23, 0, s33
	s_subb_u32 s48, 0, 0
	s_delay_alu instid0(VALU_DEP_1) | instskip(NEXT) | instid1(VALU_DEP_1)
	v_fmac_f32_e32 v2, 0x4f800000, v39
	v_rcp_f32_e32 v2, v2
	s_waitcnt_depctr 0xfff
	v_mul_f32_e32 v2, 0x5f7ffffc, v2
	s_delay_alu instid0(VALU_DEP_1) | instskip(NEXT) | instid1(VALU_DEP_1)
	v_mul_f32_e32 v3, 0x2f800000, v2
	v_trunc_f32_e32 v3, v3
	s_delay_alu instid0(VALU_DEP_1) | instskip(SKIP_1) | instid1(VALU_DEP_2)
	v_fmac_f32_e32 v2, 0xcf800000, v3
	v_cvt_u32_f32_e32 v3, v3
	v_cvt_u32_f32_e32 v2, v2
	s_delay_alu instid0(VALU_DEP_2) | instskip(NEXT) | instid1(VALU_DEP_2)
	v_readfirstlane_b32 s4, v3
	v_readfirstlane_b32 s22, v2
	s_delay_alu instid0(VALU_DEP_2) | instskip(NEXT) | instid1(VALU_DEP_1)
	s_mul_i32 s56, s23, s4
	s_mul_hi_u32 s58, s23, s22
	s_mul_i32 s57, s48, s22
	s_add_i32 s56, s58, s56
	s_mul_i32 s59, s23, s22
	s_add_i32 s56, s56, s57
	s_mul_hi_u32 s58, s22, s59
	s_mul_hi_u32 s60, s4, s59
	s_mul_i32 s57, s4, s59
	s_mul_hi_u32 s59, s22, s56
	s_mul_i32 s22, s22, s56
	s_mul_hi_u32 s61, s4, s56
	s_add_u32 s22, s58, s22
	s_addc_u32 s58, 0, s59
	s_add_u32 s22, s22, s57
	s_mul_i32 s56, s4, s56
	s_addc_u32 s22, s58, s60
	s_addc_u32 s57, s61, 0
	s_add_u32 s22, s22, s56
	s_addc_u32 s56, 0, s57
	v_add_co_u32 v2, s22, v2, s22
	s_delay_alu instid0(VALU_DEP_1) | instskip(SKIP_1) | instid1(VALU_DEP_1)
	s_cmp_lg_u32 s22, 0
	s_addc_u32 s4, s4, s56
	v_readfirstlane_b32 s22, v2
	s_mul_i32 s56, s23, s4
	s_delay_alu instid0(VALU_DEP_1)
	s_mul_hi_u32 s57, s23, s22
	s_mul_i32 s48, s48, s22
	s_add_i32 s56, s57, s56
	s_mul_i32 s23, s23, s22
	s_add_i32 s56, s56, s48
	s_mul_hi_u32 s57, s4, s23
	s_mul_i32 s58, s4, s23
	s_mul_hi_u32 s23, s22, s23
	s_mul_hi_u32 s59, s22, s56
	s_mul_i32 s22, s22, s56
	s_mul_hi_u32 s48, s4, s56
	s_add_u32 s22, s23, s22
	s_addc_u32 s23, 0, s59
	s_add_u32 s22, s22, s58
	s_mul_i32 s56, s4, s56
	s_addc_u32 s22, s23, s57
	s_addc_u32 s23, s48, 0
	s_add_u32 s22, s22, s56
	s_addc_u32 s23, 0, s23
	v_add_co_u32 v2, s22, v2, s22
	s_delay_alu instid0(VALU_DEP_1) | instskip(SKIP_2) | instid1(VALU_DEP_1)
	s_cmp_lg_u32 s22, 0
	s_addc_u32 s4, s4, s23
	s_ashr_i32 s22, s5, 31
	v_readfirstlane_b32 s48, v2
	s_add_u32 s56, s13, s22
	s_mov_b32 s23, s22
	s_addc_u32 s57, s5, s22
	s_delay_alu instid0(SALU_CYCLE_1) | instskip(NEXT) | instid1(SALU_CYCLE_1)
	s_xor_b64 s[56:57], s[56:57], s[22:23]
	s_mul_i32 s58, s56, s4
	s_mul_hi_u32 s59, s56, s48
	s_mul_hi_u32 s23, s56, s4
	;; [unrolled: 1-line block ×3, first 2 shown]
	s_mul_i32 s48, s57, s48
	s_add_u32 s58, s59, s58
	s_addc_u32 s23, 0, s23
	s_mul_hi_u32 s60, s57, s4
	s_add_u32 s48, s58, s48
	s_mul_i32 s4, s57, s4
	s_addc_u32 s23, s23, s61
	s_addc_u32 s48, s60, 0
	s_add_u32 s4, s23, s4
	s_addc_u32 s23, 0, s48
	s_mul_hi_u32 s48, s33, s4
	s_mul_i32 s4, s33, s4
	s_mul_i32 s23, s33, s23
	v_sub_co_u32 v2, s4, s56, s4
	s_add_i32 s48, s48, s23
	s_cmp_lg_u32 s4, 0
	s_delay_alu instid0(VALU_DEP_1) | instskip(SKIP_2) | instid1(VALU_DEP_1)
	v_sub_co_u32 v3, s4, v2, s33
	s_subb_u32 s23, s57, s48
	s_cmp_lg_u32 s4, 0
	v_cmp_le_u32_e32 vcc_lo, s33, v3
	v_sub_co_u32 v4, s4, v3, s33
	s_subb_u32 s48, s23, 0
	s_cmp_lg_u32 s4, 0
	v_cndmask_b32_e64 v5, 0, -1, vcc_lo
	s_subb_u32 s4, s48, 0
	s_cmp_eq_u32 s48, 0
	v_mov_b32_e32 v7, s4
	s_cselect_b32 vcc_lo, -1, 0
	s_cmp_eq_u32 s23, 0
	v_cndmask_b32_e32 v5, -1, v5, vcc_lo
	v_cmp_le_u32_e32 vcc_lo, s33, v2
	s_cselect_b32 s4, -1, 0
	v_cndmask_b32_e64 v6, 0, -1, vcc_lo
	s_delay_alu instid0(VALU_DEP_3) | instskip(NEXT) | instid1(VALU_DEP_2)
	v_cmp_ne_u32_e32 vcc_lo, 0, v5
	v_cndmask_b32_e64 v5, -1, v6, s4
	v_cndmask_b32_e32 v3, v3, v4, vcc_lo
	v_cndmask_b32_e32 v6, s48, v7, vcc_lo
	s_delay_alu instid0(VALU_DEP_3) | instskip(NEXT) | instid1(VALU_DEP_3)
	v_cmp_ne_u32_e32 vcc_lo, 0, v5
	v_cndmask_b32_e32 v2, v2, v3, vcc_lo
	s_delay_alu instid0(VALU_DEP_3) | instskip(NEXT) | instid1(VALU_DEP_2)
	v_cndmask_b32_e32 v4, s23, v6, vcc_lo
	v_xor_b32_e32 v2, s22, v2
	s_delay_alu instid0(VALU_DEP_2) | instskip(NEXT) | instid1(VALU_DEP_2)
	v_xor_b32_e32 v3, s22, v4
	v_sub_co_u32 v2, vcc_lo, v2, s22
	s_delay_alu instid0(VALU_DEP_2)
	v_subrev_co_ci_u32_e32 v3, vcc_lo, s22, v3, vcc_lo
	s_cbranch_execnz .LBB36_195
.LBB36_194:                             ;   in Loop: Header=BB36_8 Depth=1
	v_cvt_f32_u32_e32 v2, s33
	s_sub_i32 s4, 0, s33
	s_delay_alu instid0(VALU_DEP_1) | instskip(SKIP_2) | instid1(VALU_DEP_1)
	v_rcp_iflag_f32_e32 v2, v2
	s_waitcnt_depctr 0xfff
	v_mul_f32_e32 v2, 0x4f7ffffe, v2
	v_cvt_u32_f32_e32 v2, v2
	s_delay_alu instid0(VALU_DEP_1) | instskip(NEXT) | instid1(VALU_DEP_1)
	v_mul_lo_u32 v3, s4, v2
	v_mul_hi_u32 v3, v2, v3
	s_delay_alu instid0(VALU_DEP_1) | instskip(NEXT) | instid1(VALU_DEP_1)
	v_add_nc_u32_e32 v2, v2, v3
	v_mul_hi_u32 v2, s13, v2
	s_delay_alu instid0(VALU_DEP_1) | instskip(NEXT) | instid1(VALU_DEP_1)
	v_mul_lo_u32 v2, v2, s33
	v_sub_nc_u32_e32 v2, s13, v2
	s_delay_alu instid0(VALU_DEP_1) | instskip(SKIP_1) | instid1(VALU_DEP_2)
	v_subrev_nc_u32_e32 v3, s33, v2
	v_cmp_le_u32_e32 vcc_lo, s33, v2
	v_cndmask_b32_e32 v2, v2, v3, vcc_lo
	s_delay_alu instid0(VALU_DEP_1) | instskip(SKIP_1) | instid1(VALU_DEP_2)
	v_subrev_nc_u32_e32 v3, s33, v2
	v_cmp_le_u32_e32 vcc_lo, s33, v2
	v_cndmask_b32_e32 v12, v2, v3, vcc_lo
	s_delay_alu instid0(VALU_DEP_1)
	v_dual_mov_b32 v2, v12 :: v_dual_mov_b32 v3, v13
.LBB36_195:                             ;   in Loop: Header=BB36_8 Depth=1
	s_delay_alu instid0(VALU_DEP_1) | instskip(NEXT) | instid1(VALU_DEP_2)
	v_sub_co_u32 v2, vcc_lo, s13, v2
	v_sub_co_ci_u32_e32 v3, vcc_lo, s5, v3, vcc_lo
	s_mov_b32 s4, 0
	s_mov_b32 s5, exec_lo
                                        ; implicit-def: $vgpr40
	s_delay_alu instid0(VALU_DEP_1)
	v_cmpx_gt_i64_e64 v[2:3], v[0:1]
	s_cbranch_execz .LBB36_204
; %bb.196:                              ;   in Loop: Header=BB36_8 Depth=1
	v_dual_mov_b32 v6, v30 :: v_dual_mov_b32 v5, v1
	v_mov_b32_e32 v4, v0
	s_mov_b32 s13, 0
                                        ; implicit-def: $sgpr22
	s_set_inst_prefetch_distance 0x1
	s_branch .LBB36_198
	.p2align	6
.LBB36_197:                             ;   in Loop: Header=BB36_198 Depth=2
	s_or_b32 exec_lo, exec_lo, s4
	s_waitcnt lgkmcnt(0)
	s_barrier
	buffer_gl0_inv
	ds_load_b32 v7, v13 offset:3072
	v_add_co_u32 v4, vcc_lo, v4, s33
	v_add_co_ci_u32_e32 v5, vcc_lo, 0, v5, vcc_lo
	v_add_nc_u32_e32 v6, s77, v6
	s_waitcnt lgkmcnt(0)
	s_barrier
	s_delay_alu instid0(VALU_DEP_2) | instskip(SKIP_2) | instid1(VALU_DEP_1)
	v_cmp_ge_i64_e32 vcc_lo, v[4:5], v[2:3]
	buffer_gl0_inv
	v_cmp_ne_u16_e64 s4, 0, v7
	s_or_b32 s23, s4, vcc_lo
	s_delay_alu instid0(SALU_CYCLE_1) | instskip(NEXT) | instid1(SALU_CYCLE_1)
	s_and_b32 s23, exec_lo, s23
	s_or_b32 s13, s23, s13
	s_and_not1_b32 s22, s22, exec_lo
	s_and_b32 s4, s4, exec_lo
	s_delay_alu instid0(SALU_CYCLE_1)
	s_or_b32 s22, s22, s4
	s_and_not1_b32 exec_lo, exec_lo, s13
	s_cbranch_execz .LBB36_203
.LBB36_198:                             ;   Parent Loop BB36_8 Depth=1
                                        ; =>  This Inner Loop Header: Depth=2
	s_delay_alu instid0(VALU_DEP_1)
	v_cmp_gt_i64_e32 vcc_lo, s[10:11], v[4:5]
	v_mov_b32_e32 v7, 0
	s_and_saveexec_b32 s4, vcc_lo
	s_cbranch_execz .LBB36_200
; %bb.199:                              ;   in Loop: Header=BB36_198 Depth=2
	ds_load_u16 v7, v6
.LBB36_200:                             ;   in Loop: Header=BB36_198 Depth=2
	s_or_b32 exec_lo, exec_lo, s4
	s_and_saveexec_b32 s4, vcc_lo
	s_cbranch_execz .LBB36_197
; %bb.201:                              ;   in Loop: Header=BB36_198 Depth=2
	s_waitcnt lgkmcnt(0)
	v_bfe_i32 v8, v7, 0, 16
	s_delay_alu instid0(VALU_DEP_1) | instskip(NEXT) | instid1(VALU_DEP_1)
	v_add_nc_u32_e32 v8, 0x8000, v8
	v_and_b32_e32 v8, s87, v8
	s_delay_alu instid0(VALU_DEP_1)
	v_cmp_eq_u32_e32 vcc_lo, s88, v8
	s_and_b32 exec_lo, exec_lo, vcc_lo
	s_cbranch_execz .LBB36_197
; %bb.202:                              ;   in Loop: Header=BB36_198 Depth=2
	v_perm_b32 v7, v7, 1, 0x5040100
	ds_store_b32 v13, v7 offset:3072
	s_branch .LBB36_197
.LBB36_203:                             ;   in Loop: Header=BB36_8 Depth=1
	s_set_inst_prefetch_distance 0x2
	s_or_b32 exec_lo, exec_lo, s13
	v_lshrrev_b32_e32 v40, 16, v7
	s_and_b32 s4, s22, exec_lo
.LBB36_204:                             ;   in Loop: Header=BB36_8 Depth=1
	s_or_b32 exec_lo, exec_lo, s5
	s_mov_b32 s23, -1
	s_mov_b32 s13, 0
	s_mov_b32 s22, 0
.LBB36_205:                             ;   in Loop: Header=BB36_8 Depth=1
	s_mov_b32 s5, 0
                                        ; implicit-def: $sgpr48
	s_and_saveexec_b32 s10, s4
	s_cbranch_execz .LBB36_267
; %bb.206:                              ;   in Loop: Header=BB36_8 Depth=1
	s_xor_b32 s4, s44, -1
	s_mov_b32 s48, 1
	s_and_not1_b32 vcc_lo, exec_lo, s4
	s_cbranch_vccnz .LBB36_217
; %bb.207:                              ;   in Loop: Header=BB36_8 Depth=1
	v_cmp_gt_i64_e64 s4, s[26:27], s[8:9]
                                        ; implicit-def: $sgpr48
                                        ; implicit-def: $sgpr5
                                        ; implicit-def: $sgpr11
	s_delay_alu instid0(VALU_DEP_1)
	s_and_b32 vcc_lo, exec_lo, s4
	s_mov_b32 s4, -1
	s_cbranch_vccnz .LBB36_213
; %bb.208:                              ;   in Loop: Header=BB36_8 Depth=1
	ds_load_b64 v[2:3], v13 offset:5120
	s_waitcnt lgkmcnt(0)
	v_cmp_ne_u64_e32 vcc_lo, 0, v[2:3]
	s_cbranch_vccnz .LBB36_212
; %bb.209:                              ;   in Loop: Header=BB36_8 Depth=1
	s_and_saveexec_b32 s4, s0
	s_cbranch_execz .LBB36_211
; %bb.210:                              ;   in Loop: Header=BB36_8 Depth=1
	v_dual_mov_b32 v2, s8 :: v_dual_mov_b32 v3, s9
	ds_store_b64 v13, v[2:3] offset:5128
.LBB36_211:                             ;   in Loop: Header=BB36_8 Depth=1
	s_or_b32 exec_lo, exec_lo, s4
	s_waitcnt lgkmcnt(0)
	s_barrier
	buffer_gl0_inv
.LBB36_212:                             ;   in Loop: Header=BB36_8 Depth=1
	s_lshl_b32 s4, 2, s17
	s_and_b32 s5, s88, s18
	s_or_b32 s11, s87, s16
	s_or_b32 s5, s5, s4
	s_mov_b32 s4, 0
	s_mov_b32 s48, 8
.LBB36_213:                             ;   in Loop: Header=BB36_8 Depth=1
	s_and_not1_b32 vcc_lo, exec_lo, s4
	s_cbranch_vccnz .LBB36_215
; %bb.214:                              ;   in Loop: Header=BB36_8 Depth=1
	s_sub_u32 s26, s26, s8
	s_subb_u32 s27, s27, s9
	s_mov_b32 s4, -1
	s_mov_b32 s48, 0
	s_mov_b32 s5, s88
	;; [unrolled: 1-line block ×3, first 2 shown]
.LBB36_215:                             ;   in Loop: Header=BB36_8 Depth=1
	s_delay_alu instid0(SALU_CYCLE_1)
	s_mov_b32 s87, s11
	s_mov_b32 s88, s5
	s_and_not1_b32 vcc_lo, exec_lo, s4
	s_mov_b32 s9, -1
	s_cbranch_vccz .LBB36_218
.LBB36_216:                             ;   in Loop: Header=BB36_8 Depth=1
                                        ; implicit-def: $sgpr17
                                        ; implicit-def: $sgpr44
                                        ; implicit-def: $sgpr18
	s_branch .LBB36_266
.LBB36_217:                             ;   in Loop: Header=BB36_8 Depth=1
	s_mov_b64 s[26:27], 1
	s_mov_b32 s9, -1
	s_cbranch_execnz .LBB36_216
.LBB36_218:                             ;   in Loop: Header=BB36_8 Depth=1
	s_cmp_eq_u64 s[6:7], 1
	s_mov_b32 s56, -1
	s_cselect_b32 s4, -1, 0
	s_cmp_eq_u64 s[26:27], 1
	s_cselect_b32 s5, -1, 0
	s_delay_alu instid0(SALU_CYCLE_1) | instskip(NEXT) | instid1(SALU_CYCLE_1)
	s_and_b32 s11, s4, s5
	s_and_b32 vcc_lo, exec_lo, s11
	s_cbranch_vccz .LBB36_233
; %bb.219:                              ;   in Loop: Header=BB36_8 Depth=1
	ds_load_b64 v[2:3], v13 offset:5120
	s_waitcnt lgkmcnt(0)
	s_barrier
	buffer_gl0_inv
	v_readfirstlane_b32 s8, v2
	v_readfirstlane_b32 s9, v3
	s_and_saveexec_b32 s4, s2
	s_cbranch_execz .LBB36_221
; %bb.220:                              ;   in Loop: Header=BB36_8 Depth=1
	ds_store_b16 v31, v13
.LBB36_221:                             ;   in Loop: Header=BB36_8 Depth=1
	s_or_b32 exec_lo, exec_lo, s4
	s_delay_alu instid0(VALU_DEP_1)
	v_cmp_gt_i64_e64 s4, s[8:9], 0
	s_or_b32 s88, s88, s16
	s_or_b32 s87, s87, s16
	s_waitcnt lgkmcnt(0)
	s_barrier
	buffer_gl0_inv
	s_and_b32 vcc_lo, exec_lo, s4
	s_cbranch_vccnz .LBB36_236
; %bb.222:                              ;   in Loop: Header=BB36_8 Depth=1
	s_mov_b32 s48, s45
	s_delay_alu instid0(SALU_CYCLE_1)
	s_cmp_lg_u64 s[48:49], 0
	s_cbranch_scc0 .LBB36_272
; %bb.223:                              ;   in Loop: Header=BB36_8 Depth=1
	v_cvt_f32_u32_e32 v2, s33
	s_sub_u32 s17, 0, s33
	s_subb_u32 s18, 0, 0
	s_delay_alu instid0(VALU_DEP_1) | instskip(NEXT) | instid1(VALU_DEP_1)
	v_fmac_f32_e32 v2, 0x4f800000, v39
	v_rcp_f32_e32 v2, v2
	s_waitcnt_depctr 0xfff
	v_mul_f32_e32 v2, 0x5f7ffffc, v2
	s_delay_alu instid0(VALU_DEP_1) | instskip(NEXT) | instid1(VALU_DEP_1)
	v_mul_f32_e32 v3, 0x2f800000, v2
	v_trunc_f32_e32 v3, v3
	s_delay_alu instid0(VALU_DEP_1) | instskip(SKIP_1) | instid1(VALU_DEP_2)
	v_fmac_f32_e32 v2, 0xcf800000, v3
	v_cvt_u32_f32_e32 v3, v3
	v_cvt_u32_f32_e32 v2, v2
	s_delay_alu instid0(VALU_DEP_2) | instskip(NEXT) | instid1(VALU_DEP_2)
	v_readfirstlane_b32 s4, v3
	v_readfirstlane_b32 s5, v2
	s_delay_alu instid0(VALU_DEP_2) | instskip(NEXT) | instid1(VALU_DEP_1)
	s_mul_i32 s44, s17, s4
	s_mul_hi_u32 s56, s17, s5
	s_mul_i32 s48, s18, s5
	s_add_i32 s44, s56, s44
	s_mul_i32 s57, s17, s5
	s_add_i32 s44, s44, s48
	s_mul_hi_u32 s56, s5, s57
	s_mul_hi_u32 s58, s4, s57
	s_mul_i32 s48, s4, s57
	s_mul_hi_u32 s57, s5, s44
	s_mul_i32 s5, s5, s44
	s_mul_hi_u32 s59, s4, s44
	s_add_u32 s5, s56, s5
	s_addc_u32 s56, 0, s57
	s_add_u32 s5, s5, s48
	s_mul_i32 s44, s4, s44
	s_addc_u32 s5, s56, s58
	s_addc_u32 s48, s59, 0
	s_add_u32 s5, s5, s44
	s_addc_u32 s44, 0, s48
	v_add_co_u32 v2, s5, v2, s5
	s_delay_alu instid0(VALU_DEP_1) | instskip(SKIP_1) | instid1(VALU_DEP_1)
	s_cmp_lg_u32 s5, 0
	s_addc_u32 s4, s4, s44
	v_readfirstlane_b32 s5, v2
	s_mul_i32 s44, s17, s4
	s_delay_alu instid0(VALU_DEP_1)
	s_mul_hi_u32 s48, s17, s5
	s_mul_i32 s18, s18, s5
	s_add_i32 s44, s48, s44
	s_mul_i32 s17, s17, s5
	s_add_i32 s44, s44, s18
	s_mul_hi_u32 s48, s4, s17
	s_mul_i32 s56, s4, s17
	s_mul_hi_u32 s17, s5, s17
	s_mul_hi_u32 s57, s5, s44
	s_mul_i32 s5, s5, s44
	s_mul_hi_u32 s18, s4, s44
	s_add_u32 s5, s17, s5
	s_addc_u32 s17, 0, s57
	s_add_u32 s5, s5, s56
	s_mul_i32 s44, s4, s44
	s_addc_u32 s5, s17, s48
	s_addc_u32 s17, s18, 0
	s_add_u32 s5, s5, s44
	s_addc_u32 s17, 0, s17
	v_add_co_u32 v2, s5, v2, s5
	s_delay_alu instid0(VALU_DEP_1) | instskip(SKIP_2) | instid1(VALU_DEP_1)
	s_cmp_lg_u32 s5, 0
	s_addc_u32 s17, s4, s17
	s_ashr_i32 s56, s49, 31
	v_readfirstlane_b32 s18, v2
	s_add_u32 s4, s71, s56
	s_mov_b32 s57, s56
	s_addc_u32 s5, s49, s56
	s_delay_alu instid0(SALU_CYCLE_1) | instskip(NEXT) | instid1(SALU_CYCLE_1)
	s_xor_b64 s[4:5], s[4:5], s[56:57]
	s_mul_i32 s48, s4, s17
	s_mul_hi_u32 s57, s4, s18
	s_mul_hi_u32 s44, s4, s17
	;; [unrolled: 1-line block ×3, first 2 shown]
	s_mul_i32 s18, s5, s18
	s_add_u32 s48, s57, s48
	s_addc_u32 s44, 0, s44
	s_mul_hi_u32 s58, s5, s17
	s_add_u32 s18, s48, s18
	s_mul_i32 s17, s5, s17
	s_addc_u32 s18, s44, s59
	s_addc_u32 s44, s58, 0
	s_add_u32 s17, s18, s17
	s_addc_u32 s18, 0, s44
	s_mul_hi_u32 s44, s33, s17
	s_mul_i32 s17, s33, s17
	s_mul_i32 s18, s33, s18
	v_sub_co_u32 v2, s4, s4, s17
	s_add_i32 s44, s44, s18
	s_cmp_lg_u32 s4, 0
	s_delay_alu instid0(VALU_DEP_1) | instskip(SKIP_2) | instid1(VALU_DEP_1)
	v_sub_co_u32 v3, s4, v2, s33
	s_subb_u32 s5, s5, s44
	s_cmp_lg_u32 s4, 0
	v_cmp_le_u32_e32 vcc_lo, s33, v3
	v_sub_co_u32 v4, s4, v3, s33
	s_subb_u32 s17, s5, 0
	s_cmp_lg_u32 s4, 0
	v_cndmask_b32_e64 v5, 0, -1, vcc_lo
	s_subb_u32 s4, s17, 0
	s_cmp_eq_u32 s17, 0
	v_mov_b32_e32 v7, s4
	s_cselect_b32 vcc_lo, -1, 0
	s_cmp_eq_u32 s5, 0
	v_cndmask_b32_e32 v5, -1, v5, vcc_lo
	v_cmp_le_u32_e32 vcc_lo, s33, v2
	s_cselect_b32 s4, -1, 0
	v_cndmask_b32_e64 v6, 0, -1, vcc_lo
	s_delay_alu instid0(VALU_DEP_3) | instskip(NEXT) | instid1(VALU_DEP_2)
	v_cmp_ne_u32_e32 vcc_lo, 0, v5
	v_cndmask_b32_e64 v5, -1, v6, s4
	v_cndmask_b32_e32 v3, v3, v4, vcc_lo
	v_cndmask_b32_e32 v6, s17, v7, vcc_lo
	s_delay_alu instid0(VALU_DEP_3) | instskip(NEXT) | instid1(VALU_DEP_3)
	v_cmp_ne_u32_e32 vcc_lo, 0, v5
	v_cndmask_b32_e32 v2, v2, v3, vcc_lo
	s_delay_alu instid0(VALU_DEP_3) | instskip(NEXT) | instid1(VALU_DEP_2)
	v_cndmask_b32_e32 v4, s5, v6, vcc_lo
	v_xor_b32_e32 v2, s56, v2
	s_delay_alu instid0(VALU_DEP_2) | instskip(NEXT) | instid1(VALU_DEP_2)
	v_xor_b32_e32 v3, s56, v4
	v_sub_co_u32 v2, vcc_lo, v2, s56
	s_delay_alu instid0(VALU_DEP_2)
	v_subrev_co_ci_u32_e32 v3, vcc_lo, s56, v3, vcc_lo
	s_cbranch_execnz .LBB36_225
.LBB36_224:                             ;   in Loop: Header=BB36_8 Depth=1
	v_cvt_f32_u32_e32 v2, s33
	s_sub_i32 s4, 0, s33
	s_delay_alu instid0(VALU_DEP_1) | instskip(SKIP_2) | instid1(VALU_DEP_1)
	v_rcp_iflag_f32_e32 v2, v2
	s_waitcnt_depctr 0xfff
	v_mul_f32_e32 v2, 0x4f7ffffe, v2
	v_cvt_u32_f32_e32 v2, v2
	s_delay_alu instid0(VALU_DEP_1) | instskip(NEXT) | instid1(VALU_DEP_1)
	v_mul_lo_u32 v3, s4, v2
	v_mul_hi_u32 v3, v2, v3
	s_delay_alu instid0(VALU_DEP_1) | instskip(NEXT) | instid1(VALU_DEP_1)
	v_add_nc_u32_e32 v2, v2, v3
	v_mul_hi_u32 v2, s71, v2
	s_delay_alu instid0(VALU_DEP_1) | instskip(NEXT) | instid1(VALU_DEP_1)
	v_mul_lo_u32 v2, v2, s33
	v_sub_nc_u32_e32 v2, s71, v2
	s_delay_alu instid0(VALU_DEP_1) | instskip(SKIP_1) | instid1(VALU_DEP_2)
	v_subrev_nc_u32_e32 v3, s33, v2
	v_cmp_le_u32_e32 vcc_lo, s33, v2
	v_cndmask_b32_e32 v2, v2, v3, vcc_lo
	s_delay_alu instid0(VALU_DEP_1) | instskip(SKIP_1) | instid1(VALU_DEP_2)
	v_subrev_nc_u32_e32 v3, s33, v2
	v_cmp_le_u32_e32 vcc_lo, s33, v2
	v_cndmask_b32_e32 v12, v2, v3, vcc_lo
	s_delay_alu instid0(VALU_DEP_1)
	v_dual_mov_b32 v2, v12 :: v_dual_mov_b32 v3, v13
.LBB36_225:                             ;   in Loop: Header=BB36_8 Depth=1
	s_delay_alu instid0(VALU_DEP_1) | instskip(NEXT) | instid1(VALU_DEP_2)
	v_sub_co_u32 v2, vcc_lo, s71, v2
	v_sub_co_ci_u32_e32 v3, vcc_lo, s49, v3, vcc_lo
	s_mov_b32 s56, 0
	s_mov_b32 s5, exec_lo
                                        ; implicit-def: $vgpr40
	s_delay_alu instid0(VALU_DEP_1)
	v_cmpx_gt_i64_e64 v[2:3], v[0:1]
	s_cbranch_execz .LBB36_238
; %bb.226:                              ;   in Loop: Header=BB36_8 Depth=1
	v_dual_mov_b32 v4, v10 :: v_dual_mov_b32 v5, v11
	v_dual_mov_b32 v7, v1 :: v_dual_mov_b32 v6, v0
	s_mov_b32 s17, 0
                                        ; implicit-def: $sgpr18
	s_set_inst_prefetch_distance 0x1
	s_branch .LBB36_228
	.p2align	6
.LBB36_227:                             ;   in Loop: Header=BB36_228 Depth=2
	s_or_b32 exec_lo, exec_lo, s4
	s_waitcnt vmcnt(0) lgkmcnt(0)
	s_barrier
	buffer_gl0_inv
	ds_load_b32 v8, v13 offset:3072
	v_add_co_u32 v6, vcc_lo, v6, s33
	v_add_co_ci_u32_e32 v7, vcc_lo, 0, v7, vcc_lo
	s_waitcnt lgkmcnt(0)
	s_barrier
	buffer_gl0_inv
	v_cmp_ge_i64_e32 vcc_lo, v[6:7], v[2:3]
	v_cmp_ne_u16_e64 s4, 0, v8
	s_delay_alu instid0(VALU_DEP_1)
	s_or_b32 s44, s4, vcc_lo
	v_add_co_u32 v4, vcc_lo, v4, s42
	s_and_b32 s44, exec_lo, s44
	v_add_co_ci_u32_e32 v5, vcc_lo, s43, v5, vcc_lo
	s_or_b32 s17, s44, s17
	s_and_not1_b32 s18, s18, exec_lo
	s_and_b32 s4, s4, exec_lo
	s_delay_alu instid0(SALU_CYCLE_1)
	s_or_b32 s18, s18, s4
	s_and_not1_b32 exec_lo, exec_lo, s17
	s_cbranch_execz .LBB36_237
.LBB36_228:                             ;   Parent Loop BB36_8 Depth=1
                                        ; =>  This Inner Loop Header: Depth=2
	s_delay_alu instid0(VALU_DEP_1)
	v_cmp_gt_i64_e32 vcc_lo, s[24:25], v[6:7]
	v_mov_b32_e32 v8, 0
	s_and_saveexec_b32 s4, vcc_lo
	s_cbranch_execz .LBB36_230
; %bb.229:                              ;   in Loop: Header=BB36_228 Depth=2
	global_load_u16 v8, v[4:5], off
.LBB36_230:                             ;   in Loop: Header=BB36_228 Depth=2
	s_or_b32 exec_lo, exec_lo, s4
	s_and_saveexec_b32 s4, vcc_lo
	s_cbranch_execz .LBB36_227
; %bb.231:                              ;   in Loop: Header=BB36_228 Depth=2
	s_waitcnt vmcnt(0)
	v_bfe_i32 v9, v8, 0, 16
	s_delay_alu instid0(VALU_DEP_1) | instskip(NEXT) | instid1(VALU_DEP_1)
	v_add_nc_u32_e32 v9, 0x8000, v9
	v_and_b32_e32 v9, s87, v9
	s_delay_alu instid0(VALU_DEP_1)
	v_cmp_eq_u32_e32 vcc_lo, s88, v9
	s_and_b32 exec_lo, exec_lo, vcc_lo
	s_cbranch_execz .LBB36_227
; %bb.232:                              ;   in Loop: Header=BB36_228 Depth=2
	v_perm_b32 v8, v8, 1, 0x5040100
	ds_store_b32 v13, v8 offset:3072
	s_branch .LBB36_227
.LBB36_233:                             ;   in Loop: Header=BB36_8 Depth=1
                                        ; implicit-def: $sgpr17
                                        ; implicit-def: $sgpr44
                                        ; implicit-def: $sgpr18
	s_branch .LBB36_252
.LBB36_234:                             ;   in Loop: Header=BB36_8 Depth=1
                                        ; implicit-def: $vgpr2_vgpr3
	s_branch .LBB36_177
.LBB36_235:                             ;   in Loop: Header=BB36_8 Depth=1
                                        ; implicit-def: $vgpr2_vgpr3
	s_branch .LBB36_194
.LBB36_236:                             ;   in Loop: Header=BB36_8 Depth=1
	s_mov_b32 s17, -1
	s_mov_b32 s56, 0
                                        ; implicit-def: $sgpr18
                                        ; implicit-def: $vgpr40
	s_mov_b32 s44, s17
	s_cbranch_execnz .LBB36_239
	s_branch .LBB36_252
.LBB36_237:                             ;   in Loop: Header=BB36_8 Depth=1
	s_set_inst_prefetch_distance 0x2
	s_or_b32 exec_lo, exec_lo, s17
	v_lshrrev_b32_e32 v40, 16, v8
	s_and_b32 s56, s18, exec_lo
.LBB36_238:                             ;   in Loop: Header=BB36_8 Depth=1
	s_or_b32 exec_lo, exec_lo, s5
	s_mov_b32 s18, -1
	s_mov_b32 s17, 0
	s_delay_alu instid0(SALU_CYCLE_1)
	s_mov_b32 s44, s17
	s_branch .LBB36_252
.LBB36_239:                             ;   in Loop: Header=BB36_8 Depth=1
	s_add_u32 s17, s69, s8
	s_addc_u32 s5, s70, s9
	s_mov_b32 s4, s45
	s_delay_alu instid0(SALU_CYCLE_1)
	s_cmp_lg_u64 s[4:5], 0
	s_cbranch_scc0 .LBB36_273
; %bb.240:                              ;   in Loop: Header=BB36_8 Depth=1
	v_cvt_f32_u32_e32 v2, s33
	s_sub_u32 s44, 0, s33
	s_subb_u32 s48, 0, 0
	s_delay_alu instid0(VALU_DEP_1) | instskip(NEXT) | instid1(VALU_DEP_1)
	v_fmac_f32_e32 v2, 0x4f800000, v39
	v_rcp_f32_e32 v2, v2
	s_waitcnt_depctr 0xfff
	v_mul_f32_e32 v2, 0x5f7ffffc, v2
	s_delay_alu instid0(VALU_DEP_1) | instskip(NEXT) | instid1(VALU_DEP_1)
	v_mul_f32_e32 v3, 0x2f800000, v2
	v_trunc_f32_e32 v3, v3
	s_delay_alu instid0(VALU_DEP_1) | instskip(SKIP_1) | instid1(VALU_DEP_2)
	v_fmac_f32_e32 v2, 0xcf800000, v3
	v_cvt_u32_f32_e32 v3, v3
	v_cvt_u32_f32_e32 v2, v2
	s_delay_alu instid0(VALU_DEP_2) | instskip(NEXT) | instid1(VALU_DEP_2)
	v_readfirstlane_b32 s4, v3
	v_readfirstlane_b32 s18, v2
	s_delay_alu instid0(VALU_DEP_2) | instskip(NEXT) | instid1(VALU_DEP_1)
	s_mul_i32 s56, s44, s4
	s_mul_hi_u32 s58, s44, s18
	s_mul_i32 s57, s48, s18
	s_add_i32 s56, s58, s56
	s_mul_i32 s59, s44, s18
	s_add_i32 s56, s56, s57
	s_mul_hi_u32 s58, s18, s59
	s_mul_hi_u32 s60, s4, s59
	s_mul_i32 s57, s4, s59
	s_mul_hi_u32 s59, s18, s56
	s_mul_i32 s18, s18, s56
	s_mul_hi_u32 s61, s4, s56
	s_add_u32 s18, s58, s18
	s_addc_u32 s58, 0, s59
	s_add_u32 s18, s18, s57
	s_mul_i32 s56, s4, s56
	s_addc_u32 s18, s58, s60
	s_addc_u32 s57, s61, 0
	s_add_u32 s18, s18, s56
	s_addc_u32 s56, 0, s57
	v_add_co_u32 v2, s18, v2, s18
	s_delay_alu instid0(VALU_DEP_1) | instskip(SKIP_1) | instid1(VALU_DEP_1)
	s_cmp_lg_u32 s18, 0
	s_addc_u32 s4, s4, s56
	v_readfirstlane_b32 s18, v2
	s_mul_i32 s56, s44, s4
	s_delay_alu instid0(VALU_DEP_1)
	s_mul_hi_u32 s57, s44, s18
	s_mul_i32 s48, s48, s18
	s_add_i32 s56, s57, s56
	s_mul_i32 s44, s44, s18
	s_add_i32 s56, s56, s48
	s_mul_hi_u32 s57, s4, s44
	s_mul_i32 s58, s4, s44
	s_mul_hi_u32 s44, s18, s44
	s_mul_hi_u32 s59, s18, s56
	s_mul_i32 s18, s18, s56
	s_mul_hi_u32 s48, s4, s56
	s_add_u32 s18, s44, s18
	s_addc_u32 s44, 0, s59
	s_add_u32 s18, s18, s58
	s_mul_i32 s56, s4, s56
	s_addc_u32 s18, s44, s57
	s_addc_u32 s44, s48, 0
	s_add_u32 s18, s18, s56
	s_addc_u32 s44, 0, s44
	v_add_co_u32 v2, s18, v2, s18
	s_delay_alu instid0(VALU_DEP_1) | instskip(SKIP_2) | instid1(VALU_DEP_1)
	s_cmp_lg_u32 s18, 0
	s_addc_u32 s4, s4, s44
	s_ashr_i32 s56, s5, 31
	v_readfirstlane_b32 s18, v2
	s_add_u32 s58, s17, s56
	s_mov_b32 s57, s56
	s_addc_u32 s59, s5, s56
	s_delay_alu instid0(SALU_CYCLE_1) | instskip(NEXT) | instid1(SALU_CYCLE_1)
	s_xor_b64 s[58:59], s[58:59], s[56:57]
	s_mul_i32 s48, s58, s4
	s_mul_hi_u32 s57, s58, s18
	s_mul_hi_u32 s44, s58, s4
	;; [unrolled: 1-line block ×3, first 2 shown]
	s_mul_i32 s18, s59, s18
	s_add_u32 s48, s57, s48
	s_addc_u32 s44, 0, s44
	s_mul_hi_u32 s60, s59, s4
	s_add_u32 s18, s48, s18
	s_mul_i32 s4, s59, s4
	s_addc_u32 s18, s44, s61
	s_addc_u32 s44, s60, 0
	s_add_u32 s4, s18, s4
	s_addc_u32 s18, 0, s44
	s_mul_hi_u32 s44, s33, s4
	s_mul_i32 s4, s33, s4
	s_mul_i32 s18, s33, s18
	v_sub_co_u32 v2, s4, s58, s4
	s_add_i32 s44, s44, s18
	s_cmp_lg_u32 s4, 0
	s_delay_alu instid0(VALU_DEP_1) | instskip(SKIP_2) | instid1(VALU_DEP_1)
	v_sub_co_u32 v3, s4, v2, s33
	s_subb_u32 s18, s59, s44
	s_cmp_lg_u32 s4, 0
	v_cmp_le_u32_e32 vcc_lo, s33, v3
	v_sub_co_u32 v4, s4, v3, s33
	s_subb_u32 s44, s18, 0
	s_cmp_lg_u32 s4, 0
	v_cndmask_b32_e64 v5, 0, -1, vcc_lo
	s_subb_u32 s4, s44, 0
	s_cmp_eq_u32 s44, 0
	v_mov_b32_e32 v7, s4
	s_cselect_b32 vcc_lo, -1, 0
	s_cmp_eq_u32 s18, 0
	v_cndmask_b32_e32 v5, -1, v5, vcc_lo
	v_cmp_le_u32_e32 vcc_lo, s33, v2
	s_cselect_b32 s4, -1, 0
	v_cndmask_b32_e64 v6, 0, -1, vcc_lo
	s_delay_alu instid0(VALU_DEP_3) | instskip(NEXT) | instid1(VALU_DEP_2)
	v_cmp_ne_u32_e32 vcc_lo, 0, v5
	v_cndmask_b32_e64 v5, -1, v6, s4
	v_cndmask_b32_e32 v3, v3, v4, vcc_lo
	v_cndmask_b32_e32 v6, s44, v7, vcc_lo
	s_delay_alu instid0(VALU_DEP_3) | instskip(NEXT) | instid1(VALU_DEP_3)
	v_cmp_ne_u32_e32 vcc_lo, 0, v5
	v_cndmask_b32_e32 v2, v2, v3, vcc_lo
	s_delay_alu instid0(VALU_DEP_3) | instskip(NEXT) | instid1(VALU_DEP_2)
	v_cndmask_b32_e32 v4, s18, v6, vcc_lo
	v_xor_b32_e32 v2, s56, v2
	s_delay_alu instid0(VALU_DEP_2) | instskip(NEXT) | instid1(VALU_DEP_2)
	v_xor_b32_e32 v3, s56, v4
	v_sub_co_u32 v2, vcc_lo, v2, s56
	s_delay_alu instid0(VALU_DEP_2)
	v_subrev_co_ci_u32_e32 v3, vcc_lo, s56, v3, vcc_lo
	s_cbranch_execnz .LBB36_242
.LBB36_241:                             ;   in Loop: Header=BB36_8 Depth=1
	v_cvt_f32_u32_e32 v2, s33
	s_sub_i32 s4, 0, s33
	s_delay_alu instid0(VALU_DEP_1) | instskip(SKIP_2) | instid1(VALU_DEP_1)
	v_rcp_iflag_f32_e32 v2, v2
	s_waitcnt_depctr 0xfff
	v_mul_f32_e32 v2, 0x4f7ffffe, v2
	v_cvt_u32_f32_e32 v2, v2
	s_delay_alu instid0(VALU_DEP_1) | instskip(NEXT) | instid1(VALU_DEP_1)
	v_mul_lo_u32 v3, s4, v2
	v_mul_hi_u32 v3, v2, v3
	s_delay_alu instid0(VALU_DEP_1) | instskip(NEXT) | instid1(VALU_DEP_1)
	v_add_nc_u32_e32 v2, v2, v3
	v_mul_hi_u32 v2, s17, v2
	s_delay_alu instid0(VALU_DEP_1) | instskip(NEXT) | instid1(VALU_DEP_1)
	v_mul_lo_u32 v2, v2, s33
	v_sub_nc_u32_e32 v2, s17, v2
	s_delay_alu instid0(VALU_DEP_1) | instskip(SKIP_1) | instid1(VALU_DEP_2)
	v_subrev_nc_u32_e32 v3, s33, v2
	v_cmp_le_u32_e32 vcc_lo, s33, v2
	v_cndmask_b32_e32 v2, v2, v3, vcc_lo
	s_delay_alu instid0(VALU_DEP_1) | instskip(SKIP_1) | instid1(VALU_DEP_2)
	v_subrev_nc_u32_e32 v3, s33, v2
	v_cmp_le_u32_e32 vcc_lo, s33, v2
	v_cndmask_b32_e32 v12, v2, v3, vcc_lo
	s_delay_alu instid0(VALU_DEP_1)
	v_dual_mov_b32 v2, v12 :: v_dual_mov_b32 v3, v13
.LBB36_242:                             ;   in Loop: Header=BB36_8 Depth=1
	s_delay_alu instid0(VALU_DEP_1) | instskip(NEXT) | instid1(VALU_DEP_2)
	v_sub_co_u32 v2, vcc_lo, s17, v2
	v_sub_co_ci_u32_e32 v3, vcc_lo, s5, v3, vcc_lo
	s_mov_b32 s56, 0
	s_mov_b32 s5, exec_lo
                                        ; implicit-def: $vgpr40
	s_delay_alu instid0(VALU_DEP_1)
	v_cmpx_gt_i64_e64 v[2:3], v[0:1]
	s_cbranch_execz .LBB36_251
; %bb.243:                              ;   in Loop: Header=BB36_8 Depth=1
	v_dual_mov_b32 v6, v30 :: v_dual_mov_b32 v5, v1
	v_mov_b32_e32 v4, v0
	s_mov_b32 s17, 0
                                        ; implicit-def: $sgpr18
	s_set_inst_prefetch_distance 0x1
	s_branch .LBB36_245
	.p2align	6
.LBB36_244:                             ;   in Loop: Header=BB36_245 Depth=2
	s_or_b32 exec_lo, exec_lo, s4
	s_waitcnt lgkmcnt(0)
	s_barrier
	buffer_gl0_inv
	ds_load_b32 v7, v13 offset:3072
	v_add_co_u32 v4, vcc_lo, v4, s33
	v_add_co_ci_u32_e32 v5, vcc_lo, 0, v5, vcc_lo
	v_add_nc_u32_e32 v6, s77, v6
	s_waitcnt lgkmcnt(0)
	s_barrier
	s_delay_alu instid0(VALU_DEP_2) | instskip(SKIP_2) | instid1(VALU_DEP_1)
	v_cmp_ge_i64_e32 vcc_lo, v[4:5], v[2:3]
	buffer_gl0_inv
	v_cmp_ne_u16_e64 s4, 0, v7
	s_or_b32 s44, s4, vcc_lo
	s_delay_alu instid0(SALU_CYCLE_1) | instskip(NEXT) | instid1(SALU_CYCLE_1)
	s_and_b32 s44, exec_lo, s44
	s_or_b32 s17, s44, s17
	s_and_not1_b32 s18, s18, exec_lo
	s_and_b32 s4, s4, exec_lo
	s_delay_alu instid0(SALU_CYCLE_1)
	s_or_b32 s18, s18, s4
	s_and_not1_b32 exec_lo, exec_lo, s17
	s_cbranch_execz .LBB36_250
.LBB36_245:                             ;   Parent Loop BB36_8 Depth=1
                                        ; =>  This Inner Loop Header: Depth=2
	s_delay_alu instid0(VALU_DEP_1)
	v_cmp_gt_i64_e32 vcc_lo, s[8:9], v[4:5]
	v_mov_b32_e32 v7, 0
	s_and_saveexec_b32 s4, vcc_lo
	s_cbranch_execz .LBB36_247
; %bb.246:                              ;   in Loop: Header=BB36_245 Depth=2
	ds_load_u16 v7, v6
.LBB36_247:                             ;   in Loop: Header=BB36_245 Depth=2
	s_or_b32 exec_lo, exec_lo, s4
	s_and_saveexec_b32 s4, vcc_lo
	s_cbranch_execz .LBB36_244
; %bb.248:                              ;   in Loop: Header=BB36_245 Depth=2
	s_waitcnt lgkmcnt(0)
	v_bfe_i32 v8, v7, 0, 16
	s_delay_alu instid0(VALU_DEP_1) | instskip(NEXT) | instid1(VALU_DEP_1)
	v_add_nc_u32_e32 v8, 0x8000, v8
	v_and_b32_e32 v8, s87, v8
	s_delay_alu instid0(VALU_DEP_1)
	v_cmp_eq_u32_e32 vcc_lo, s88, v8
	s_and_b32 exec_lo, exec_lo, vcc_lo
	s_cbranch_execz .LBB36_244
; %bb.249:                              ;   in Loop: Header=BB36_245 Depth=2
	v_perm_b32 v7, v7, 1, 0x5040100
	ds_store_b32 v13, v7 offset:3072
	s_branch .LBB36_244
.LBB36_250:                             ;   in Loop: Header=BB36_8 Depth=1
	s_set_inst_prefetch_distance 0x2
	s_or_b32 exec_lo, exec_lo, s17
	v_lshrrev_b32_e32 v40, 16, v7
	s_and_b32 s56, s18, exec_lo
.LBB36_251:                             ;   in Loop: Header=BB36_8 Depth=1
	s_or_b32 exec_lo, exec_lo, s5
	s_mov_b32 s44, -1
	s_mov_b32 s17, 0
	s_mov_b32 s18, 0
.LBB36_252:                             ;   in Loop: Header=BB36_8 Depth=1
	s_mov_b32 s9, 0
                                        ; implicit-def: $sgpr48
                                        ; implicit-def: $sgpr4_sgpr5
	s_and_saveexec_b32 s8, s56
	s_cbranch_execz .LBB36_265
; %bb.253:                              ;   in Loop: Header=BB36_8 Depth=1
	s_xor_b32 s9, s11, -1
	s_mov_b64 s[4:5], 1
	s_and_not1_b32 vcc_lo, exec_lo, s9
	s_mov_b32 s48, 1
	s_cbranch_vccnz .LBB36_264
; %bb.254:                              ;   in Loop: Header=BB36_8 Depth=1
	v_cmp_gt_i64_e64 s4, s[26:27], s[6:7]
	s_delay_alu instid0(VALU_DEP_1)
	s_and_b32 vcc_lo, exec_lo, s4
	s_cbranch_vccnz .LBB36_260
; %bb.255:                              ;   in Loop: Header=BB36_8 Depth=1
	ds_load_b64 v[2:3], v13 offset:5120
	s_waitcnt lgkmcnt(0)
	v_cmp_ne_u64_e32 vcc_lo, 0, v[2:3]
	s_cbranch_vccnz .LBB36_259
; %bb.256:                              ;   in Loop: Header=BB36_8 Depth=1
	s_and_saveexec_b32 s4, s0
	s_cbranch_execz .LBB36_258
; %bb.257:                              ;   in Loop: Header=BB36_8 Depth=1
	v_dual_mov_b32 v2, s6 :: v_dual_mov_b32 v3, s7
	ds_store_b64 v13, v[2:3] offset:5128
.LBB36_258:                             ;   in Loop: Header=BB36_8 Depth=1
	s_or_b32 exec_lo, exec_lo, s4
	s_waitcnt lgkmcnt(0)
	s_barrier
	buffer_gl0_inv
.LBB36_259:                             ;   in Loop: Header=BB36_8 Depth=1
	s_or_b32 s9, s88, s16
	s_or_b32 s11, s87, s16
	s_mov_b32 s4, 0
	s_mov_b32 s48, 8
	s_branch .LBB36_261
.LBB36_260:                             ;   in Loop: Header=BB36_8 Depth=1
	s_mov_b32 s4, -1
                                        ; implicit-def: $sgpr48
                                        ; implicit-def: $sgpr9
                                        ; implicit-def: $sgpr11
.LBB36_261:                             ;   in Loop: Header=BB36_8 Depth=1
	s_delay_alu instid0(SALU_CYCLE_1)
	s_and_not1_b32 vcc_lo, exec_lo, s4
	s_cbranch_vccnz .LBB36_263
; %bb.262:                              ;   in Loop: Header=BB36_8 Depth=1
	s_sub_u32 s26, s26, s6
	s_subb_u32 s27, s27, s7
	s_mov_b32 s48, 8
	s_mov_b32 s9, s88
	;; [unrolled: 1-line block ×3, first 2 shown]
.LBB36_263:                             ;   in Loop: Header=BB36_8 Depth=1
	s_mov_b64 s[4:5], s[26:27]
	s_mov_b32 s88, s9
	s_mov_b32 s87, s11
.LBB36_264:                             ;   in Loop: Header=BB36_8 Depth=1
	s_mov_b32 s9, exec_lo
.LBB36_265:                             ;   in Loop: Header=BB36_8 Depth=1
	s_or_b32 exec_lo, exec_lo, s8
	s_mov_b64 s[26:27], s[4:5]
.LBB36_266:                             ;   in Loop: Header=BB36_8 Depth=1
	s_and_not1_b32 s4, s13, exec_lo
	s_and_b32 s5, s17, exec_lo
	s_and_not1_b32 s6, s22, exec_lo
	s_or_b32 s13, s4, s5
	s_and_not1_b32 s4, s23, exec_lo
	s_and_b32 s5, s44, exec_lo
	s_and_b32 s7, s18, exec_lo
	s_or_b32 s23, s4, s5
	s_or_b32 s22, s6, s7
	s_and_b32 s5, s9, exec_lo
.LBB36_267:                             ;   in Loop: Header=BB36_8 Depth=1
	s_or_b32 exec_lo, exec_lo, s10
.LBB36_268:                             ;   in Loop: Header=BB36_8 Depth=1
	s_delay_alu instid0(SALU_CYCLE_1)
	s_and_not1_b32 s4, s20, exec_lo
	s_and_b32 s6, s13, exec_lo
	s_and_not1_b32 s7, s19, exec_lo
	s_or_b32 s20, s4, s6
	s_and_not1_b32 s4, s21, exec_lo
	s_and_b32 s6, s23, exec_lo
	s_and_b32 s8, s22, exec_lo
	s_or_b32 s21, s4, s6
	s_or_b32 s19, s7, s8
	s_and_b32 s5, s5, exec_lo
.LBB36_269:                             ;   in Loop: Header=BB36_8 Depth=1
	s_or_b32 exec_lo, exec_lo, s12
	s_and_saveexec_b32 s4, s5
	s_delay_alu instid0(SALU_CYCLE_1)
	s_xor_b32 s4, exec_lo, s4
	s_cbranch_execz .LBB36_6
.LBB36_270:                             ;   in Loop: Header=BB36_8 Depth=1
	s_and_b32 s5, s48, -9
	s_delay_alu instid0(SALU_CYCLE_1)
	s_cmp_eq_u32 s5, 0
	s_cbranch_scc1 .LBB36_4
; %bb.271:                              ;   in Loop: Header=BB36_8 Depth=1
	s_mov_b32 s5, -1
	s_mov_b32 s6, -1
                                        ; implicit-def: $sgpr87
                                        ; implicit-def: $sgpr82
                                        ; implicit-def: $sgpr83
	s_branch .LBB36_5
.LBB36_272:                             ;   in Loop: Header=BB36_8 Depth=1
                                        ; implicit-def: $vgpr2_vgpr3
	s_branch .LBB36_224
.LBB36_273:                             ;   in Loop: Header=BB36_8 Depth=1
                                        ; implicit-def: $vgpr2_vgpr3
	s_branch .LBB36_241
.LBB36_274:
	s_or_b32 exec_lo, exec_lo, s78
	s_xor_b32 s5, s81, -1
	s_xor_b32 s2, s79, -1
	;; [unrolled: 1-line block ×3, first 2 shown]
	s_mov_b32 s3, 0
	s_and_saveexec_b32 s6, s2
	s_delay_alu instid0(SALU_CYCLE_1)
	s_xor_b32 s2, exec_lo, s6
	s_cbranch_execz .LBB36_297
; %bb.275:
	s_and_saveexec_b32 s3, s5
	s_delay_alu instid0(SALU_CYCLE_1)
	s_xor_b32 s3, exec_lo, s3
	s_cbranch_execz .LBB36_295
; %bb.276:
	s_and_saveexec_b32 s5, s4
	s_delay_alu instid0(SALU_CYCLE_1)
	s_xor_b32 s4, exec_lo, s5
; %bb.277:
	v_xor_b32_e32 v40, 0xffff8000, v2
; %bb.278:
	s_or_b32 exec_lo, exec_lo, s4
	s_and_saveexec_b32 s4, s0
	s_cbranch_execz .LBB36_280
; %bb.279:
	v_dual_mov_b32 v2, 0 :: v_dual_mov_b32 v3, s24
	ds_store_b32 v2, v3 offset:5140
.LBB36_280:
	s_or_b32 exec_lo, exec_lo, s4
	s_waitcnt lgkmcnt(0)
	s_barrier
	buffer_gl0_inv
	s_and_saveexec_b32 s4, s1
	s_cbranch_execz .LBB36_292
; %bb.281:
	v_mov_b32_e32 v2, 0
	s_mov_b32 s5, 0
                                        ; implicit-def: $sgpr6
                                        ; implicit-def: $sgpr7
                                        ; implicit-def: $sgpr8
	ds_load_b32 v4, v2 offset:5140
	s_waitcnt lgkmcnt(0)
	v_ashrrev_i32_e32 v5, 31, v4
	s_set_inst_prefetch_distance 0x1
	s_branch .LBB36_284
	.p2align	6
.LBB36_282:                             ;   in Loop: Header=BB36_284 Depth=1
	s_or_b32 exec_lo, exec_lo, s11
	s_delay_alu instid0(SALU_CYCLE_1)
	s_and_not1_b32 s8, s8, exec_lo
	s_and_b32 s10, s10, exec_lo
	s_and_not1_b32 s7, s7, exec_lo
	s_and_b32 s1, s1, exec_lo
	s_or_b32 s8, s8, s10
	s_or_b32 s7, s7, s1
.LBB36_283:                             ;   in Loop: Header=BB36_284 Depth=1
	s_or_b32 exec_lo, exec_lo, s9
	s_delay_alu instid0(SALU_CYCLE_1) | instskip(NEXT) | instid1(SALU_CYCLE_1)
	s_and_b32 s1, exec_lo, s7
	s_or_b32 s5, s1, s5
	s_and_not1_b32 s1, s6, exec_lo
	s_and_b32 s6, s8, exec_lo
	s_delay_alu instid0(SALU_CYCLE_1)
	s_or_b32 s6, s1, s6
	s_and_not1_b32 exec_lo, exec_lo, s5
	s_cbranch_execz .LBB36_287
.LBB36_284:                             ; =>This Inner Loop Header: Depth=1
	v_dual_mov_b32 v3, v1 :: v_dual_mov_b32 v2, v0
	s_or_b32 s8, s8, exec_lo
	s_or_b32 s7, s7, exec_lo
	s_mov_b32 s9, exec_lo
                                        ; implicit-def: $vgpr0_vgpr1
	s_delay_alu instid0(VALU_DEP_1)
	v_cmpx_lt_i64_e64 v[2:3], v[4:5]
	s_cbranch_execz .LBB36_283
; %bb.285:                              ;   in Loop: Header=BB36_284 Depth=1
	global_load_u16 v0, v[10:11], off
	s_mov_b32 s1, -1
	s_mov_b32 s10, 0
	s_waitcnt vmcnt(0)
	v_cmp_ne_u16_e32 vcc_lo, v0, v40
                                        ; implicit-def: $vgpr0_vgpr1
	s_and_saveexec_b32 s11, vcc_lo
	s_cbranch_execz .LBB36_282
; %bb.286:                              ;   in Loop: Header=BB36_284 Depth=1
	v_add_co_u32 v0, vcc_lo, v2, s33
	v_add_co_ci_u32_e32 v1, vcc_lo, 0, v3, vcc_lo
	v_add_co_u32 v10, s1, v10, s42
	s_delay_alu instid0(VALU_DEP_1) | instskip(NEXT) | instid1(VALU_DEP_3)
	v_add_co_ci_u32_e64 v11, s1, s43, v11, s1
	v_cmp_le_i64_e32 vcc_lo, s[24:25], v[0:1]
	s_mov_b32 s10, exec_lo
	s_or_not1_b32 s1, vcc_lo, exec_lo
	s_branch .LBB36_282
.LBB36_287:
	s_set_inst_prefetch_distance 0x2
	s_or_b32 exec_lo, exec_lo, s5
	s_xor_b32 s1, s6, -1
	s_delay_alu instid0(SALU_CYCLE_1) | instskip(NEXT) | instid1(SALU_CYCLE_1)
	s_and_saveexec_b32 s5, s1
	s_xor_b32 s5, exec_lo, s5
	s_cbranch_execz .LBB36_292
; %bb.288:
	s_mov_b32 s5, exec_lo
	s_brev_b32 s1, -2
.LBB36_289:                             ; =>This Inner Loop Header: Depth=1
	s_ctz_i32_b32 s6, s5
	s_delay_alu instid0(SALU_CYCLE_1) | instskip(SKIP_1) | instid1(SALU_CYCLE_1)
	v_readlane_b32 s7, v2, s6
	s_lshl_b32 s6, 1, s6
	s_and_not1_b32 s5, s5, s6
	s_delay_alu instid0(VALU_DEP_1)
	s_min_i32 s1, s1, s7
	s_cmp_lg_u32 s5, 0
	s_cbranch_scc1 .LBB36_289
; %bb.290:
	v_mbcnt_lo_u32_b32 v0, exec_lo, 0
	s_mov_b32 s5, exec_lo
	s_delay_alu instid0(VALU_DEP_1)
	v_cmpx_eq_u32_e32 0, v0
	s_xor_b32 s5, exec_lo, s5
	s_cbranch_execz .LBB36_292
; %bb.291:
	v_dual_mov_b32 v0, 0 :: v_dual_mov_b32 v1, s1
	ds_min_i32 v0, v1 offset:5140
.LBB36_292:
	s_or_b32 exec_lo, exec_lo, s4
	s_waitcnt lgkmcnt(0)
	s_barrier
	buffer_gl0_inv
	s_and_saveexec_b32 s1, s0
	s_cbranch_execz .LBB36_294
; %bb.293:
	v_mov_b32_e32 v2, 0
	s_mul_i32 s0, s41, s34
	s_mul_hi_u32 s5, s40, s34
	s_mul_i32 s4, s40, s34
	s_add_i32 s5, s5, s0
	ds_load_b32 v0, v2 offset:5140
	s_mul_i32 s7, s39, s34
	s_mul_hi_u32 s8, s38, s34
	s_lshl_b64 s[4:5], s[4:5], 1
	s_mul_i32 s6, s38, s34
	s_add_i32 s7, s8, s7
	s_add_u32 s4, s36, s4
	s_addc_u32 s5, s37, s5
	s_lshl_b64 s[6:7], s[6:7], 3
	s_delay_alu instid0(SALU_CYCLE_1)
	s_add_u32 s6, s28, s6
	s_addc_u32 s7, s29, s7
	s_waitcnt lgkmcnt(0)
	v_ashrrev_i32_e32 v1, 31, v0
	s_clause 0x1
	global_store_b64 v2, v[0:1], s[6:7]
	global_store_b16 v2, v40, s[4:5]
.LBB36_294:
	s_or_b32 exec_lo, exec_lo, s1
.LBB36_295:
	s_or_saveexec_b32 s0, s3
	s_mov_b32 s1, 0
	s_xor_b32 exec_lo, exec_lo, s0
	s_cbranch_execnz .LBB36_303
.LBB36_296:
	s_or_b32 exec_lo, exec_lo, s0
	s_delay_alu instid0(SALU_CYCLE_1)
	s_and_b32 s3, s1, exec_lo
.LBB36_297:
	s_and_not1_saveexec_b32 s0, s2
	s_cbranch_execnz .LBB36_301
; %bb.298:
	s_or_b32 exec_lo, exec_lo, s0
	s_and_saveexec_b32 s0, s3
.LBB36_299:
	; divergent unreachable
.LBB36_300:
	s_nop 0
	s_sendmsg sendmsg(MSG_DEALLOC_VGPRS)
	s_endpgm
.LBB36_301:
	s_cbranch_execnz .LBB36_305
; %bb.302:
	s_or_b32 s3, s3, exec_lo
	s_or_b32 exec_lo, exec_lo, s0
	s_and_saveexec_b32 s0, s3
	s_cbranch_execnz .LBB36_299
	s_branch .LBB36_300
.LBB36_303:
	s_cbranch_execnz .LBB36_307
; %bb.304:
	s_mov_b32 s1, exec_lo
	s_branch .LBB36_296
.LBB36_305:
	s_trap 2
	s_sendmsg_rtn_b32 s0, sendmsg(MSG_RTN_GET_DOORBELL)
	s_mov_b32 ttmp2, m0
	s_waitcnt lgkmcnt(0)
	s_and_b32 s0, s0, 0x3ff
	s_delay_alu instid0(SALU_CYCLE_1) | instskip(NEXT) | instid1(SALU_CYCLE_1)
	s_bitset1_b32 s0, 10
	s_mov_b32 m0, s0
	s_sendmsg sendmsg(MSG_INTERRUPT)
	s_mov_b32 m0, ttmp2
.LBB36_306:                             ; =>This Inner Loop Header: Depth=1
	s_sethalt 5
	s_branch .LBB36_306
.LBB36_307:
	s_trap 2
	s_sendmsg_rtn_b32 s0, sendmsg(MSG_RTN_GET_DOORBELL)
	s_mov_b32 ttmp2, m0
	s_waitcnt lgkmcnt(0)
	s_and_b32 s0, s0, 0x3ff
	s_delay_alu instid0(SALU_CYCLE_1) | instskip(NEXT) | instid1(SALU_CYCLE_1)
	s_bitset1_b32 s0, 10
	s_mov_b32 m0, s0
	s_sendmsg sendmsg(MSG_INTERRUPT)
	s_mov_b32 m0, ttmp2
.LBB36_308:                             ; =>This Inner Loop Header: Depth=1
	s_sethalt 5
	s_branch .LBB36_308
	.section	.rodata,"a",@progbits
	.p2align	6, 0x0
	.amdhsa_kernel _ZN2at6native12_GLOBAL__N_114gatherKthValueIslLi1EEEvNS_4cuda6detail10TensorInfoIKT_T0_EES8_S8_S8_S8_NS5_IS6_S8_EENS5_IlS8_EE
		.amdhsa_group_segment_fixed_size 5144
		.amdhsa_private_segment_fixed_size 0
		.amdhsa_kernarg_size 1536
		.amdhsa_user_sgpr_count 13
		.amdhsa_user_sgpr_dispatch_ptr 0
		.amdhsa_user_sgpr_queue_ptr 0
		.amdhsa_user_sgpr_kernarg_segment_ptr 1
		.amdhsa_user_sgpr_dispatch_id 0
		.amdhsa_user_sgpr_private_segment_size 0
		.amdhsa_wavefront_size32 1
		.amdhsa_uses_dynamic_stack 0
		.amdhsa_enable_private_segment 0
		.amdhsa_system_sgpr_workgroup_id_x 1
		.amdhsa_system_sgpr_workgroup_id_y 1
		.amdhsa_system_sgpr_workgroup_id_z 1
		.amdhsa_system_sgpr_workgroup_info 0
		.amdhsa_system_vgpr_workitem_id 0
		.amdhsa_next_free_vgpr 45
		.amdhsa_next_free_sgpr 93
		.amdhsa_reserve_vcc 1
		.amdhsa_float_round_mode_32 0
		.amdhsa_float_round_mode_16_64 0
		.amdhsa_float_denorm_mode_32 3
		.amdhsa_float_denorm_mode_16_64 3
		.amdhsa_dx10_clamp 1
		.amdhsa_ieee_mode 1
		.amdhsa_fp16_overflow 0
		.amdhsa_workgroup_processor_mode 1
		.amdhsa_memory_ordered 1
		.amdhsa_forward_progress 0
		.amdhsa_shared_vgpr_count 0
		.amdhsa_exception_fp_ieee_invalid_op 0
		.amdhsa_exception_fp_denorm_src 0
		.amdhsa_exception_fp_ieee_div_zero 0
		.amdhsa_exception_fp_ieee_overflow 0
		.amdhsa_exception_fp_ieee_underflow 0
		.amdhsa_exception_fp_ieee_inexact 0
		.amdhsa_exception_int_div_zero 0
	.end_amdhsa_kernel
	.section	.text._ZN2at6native12_GLOBAL__N_114gatherKthValueIslLi1EEEvNS_4cuda6detail10TensorInfoIKT_T0_EES8_S8_S8_S8_NS5_IS6_S8_EENS5_IlS8_EE,"axG",@progbits,_ZN2at6native12_GLOBAL__N_114gatherKthValueIslLi1EEEvNS_4cuda6detail10TensorInfoIKT_T0_EES8_S8_S8_S8_NS5_IS6_S8_EENS5_IlS8_EE,comdat
.Lfunc_end36:
	.size	_ZN2at6native12_GLOBAL__N_114gatherKthValueIslLi1EEEvNS_4cuda6detail10TensorInfoIKT_T0_EES8_S8_S8_S8_NS5_IS6_S8_EENS5_IlS8_EE, .Lfunc_end36-_ZN2at6native12_GLOBAL__N_114gatherKthValueIslLi1EEEvNS_4cuda6detail10TensorInfoIKT_T0_EES8_S8_S8_S8_NS5_IS6_S8_EENS5_IlS8_EE
                                        ; -- End function
	.section	.AMDGPU.csdata,"",@progbits
; Kernel info:
; codeLenInByte = 17124
; NumSgprs: 95
; NumVgprs: 45
; ScratchSize: 0
; MemoryBound: 0
; FloatMode: 240
; IeeeMode: 1
; LDSByteSize: 5144 bytes/workgroup (compile time only)
; SGPRBlocks: 11
; VGPRBlocks: 5
; NumSGPRsForWavesPerEU: 95
; NumVGPRsForWavesPerEU: 45
; Occupancy: 16
; WaveLimiterHint : 1
; COMPUTE_PGM_RSRC2:SCRATCH_EN: 0
; COMPUTE_PGM_RSRC2:USER_SGPR: 13
; COMPUTE_PGM_RSRC2:TRAP_HANDLER: 0
; COMPUTE_PGM_RSRC2:TGID_X_EN: 1
; COMPUTE_PGM_RSRC2:TGID_Y_EN: 1
; COMPUTE_PGM_RSRC2:TGID_Z_EN: 1
; COMPUTE_PGM_RSRC2:TIDIG_COMP_CNT: 0
	.section	.text._ZN2at6native12_GLOBAL__N_114gatherKthValueIslLi2EEEvNS_4cuda6detail10TensorInfoIKT_T0_EES8_S8_S8_S8_NS5_IS6_S8_EENS5_IlS8_EE,"axG",@progbits,_ZN2at6native12_GLOBAL__N_114gatherKthValueIslLi2EEEvNS_4cuda6detail10TensorInfoIKT_T0_EES8_S8_S8_S8_NS5_IS6_S8_EENS5_IlS8_EE,comdat
	.globl	_ZN2at6native12_GLOBAL__N_114gatherKthValueIslLi2EEEvNS_4cuda6detail10TensorInfoIKT_T0_EES8_S8_S8_S8_NS5_IS6_S8_EENS5_IlS8_EE ; -- Begin function _ZN2at6native12_GLOBAL__N_114gatherKthValueIslLi2EEEvNS_4cuda6detail10TensorInfoIKT_T0_EES8_S8_S8_S8_NS5_IS6_S8_EENS5_IlS8_EE
	.p2align	8
	.type	_ZN2at6native12_GLOBAL__N_114gatherKthValueIslLi2EEEvNS_4cuda6detail10TensorInfoIKT_T0_EES8_S8_S8_S8_NS5_IS6_S8_EENS5_IlS8_EE,@function
_ZN2at6native12_GLOBAL__N_114gatherKthValueIslLi2EEEvNS_4cuda6detail10TensorInfoIKT_T0_EES8_S8_S8_S8_NS5_IS6_S8_EENS5_IlS8_EE: ; @_ZN2at6native12_GLOBAL__N_114gatherKthValueIslLi2EEEvNS_4cuda6detail10TensorInfoIKT_T0_EES8_S8_S8_S8_NS5_IS6_S8_EENS5_IlS8_EE
; %bb.0:
	s_clause 0x1
	s_load_b64 s[10:11], s[0:1], 0x500
	s_load_b256 s[24:31], s[0:1], 0x1a0
	s_add_u32 s8, s0, 0x500
	s_addc_u32 s9, s1, 0
	s_mov_b32 s35, 0
	s_waitcnt lgkmcnt(0)
	s_mul_i32 s2, s11, s15
	s_delay_alu instid0(SALU_CYCLE_1) | instskip(NEXT) | instid1(SALU_CYCLE_1)
	s_add_i32 s2, s2, s14
	s_mul_i32 s2, s2, s10
	s_delay_alu instid0(SALU_CYCLE_1) | instskip(NEXT) | instid1(SALU_CYCLE_1)
	s_add_i32 s34, s2, s13
	v_cmp_ge_i64_e64 s2, s[34:35], s[28:29]
	s_delay_alu instid0(VALU_DEP_1)
	s_and_b32 vcc_lo, exec_lo, s2
	s_cbranch_vccnz .LBB37_312
; %bb.1:
	s_clause 0x1
	s_load_b64 s[14:15], s[0:1], 0x10
	s_load_b64 s[28:29], s[0:1], 0x1d0
	s_mov_b32 s2, s35
	s_waitcnt lgkmcnt(0)
	s_mov_b32 s3, s15
	s_delay_alu instid0(SALU_CYCLE_1)
	s_cmp_lg_u64 s[2:3], 0
	s_cbranch_scc0 .LBB37_296
; %bb.2:
	s_ashr_i32 s2, s15, 31
	s_delay_alu instid0(SALU_CYCLE_1) | instskip(SKIP_2) | instid1(SALU_CYCLE_1)
	s_add_u32 s4, s14, s2
	s_mov_b32 s3, s2
	s_addc_u32 s5, s15, s2
	s_xor_b64 s[4:5], s[4:5], s[2:3]
	s_delay_alu instid0(SALU_CYCLE_1) | instskip(SKIP_3) | instid1(VALU_DEP_1)
	v_cvt_f32_u32_e32 v1, s4
	v_cvt_f32_u32_e32 v2, s5
	s_sub_u32 s11, 0, s4
	s_subb_u32 s12, 0, s5
	v_fmamk_f32 v1, v2, 0x4f800000, v1
	s_delay_alu instid0(VALU_DEP_1) | instskip(SKIP_2) | instid1(VALU_DEP_1)
	v_rcp_f32_e32 v1, v1
	s_waitcnt_depctr 0xfff
	v_mul_f32_e32 v1, 0x5f7ffffc, v1
	v_mul_f32_e32 v2, 0x2f800000, v1
	s_delay_alu instid0(VALU_DEP_1) | instskip(NEXT) | instid1(VALU_DEP_1)
	v_trunc_f32_e32 v2, v2
	v_fmamk_f32 v1, v2, 0xcf800000, v1
	v_cvt_u32_f32_e32 v2, v2
	s_delay_alu instid0(VALU_DEP_2) | instskip(NEXT) | instid1(VALU_DEP_2)
	v_cvt_u32_f32_e32 v1, v1
	v_readfirstlane_b32 s6, v2
	s_delay_alu instid0(VALU_DEP_2) | instskip(NEXT) | instid1(VALU_DEP_2)
	v_readfirstlane_b32 s7, v1
	s_mul_i32 s16, s11, s6
	s_delay_alu instid0(VALU_DEP_1)
	s_mul_hi_u32 s18, s11, s7
	s_mul_i32 s17, s12, s7
	s_add_i32 s16, s18, s16
	s_mul_i32 s19, s11, s7
	s_add_i32 s16, s16, s17
	s_mul_hi_u32 s18, s7, s19
	s_mul_hi_u32 s20, s6, s19
	s_mul_i32 s17, s6, s19
	s_mul_hi_u32 s19, s7, s16
	s_mul_i32 s7, s7, s16
	s_mul_hi_u32 s21, s6, s16
	s_add_u32 s7, s18, s7
	s_addc_u32 s18, 0, s19
	s_add_u32 s7, s7, s17
	s_mul_i32 s16, s6, s16
	s_addc_u32 s7, s18, s20
	s_addc_u32 s17, s21, 0
	s_add_u32 s7, s7, s16
	s_addc_u32 s16, 0, s17
	v_add_co_u32 v1, s7, v1, s7
	s_delay_alu instid0(VALU_DEP_1) | instskip(SKIP_1) | instid1(VALU_DEP_1)
	s_cmp_lg_u32 s7, 0
	s_addc_u32 s6, s6, s16
	v_readfirstlane_b32 s7, v1
	s_mul_i32 s16, s11, s6
	s_delay_alu instid0(VALU_DEP_1)
	s_mul_hi_u32 s17, s11, s7
	s_mul_i32 s12, s12, s7
	s_add_i32 s16, s17, s16
	s_mul_i32 s11, s11, s7
	s_add_i32 s16, s16, s12
	s_mul_hi_u32 s17, s6, s11
	s_mul_i32 s18, s6, s11
	s_mul_hi_u32 s11, s7, s11
	s_mul_hi_u32 s19, s7, s16
	s_mul_i32 s7, s7, s16
	s_mul_hi_u32 s12, s6, s16
	s_add_u32 s7, s11, s7
	s_addc_u32 s11, 0, s19
	s_add_u32 s7, s7, s18
	s_mul_i32 s16, s6, s16
	s_addc_u32 s7, s11, s17
	s_addc_u32 s11, s12, 0
	s_add_u32 s7, s7, s16
	s_addc_u32 s11, 0, s11
	v_add_co_u32 v1, s7, v1, s7
	s_delay_alu instid0(VALU_DEP_1) | instskip(SKIP_2) | instid1(VALU_DEP_1)
	s_cmp_lg_u32 s7, 0
	s_addc_u32 s11, s6, s11
	s_ashr_i32 s6, 0, 31
	v_readfirstlane_b32 s12, v1
	s_add_u32 s16, s34, s6
	s_mov_b32 s7, s6
	s_addc_u32 s17, 0, s6
	s_delay_alu instid0(SALU_CYCLE_1) | instskip(NEXT) | instid1(SALU_CYCLE_1)
	s_xor_b64 s[16:17], s[16:17], s[6:7]
	s_mul_i32 s19, s16, s11
	s_mul_hi_u32 s20, s16, s12
	s_mul_hi_u32 s18, s16, s11
	;; [unrolled: 1-line block ×3, first 2 shown]
	s_mul_i32 s12, s17, s12
	s_add_u32 s19, s20, s19
	s_addc_u32 s18, 0, s18
	s_mul_hi_u32 s21, s17, s11
	s_add_u32 s12, s19, s12
	s_mul_i32 s11, s17, s11
	s_addc_u32 s12, s18, s22
	s_addc_u32 s18, s21, 0
	s_add_u32 s11, s12, s11
	s_addc_u32 s12, 0, s18
	s_mul_i32 s21, s4, s11
	s_mul_hi_u32 s18, s4, s11
	s_mul_i32 s20, s4, s12
	v_sub_co_u32 v1, s16, s16, s21
	s_mul_i32 s19, s5, s11
	s_add_i32 s18, s18, s20
	s_delay_alu instid0(SALU_CYCLE_1) | instskip(NEXT) | instid1(VALU_DEP_1)
	s_add_i32 s18, s18, s19
	v_sub_co_u32 v2, s20, v1, s4
	s_sub_i32 s19, s17, s18
	s_cmp_lg_u32 s16, 0
	s_subb_u32 s19, s19, s5
	s_cmp_lg_u32 s20, 0
	v_readfirstlane_b32 s20, v2
	s_subb_u32 s19, s19, 0
	s_delay_alu instid0(SALU_CYCLE_1) | instskip(SKIP_1) | instid1(VALU_DEP_1)
	s_cmp_ge_u32 s19, s5
	s_cselect_b32 s21, -1, 0
	s_cmp_ge_u32 s20, s4
	s_cselect_b32 s20, -1, 0
	s_cmp_eq_u32 s19, s5
	s_cselect_b32 s19, s20, s21
	s_add_u32 s20, s11, 1
	s_addc_u32 s21, s12, 0
	s_add_u32 s22, s11, 2
	s_addc_u32 s23, s12, 0
	s_cmp_lg_u32 s19, 0
	s_cselect_b32 s19, s22, s20
	s_cselect_b32 s20, s23, s21
	s_cmp_lg_u32 s16, 0
	v_readfirstlane_b32 s16, v1
	s_subb_u32 s17, s17, s18
	s_delay_alu instid0(SALU_CYCLE_1) | instskip(SKIP_1) | instid1(VALU_DEP_1)
	s_cmp_ge_u32 s17, s5
	s_cselect_b32 s18, -1, 0
	s_cmp_ge_u32 s16, s4
	s_cselect_b32 s4, -1, 0
	s_cmp_eq_u32 s17, s5
	s_cselect_b32 s4, s4, s18
	s_delay_alu instid0(SALU_CYCLE_1) | instskip(SKIP_3) | instid1(SALU_CYCLE_1)
	s_cmp_lg_u32 s4, 0
	s_cselect_b32 s5, s20, s12
	s_cselect_b32 s4, s19, s11
	s_xor_b64 s[6:7], s[6:7], s[2:3]
	s_xor_b64 s[4:5], s[4:5], s[6:7]
	s_delay_alu instid0(SALU_CYCLE_1)
	s_sub_u32 s16, s4, s6
	s_subb_u32 s17, s5, s7
	s_cbranch_execnz .LBB37_4
.LBB37_3:
	v_cvt_f32_u32_e32 v1, s14
	s_sub_i32 s3, 0, s14
	s_mov_b32 s17, 0
	s_delay_alu instid0(VALU_DEP_1) | instskip(SKIP_2) | instid1(VALU_DEP_1)
	v_rcp_iflag_f32_e32 v1, v1
	s_waitcnt_depctr 0xfff
	v_mul_f32_e32 v1, 0x4f7ffffe, v1
	v_cvt_u32_f32_e32 v1, v1
	s_delay_alu instid0(VALU_DEP_1) | instskip(NEXT) | instid1(VALU_DEP_1)
	v_readfirstlane_b32 s2, v1
	s_mul_i32 s3, s3, s2
	s_delay_alu instid0(SALU_CYCLE_1) | instskip(NEXT) | instid1(SALU_CYCLE_1)
	s_mul_hi_u32 s3, s2, s3
	s_add_i32 s2, s2, s3
	s_delay_alu instid0(SALU_CYCLE_1) | instskip(NEXT) | instid1(SALU_CYCLE_1)
	s_mul_hi_u32 s2, s34, s2
	s_mul_i32 s3, s2, s14
	s_add_i32 s4, s2, 1
	s_sub_i32 s3, s34, s3
	s_delay_alu instid0(SALU_CYCLE_1)
	s_sub_i32 s5, s3, s14
	s_cmp_ge_u32 s3, s14
	s_cselect_b32 s2, s4, s2
	s_cselect_b32 s3, s5, s3
	s_add_i32 s4, s2, 1
	s_cmp_ge_u32 s3, s14
	s_cselect_b32 s16, s4, s2
.LBB37_4:
	s_load_b64 s[44:45], s[0:1], 0x370
	s_mov_b32 s2, 0
	s_mov_b32 s3, s29
	s_delay_alu instid0(SALU_CYCLE_1)
	s_cmp_lg_u64 s[2:3], 0
	s_cbranch_scc0 .LBB37_297
; %bb.5:
	s_ashr_i32 s4, s29, 31
	s_delay_alu instid0(SALU_CYCLE_1) | instskip(SKIP_2) | instid1(SALU_CYCLE_1)
	s_add_u32 s6, s28, s4
	s_mov_b32 s5, s4
	s_addc_u32 s7, s29, s4
	s_xor_b64 s[6:7], s[6:7], s[4:5]
	s_delay_alu instid0(SALU_CYCLE_1) | instskip(SKIP_3) | instid1(VALU_DEP_1)
	v_cvt_f32_u32_e32 v1, s6
	v_cvt_f32_u32_e32 v2, s7
	s_sub_u32 s12, 0, s6
	s_subb_u32 s18, 0, s7
	v_fmamk_f32 v1, v2, 0x4f800000, v1
	s_delay_alu instid0(VALU_DEP_1) | instskip(SKIP_2) | instid1(VALU_DEP_1)
	v_rcp_f32_e32 v1, v1
	s_waitcnt_depctr 0xfff
	v_mul_f32_e32 v1, 0x5f7ffffc, v1
	v_mul_f32_e32 v2, 0x2f800000, v1
	s_delay_alu instid0(VALU_DEP_1) | instskip(NEXT) | instid1(VALU_DEP_1)
	v_trunc_f32_e32 v2, v2
	v_fmamk_f32 v1, v2, 0xcf800000, v1
	v_cvt_u32_f32_e32 v2, v2
	s_delay_alu instid0(VALU_DEP_2) | instskip(NEXT) | instid1(VALU_DEP_2)
	v_cvt_u32_f32_e32 v1, v1
	v_readfirstlane_b32 s3, v2
	s_delay_alu instid0(VALU_DEP_2) | instskip(NEXT) | instid1(VALU_DEP_2)
	v_readfirstlane_b32 s11, v1
	s_mul_i32 s19, s12, s3
	s_delay_alu instid0(VALU_DEP_1)
	s_mul_hi_u32 s21, s12, s11
	s_mul_i32 s20, s18, s11
	s_add_i32 s19, s21, s19
	s_mul_i32 s22, s12, s11
	s_add_i32 s19, s19, s20
	s_mul_hi_u32 s21, s11, s22
	s_mul_hi_u32 s23, s3, s22
	s_mul_i32 s20, s3, s22
	s_mul_hi_u32 s22, s11, s19
	s_mul_i32 s11, s11, s19
	s_mul_hi_u32 s33, s3, s19
	s_add_u32 s11, s21, s11
	s_addc_u32 s21, 0, s22
	s_add_u32 s11, s11, s20
	s_mul_i32 s19, s3, s19
	s_addc_u32 s11, s21, s23
	s_addc_u32 s20, s33, 0
	s_add_u32 s11, s11, s19
	s_addc_u32 s19, 0, s20
	v_add_co_u32 v1, s11, v1, s11
	s_delay_alu instid0(VALU_DEP_1) | instskip(SKIP_1) | instid1(VALU_DEP_1)
	s_cmp_lg_u32 s11, 0
	s_addc_u32 s3, s3, s19
	v_readfirstlane_b32 s11, v1
	s_mul_i32 s19, s12, s3
	s_delay_alu instid0(VALU_DEP_1)
	s_mul_hi_u32 s20, s12, s11
	s_mul_i32 s18, s18, s11
	s_add_i32 s19, s20, s19
	s_mul_i32 s12, s12, s11
	s_add_i32 s19, s19, s18
	s_mul_hi_u32 s20, s3, s12
	s_mul_i32 s21, s3, s12
	s_mul_hi_u32 s12, s11, s12
	s_mul_hi_u32 s22, s11, s19
	s_mul_i32 s11, s11, s19
	s_mul_hi_u32 s18, s3, s19
	s_add_u32 s11, s12, s11
	s_addc_u32 s12, 0, s22
	s_add_u32 s11, s11, s21
	s_mul_i32 s19, s3, s19
	s_addc_u32 s11, s12, s20
	s_addc_u32 s12, s18, 0
	s_add_u32 s11, s11, s19
	s_addc_u32 s12, 0, s12
	v_add_co_u32 v1, s11, v1, s11
	s_delay_alu instid0(VALU_DEP_1) | instskip(SKIP_2) | instid1(VALU_DEP_1)
	s_cmp_lg_u32 s11, 0
	s_addc_u32 s3, s3, s12
	s_ashr_i32 s18, 0, 31
	v_readfirstlane_b32 s11, v1
	s_add_u32 s20, s34, s18
	s_mov_b32 s19, s18
	s_addc_u32 s21, 0, s18
	s_delay_alu instid0(SALU_CYCLE_1) | instskip(NEXT) | instid1(SALU_CYCLE_1)
	s_xor_b64 s[20:21], s[20:21], s[18:19]
	s_mul_i32 s22, s20, s3
	s_mul_hi_u32 s23, s20, s11
	s_mul_hi_u32 s12, s20, s3
	;; [unrolled: 1-line block ×3, first 2 shown]
	s_mul_i32 s11, s21, s11
	s_add_u32 s22, s23, s22
	s_addc_u32 s12, 0, s12
	s_mul_hi_u32 s33, s21, s3
	s_add_u32 s11, s22, s11
	s_mul_i32 s3, s21, s3
	s_addc_u32 s11, s12, s35
	s_addc_u32 s12, s33, 0
	s_add_u32 s3, s11, s3
	s_addc_u32 s11, 0, s12
	s_mul_i32 s33, s6, s3
	s_mul_hi_u32 s12, s6, s3
	s_mul_i32 s23, s6, s11
	v_sub_co_u32 v1, s20, s20, s33
	s_mul_i32 s22, s7, s3
	s_add_i32 s12, s12, s23
	s_delay_alu instid0(SALU_CYCLE_1) | instskip(NEXT) | instid1(VALU_DEP_1)
	s_add_i32 s12, s12, s22
	v_sub_co_u32 v2, s23, v1, s6
	s_sub_i32 s22, s21, s12
	s_cmp_lg_u32 s20, 0
	s_subb_u32 s22, s22, s7
	s_cmp_lg_u32 s23, 0
	v_readfirstlane_b32 s23, v2
	s_subb_u32 s22, s22, 0
	s_delay_alu instid0(SALU_CYCLE_1) | instskip(SKIP_1) | instid1(VALU_DEP_1)
	s_cmp_ge_u32 s22, s7
	s_cselect_b32 s33, -1, 0
	s_cmp_ge_u32 s23, s6
	s_cselect_b32 s23, -1, 0
	s_cmp_eq_u32 s22, s7
	s_cselect_b32 s22, s23, s33
	s_add_u32 s23, s3, 1
	s_addc_u32 s33, s11, 0
	s_add_u32 s35, s3, 2
	s_addc_u32 s36, s11, 0
	s_cmp_lg_u32 s22, 0
	s_cselect_b32 s22, s35, s23
	s_cselect_b32 s23, s36, s33
	s_cmp_lg_u32 s20, 0
	v_readfirstlane_b32 s20, v1
	s_subb_u32 s12, s21, s12
	s_delay_alu instid0(SALU_CYCLE_1) | instskip(SKIP_1) | instid1(VALU_DEP_1)
	s_cmp_ge_u32 s12, s7
	s_cselect_b32 s21, -1, 0
	s_cmp_ge_u32 s20, s6
	s_cselect_b32 s6, -1, 0
	s_cmp_eq_u32 s12, s7
	s_cselect_b32 s6, s6, s21
	s_delay_alu instid0(SALU_CYCLE_1) | instskip(SKIP_3) | instid1(SALU_CYCLE_1)
	s_cmp_lg_u32 s6, 0
	s_cselect_b32 s7, s23, s11
	s_cselect_b32 s6, s22, s3
	s_xor_b64 s[4:5], s[18:19], s[4:5]
	s_xor_b64 s[6:7], s[6:7], s[4:5]
	s_delay_alu instid0(SALU_CYCLE_1)
	s_sub_u32 s46, s6, s4
	s_subb_u32 s47, s7, s5
	s_and_not1_b32 vcc_lo, exec_lo, s2
	s_cbranch_vccnz .LBB37_7
.LBB37_6:
	v_cvt_f32_u32_e32 v1, s28
	s_sub_i32 s3, 0, s28
	s_mov_b32 s47, 0
	s_delay_alu instid0(VALU_DEP_1) | instskip(SKIP_2) | instid1(VALU_DEP_1)
	v_rcp_iflag_f32_e32 v1, v1
	s_waitcnt_depctr 0xfff
	v_mul_f32_e32 v1, 0x4f7ffffe, v1
	v_cvt_u32_f32_e32 v1, v1
	s_delay_alu instid0(VALU_DEP_1) | instskip(NEXT) | instid1(VALU_DEP_1)
	v_readfirstlane_b32 s2, v1
	s_mul_i32 s3, s3, s2
	s_delay_alu instid0(SALU_CYCLE_1) | instskip(NEXT) | instid1(SALU_CYCLE_1)
	s_mul_hi_u32 s3, s2, s3
	s_add_i32 s2, s2, s3
	s_delay_alu instid0(SALU_CYCLE_1) | instskip(NEXT) | instid1(SALU_CYCLE_1)
	s_mul_hi_u32 s2, s34, s2
	s_mul_i32 s3, s2, s28
	s_add_i32 s4, s2, 1
	s_sub_i32 s3, s34, s3
	s_delay_alu instid0(SALU_CYCLE_1)
	s_sub_i32 s5, s3, s28
	s_cmp_ge_u32 s3, s28
	s_cselect_b32 s2, s4, s2
	s_cselect_b32 s3, s5, s3
	s_add_i32 s4, s2, 1
	s_cmp_ge_u32 s3, s28
	s_cselect_b32 s46, s4, s2
.LBB37_7:
	s_mov_b32 s2, 0
	s_waitcnt lgkmcnt(0)
	s_mov_b32 s3, s45
	s_delay_alu instid0(SALU_CYCLE_1)
	s_cmp_lg_u64 s[2:3], 0
	s_cbranch_scc0 .LBB37_298
; %bb.8:
	s_ashr_i32 s4, s45, 31
	s_delay_alu instid0(SALU_CYCLE_1) | instskip(SKIP_2) | instid1(SALU_CYCLE_1)
	s_add_u32 s6, s44, s4
	s_mov_b32 s5, s4
	s_addc_u32 s7, s45, s4
	s_xor_b64 s[6:7], s[6:7], s[4:5]
	s_delay_alu instid0(SALU_CYCLE_1) | instskip(SKIP_3) | instid1(VALU_DEP_1)
	v_cvt_f32_u32_e32 v1, s6
	v_cvt_f32_u32_e32 v2, s7
	s_sub_u32 s12, 0, s6
	s_subb_u32 s18, 0, s7
	v_fmamk_f32 v1, v2, 0x4f800000, v1
	s_delay_alu instid0(VALU_DEP_1) | instskip(SKIP_2) | instid1(VALU_DEP_1)
	v_rcp_f32_e32 v1, v1
	s_waitcnt_depctr 0xfff
	v_mul_f32_e32 v1, 0x5f7ffffc, v1
	v_mul_f32_e32 v2, 0x2f800000, v1
	s_delay_alu instid0(VALU_DEP_1) | instskip(NEXT) | instid1(VALU_DEP_1)
	v_trunc_f32_e32 v2, v2
	v_fmamk_f32 v1, v2, 0xcf800000, v1
	v_cvt_u32_f32_e32 v2, v2
	s_delay_alu instid0(VALU_DEP_2) | instskip(NEXT) | instid1(VALU_DEP_2)
	v_cvt_u32_f32_e32 v1, v1
	v_readfirstlane_b32 s3, v2
	s_delay_alu instid0(VALU_DEP_2) | instskip(NEXT) | instid1(VALU_DEP_2)
	v_readfirstlane_b32 s11, v1
	s_mul_i32 s19, s12, s3
	s_delay_alu instid0(VALU_DEP_1)
	s_mul_hi_u32 s21, s12, s11
	s_mul_i32 s20, s18, s11
	s_add_i32 s19, s21, s19
	s_mul_i32 s22, s12, s11
	s_add_i32 s19, s19, s20
	s_mul_hi_u32 s21, s11, s22
	s_mul_hi_u32 s23, s3, s22
	s_mul_i32 s20, s3, s22
	s_mul_hi_u32 s22, s11, s19
	s_mul_i32 s11, s11, s19
	s_mul_hi_u32 s33, s3, s19
	s_add_u32 s11, s21, s11
	s_addc_u32 s21, 0, s22
	s_add_u32 s11, s11, s20
	s_mul_i32 s19, s3, s19
	s_addc_u32 s11, s21, s23
	s_addc_u32 s20, s33, 0
	s_add_u32 s11, s11, s19
	s_addc_u32 s19, 0, s20
	v_add_co_u32 v1, s11, v1, s11
	s_delay_alu instid0(VALU_DEP_1) | instskip(SKIP_1) | instid1(VALU_DEP_1)
	s_cmp_lg_u32 s11, 0
	s_addc_u32 s3, s3, s19
	v_readfirstlane_b32 s11, v1
	s_mul_i32 s19, s12, s3
	s_delay_alu instid0(VALU_DEP_1)
	s_mul_hi_u32 s20, s12, s11
	s_mul_i32 s18, s18, s11
	s_add_i32 s19, s20, s19
	s_mul_i32 s12, s12, s11
	s_add_i32 s19, s19, s18
	s_mul_hi_u32 s20, s3, s12
	s_mul_i32 s21, s3, s12
	s_mul_hi_u32 s12, s11, s12
	s_mul_hi_u32 s22, s11, s19
	s_mul_i32 s11, s11, s19
	s_mul_hi_u32 s18, s3, s19
	s_add_u32 s11, s12, s11
	s_addc_u32 s12, 0, s22
	s_add_u32 s11, s11, s21
	s_mul_i32 s19, s3, s19
	s_addc_u32 s11, s12, s20
	s_addc_u32 s12, s18, 0
	s_add_u32 s11, s11, s19
	s_addc_u32 s12, 0, s12
	v_add_co_u32 v1, s11, v1, s11
	s_delay_alu instid0(VALU_DEP_1) | instskip(SKIP_2) | instid1(VALU_DEP_1)
	s_cmp_lg_u32 s11, 0
	s_addc_u32 s3, s3, s12
	s_ashr_i32 s18, 0, 31
	v_readfirstlane_b32 s11, v1
	s_add_u32 s20, s34, s18
	s_mov_b32 s19, s18
	s_addc_u32 s21, 0, s18
	s_delay_alu instid0(SALU_CYCLE_1) | instskip(NEXT) | instid1(SALU_CYCLE_1)
	s_xor_b64 s[20:21], s[20:21], s[18:19]
	s_mul_i32 s22, s20, s3
	s_mul_hi_u32 s23, s20, s11
	s_mul_hi_u32 s12, s20, s3
	s_mul_hi_u32 s35, s21, s11
	s_mul_i32 s11, s21, s11
	s_add_u32 s22, s23, s22
	s_addc_u32 s12, 0, s12
	s_mul_hi_u32 s33, s21, s3
	s_add_u32 s11, s22, s11
	s_mul_i32 s3, s21, s3
	s_addc_u32 s11, s12, s35
	s_addc_u32 s12, s33, 0
	s_add_u32 s3, s11, s3
	s_addc_u32 s11, 0, s12
	s_mul_i32 s33, s6, s3
	s_mul_hi_u32 s12, s6, s3
	s_mul_i32 s23, s6, s11
	v_sub_co_u32 v1, s20, s20, s33
	s_mul_i32 s22, s7, s3
	s_add_i32 s12, s12, s23
	s_delay_alu instid0(SALU_CYCLE_1) | instskip(NEXT) | instid1(VALU_DEP_1)
	s_add_i32 s12, s12, s22
	v_sub_co_u32 v2, s23, v1, s6
	s_sub_i32 s22, s21, s12
	s_cmp_lg_u32 s20, 0
	s_subb_u32 s22, s22, s7
	s_cmp_lg_u32 s23, 0
	v_readfirstlane_b32 s23, v2
	s_subb_u32 s22, s22, 0
	s_delay_alu instid0(SALU_CYCLE_1) | instskip(SKIP_1) | instid1(VALU_DEP_1)
	s_cmp_ge_u32 s22, s7
	s_cselect_b32 s33, -1, 0
	s_cmp_ge_u32 s23, s6
	s_cselect_b32 s23, -1, 0
	s_cmp_eq_u32 s22, s7
	s_cselect_b32 s22, s23, s33
	s_add_u32 s23, s3, 1
	s_addc_u32 s33, s11, 0
	s_add_u32 s35, s3, 2
	s_addc_u32 s36, s11, 0
	s_cmp_lg_u32 s22, 0
	s_cselect_b32 s22, s35, s23
	s_cselect_b32 s23, s36, s33
	s_cmp_lg_u32 s20, 0
	v_readfirstlane_b32 s20, v1
	s_subb_u32 s12, s21, s12
	s_delay_alu instid0(SALU_CYCLE_1) | instskip(SKIP_1) | instid1(VALU_DEP_1)
	s_cmp_ge_u32 s12, s7
	s_cselect_b32 s21, -1, 0
	s_cmp_ge_u32 s20, s6
	s_cselect_b32 s6, -1, 0
	s_cmp_eq_u32 s12, s7
	s_cselect_b32 s6, s6, s21
	s_delay_alu instid0(SALU_CYCLE_1) | instskip(SKIP_3) | instid1(SALU_CYCLE_1)
	s_cmp_lg_u32 s6, 0
	s_cselect_b32 s7, s23, s11
	s_cselect_b32 s6, s22, s3
	s_xor_b64 s[4:5], s[18:19], s[4:5]
	s_xor_b64 s[6:7], s[6:7], s[4:5]
	s_delay_alu instid0(SALU_CYCLE_1)
	s_sub_u32 s48, s6, s4
	s_subb_u32 s49, s7, s5
	s_load_b64 s[18:19], s[0:1], 0x0
	s_and_not1_b32 vcc_lo, exec_lo, s2
	s_cbranch_vccnz .LBB37_10
.LBB37_9:
	v_cvt_f32_u32_e32 v1, s44
	s_sub_i32 s3, 0, s44
	s_mov_b32 s49, 0
	s_delay_alu instid0(VALU_DEP_1) | instskip(SKIP_2) | instid1(VALU_DEP_1)
	v_rcp_iflag_f32_e32 v1, v1
	s_waitcnt_depctr 0xfff
	v_mul_f32_e32 v1, 0x4f7ffffe, v1
	v_cvt_u32_f32_e32 v1, v1
	s_delay_alu instid0(VALU_DEP_1) | instskip(NEXT) | instid1(VALU_DEP_1)
	v_readfirstlane_b32 s2, v1
	s_mul_i32 s3, s3, s2
	s_delay_alu instid0(SALU_CYCLE_1) | instskip(NEXT) | instid1(SALU_CYCLE_1)
	s_mul_hi_u32 s3, s2, s3
	s_add_i32 s2, s2, s3
	s_delay_alu instid0(SALU_CYCLE_1) | instskip(NEXT) | instid1(SALU_CYCLE_1)
	s_mul_hi_u32 s2, s34, s2
	s_mul_i32 s3, s2, s44
	s_add_i32 s4, s2, 1
	s_sub_i32 s3, s34, s3
	s_delay_alu instid0(SALU_CYCLE_1)
	s_sub_i32 s5, s3, s44
	s_cmp_ge_u32 s3, s44
	s_cselect_b32 s2, s4, s2
	s_cselect_b32 s3, s5, s3
	s_add_i32 s4, s2, 1
	s_cmp_ge_u32 s3, s44
	s_cselect_b32 s48, s4, s2
.LBB37_10:
	s_clause 0x2
	s_load_b64 s[50:51], s[0:1], 0x360
	s_load_b64 s[52:53], s[0:1], 0x1c0
	s_load_b128 s[4:7], s[0:1], 0xd0
	v_cmp_eq_u32_e64 s2, 0, v0
	s_mov_b32 s55, 0
	s_delay_alu instid0(VALU_DEP_1)
	s_and_saveexec_b32 s3, s2
	s_cbranch_execz .LBB37_12
; %bb.11:
	v_dual_mov_b32 v1, 0 :: v_dual_mov_b32 v4, s25
	s_delay_alu instid0(VALU_DEP_1)
	v_dual_mov_b32 v3, s24 :: v_dual_mov_b32 v2, v1
	ds_store_b32 v1, v1 offset:5136
	ds_store_b128 v1, v[1:4] offset:5120
.LBB37_12:
	s_or_b32 exec_lo, exec_lo, s3
	v_mad_u64_u32 v[2:3], null, v0, s30, 0
	s_mul_i32 s3, s16, s15
	s_mul_hi_u32 s11, s16, s14
	v_lshlrev_b32_e32 v35, 3, v0
	s_add_i32 s3, s11, s3
	s_mul_i32 s11, s17, s14
	s_mul_i32 s12, s16, s14
	s_add_i32 s3, s3, s11
	s_sub_u32 s11, s34, s12
	v_dual_mov_b32 v1, v3 :: v_dual_lshlrev_b32 v32, 1, v0
	s_waitcnt lgkmcnt(0)
	s_mul_i32 s7, s11, s7
	s_mul_hi_u32 s12, s11, s6
	v_or_b32_e32 v22, 2, v35
	s_subb_u32 s3, 0, s3
	s_add_i32 s7, s12, s7
	s_mul_i32 s5, s16, s5
	s_mul_hi_u32 s12, s16, s4
	s_mul_i32 s3, s3, s6
	s_add_i32 s12, s12, s5
	s_mul_i32 s14, s17, s4
	v_mad_u64_u32 v[3:4], null, v0, s31, v[1:2]
	v_mad_u64_u32 v[20:21], null, s30, v22, 0
	s_add_i32 s5, s7, s3
	s_add_i32 s15, s12, s14
	s_mul_i32 s14, s16, s4
	s_mul_i32 s4, s11, s6
	s_lshl_b64 s[6:7], s[14:15], 1
	s_lshl_b64 s[4:5], s[4:5], 1
	v_mbcnt_lo_u32_b32 v31, -1, 0
	v_dual_mov_b32 v13, 0 :: v_dual_lshlrev_b32 v14, 2, v0
	v_lshrrev_b32_e32 v6, 3, v0
	s_clause 0x1
	s_load_b128 s[36:39], s[0:1], 0x430
	s_load_b128 s[40:43], s[0:1], 0x290
	s_add_u32 s0, s6, s4
	s_waitcnt lgkmcnt(0)
	s_barrier
	buffer_gl0_inv
	s_load_b32 s4, s[8:9], 0xc
	s_addc_u32 s1, s7, s5
	v_lshlrev_b64 v[4:5], 1, v[2:3]
	s_add_u32 s58, s18, s0
	v_cmp_gt_u32_e32 vcc_lo, 32, v0
	v_cmp_gt_i32_e64 s0, 4, v31
	v_dual_mov_b32 v1, v13 :: v_dual_and_b32 v34, 0x7c, v6
	v_mov_b32_e32 v6, v21
	v_or_b32_e32 v9, 6, v35
	v_or_b32_e32 v12, 4, v35
	s_addc_u32 s59, s19, s1
	s_and_b32 s35, vcc_lo, s0
	v_add_co_u32 v10, vcc_lo, s58, v4
	v_mad_u64_u32 v[16:17], null, s30, v9, 0
	v_mad_u64_u32 v[18:19], null, s30, v12, 0
	v_add_co_ci_u32_e32 v11, vcc_lo, s59, v5, vcc_lo
	v_lshlrev_b64 v[4:5], v31, -1
	v_add_nc_u32_e32 v33, 0xc00, v32
	s_waitcnt lgkmcnt(0)
	s_and_b32 s33, s4, 0xffff
	s_bfe_u32 s5, s4, 0xb0005
	s_delay_alu instid0(VALU_DEP_4)
	v_mov_b32_e32 v5, v19
	s_add_u32 s79, s33, -1
	v_not_b32_e32 v36, v4
	v_mov_b32_e32 v4, v17
	s_addc_u32 s80, 0, -1
	s_add_u32 s81, s79, s24
	s_addc_u32 s61, s80, s25
	s_cmp_lt_u32 s13, s10
	v_mad_u64_u32 v[7:8], null, s31, v9, v[4:5]
	s_cselect_b32 s6, 12, 18
	v_mad_u64_u32 v[8:9], null, s31, v12, v[5:6]
	s_add_u32 s62, s8, s6
	s_addc_u32 s63, s9, 0
	s_add_i32 s6, s5, -1
	s_delay_alu instid0(VALU_DEP_2)
	v_mad_u64_u32 v[4:5], null, s31, v22, v[6:7]
	s_bfe_u32 s82, s33, 0x30005
	s_cmp_gt_u32 s6, 6
	v_add_co_u32 v38, s6, s24, v0
	s_cselect_b32 s83, -1, 0
	s_and_b32 s84, s5, 0x7f8
	v_cmp_lt_i64_e64 s78, 0x600, s[24:25]
	v_cmp_gt_i64_e64 s0, s[24:25], v[0:1]
	s_cmp_lg_u32 s82, 0
	v_cmp_gt_u16_e64 s85, s4, 31
	v_lshlrev_b64 v[21:22], 3, v[2:3]
	s_mul_i32 s4, s31, s33
	s_mul_hi_u32 s5, s30, s33
	v_cmp_eq_u32_e64 s1, 0, v31
	v_cmp_gt_u32_e64 s3, 2, v0
	v_dual_mov_b32 v15, v13 :: v_dual_mov_b32 v42, 0
	v_mov_b32_e32 v17, v7
	v_mov_b32_e32 v19, v8
	;; [unrolled: 1-line block ×3, first 2 shown]
	v_add_co_ci_u32_e64 v39, null, s25, 0, s6
	v_lshl_or_b32 v40, v31, 3, 0xc00
	v_cvt_f32_ubyte0_e32 v41, 0
	s_cselect_b32 s86, -1, 0
	s_add_i32 s5, s5, s4
	s_mul_i32 s4, s30, s33
	s_lshl_b64 s[64:65], s[30:31], 1
	s_lshl_b64 s[66:67], s[30:31], 3
	;; [unrolled: 1-line block ×3, first 2 shown]
	s_lshl_b32 s87, s33, 1
	s_mov_b32 s92, 14
	s_mov_b32 s88, 0
	s_mov_b32 s93, 0
	s_mov_b32 s98, 0
	s_mov_b32 s97, 0
                                        ; implicit-def: $sgpr89
                                        ; implicit-def: $sgpr91
                                        ; implicit-def: $sgpr90
                                        ; implicit-def: $sgpr95
                                        ; implicit-def: $sgpr96
                                        ; implicit-def: $sgpr94
	s_branch .LBB37_17
.LBB37_13:                              ;   in Loop: Header=BB37_17 Depth=1
	s_xor_b32 s93, s93, 1
	s_add_i32 s7, s92, -2
	s_cmp_eq_u32 s92, 0
	s_mov_b32 s5, 0
	s_cselect_b32 s6, -1, 0
	s_mov_b32 s92, s7
.LBB37_14:                              ;   in Loop: Header=BB37_17 Depth=1
	s_and_not1_b32 s7, s20, exec_lo
	s_and_b32 s5, s5, exec_lo
	s_and_not1_b32 s21, s21, exec_lo
	s_or_b32 s20, s7, s5
	s_and_not1_b32 s19, s19, exec_lo
	s_or_not1_b32 s15, s6, exec_lo
.LBB37_15:                              ;   in Loop: Header=BB37_17 Depth=1
	s_or_b32 exec_lo, exec_lo, s4
	s_delay_alu instid0(SALU_CYCLE_1)
	s_and_not1_b32 s4, s94, exec_lo
	s_and_b32 s5, s20, exec_lo
	s_and_not1_b32 s6, s95, exec_lo
	s_or_b32 s94, s4, s5
	s_and_not1_b32 s4, s96, exec_lo
	s_and_b32 s5, s21, exec_lo
	s_and_b32 s7, s19, exec_lo
	s_or_b32 s96, s4, s5
	s_or_b32 s95, s6, s7
	s_or_not1_b32 s19, s15, exec_lo
.LBB37_16:                              ;   in Loop: Header=BB37_17 Depth=1
	s_or_b32 exec_lo, exec_lo, s14
	s_delay_alu instid0(SALU_CYCLE_1)
	s_and_b32 s4, exec_lo, s19
	v_mov_b32_e32 v2, s98
	s_or_b32 s88, s4, s88
	s_and_not1_b32 s4, s90, exec_lo
	s_and_b32 s5, s94, exec_lo
	s_and_not1_b32 s6, s89, exec_lo
	s_or_b32 s90, s4, s5
	s_and_not1_b32 s4, s91, exec_lo
	s_and_b32 s5, s96, exec_lo
	s_and_b32 s7, s95, exec_lo
	s_or_b32 s91, s4, s5
	s_or_b32 s89, s6, s7
	s_and_not1_b32 exec_lo, exec_lo, s88
	s_cbranch_execz .LBB37_283
.LBB37_17:                              ; =>This Loop Header: Depth=1
                                        ;     Child Loop BB37_22 Depth 2
                                        ;     Child Loop BB37_41 Depth 2
	;; [unrolled: 1-line block ×16, first 2 shown]
	ds_load_b128 v[2:5], v13 offset:5120
	s_waitcnt lgkmcnt(0)
	v_readfirstlane_b32 s69, v3
	v_readfirstlane_b32 s68, v2
	s_delay_alu instid0(VALU_DEP_1) | instskip(NEXT) | instid1(VALU_DEP_1)
	v_cmp_gt_i64_e64 s4, s[68:69], 0
	s_and_b32 vcc_lo, exec_lo, s4
	s_cbranch_vccnz .LBB37_48
; %bb.18:                               ;   in Loop: Header=BB37_17 Depth=1
	s_and_b32 vcc_lo, exec_lo, s78
	s_cbranch_vccz .LBB37_30
; %bb.19:                               ;   in Loop: Header=BB37_17 Depth=1
	v_cmp_gt_i64_e32 vcc_lo, 0x601, v[4:5]
	s_mov_b32 s6, 0
	s_mov_b32 s4, 0
	s_cbranch_vccz .LBB37_35
; %bb.20:                               ;   in Loop: Header=BB37_17 Depth=1
	global_load_u16 v6, v13, s[62:63]
	global_load_u16 v7, v[10:11], off
	s_mov_b32 s8, 0
	s_waitcnt vmcnt(1)
	v_readfirstlane_b32 s4, v6
	v_and_b32_e32 v6, 0xffff, v6
	s_delay_alu instid0(VALU_DEP_2) | instskip(NEXT) | instid1(SALU_CYCLE_1)
	s_and_b32 s4, 0xffff, s4
	v_add_nc_u32_e32 v8, s4, v0
	s_mul_i32 s5, s65, s4
	s_mul_hi_u32 s7, s64, s4
	s_mul_i32 s9, s64, s4
	s_add_i32 s7, s7, s5
	v_mad_u64_u32 v[2:3], null, s64, v8, s[58:59]
	s_delay_alu instid0(VALU_DEP_1) | instskip(NEXT) | instid1(VALU_DEP_1)
	v_mad_u64_u32 v[4:5], null, s65, v8, v[3:4]
	v_mov_b32_e32 v3, v4
	v_dual_mov_b32 v5, v1 :: v_dual_mov_b32 v4, v0
	s_branch .LBB37_22
.LBB37_21:                              ;   in Loop: Header=BB37_22 Depth=2
	s_or_b32 exec_lo, exec_lo, s5
	v_add_co_u32 v2, vcc_lo, v2, s9
	v_add_co_ci_u32_e32 v3, vcc_lo, s7, v3, vcc_lo
	v_mov_b32_e32 v7, v8
	s_and_not1_b32 exec_lo, exec_lo, s8
	s_cbranch_execz .LBB37_31
.LBB37_22:                              ;   Parent Loop BB37_17 Depth=1
                                        ; =>  This Inner Loop Header: Depth=2
	s_delay_alu instid0(VALU_DEP_1) | instskip(NEXT) | instid1(VALU_DEP_2)
	v_add_co_u32 v4, vcc_lo, v4, v6
	v_add_co_ci_u32_e32 v5, vcc_lo, 0, v5, vcc_lo
	s_waitcnt lgkmcnt(0)
	v_dual_mov_b32 v9, 0 :: v_dual_mov_b32 v8, 0
	s_mov_b32 s5, exec_lo
	s_delay_alu instid0(VALU_DEP_2)
	v_cmp_le_i64_e32 vcc_lo, s[24:25], v[4:5]
	v_cmpx_gt_i64_e64 s[24:25], v[4:5]
	s_cbranch_execz .LBB37_24
; %bb.23:                               ;   in Loop: Header=BB37_22 Depth=2
	global_load_u16 v8, v[2:3], off
.LBB37_24:                              ;   in Loop: Header=BB37_22 Depth=2
	s_or_b32 exec_lo, exec_lo, s5
	s_waitcnt vmcnt(0)
	v_bfe_i32 v12, v7, 0, 16
	s_delay_alu instid0(VALU_DEP_1) | instskip(NEXT) | instid1(VALU_DEP_1)
	v_add_nc_u32_e32 v12, 0x8000, v12
	v_and_b32_e32 v12, s97, v12
	s_delay_alu instid0(VALU_DEP_1) | instskip(NEXT) | instid1(VALU_DEP_1)
	v_cmp_eq_u32_e64 s4, s98, v12
	s_cmp_lg_u32 s4, 0
	s_cselect_b32 s5, -1, 0
	s_delay_alu instid0(SALU_CYCLE_1) | instskip(NEXT) | instid1(SALU_CYCLE_1)
	s_and_b32 s5, s1, s5
	s_and_saveexec_b32 s10, s5
	s_cbranch_execz .LBB37_28
; %bb.25:                               ;   in Loop: Header=BB37_22 Depth=2
	s_mov_b32 s13, exec_lo
	s_bcnt1_i32_b32 s11, s4
	v_mbcnt_lo_u32_b32 v9, s13, 0
	s_mov_b32 s12, exec_lo
                                        ; implicit-def: $vgpr12
	s_delay_alu instid0(VALU_DEP_1)
	v_cmpx_eq_u32_e32 0, v9
	s_cbranch_execz .LBB37_27
; %bb.26:                               ;   in Loop: Header=BB37_22 Depth=2
	s_bcnt1_i32_b32 s5, s13
	s_delay_alu instid0(SALU_CYCLE_1) | instskip(NEXT) | instid1(SALU_CYCLE_1)
	s_mul_i32 s5, s11, s5
	v_mov_b32_e32 v12, s5
	ds_add_rtn_u32 v12, v13, v12 offset:5136
.LBB37_27:                              ;   in Loop: Header=BB37_22 Depth=2
	s_or_b32 exec_lo, exec_lo, s12
	s_waitcnt lgkmcnt(0)
	v_readfirstlane_b32 s5, v12
	s_delay_alu instid0(VALU_DEP_1)
	v_mad_u32_u24 v9, s11, v9, s5
.LBB37_28:                              ;   in Loop: Header=BB37_22 Depth=2
	s_or_b32 exec_lo, exec_lo, s10
	ds_bpermute_b32 v9, v13, v9
	s_and_b32 s5, exec_lo, vcc_lo
	s_delay_alu instid0(SALU_CYCLE_1)
	s_or_b32 s8, s5, s8
	s_and_saveexec_b32 s5, s4
	s_cbranch_execz .LBB37_21
; %bb.29:                               ;   in Loop: Header=BB37_22 Depth=2
	v_and_b32_e32 v12, s4, v36
	s_delay_alu instid0(VALU_DEP_1) | instskip(NEXT) | instid1(VALU_DEP_1)
	v_bcnt_u32_b32 v12, v12, 0
	v_lshlrev_b32_e32 v12, 1, v12
	s_waitcnt lgkmcnt(0)
	s_delay_alu instid0(VALU_DEP_1)
	v_lshl_add_u32 v9, v9, 1, v12
	ds_store_b16 v9, v7
	s_branch .LBB37_21
.LBB37_30:                              ;   in Loop: Header=BB37_17 Depth=1
	s_mov_b32 s6, -1
	s_mov_b32 s4, 0
	s_branch .LBB37_34
.LBB37_31:                              ;   in Loop: Header=BB37_17 Depth=1
	s_or_b32 exec_lo, exec_lo, s8
	s_waitcnt lgkmcnt(0)
	s_barrier
	buffer_gl0_inv
	s_and_saveexec_b32 s4, s2
	s_cbranch_execz .LBB37_33
; %bb.32:                               ;   in Loop: Header=BB37_17 Depth=1
	ds_load_b32 v2, v13 offset:5136
	s_waitcnt lgkmcnt(0)
	v_ashrrev_i32_e32 v3, 31, v2
	ds_store_b64 v13, v[2:3] offset:5120
.LBB37_33:                              ;   in Loop: Header=BB37_17 Depth=1
	s_or_b32 exec_lo, exec_lo, s4
	s_waitcnt lgkmcnt(0)
	s_mov_b32 s4, -1
	s_barrier
.LBB37_34:                              ;   in Loop: Header=BB37_17 Depth=1
                                        ; implicit-def: $sgpr68_sgpr69
.LBB37_35:                              ;   in Loop: Header=BB37_17 Depth=1
	s_and_b32 vcc_lo, exec_lo, s6
	s_cbranch_vccz .LBB37_46
; %bb.36:                               ;   in Loop: Header=BB37_17 Depth=1
	v_mov_b32_e32 v6, 0
	s_and_saveexec_b32 s4, s0
	s_cbranch_execz .LBB37_38
; %bb.37:                               ;   in Loop: Header=BB37_17 Depth=1
	global_load_u16 v6, v[10:11], off
.LBB37_38:                              ;   in Loop: Header=BB37_17 Depth=1
	s_or_b32 exec_lo, exec_lo, s4
	s_and_saveexec_b32 s5, s0
	s_cbranch_execz .LBB37_43
; %bb.39:                               ;   in Loop: Header=BB37_17 Depth=1
	global_load_u16 v8, v13, s[62:63]
	s_mov_b32 s9, 0
	s_waitcnt vmcnt(0)
	v_readfirstlane_b32 s4, v8
	v_and_b32_e32 v8, 0xffff, v8
	s_delay_alu instid0(VALU_DEP_2) | instskip(NEXT) | instid1(SALU_CYCLE_1)
	s_and_b32 s4, 0xffff, s4
	v_add_nc_u32_e32 v7, s4, v0
	s_mul_i32 s7, s65, s4
	s_mul_hi_u32 s8, s64, s4
	s_lshl_b32 s6, s4, 1
	s_add_i32 s7, s8, s7
	v_mad_u64_u32 v[2:3], null, s64, v7, s[58:59]
	s_mul_i32 s8, s64, s4
	s_delay_alu instid0(VALU_DEP_1) | instskip(SKIP_1) | instid1(VALU_DEP_2)
	v_mad_u64_u32 v[4:5], null, s65, v7, v[3:4]
	v_mov_b32_e32 v7, v32
	v_mov_b32_e32 v3, v4
	v_dual_mov_b32 v5, v1 :: v_dual_mov_b32 v4, v0
	s_branch .LBB37_41
	.p2align	6
.LBB37_40:                              ;   in Loop: Header=BB37_41 Depth=2
	s_or_b32 exec_lo, exec_lo, s10
	s_delay_alu instid0(SALU_CYCLE_1)
	s_and_b32 s4, exec_lo, vcc_lo
	v_add_co_u32 v2, vcc_lo, v2, s8
	ds_store_b16 v7, v6
	s_waitcnt vmcnt(0)
	v_dual_mov_b32 v6, v9 :: v_dual_add_nc_u32 v7, s6, v7
	v_add_co_ci_u32_e32 v3, vcc_lo, s7, v3, vcc_lo
	s_or_b32 s9, s4, s9
	s_delay_alu instid0(SALU_CYCLE_1)
	s_and_not1_b32 exec_lo, exec_lo, s9
	s_cbranch_execz .LBB37_43
.LBB37_41:                              ;   Parent Loop BB37_17 Depth=1
                                        ; =>  This Inner Loop Header: Depth=2
	s_delay_alu instid0(VALU_DEP_1) | instskip(NEXT) | instid1(VALU_DEP_2)
	v_add_co_u32 v4, vcc_lo, v4, v8
	v_add_co_ci_u32_e32 v5, vcc_lo, 0, v5, vcc_lo
	v_mov_b32_e32 v9, 0
	s_mov_b32 s10, exec_lo
	s_delay_alu instid0(VALU_DEP_2)
	v_cmp_le_i64_e32 vcc_lo, s[24:25], v[4:5]
	v_cmpx_gt_i64_e64 s[24:25], v[4:5]
	s_cbranch_execz .LBB37_40
; %bb.42:                               ;   in Loop: Header=BB37_41 Depth=2
	global_load_u16 v9, v[2:3], off
	s_branch .LBB37_40
.LBB37_43:                              ;   in Loop: Header=BB37_17 Depth=1
	s_or_b32 exec_lo, exec_lo, s5
	s_waitcnt vmcnt(0) lgkmcnt(0)
	s_barrier
	buffer_gl0_inv
	s_and_saveexec_b32 s4, s2
	s_cbranch_execz .LBB37_45
; %bb.44:                               ;   in Loop: Header=BB37_17 Depth=1
	v_dual_mov_b32 v2, s24 :: v_dual_mov_b32 v3, s25
	ds_store_b64 v13, v[2:3] offset:5120
.LBB37_45:                              ;   in Loop: Header=BB37_17 Depth=1
	s_or_b32 exec_lo, exec_lo, s4
	s_mov_b32 s4, -1
	s_waitcnt lgkmcnt(0)
	s_barrier
                                        ; implicit-def: $sgpr68_sgpr69
.LBB37_46:                              ;   in Loop: Header=BB37_17 Depth=1
	s_and_b32 vcc_lo, exec_lo, s4
	s_cbranch_vccz .LBB37_48
; %bb.47:                               ;   in Loop: Header=BB37_17 Depth=1
	buffer_gl0_inv
	ds_load_b64 v[2:3], v13 offset:5120
	s_waitcnt lgkmcnt(0)
	v_readfirstlane_b32 s68, v2
.LBB37_48:                              ;   in Loop: Header=BB37_17 Depth=1
	s_delay_alu instid0(VALU_DEP_1)
	s_cmp_lt_i32 s68, 1
	s_cbranch_scc0 .LBB37_63
; %bb.49:                               ;   in Loop: Header=BB37_17 Depth=1
	global_load_u16 v4, v13, s[62:63]
	s_mov_b32 s5, s25
	s_waitcnt vmcnt(0)
	v_readfirstlane_b32 s4, v4
	s_delay_alu instid0(VALU_DEP_1)
	s_and_b32 s6, 0xffff, s4
	s_mov_b32 s4, s55
	s_lshl_b32 s54, s6, 2
	s_cmp_lg_u64 s[4:5], 0
	s_cbranch_scc0 .LBB37_83
; %bb.50:                               ;   in Loop: Header=BB37_17 Depth=1
	v_cvt_f32_u32_e32 v2, s54
	s_sub_u32 s6, 0, s54
	s_subb_u32 s7, 0, 0
	s_delay_alu instid0(VALU_DEP_1) | instskip(NEXT) | instid1(VALU_DEP_1)
	v_fmac_f32_e32 v2, 0x4f800000, v41
	v_rcp_f32_e32 v2, v2
	s_waitcnt_depctr 0xfff
	v_mul_f32_e32 v2, 0x5f7ffffc, v2
	s_delay_alu instid0(VALU_DEP_1) | instskip(NEXT) | instid1(VALU_DEP_1)
	v_mul_f32_e32 v3, 0x2f800000, v2
	v_trunc_f32_e32 v3, v3
	s_delay_alu instid0(VALU_DEP_1) | instskip(SKIP_1) | instid1(VALU_DEP_2)
	v_fmac_f32_e32 v2, 0xcf800000, v3
	v_cvt_u32_f32_e32 v3, v3
	v_cvt_u32_f32_e32 v2, v2
	s_delay_alu instid0(VALU_DEP_2) | instskip(NEXT) | instid1(VALU_DEP_2)
	v_readfirstlane_b32 s4, v3
	v_readfirstlane_b32 s5, v2
	s_delay_alu instid0(VALU_DEP_2) | instskip(NEXT) | instid1(VALU_DEP_1)
	s_mul_i32 s8, s6, s4
	s_mul_hi_u32 s10, s6, s5
	s_mul_i32 s9, s7, s5
	s_add_i32 s8, s10, s8
	s_mul_i32 s11, s6, s5
	s_add_i32 s8, s8, s9
	s_mul_hi_u32 s10, s5, s11
	s_mul_hi_u32 s12, s4, s11
	s_mul_i32 s9, s4, s11
	s_mul_hi_u32 s11, s5, s8
	s_mul_i32 s5, s5, s8
	s_mul_hi_u32 s13, s4, s8
	s_add_u32 s5, s10, s5
	s_addc_u32 s10, 0, s11
	s_add_u32 s5, s5, s9
	s_mul_i32 s8, s4, s8
	s_addc_u32 s5, s10, s12
	s_addc_u32 s9, s13, 0
	s_add_u32 s5, s5, s8
	s_addc_u32 s8, 0, s9
	v_add_co_u32 v2, s5, v2, s5
	s_delay_alu instid0(VALU_DEP_1) | instskip(SKIP_1) | instid1(VALU_DEP_1)
	s_cmp_lg_u32 s5, 0
	s_addc_u32 s4, s4, s8
	v_readfirstlane_b32 s5, v2
	s_mul_i32 s8, s6, s4
	s_delay_alu instid0(VALU_DEP_1)
	s_mul_hi_u32 s9, s6, s5
	s_mul_i32 s7, s7, s5
	s_add_i32 s8, s9, s8
	s_mul_i32 s6, s6, s5
	s_add_i32 s8, s8, s7
	s_mul_hi_u32 s9, s4, s6
	s_mul_i32 s10, s4, s6
	s_mul_hi_u32 s6, s5, s6
	s_mul_hi_u32 s11, s5, s8
	s_mul_i32 s5, s5, s8
	s_mul_hi_u32 s7, s4, s8
	s_add_u32 s5, s6, s5
	s_addc_u32 s6, 0, s11
	s_add_u32 s5, s5, s10
	s_mul_i32 s8, s4, s8
	s_addc_u32 s5, s6, s9
	s_addc_u32 s6, s7, 0
	s_add_u32 s5, s5, s8
	s_addc_u32 s6, 0, s6
	v_add_co_u32 v2, s5, v2, s5
	s_delay_alu instid0(VALU_DEP_1) | instskip(SKIP_2) | instid1(VALU_DEP_1)
	s_cmp_lg_u32 s5, 0
	s_addc_u32 s8, s4, s6
	s_ashr_i32 s6, s25, 31
	v_readfirstlane_b32 s9, v2
	s_add_u32 s4, s24, s6
	s_mov_b32 s7, s6
	s_addc_u32 s5, s25, s6
	s_delay_alu instid0(SALU_CYCLE_1) | instskip(NEXT) | instid1(SALU_CYCLE_1)
	s_xor_b64 s[4:5], s[4:5], s[6:7]
	s_mul_i32 s10, s4, s8
	s_mul_hi_u32 s11, s4, s9
	s_mul_hi_u32 s7, s4, s8
	;; [unrolled: 1-line block ×3, first 2 shown]
	s_mul_i32 s9, s5, s9
	s_add_u32 s10, s11, s10
	s_addc_u32 s7, 0, s7
	s_mul_hi_u32 s12, s5, s8
	s_add_u32 s9, s10, s9
	s_mul_i32 s8, s5, s8
	s_addc_u32 s7, s7, s13
	s_addc_u32 s9, s12, 0
	s_add_u32 s7, s7, s8
	s_addc_u32 s8, 0, s9
	s_mul_hi_u32 s9, s54, s7
	s_mul_i32 s7, s54, s7
	s_mul_i32 s8, s54, s8
	v_sub_co_u32 v2, s4, s4, s7
	s_add_i32 s9, s9, s8
	s_cmp_lg_u32 s4, 0
	s_delay_alu instid0(VALU_DEP_1) | instskip(SKIP_2) | instid1(VALU_DEP_1)
	v_sub_co_u32 v3, s4, v2, s54
	s_subb_u32 s5, s5, s9
	s_cmp_lg_u32 s4, 0
	v_cmp_le_u32_e32 vcc_lo, s54, v3
	v_sub_co_u32 v5, s4, v3, s54
	s_subb_u32 s7, s5, 0
	s_cmp_lg_u32 s4, 0
	v_cndmask_b32_e64 v6, 0, -1, vcc_lo
	s_subb_u32 s4, s7, 0
	s_cmp_eq_u32 s7, 0
	v_mov_b32_e32 v8, s4
	s_cselect_b32 vcc_lo, -1, 0
	s_cmp_eq_u32 s5, 0
	v_cndmask_b32_e32 v6, -1, v6, vcc_lo
	v_cmp_le_u32_e32 vcc_lo, s54, v2
	s_cselect_b32 s4, -1, 0
	v_cndmask_b32_e64 v7, 0, -1, vcc_lo
	s_delay_alu instid0(VALU_DEP_3) | instskip(NEXT) | instid1(VALU_DEP_2)
	v_cmp_ne_u32_e32 vcc_lo, 0, v6
	v_cndmask_b32_e64 v6, -1, v7, s4
	v_cndmask_b32_e32 v7, s7, v8, vcc_lo
	v_cndmask_b32_e32 v3, v3, v5, vcc_lo
	s_delay_alu instid0(VALU_DEP_3) | instskip(NEXT) | instid1(VALU_DEP_2)
	v_cmp_ne_u32_e32 vcc_lo, 0, v6
	v_cndmask_b32_e32 v2, v2, v3, vcc_lo
	s_delay_alu instid0(VALU_DEP_4) | instskip(NEXT) | instid1(VALU_DEP_2)
	v_cndmask_b32_e32 v5, s5, v7, vcc_lo
	v_xor_b32_e32 v2, s6, v2
	s_delay_alu instid0(VALU_DEP_2) | instskip(NEXT) | instid1(VALU_DEP_2)
	v_xor_b32_e32 v3, s6, v5
	v_sub_co_u32 v23, vcc_lo, v2, s6
	s_delay_alu instid0(VALU_DEP_2)
	v_subrev_co_ci_u32_e32 v24, vcc_lo, s6, v3, vcc_lo
	s_cbranch_execnz .LBB37_52
.LBB37_51:                              ;   in Loop: Header=BB37_17 Depth=1
	v_cvt_f32_u32_e32 v2, s54
	s_sub_i32 s4, 0, s54
	s_delay_alu instid0(VALU_DEP_1) | instskip(SKIP_2) | instid1(VALU_DEP_1)
	v_rcp_iflag_f32_e32 v2, v2
	s_waitcnt_depctr 0xfff
	v_mul_f32_e32 v2, 0x4f7ffffe, v2
	v_cvt_u32_f32_e32 v2, v2
	s_delay_alu instid0(VALU_DEP_1) | instskip(NEXT) | instid1(VALU_DEP_1)
	v_mul_lo_u32 v3, s4, v2
	v_mul_hi_u32 v3, v2, v3
	s_delay_alu instid0(VALU_DEP_1) | instskip(NEXT) | instid1(VALU_DEP_1)
	v_add_nc_u32_e32 v2, v2, v3
	v_mul_hi_u32 v2, s24, v2
	s_delay_alu instid0(VALU_DEP_1) | instskip(NEXT) | instid1(VALU_DEP_1)
	v_mul_lo_u32 v2, v2, s54
	v_sub_nc_u32_e32 v2, s24, v2
	s_delay_alu instid0(VALU_DEP_1) | instskip(SKIP_1) | instid1(VALU_DEP_2)
	v_subrev_nc_u32_e32 v3, s54, v2
	v_cmp_le_u32_e32 vcc_lo, s54, v2
	v_cndmask_b32_e32 v2, v2, v3, vcc_lo
	s_delay_alu instid0(VALU_DEP_1) | instskip(SKIP_1) | instid1(VALU_DEP_2)
	v_subrev_nc_u32_e32 v3, s54, v2
	v_cmp_le_u32_e32 vcc_lo, s54, v2
	v_cndmask_b32_e32 v12, v2, v3, vcc_lo
	s_delay_alu instid0(VALU_DEP_1)
	v_dual_mov_b32 v24, v13 :: v_dual_mov_b32 v23, v12
.LBB37_52:                              ;   in Loop: Header=BB37_17 Depth=1
	v_mov_b32_e32 v2, 0
	v_dual_mov_b32 v3, 0 :: v_dual_and_b32 v12, 0xffff, v4
	s_delay_alu instid0(VALU_DEP_3) | instskip(NEXT) | instid1(VALU_DEP_4)
	v_sub_co_u32 v25, vcc_lo, s24, v23
	v_sub_co_ci_u32_e32 v26, vcc_lo, s25, v24, vcc_lo
	s_delay_alu instid0(VALU_DEP_3)
	v_dual_mov_b32 v5, v3 :: v_dual_mov_b32 v4, v2
	v_dual_mov_b32 v7, v3 :: v_dual_mov_b32 v6, v2
	;; [unrolled: 1-line block ×3, first 2 shown]
	s_mov_b64 s[70:71], 0
	s_mov_b32 s60, exec_lo
	v_cmpx_gt_i64_e64 v[25:26], v[14:15]
	s_cbranch_execz .LBB37_56
; %bb.53:                               ;   in Loop: Header=BB37_17 Depth=1
	v_mul_lo_u32 v2, s67, v12
	v_mul_hi_u32 v3, s66, v12
	v_mul_lo_u32 v43, s66, v12
	v_dual_mov_b32 v30, v15 :: v_dual_mov_b32 v27, s58
	v_mov_b32_e32 v28, s59
	s_and_b32 s69, s92, 0xfe
	s_mov_b32 s99, 0
	s_delay_alu instid0(VALU_DEP_4)
	v_dual_mov_b32 v29, v14 :: v_dual_add_nc_u32 v44, v3, v2
	s_mov_b64 s[72:73], 0
	s_mov_b64 s[74:75], 0
	;; [unrolled: 1-line block ×3, first 2 shown]
.LBB37_54:                              ;   Parent Loop BB37_17 Depth=1
                                        ; =>  This Inner Loop Header: Depth=2
	v_add_co_u32 v2, vcc_lo, v27, v21
	v_add_co_ci_u32_e32 v3, vcc_lo, v28, v22, vcc_lo
	v_add_co_u32 v4, vcc_lo, v27, v20
	v_add_co_ci_u32_e32 v5, vcc_lo, v28, v37, vcc_lo
	;; [unrolled: 2-line block ×4, first 2 shown]
	s_clause 0x3
	global_load_i16 v2, v[2:3], off
	global_load_i16 v3, v[4:5], off
	;; [unrolled: 1-line block ×4, first 2 shown]
	v_add_co_u32 v29, vcc_lo, v29, s54
	v_add_co_ci_u32_e32 v30, vcc_lo, 0, v30, vcc_lo
	v_add_co_u32 v27, vcc_lo, v27, v43
	v_add_co_ci_u32_e32 v28, vcc_lo, v28, v44, vcc_lo
	s_delay_alu instid0(VALU_DEP_3)
	v_cmp_ge_i64_e32 vcc_lo, v[29:30], v[25:26]
	s_waitcnt vmcnt(3)
	v_add_nc_u32_e32 v2, 0x8000, v2
	s_waitcnt vmcnt(2)
	v_add_nc_u32_e32 v3, 0x8000, v3
	;; [unrolled: 2-line block ×4, first 2 shown]
	v_and_b32_e32 v6, s97, v2
	v_bfe_u32 v2, v2, s69, 2
	v_and_b32_e32 v7, s97, v3
	v_bfe_u32 v3, v3, s69, 2
	;; [unrolled: 2-line block ×3, first 2 shown]
	v_cmp_eq_u32_e64 s4, s98, v6
	v_cmp_eq_u32_e64 s8, 0, v2
	v_and_b32_e32 v9, s97, v5
	v_bfe_u32 v5, v5, s69, 2
	v_cmp_eq_u32_e64 s5, s98, v7
	v_cmp_eq_u32_e64 s9, 0, v3
	;; [unrolled: 1-line block ×4, first 2 shown]
	s_and_b32 s8, s4, s8
	v_cmp_eq_u32_e64 s7, s98, v9
	v_cmp_eq_u32_e64 s11, 0, v5
	;; [unrolled: 1-line block ×5, first 2 shown]
	v_cndmask_b32_e64 v2, 0, 1, s8
	s_and_b32 s8, s5, s9
	v_cmp_eq_u32_e64 s13, 1, v3
	v_cmp_eq_u32_e64 s17, 2, v3
	v_cmp_eq_u32_e64 s21, 3, v3
	v_cndmask_b32_e64 v3, 0, 1, s8
	s_and_b32 s8, s6, s10
	v_cmp_eq_u32_e64 s14, 1, v4
	v_cmp_eq_u32_e64 s18, 2, v4
	v_cmp_eq_u32_e64 s22, 3, v4
	;; [unrolled: 5-line block ×3, first 2 shown]
	v_cndmask_b32_e64 v5, 0, 1, s8
	v_cmp_ne_u32_e64 s8, 0, v2
	v_cmp_ne_u32_e64 s9, 0, v3
	;; [unrolled: 1-line block ×3, first 2 shown]
	s_delay_alu instid0(VALU_DEP_4) | instskip(NEXT) | instid1(VALU_DEP_4)
	v_cmp_ne_u32_e64 s11, 0, v5
	s_bcnt1_i32_b32 s8, s8
	s_delay_alu instid0(VALU_DEP_3) | instskip(NEXT) | instid1(VALU_DEP_2)
	s_bcnt1_i32_b32 s9, s9
	s_bcnt1_i32_b32 s10, s10
	s_add_i32 s8, s9, s8
	s_bcnt1_i32_b32 s11, s11
	s_add_i32 s8, s8, s10
	s_delay_alu instid0(SALU_CYCLE_1) | instskip(NEXT) | instid1(SALU_CYCLE_1)
	s_add_i32 s8, s8, s11
	s_add_u32 s76, s76, s8
	s_addc_u32 s77, s77, 0
	s_and_b32 s8, s4, s12
	s_delay_alu instid0(SALU_CYCLE_1) | instskip(SKIP_1) | instid1(SALU_CYCLE_1)
	v_cndmask_b32_e64 v2, 0, 1, s8
	s_and_b32 s8, s5, s13
	v_cndmask_b32_e64 v3, 0, 1, s8
	s_and_b32 s8, s6, s14
	s_delay_alu instid0(SALU_CYCLE_1) | instskip(SKIP_1) | instid1(VALU_DEP_2)
	v_cndmask_b32_e64 v4, 0, 1, s8
	s_and_b32 s8, s7, s15
	v_cmp_ne_u32_e64 s9, 0, v3
	v_cndmask_b32_e64 v5, 0, 1, s8
	v_cmp_ne_u32_e64 s8, 0, v2
	v_cmp_ne_u32_e64 s10, 0, v4
	s_delay_alu instid0(VALU_DEP_4) | instskip(NEXT) | instid1(VALU_DEP_3)
	s_bcnt1_i32_b32 s9, s9
	v_cmp_ne_u32_e64 s11, 0, v5
	s_delay_alu instid0(VALU_DEP_3) | instskip(NEXT) | instid1(VALU_DEP_2)
	s_bcnt1_i32_b32 s8, s8
	s_bcnt1_i32_b32 s10, s10
	s_add_i32 s8, s9, s8
	s_delay_alu instid0(VALU_DEP_1) | instskip(SKIP_1) | instid1(SALU_CYCLE_1)
	s_bcnt1_i32_b32 s11, s11
	s_add_i32 s8, s8, s10
	s_add_i32 s8, s8, s11
	s_delay_alu instid0(SALU_CYCLE_1) | instskip(SKIP_2) | instid1(SALU_CYCLE_1)
	s_add_u32 s74, s74, s8
	s_addc_u32 s75, s75, 0
	s_and_b32 s8, s4, s16
	v_cndmask_b32_e64 v2, 0, 1, s8
	s_and_b32 s8, s5, s17
	s_delay_alu instid0(SALU_CYCLE_1) | instskip(SKIP_1) | instid1(SALU_CYCLE_1)
	v_cndmask_b32_e64 v3, 0, 1, s8
	s_and_b32 s8, s6, s18
	v_cndmask_b32_e64 v4, 0, 1, s8
	s_and_b32 s8, s7, s19
	s_delay_alu instid0(VALU_DEP_2) | instskip(SKIP_3) | instid1(VALU_DEP_4)
	v_cmp_ne_u32_e64 s9, 0, v3
	v_cndmask_b32_e64 v5, 0, 1, s8
	v_cmp_ne_u32_e64 s8, 0, v2
	v_cmp_ne_u32_e64 s10, 0, v4
	s_bcnt1_i32_b32 s9, s9
	s_delay_alu instid0(VALU_DEP_3) | instskip(NEXT) | instid1(VALU_DEP_3)
	v_cmp_ne_u32_e64 s11, 0, v5
	s_bcnt1_i32_b32 s8, s8
	s_delay_alu instid0(VALU_DEP_2) | instskip(SKIP_1) | instid1(VALU_DEP_1)
	s_bcnt1_i32_b32 s10, s10
	s_add_i32 s8, s9, s8
	s_bcnt1_i32_b32 s11, s11
	s_add_i32 s8, s8, s10
	s_delay_alu instid0(SALU_CYCLE_1) | instskip(NEXT) | instid1(SALU_CYCLE_1)
	s_add_i32 s8, s8, s11
	s_add_u32 s72, s72, s8
	s_addc_u32 s73, s73, 0
	v_mov_b32_e32 v6, s72
	s_and_b32 s4, s4, s20
	v_mov_b32_e32 v7, s73
	v_cndmask_b32_e64 v2, 0, 1, s4
	s_and_b32 s4, s5, s21
	s_delay_alu instid0(SALU_CYCLE_1) | instskip(SKIP_1) | instid1(SALU_CYCLE_1)
	v_cndmask_b32_e64 v3, 0, 1, s4
	s_and_b32 s4, s6, s22
	v_cndmask_b32_e64 v4, 0, 1, s4
	s_and_b32 s4, s7, s23
	s_delay_alu instid0(VALU_DEP_2)
	v_cmp_ne_u32_e64 s5, 0, v3
	v_cndmask_b32_e64 v5, 0, 1, s4
	v_cmp_ne_u32_e64 s4, 0, v2
	v_cmp_ne_u32_e64 s6, 0, v4
	v_mov_b32_e32 v2, s76
	s_bcnt1_i32_b32 s5, s5
	v_cmp_ne_u32_e64 s7, 0, v5
	s_bcnt1_i32_b32 s4, s4
	s_bcnt1_i32_b32 s6, s6
	s_add_i32 s4, s5, s4
	v_mov_b32_e32 v4, s74
	s_bcnt1_i32_b32 s5, s7
	s_add_i32 s4, s4, s6
	v_mov_b32_e32 v3, s77
	s_add_i32 s4, s4, s5
	v_mov_b32_e32 v5, s75
	s_add_u32 s70, s70, s4
	s_addc_u32 s71, s71, 0
	s_delay_alu instid0(SALU_CYCLE_1) | instskip(SKIP_1) | instid1(SALU_CYCLE_1)
	v_dual_mov_b32 v8, s70 :: v_dual_mov_b32 v9, s71
	s_or_b32 s99, vcc_lo, s99
	s_and_not1_b32 exec_lo, exec_lo, s99
	s_cbranch_execnz .LBB37_54
; %bb.55:                               ;   in Loop: Header=BB37_17 Depth=1
	s_or_b32 exec_lo, exec_lo, s99
.LBB37_56:                              ;   in Loop: Header=BB37_17 Depth=1
	s_delay_alu instid0(SALU_CYCLE_1) | instskip(SKIP_3) | instid1(VALU_DEP_2)
	s_or_b32 exec_lo, exec_lo, s60
	v_add_co_u32 v25, vcc_lo, v25, v0
	v_add_co_ci_u32_e32 v26, vcc_lo, 0, v26, vcc_lo
	v_mov_b32_e32 v29, 0
	v_cmp_gt_i64_e32 vcc_lo, s[24:25], v[25:26]
	s_and_saveexec_b32 s5, vcc_lo
	s_cbranch_execz .LBB37_58
; %bb.57:                               ;   in Loop: Header=BB37_17 Depth=1
	v_mul_lo_u32 v29, v26, s30
	v_mul_lo_u32 v30, v25, s31
	v_mad_u64_u32 v[27:28], null, v25, s30, 0
	s_delay_alu instid0(VALU_DEP_1) | instskip(NEXT) | instid1(VALU_DEP_1)
	v_add3_u32 v28, v28, v30, v29
	v_lshlrev_b64 v[27:28], 1, v[27:28]
	s_delay_alu instid0(VALU_DEP_1) | instskip(NEXT) | instid1(VALU_DEP_1)
	v_add_co_u32 v27, s4, s58, v27
	v_add_co_ci_u32_e64 v28, s4, s59, v28, s4
	global_load_u16 v29, v[27:28], off
.LBB37_58:                              ;   in Loop: Header=BB37_17 Depth=1
	s_or_b32 exec_lo, exec_lo, s5
	s_and_saveexec_b32 s8, vcc_lo
	s_cbranch_execz .LBB37_65
; %bb.59:                               ;   in Loop: Header=BB37_17 Depth=1
	v_add_co_u32 v27, vcc_lo, v38, v12
	v_add_co_ci_u32_e32 v28, vcc_lo, 0, v39, vcc_lo
	v_mul_lo_u32 v43, s65, v12
	s_delay_alu instid0(VALU_DEP_3) | instskip(NEXT) | instid1(VALU_DEP_3)
	v_sub_co_u32 v27, vcc_lo, v27, v23
	v_sub_co_ci_u32_e32 v23, vcc_lo, v28, v24, vcc_lo
	v_mul_hi_u32 v44, s64, v12
	s_delay_alu instid0(VALU_DEP_3) | instskip(SKIP_1) | instid1(VALU_DEP_3)
	v_mul_lo_u32 v30, s65, v27
	s_and_b32 s10, s92, 0xfe
	v_mul_lo_u32 v28, s64, v23
	v_mad_u64_u32 v[23:24], null, s64, v27, s[58:59]
	v_mul_lo_u32 v27, s64, v12
	s_mov_b32 s9, 0
	s_delay_alu instid0(VALU_DEP_2)
	v_add3_u32 v24, v30, v24, v28
	v_add_nc_u32_e32 v28, v44, v43
	s_branch .LBB37_61
.LBB37_60:                              ;   in Loop: Header=BB37_61 Depth=2
	s_or_b32 exec_lo, exec_lo, s5
	s_waitcnt vmcnt(0)
	v_bfe_i32 v29, v29, 0, 16
	s_and_b32 s6, exec_lo, vcc_lo
	s_delay_alu instid0(SALU_CYCLE_1) | instskip(NEXT) | instid1(VALU_DEP_1)
	s_or_b32 s9, s6, s9
	v_add_nc_u32_e32 v29, 0x8000, v29
	s_delay_alu instid0(VALU_DEP_1) | instskip(SKIP_1) | instid1(VALU_DEP_2)
	v_and_b32_e32 v43, s97, v29
	v_bfe_u32 v29, v29, s10, 2
	v_cmp_eq_u32_e64 s4, s98, v43
	s_delay_alu instid0(VALU_DEP_2) | instskip(SKIP_2) | instid1(VALU_DEP_3)
	v_cmp_eq_u32_e64 s5, 0, v29
	v_cmp_eq_u32_e32 vcc_lo, 1, v29
	v_cmp_eq_u32_e64 s6, 2, v29
	s_and_b32 s5, s4, s5
	s_delay_alu instid0(SALU_CYCLE_1) | instskip(SKIP_4) | instid1(SALU_CYCLE_1)
	v_cndmask_b32_e64 v43, 0, 1, s5
	s_and_b32 s5, s4, vcc_lo
	v_cmp_eq_u32_e32 vcc_lo, 3, v29
	v_cndmask_b32_e64 v44, 0, 1, s5
	s_and_b32 s5, s4, s6
	v_cndmask_b32_e64 v45, 0, 1, s5
	v_cmp_ne_u32_e64 s5, 0, v43
	s_delay_alu instid0(VALU_DEP_3) | instskip(SKIP_1) | instid1(SALU_CYCLE_1)
	v_cmp_ne_u32_e64 s6, 0, v44
	s_and_b32 s4, s4, vcc_lo
	v_cndmask_b32_e64 v29, 0, 1, s4
	s_delay_alu instid0(VALU_DEP_3)
	s_bcnt1_i32_b32 s4, s5
	v_cmp_ne_u32_e64 s7, 0, v45
	v_add_co_u32 v2, vcc_lo, v2, s4
	s_bcnt1_i32_b32 s5, s6
	v_add_co_ci_u32_e32 v3, vcc_lo, 0, v3, vcc_lo
	v_add_co_u32 v4, vcc_lo, v4, s5
	v_add_co_ci_u32_e32 v5, vcc_lo, 0, v5, vcc_lo
	s_bcnt1_i32_b32 s6, s7
	v_cmp_ne_u32_e32 vcc_lo, 0, v29
	v_add_co_u32 v6, s4, v6, s6
	s_delay_alu instid0(VALU_DEP_1)
	v_add_co_ci_u32_e64 v7, s4, 0, v7, s4
	s_bcnt1_i32_b32 s4, vcc_lo
	v_mov_b32_e32 v29, v30
	v_add_co_u32 v8, vcc_lo, v8, s4
	v_add_co_ci_u32_e32 v9, vcc_lo, 0, v9, vcc_lo
	v_add_co_u32 v23, vcc_lo, v23, v27
	v_add_co_ci_u32_e32 v24, vcc_lo, v24, v28, vcc_lo
	s_and_not1_b32 exec_lo, exec_lo, s9
	s_cbranch_execz .LBB37_64
.LBB37_61:                              ;   Parent Loop BB37_17 Depth=1
                                        ; =>  This Inner Loop Header: Depth=2
	v_add_co_u32 v25, vcc_lo, v25, v12
	v_add_co_ci_u32_e32 v26, vcc_lo, 0, v26, vcc_lo
	v_mov_b32_e32 v30, 0
	s_mov_b32 s5, exec_lo
	s_delay_alu instid0(VALU_DEP_2)
	v_cmp_le_i64_e32 vcc_lo, s[24:25], v[25:26]
	v_cmpx_gt_i64_e64 s[24:25], v[25:26]
	s_cbranch_execz .LBB37_60
; %bb.62:                               ;   in Loop: Header=BB37_61 Depth=2
	global_load_u16 v30, v[23:24], off
	s_branch .LBB37_60
.LBB37_63:                              ;   in Loop: Header=BB37_17 Depth=1
                                        ; implicit-def: $vgpr8_vgpr9
                                        ; implicit-def: $vgpr4_vgpr5
	s_cbranch_execnz .LBB37_66
	s_branch .LBB37_75
.LBB37_64:                              ;   in Loop: Header=BB37_17 Depth=1
	s_or_b32 exec_lo, exec_lo, s9
.LBB37_65:                              ;   in Loop: Header=BB37_17 Depth=1
	s_delay_alu instid0(SALU_CYCLE_1)
	s_or_b32 exec_lo, exec_lo, s8
	s_branch .LBB37_75
.LBB37_66:                              ;   in Loop: Header=BB37_17 Depth=1
	global_load_u16 v8, v13, s[62:63]
	s_mov_b64 s[70:71], 0
	s_mov_b32 s69, exec_lo
	s_waitcnt vmcnt(0)
	v_readfirstlane_b32 s4, v8
	v_and_b32_e32 v25, 0xffff, v8
	s_delay_alu instid0(VALU_DEP_2) | instskip(NEXT) | instid1(SALU_CYCLE_1)
	s_and_b32 s4, 0xffff, s4
	s_lshl_b32 s60, s4, 2
	s_delay_alu instid0(SALU_CYCLE_1) | instskip(SKIP_1) | instid1(VALU_DEP_1)
	v_cvt_f32_u32_e32 v2, s60
	s_sub_i32 s5, 0, s60
	v_rcp_iflag_f32_e32 v2, v2
	s_waitcnt_depctr 0xfff
	v_mul_f32_e32 v2, 0x4f7ffffe, v2
	s_delay_alu instid0(VALU_DEP_1) | instskip(NEXT) | instid1(VALU_DEP_1)
	v_cvt_u32_f32_e32 v2, v2
	v_readfirstlane_b32 s4, v2
	v_mov_b32_e32 v2, 0
	v_mov_b32_e32 v3, 0
	s_delay_alu instid0(VALU_DEP_3) | instskip(NEXT) | instid1(VALU_DEP_1)
	s_mul_i32 s5, s5, s4
	v_dual_mov_b32 v5, v3 :: v_dual_mov_b32 v4, v2
	s_mul_hi_u32 s5, s4, s5
	v_dual_mov_b32 v7, v3 :: v_dual_mov_b32 v6, v2
	s_add_i32 s4, s4, s5
	v_dual_mov_b32 v9, v3 :: v_dual_mov_b32 v8, v2
	s_mul_hi_u32 s4, s68, s4
	s_delay_alu instid0(SALU_CYCLE_1) | instskip(NEXT) | instid1(SALU_CYCLE_1)
	s_mul_i32 s4, s4, s60
	s_sub_i32 s4, s68, s4
	s_delay_alu instid0(SALU_CYCLE_1) | instskip(SKIP_2) | instid1(SALU_CYCLE_1)
	s_sub_i32 s5, s4, s60
	s_cmp_ge_u32 s4, s60
	s_cselect_b32 s4, s5, s4
	s_sub_i32 s5, s4, s60
	s_cmp_ge_u32 s4, s60
	s_cselect_b32 s4, s5, s4
	s_delay_alu instid0(SALU_CYCLE_1) | instskip(NEXT) | instid1(SALU_CYCLE_1)
	s_sub_i32 s54, s68, s4
	v_cmpx_gt_u32_e64 s54, v14
	s_cbranch_execz .LBB37_70
; %bb.67:                               ;   in Loop: Header=BB37_17 Depth=1
	v_mov_b32_e32 v24, v15
	v_dual_mov_b32 v23, v14 :: v_dual_lshlrev_b32 v12, 3, v25
	v_mov_b32_e32 v26, v35
	s_and_b32 s99, s92, 0xfe
	s_mov_b32 s100, 0
	s_mov_b64 s[72:73], 0
	s_mov_b64 s[74:75], 0
	;; [unrolled: 1-line block ×3, first 2 shown]
.LBB37_68:                              ;   Parent Loop BB37_17 Depth=1
                                        ; =>  This Inner Loop Header: Depth=2
	ds_load_b64 v[2:3], v26
	v_add_co_u32 v23, vcc_lo, v23, s60
	v_add_co_ci_u32_e32 v24, vcc_lo, 0, v24, vcc_lo
	s_delay_alu instid0(VALU_DEP_1)
	v_cmp_le_u64_e32 vcc_lo, s[54:55], v[23:24]
	s_waitcnt lgkmcnt(0)
	v_bfe_i32 v4, v2, 0, 16
	v_ashrrev_i32_e32 v2, 16, v2
	v_bfe_i32 v5, v3, 0, 16
	v_ashrrev_i32_e32 v3, 16, v3
	s_delay_alu instid0(VALU_DEP_4) | instskip(NEXT) | instid1(VALU_DEP_4)
	v_add_nc_u32_e32 v4, 0x8000, v4
	v_add_nc_u32_e32 v2, 0x8000, v2
	s_delay_alu instid0(VALU_DEP_4) | instskip(NEXT) | instid1(VALU_DEP_4)
	v_add_nc_u32_e32 v5, 0x8000, v5
	v_add_nc_u32_e32 v3, 0x8000, v3
	s_delay_alu instid0(VALU_DEP_4)
	v_and_b32_e32 v6, s97, v4
	v_bfe_u32 v4, v4, s99, 2
	v_and_b32_e32 v7, s97, v2
	v_bfe_u32 v2, v2, s99, 2
	;; [unrolled: 2-line block ×3, first 2 shown]
	v_cmp_eq_u32_e64 s4, s98, v6
	v_cmp_eq_u32_e64 s8, 0, v4
	v_and_b32_e32 v9, s97, v3
	v_bfe_u32 v3, v3, s99, 2
	v_cmp_eq_u32_e64 s5, s98, v7
	v_cmp_eq_u32_e64 s9, 0, v2
	;; [unrolled: 1-line block ×4, first 2 shown]
	s_and_b32 s8, s4, s8
	v_cmp_eq_u32_e64 s7, s98, v9
	v_cmp_eq_u32_e64 s11, 0, v3
	;; [unrolled: 1-line block ×5, first 2 shown]
	v_cndmask_b32_e64 v2, 0, 1, s8
	s_and_b32 s8, s5, s9
	v_cmp_eq_u32_e64 s15, 1, v3
	v_cmp_eq_u32_e64 s19, 2, v3
	v_cmp_eq_u32_e64 s23, 3, v3
	v_cndmask_b32_e64 v3, 0, 1, s8
	s_and_b32 s8, s6, s10
	v_cmp_eq_u32_e64 s12, 1, v4
	v_cmp_eq_u32_e64 s16, 2, v4
	v_cmp_eq_u32_e64 s20, 3, v4
	;; [unrolled: 5-line block ×3, first 2 shown]
	v_cndmask_b32_e64 v5, 0, 1, s8
	v_cmp_ne_u32_e64 s8, 0, v2
	v_cmp_ne_u32_e64 s9, 0, v3
	;; [unrolled: 1-line block ×3, first 2 shown]
	s_delay_alu instid0(VALU_DEP_4) | instskip(NEXT) | instid1(VALU_DEP_4)
	v_cmp_ne_u32_e64 s11, 0, v5
	s_bcnt1_i32_b32 s8, s8
	s_delay_alu instid0(VALU_DEP_3) | instskip(NEXT) | instid1(VALU_DEP_2)
	s_bcnt1_i32_b32 s9, s9
	s_bcnt1_i32_b32 s10, s10
	s_add_i32 s8, s9, s8
	s_bcnt1_i32_b32 s11, s11
	s_add_i32 s8, s8, s10
	s_delay_alu instid0(SALU_CYCLE_1) | instskip(NEXT) | instid1(SALU_CYCLE_1)
	s_add_i32 s8, s8, s11
	s_add_u32 s76, s76, s8
	s_addc_u32 s77, s77, 0
	s_and_b32 s8, s4, s12
	v_add_nc_u32_e32 v26, v26, v12
	v_cndmask_b32_e64 v2, 0, 1, s8
	s_and_b32 s8, s5, s13
	s_delay_alu instid0(SALU_CYCLE_1) | instskip(SKIP_1) | instid1(SALU_CYCLE_1)
	v_cndmask_b32_e64 v3, 0, 1, s8
	s_and_b32 s8, s6, s14
	v_cndmask_b32_e64 v4, 0, 1, s8
	s_and_b32 s8, s7, s15
	s_delay_alu instid0(VALU_DEP_2) | instskip(SKIP_3) | instid1(VALU_DEP_4)
	v_cmp_ne_u32_e64 s9, 0, v3
	v_cndmask_b32_e64 v5, 0, 1, s8
	v_cmp_ne_u32_e64 s8, 0, v2
	v_cmp_ne_u32_e64 s10, 0, v4
	s_bcnt1_i32_b32 s9, s9
	s_delay_alu instid0(VALU_DEP_3) | instskip(NEXT) | instid1(VALU_DEP_3)
	v_cmp_ne_u32_e64 s11, 0, v5
	s_bcnt1_i32_b32 s8, s8
	s_delay_alu instid0(VALU_DEP_2) | instskip(SKIP_1) | instid1(VALU_DEP_1)
	s_bcnt1_i32_b32 s10, s10
	s_add_i32 s8, s9, s8
	s_bcnt1_i32_b32 s11, s11
	s_add_i32 s8, s8, s10
	s_delay_alu instid0(SALU_CYCLE_1) | instskip(NEXT) | instid1(SALU_CYCLE_1)
	s_add_i32 s8, s8, s11
	s_add_u32 s74, s74, s8
	s_addc_u32 s75, s75, 0
	s_and_b32 s8, s4, s16
	s_delay_alu instid0(SALU_CYCLE_1) | instskip(SKIP_1) | instid1(SALU_CYCLE_1)
	v_cndmask_b32_e64 v2, 0, 1, s8
	s_and_b32 s8, s5, s17
	v_cndmask_b32_e64 v3, 0, 1, s8
	s_and_b32 s8, s6, s18
	s_delay_alu instid0(SALU_CYCLE_1) | instskip(SKIP_1) | instid1(VALU_DEP_2)
	v_cndmask_b32_e64 v4, 0, 1, s8
	s_and_b32 s8, s7, s19
	v_cmp_ne_u32_e64 s9, 0, v3
	v_cndmask_b32_e64 v5, 0, 1, s8
	v_cmp_ne_u32_e64 s8, 0, v2
	v_cmp_ne_u32_e64 s10, 0, v4
	s_delay_alu instid0(VALU_DEP_4) | instskip(NEXT) | instid1(VALU_DEP_3)
	s_bcnt1_i32_b32 s9, s9
	v_cmp_ne_u32_e64 s11, 0, v5
	s_delay_alu instid0(VALU_DEP_3) | instskip(NEXT) | instid1(VALU_DEP_2)
	s_bcnt1_i32_b32 s8, s8
	s_bcnt1_i32_b32 s10, s10
	s_add_i32 s8, s9, s8
	s_delay_alu instid0(VALU_DEP_1) | instskip(SKIP_1) | instid1(SALU_CYCLE_1)
	s_bcnt1_i32_b32 s11, s11
	s_add_i32 s8, s8, s10
	s_add_i32 s8, s8, s11
	s_delay_alu instid0(SALU_CYCLE_1)
	s_add_u32 s72, s72, s8
	s_addc_u32 s73, s73, 0
	s_and_b32 s4, s4, s20
	v_mov_b32_e32 v6, s72
	v_cndmask_b32_e64 v2, 0, 1, s4
	s_and_b32 s4, s5, s21
	v_mov_b32_e32 v7, s73
	v_cndmask_b32_e64 v3, 0, 1, s4
	s_and_b32 s4, s6, s22
	s_delay_alu instid0(SALU_CYCLE_1) | instskip(SKIP_1) | instid1(VALU_DEP_2)
	v_cndmask_b32_e64 v4, 0, 1, s4
	s_and_b32 s4, s7, s23
	v_cmp_ne_u32_e64 s5, 0, v3
	v_cndmask_b32_e64 v5, 0, 1, s4
	v_cmp_ne_u32_e64 s4, 0, v2
	v_cmp_ne_u32_e64 s6, 0, v4
	v_dual_mov_b32 v2, s76 :: v_dual_mov_b32 v3, s77
	s_delay_alu instid0(VALU_DEP_4) | instskip(NEXT) | instid1(VALU_DEP_4)
	v_cmp_ne_u32_e64 s7, 0, v5
	s_bcnt1_i32_b32 s4, s4
	s_bcnt1_i32_b32 s5, s5
	;; [unrolled: 1-line block ×3, first 2 shown]
	s_add_i32 s4, s5, s4
	s_bcnt1_i32_b32 s5, s7
	s_add_i32 s4, s4, s6
	v_mov_b32_e32 v4, s74
	s_add_i32 s4, s4, s5
	v_mov_b32_e32 v5, s75
	s_add_u32 s70, s70, s4
	s_addc_u32 s71, s71, 0
	s_delay_alu instid0(SALU_CYCLE_1) | instskip(SKIP_1) | instid1(SALU_CYCLE_1)
	v_dual_mov_b32 v8, s70 :: v_dual_mov_b32 v9, s71
	s_or_b32 s100, vcc_lo, s100
	s_and_not1_b32 exec_lo, exec_lo, s100
	s_cbranch_execnz .LBB37_68
; %bb.69:                               ;   in Loop: Header=BB37_17 Depth=1
	s_or_b32 exec_lo, exec_lo, s100
.LBB37_70:                              ;   in Loop: Header=BB37_17 Depth=1
	s_delay_alu instid0(SALU_CYCLE_1) | instskip(SKIP_2) | instid1(VALU_DEP_1)
	s_or_b32 exec_lo, exec_lo, s69
	v_add_nc_u32_e32 v12, s54, v0
	s_mov_b32 s9, exec_lo
	v_cmpx_gt_u32_e64 s68, v12
	s_cbranch_execz .LBB37_74
; %bb.71:                               ;   in Loop: Header=BB37_17 Depth=1
	v_dual_mov_b32 v24, v13 :: v_dual_lshlrev_b32 v27, 1, v25
	v_dual_mov_b32 v23, v12 :: v_dual_lshlrev_b32 v26, 1, v12
	s_mov_b32 s11, 0
	s_and_b32 s10, s68, 0x7fffffff
	s_and_b32 s13, s92, 0xfe
	s_mov_b32 s12, s11
.LBB37_72:                              ;   Parent Loop BB37_17 Depth=1
                                        ; =>  This Inner Loop Header: Depth=2
	ds_load_i16 v12, v26
	v_add_co_u32 v23, vcc_lo, v23, v25
	v_add_co_ci_u32_e32 v24, vcc_lo, 0, v24, vcc_lo
	v_add_nc_u32_e32 v26, v26, v27
	s_delay_alu instid0(VALU_DEP_2) | instskip(SKIP_2) | instid1(VALU_DEP_1)
	v_cmp_le_u64_e32 vcc_lo, s[10:11], v[23:24]
	s_waitcnt lgkmcnt(0)
	v_add_nc_u32_e32 v12, 0x8000, v12
	v_and_b32_e32 v28, s97, v12
	v_bfe_u32 v12, v12, s13, 2
	s_delay_alu instid0(VALU_DEP_2) | instskip(NEXT) | instid1(VALU_DEP_2)
	v_cmp_eq_u32_e64 s4, s98, v28
	v_cmp_eq_u32_e64 s5, 0, v12
	;; [unrolled: 1-line block ×5, first 2 shown]
	s_delay_alu instid0(VALU_DEP_4) | instskip(NEXT) | instid1(SALU_CYCLE_1)
	s_and_b32 s5, s4, s5
	v_cndmask_b32_e64 v12, 0, 1, s5
	s_and_b32 s5, s4, s6
	s_delay_alu instid0(SALU_CYCLE_1)
	v_cndmask_b32_e64 v28, 0, 1, s5
	s_and_b32 s5, s4, s7
	s_and_b32 s4, s4, s8
	v_cndmask_b32_e64 v29, 0, 1, s5
	v_cndmask_b32_e64 v30, 0, 1, s4
	v_cmp_ne_u32_e64 s4, 0, v12
	v_cmp_ne_u32_e64 s5, 0, v28
	s_delay_alu instid0(VALU_DEP_4) | instskip(NEXT) | instid1(VALU_DEP_4)
	v_cmp_ne_u32_e64 s6, 0, v29
	v_cmp_ne_u32_e64 s7, 0, v30
	s_delay_alu instid0(VALU_DEP_4) | instskip(NEXT) | instid1(VALU_DEP_3)
	s_bcnt1_i32_b32 s4, s4
	s_bcnt1_i32_b32 s5, s5
	v_add_co_u32 v2, s4, v2, s4
	s_delay_alu instid0(VALU_DEP_1)
	v_add_co_ci_u32_e64 v3, s4, 0, v3, s4
	v_add_co_u32 v4, s4, v4, s5
	s_bcnt1_i32_b32 s6, s6
	v_add_co_ci_u32_e64 v5, s4, 0, v5, s4
	v_add_co_u32 v6, s4, v6, s6
	s_bcnt1_i32_b32 s7, s7
	v_add_co_ci_u32_e64 v7, s4, 0, v7, s4
	v_add_co_u32 v8, s4, v8, s7
	s_delay_alu instid0(VALU_DEP_1) | instskip(SKIP_1) | instid1(SALU_CYCLE_1)
	v_add_co_ci_u32_e64 v9, s4, 0, v9, s4
	s_or_b32 s12, vcc_lo, s12
	s_and_not1_b32 exec_lo, exec_lo, s12
	s_cbranch_execnz .LBB37_72
; %bb.73:                               ;   in Loop: Header=BB37_17 Depth=1
	s_or_b32 exec_lo, exec_lo, s12
.LBB37_74:                              ;   in Loop: Header=BB37_17 Depth=1
	s_delay_alu instid0(SALU_CYCLE_1)
	s_or_b32 exec_lo, exec_lo, s9
.LBB37_75:                              ;   in Loop: Header=BB37_17 Depth=1
	s_lshl_b32 s4, s93, 7
	s_and_saveexec_b32 s5, s1
	s_cbranch_execz .LBB37_77
; %bb.76:                               ;   in Loop: Header=BB37_17 Depth=1
	v_or_b32_e32 v12, s4, v34
	s_delay_alu instid0(VALU_DEP_1)
	v_lshlrev_b32_e32 v12, 3, v12
	ds_store_b128 v12, v[2:5] offset:3072
	ds_store_b128 v12, v[6:9] offset:3088
.LBB37_77:                              ;   in Loop: Header=BB37_17 Depth=1
	s_or_b32 exec_lo, exec_lo, s5
	s_waitcnt vmcnt(0) lgkmcnt(0)
	s_barrier
	buffer_gl0_inv
	s_and_saveexec_b32 s5, s35
	s_cbranch_execz .LBB37_88
; %bb.78:                               ;   in Loop: Header=BB37_17 Depth=1
	v_mov_b32_e32 v2, 0
	v_mov_b32_e32 v3, 0
	s_and_not1_b32 vcc_lo, exec_lo, s85
	s_cbranch_vccnz .LBB37_87
; %bb.79:                               ;   in Loop: Header=BB37_17 Depth=1
	v_mov_b32_e32 v2, 0
	v_mov_b32_e32 v3, 0
	s_and_not1_b32 vcc_lo, exec_lo, s83
	s_cbranch_vccnz .LBB37_84
; %bb.80:                               ;   in Loop: Header=BB37_17 Depth=1
	v_lshl_add_u32 v4, s93, 10, v40
	s_mov_b32 s6, 0
	s_set_inst_prefetch_distance 0x1
	.p2align	6
.LBB37_81:                              ;   Parent Loop BB37_17 Depth=1
                                        ; =>  This Inner Loop Header: Depth=2
	ds_load_2addr_b64 v[5:8], v4 offset1:4
	ds_load_2addr_b64 v[23:26], v4 offset0:8 offset1:12
	ds_load_2addr_b64 v[27:30], v4 offset0:16 offset1:20
	s_add_i32 s6, s6, 8
	s_delay_alu instid0(SALU_CYCLE_1) | instskip(SKIP_3) | instid1(VALU_DEP_2)
	s_cmp_eq_u32 s84, s6
	s_waitcnt lgkmcnt(2)
	v_add_co_u32 v2, vcc_lo, v5, v2
	v_add_co_ci_u32_e32 v3, vcc_lo, v6, v3, vcc_lo
	v_add_co_u32 v2, vcc_lo, v7, v2
	s_delay_alu instid0(VALU_DEP_2)
	v_add_co_ci_u32_e32 v3, vcc_lo, v8, v3, vcc_lo
	ds_load_2addr_b64 v[5:8], v4 offset0:24 offset1:28
	s_waitcnt lgkmcnt(2)
	v_add_co_u32 v2, vcc_lo, v23, v2
	v_add_co_ci_u32_e32 v3, vcc_lo, v24, v3, vcc_lo
	v_add_nc_u32_e32 v4, 0x100, v4
	s_delay_alu instid0(VALU_DEP_3) | instskip(NEXT) | instid1(VALU_DEP_3)
	v_add_co_u32 v2, vcc_lo, v25, v2
	v_add_co_ci_u32_e32 v3, vcc_lo, v26, v3, vcc_lo
	s_waitcnt lgkmcnt(1)
	s_delay_alu instid0(VALU_DEP_2) | instskip(NEXT) | instid1(VALU_DEP_2)
	v_add_co_u32 v2, vcc_lo, v27, v2
	v_add_co_ci_u32_e32 v3, vcc_lo, v28, v3, vcc_lo
	s_delay_alu instid0(VALU_DEP_2) | instskip(NEXT) | instid1(VALU_DEP_2)
	v_add_co_u32 v2, vcc_lo, v29, v2
	v_add_co_ci_u32_e32 v3, vcc_lo, v30, v3, vcc_lo
	s_waitcnt lgkmcnt(0)
	s_delay_alu instid0(VALU_DEP_2) | instskip(NEXT) | instid1(VALU_DEP_2)
	v_add_co_u32 v2, vcc_lo, v5, v2
	v_add_co_ci_u32_e32 v3, vcc_lo, v6, v3, vcc_lo
	s_delay_alu instid0(VALU_DEP_2) | instskip(NEXT) | instid1(VALU_DEP_2)
	v_add_co_u32 v2, vcc_lo, v7, v2
	v_add_co_ci_u32_e32 v3, vcc_lo, v8, v3, vcc_lo
	s_cbranch_scc0 .LBB37_81
; %bb.82:                               ;   in Loop: Header=BB37_17 Depth=1
	s_set_inst_prefetch_distance 0x2
	s_mov_b32 s6, s84
	s_and_not1_b32 vcc_lo, exec_lo, s86
	s_cbranch_vccz .LBB37_85
	s_branch .LBB37_87
.LBB37_83:                              ;   in Loop: Header=BB37_17 Depth=1
                                        ; implicit-def: $vgpr23_vgpr24
	s_branch .LBB37_51
.LBB37_84:                              ;   in Loop: Header=BB37_17 Depth=1
	s_mov_b32 s6, 0
	s_and_not1_b32 vcc_lo, exec_lo, s86
	s_cbranch_vccnz .LBB37_87
.LBB37_85:                              ;   in Loop: Header=BB37_17 Depth=1
	s_lshl_b32 s7, s93, 10
	s_lshl_b32 s6, s6, 5
	s_delay_alu instid0(SALU_CYCLE_1)
	v_add3_u32 v4, s7, s6, v40
	s_mov_b32 s6, s82
.LBB37_86:                              ;   Parent Loop BB37_17 Depth=1
                                        ; =>  This Inner Loop Header: Depth=2
	ds_load_b64 v[5:6], v4
	v_add_nc_u32_e32 v4, 32, v4
	s_add_i32 s6, s6, -1
	s_delay_alu instid0(SALU_CYCLE_1)
	s_cmp_lg_u32 s6, 0
	s_waitcnt lgkmcnt(0)
	v_add_co_u32 v2, vcc_lo, v5, v2
	v_add_co_ci_u32_e32 v3, vcc_lo, v6, v3, vcc_lo
	s_cbranch_scc1 .LBB37_86
.LBB37_87:                              ;   in Loop: Header=BB37_17 Depth=1
	v_add_lshl_u32 v4, s4, v31, 3
	ds_store_b64 v4, v[2:3] offset:3072
.LBB37_88:                              ;   in Loop: Header=BB37_17 Depth=1
	s_or_b32 exec_lo, exec_lo, s5
	s_lshl_b32 s4, s4, 3
	s_waitcnt lgkmcnt(0)
	v_mov_b32_e32 v6, s4
	s_barrier
	buffer_gl0_inv
	s_and_b32 s17, s92, 0xfe
	s_mov_b32 s19, -1
	ds_load_b128 v[2:5], v6 offset:3072
	ds_load_b128 v[6:9], v6 offset:3088
	s_lshl_b32 s16, 3, s17
	s_delay_alu instid0(SALU_CYCLE_1)
	s_not_b32 s18, s16
	s_waitcnt lgkmcnt(1)
	v_readfirstlane_b32 s13, v3
	v_readfirstlane_b32 s12, v2
	;; [unrolled: 1-line block ×4, first 2 shown]
	s_waitcnt lgkmcnt(0)
	v_readfirstlane_b32 s8, v6
	v_readfirstlane_b32 s9, v7
	s_cmp_eq_u64 s[12:13], 1
	v_readfirstlane_b32 s6, v8
	s_cselect_b32 s4, -1, 0
	s_cmp_eq_u64 s[26:27], 1
	v_readfirstlane_b32 s7, v9
	s_cselect_b32 s5, -1, 0
	s_delay_alu instid0(SALU_CYCLE_1) | instskip(NEXT) | instid1(SALU_CYCLE_1)
	s_and_b32 s20, s4, s5
	s_and_b32 vcc_lo, exec_lo, s20
	s_cbranch_vccz .LBB37_103
; %bb.89:                               ;   in Loop: Header=BB37_17 Depth=1
	ds_load_b64 v[2:3], v13 offset:5120
	s_waitcnt lgkmcnt(0)
	s_barrier
	buffer_gl0_inv
	v_readfirstlane_b32 s14, v2
	v_readfirstlane_b32 s15, v3
	s_and_saveexec_b32 s4, s3
	s_cbranch_execz .LBB37_91
; %bb.90:                               ;   in Loop: Header=BB37_17 Depth=1
	ds_store_b16 v33, v13
.LBB37_91:                              ;   in Loop: Header=BB37_17 Depth=1
	s_or_b32 exec_lo, exec_lo, s4
	s_delay_alu instid0(VALU_DEP_1)
	v_cmp_lt_i64_e64 s4, s[14:15], 1
	s_and_b32 s98, s98, s18
	s_or_b32 s97, s97, s16
	s_waitcnt lgkmcnt(0)
	s_barrier
	buffer_gl0_inv
	s_and_b32 vcc_lo, exec_lo, s4
	s_cbranch_vccz .LBB37_104
; %bb.92:                               ;   in Loop: Header=BB37_17 Depth=1
	s_mov_b32 s60, s55
	s_delay_alu instid0(SALU_CYCLE_1)
	s_cmp_lg_u64 s[60:61], 0
	s_cbranch_scc0 .LBB37_149
; %bb.93:                               ;   in Loop: Header=BB37_17 Depth=1
	v_cvt_f32_u32_e32 v2, s33
	s_sub_u32 s21, 0, s33
	s_subb_u32 s22, 0, 0
	s_delay_alu instid0(VALU_DEP_1) | instskip(NEXT) | instid1(VALU_DEP_1)
	v_fmac_f32_e32 v2, 0x4f800000, v41
	v_rcp_f32_e32 v2, v2
	s_waitcnt_depctr 0xfff
	v_mul_f32_e32 v2, 0x5f7ffffc, v2
	s_delay_alu instid0(VALU_DEP_1) | instskip(NEXT) | instid1(VALU_DEP_1)
	v_mul_f32_e32 v3, 0x2f800000, v2
	v_trunc_f32_e32 v3, v3
	s_delay_alu instid0(VALU_DEP_1) | instskip(SKIP_1) | instid1(VALU_DEP_2)
	v_fmac_f32_e32 v2, 0xcf800000, v3
	v_cvt_u32_f32_e32 v3, v3
	v_cvt_u32_f32_e32 v2, v2
	s_delay_alu instid0(VALU_DEP_2) | instskip(NEXT) | instid1(VALU_DEP_2)
	v_readfirstlane_b32 s4, v3
	v_readfirstlane_b32 s5, v2
	s_delay_alu instid0(VALU_DEP_2) | instskip(NEXT) | instid1(VALU_DEP_1)
	s_mul_i32 s23, s21, s4
	s_mul_hi_u32 s60, s21, s5
	s_mul_i32 s54, s22, s5
	s_add_i32 s23, s60, s23
	s_mul_i32 s68, s21, s5
	s_add_i32 s23, s23, s54
	s_mul_hi_u32 s60, s5, s68
	s_mul_hi_u32 s69, s4, s68
	s_mul_i32 s54, s4, s68
	s_mul_hi_u32 s68, s5, s23
	s_mul_i32 s5, s5, s23
	s_mul_hi_u32 s70, s4, s23
	s_add_u32 s5, s60, s5
	s_addc_u32 s60, 0, s68
	s_add_u32 s5, s5, s54
	s_mul_i32 s23, s4, s23
	s_addc_u32 s5, s60, s69
	s_addc_u32 s54, s70, 0
	s_add_u32 s5, s5, s23
	s_addc_u32 s23, 0, s54
	v_add_co_u32 v2, s5, v2, s5
	s_delay_alu instid0(VALU_DEP_1) | instskip(SKIP_1) | instid1(VALU_DEP_1)
	s_cmp_lg_u32 s5, 0
	s_addc_u32 s4, s4, s23
	v_readfirstlane_b32 s5, v2
	s_mul_i32 s23, s21, s4
	s_delay_alu instid0(VALU_DEP_1)
	s_mul_hi_u32 s54, s21, s5
	s_mul_i32 s22, s22, s5
	s_add_i32 s23, s54, s23
	s_mul_i32 s21, s21, s5
	s_add_i32 s23, s23, s22
	s_mul_hi_u32 s54, s4, s21
	s_mul_i32 s60, s4, s21
	s_mul_hi_u32 s21, s5, s21
	s_mul_hi_u32 s68, s5, s23
	s_mul_i32 s5, s5, s23
	s_mul_hi_u32 s22, s4, s23
	s_add_u32 s5, s21, s5
	s_addc_u32 s21, 0, s68
	s_add_u32 s5, s5, s60
	s_mul_i32 s23, s4, s23
	s_addc_u32 s5, s21, s54
	s_addc_u32 s21, s22, 0
	s_add_u32 s5, s5, s23
	s_addc_u32 s21, 0, s21
	v_add_co_u32 v2, s5, v2, s5
	s_delay_alu instid0(VALU_DEP_1) | instskip(SKIP_2) | instid1(VALU_DEP_1)
	s_cmp_lg_u32 s5, 0
	s_addc_u32 s21, s4, s21
	s_ashr_i32 s22, s61, 31
	v_readfirstlane_b32 s54, v2
	s_add_u32 s4, s81, s22
	s_mov_b32 s23, s22
	s_addc_u32 s5, s61, s22
	s_delay_alu instid0(SALU_CYCLE_1) | instskip(NEXT) | instid1(SALU_CYCLE_1)
	s_xor_b64 s[4:5], s[4:5], s[22:23]
	s_mul_i32 s60, s4, s21
	s_mul_hi_u32 s68, s4, s54
	s_mul_hi_u32 s23, s4, s21
	s_mul_hi_u32 s70, s5, s54
	s_mul_i32 s54, s5, s54
	s_add_u32 s60, s68, s60
	s_addc_u32 s23, 0, s23
	s_mul_hi_u32 s69, s5, s21
	s_add_u32 s54, s60, s54
	s_mul_i32 s21, s5, s21
	s_addc_u32 s23, s23, s70
	s_addc_u32 s54, s69, 0
	s_add_u32 s21, s23, s21
	s_addc_u32 s23, 0, s54
	s_mul_hi_u32 s54, s33, s21
	s_mul_i32 s21, s33, s21
	s_mul_i32 s23, s33, s23
	v_sub_co_u32 v2, s4, s4, s21
	s_add_i32 s54, s54, s23
	s_cmp_lg_u32 s4, 0
	s_delay_alu instid0(VALU_DEP_1) | instskip(SKIP_2) | instid1(VALU_DEP_1)
	v_sub_co_u32 v3, s4, v2, s33
	s_subb_u32 s5, s5, s54
	s_cmp_lg_u32 s4, 0
	v_cmp_le_u32_e32 vcc_lo, s33, v3
	v_sub_co_u32 v4, s4, v3, s33
	s_subb_u32 s21, s5, 0
	s_cmp_lg_u32 s4, 0
	v_cndmask_b32_e64 v5, 0, -1, vcc_lo
	s_subb_u32 s4, s21, 0
	s_cmp_eq_u32 s21, 0
	v_mov_b32_e32 v7, s4
	s_cselect_b32 vcc_lo, -1, 0
	s_cmp_eq_u32 s5, 0
	v_cndmask_b32_e32 v5, -1, v5, vcc_lo
	v_cmp_le_u32_e32 vcc_lo, s33, v2
	s_cselect_b32 s4, -1, 0
	v_cndmask_b32_e64 v6, 0, -1, vcc_lo
	s_delay_alu instid0(VALU_DEP_3) | instskip(NEXT) | instid1(VALU_DEP_2)
	v_cmp_ne_u32_e32 vcc_lo, 0, v5
	v_cndmask_b32_e64 v5, -1, v6, s4
	v_cndmask_b32_e32 v3, v3, v4, vcc_lo
	v_cndmask_b32_e32 v6, s21, v7, vcc_lo
	s_delay_alu instid0(VALU_DEP_3) | instskip(NEXT) | instid1(VALU_DEP_3)
	v_cmp_ne_u32_e32 vcc_lo, 0, v5
	v_cndmask_b32_e32 v2, v2, v3, vcc_lo
	s_delay_alu instid0(VALU_DEP_3) | instskip(NEXT) | instid1(VALU_DEP_2)
	v_cndmask_b32_e32 v4, s5, v6, vcc_lo
	v_xor_b32_e32 v2, s22, v2
	s_delay_alu instid0(VALU_DEP_2) | instskip(NEXT) | instid1(VALU_DEP_2)
	v_xor_b32_e32 v3, s22, v4
	v_sub_co_u32 v2, vcc_lo, v2, s22
	s_delay_alu instid0(VALU_DEP_2)
	v_subrev_co_ci_u32_e32 v3, vcc_lo, s22, v3, vcc_lo
	s_cbranch_execnz .LBB37_95
.LBB37_94:                              ;   in Loop: Header=BB37_17 Depth=1
	v_cvt_f32_u32_e32 v2, s33
	s_sub_i32 s4, 0, s33
	s_delay_alu instid0(VALU_DEP_1) | instskip(SKIP_2) | instid1(VALU_DEP_1)
	v_rcp_iflag_f32_e32 v2, v2
	s_waitcnt_depctr 0xfff
	v_mul_f32_e32 v2, 0x4f7ffffe, v2
	v_cvt_u32_f32_e32 v2, v2
	s_delay_alu instid0(VALU_DEP_1) | instskip(NEXT) | instid1(VALU_DEP_1)
	v_mul_lo_u32 v3, s4, v2
	v_mul_hi_u32 v3, v2, v3
	s_delay_alu instid0(VALU_DEP_1) | instskip(NEXT) | instid1(VALU_DEP_1)
	v_add_nc_u32_e32 v2, v2, v3
	v_mul_hi_u32 v2, s81, v2
	s_delay_alu instid0(VALU_DEP_1) | instskip(NEXT) | instid1(VALU_DEP_1)
	v_mul_lo_u32 v2, v2, s33
	v_sub_nc_u32_e32 v2, s81, v2
	s_delay_alu instid0(VALU_DEP_1) | instskip(SKIP_1) | instid1(VALU_DEP_2)
	v_subrev_nc_u32_e32 v3, s33, v2
	v_cmp_le_u32_e32 vcc_lo, s33, v2
	v_cndmask_b32_e32 v2, v2, v3, vcc_lo
	s_delay_alu instid0(VALU_DEP_1) | instskip(SKIP_1) | instid1(VALU_DEP_2)
	v_subrev_nc_u32_e32 v3, s33, v2
	v_cmp_le_u32_e32 vcc_lo, s33, v2
	v_cndmask_b32_e32 v12, v2, v3, vcc_lo
	s_delay_alu instid0(VALU_DEP_1)
	v_dual_mov_b32 v2, v12 :: v_dual_mov_b32 v3, v13
.LBB37_95:                              ;   in Loop: Header=BB37_17 Depth=1
	s_delay_alu instid0(VALU_DEP_1) | instskip(NEXT) | instid1(VALU_DEP_2)
	v_sub_co_u32 v2, vcc_lo, s81, v2
	v_sub_co_ci_u32_e32 v3, vcc_lo, s61, v3, vcc_lo
	s_mov_b32 s4, 0
	s_mov_b32 s5, exec_lo
                                        ; implicit-def: $vgpr42
	s_delay_alu instid0(VALU_DEP_1)
	v_cmpx_gt_i64_e64 v[2:3], v[0:1]
	s_cbranch_execz .LBB37_106
; %bb.96:                               ;   in Loop: Header=BB37_17 Depth=1
	v_dual_mov_b32 v4, v10 :: v_dual_mov_b32 v5, v11
	v_dual_mov_b32 v7, v1 :: v_dual_mov_b32 v6, v0
	s_mov_b32 s21, 0
                                        ; implicit-def: $sgpr22
	s_set_inst_prefetch_distance 0x1
	s_branch .LBB37_98
	.p2align	6
.LBB37_97:                              ;   in Loop: Header=BB37_98 Depth=2
	s_or_b32 exec_lo, exec_lo, s4
	s_waitcnt vmcnt(0) lgkmcnt(0)
	s_barrier
	buffer_gl0_inv
	ds_load_b32 v8, v13 offset:3072
	v_add_co_u32 v6, vcc_lo, v6, s33
	v_add_co_ci_u32_e32 v7, vcc_lo, 0, v7, vcc_lo
	s_waitcnt lgkmcnt(0)
	s_barrier
	buffer_gl0_inv
	v_cmp_ge_i64_e32 vcc_lo, v[6:7], v[2:3]
	v_cmp_ne_u16_e64 s4, 0, v8
	s_delay_alu instid0(VALU_DEP_1)
	s_or_b32 s23, s4, vcc_lo
	v_add_co_u32 v4, vcc_lo, v4, s56
	s_and_b32 s23, exec_lo, s23
	v_add_co_ci_u32_e32 v5, vcc_lo, s57, v5, vcc_lo
	s_or_b32 s21, s23, s21
	s_and_not1_b32 s22, s22, exec_lo
	s_and_b32 s4, s4, exec_lo
	s_delay_alu instid0(SALU_CYCLE_1)
	s_or_b32 s22, s22, s4
	s_and_not1_b32 exec_lo, exec_lo, s21
	s_cbranch_execz .LBB37_105
.LBB37_98:                              ;   Parent Loop BB37_17 Depth=1
                                        ; =>  This Inner Loop Header: Depth=2
	s_delay_alu instid0(VALU_DEP_1)
	v_cmp_gt_i64_e32 vcc_lo, s[24:25], v[6:7]
	v_mov_b32_e32 v8, 0
	s_and_saveexec_b32 s4, vcc_lo
	s_cbranch_execz .LBB37_100
; %bb.99:                               ;   in Loop: Header=BB37_98 Depth=2
	global_load_u16 v8, v[4:5], off
.LBB37_100:                             ;   in Loop: Header=BB37_98 Depth=2
	s_or_b32 exec_lo, exec_lo, s4
	s_and_saveexec_b32 s4, vcc_lo
	s_cbranch_execz .LBB37_97
; %bb.101:                              ;   in Loop: Header=BB37_98 Depth=2
	s_waitcnt vmcnt(0)
	v_bfe_i32 v9, v8, 0, 16
	s_delay_alu instid0(VALU_DEP_1) | instskip(NEXT) | instid1(VALU_DEP_1)
	v_add_nc_u32_e32 v9, 0x8000, v9
	v_and_b32_e32 v9, s97, v9
	s_delay_alu instid0(VALU_DEP_1)
	v_cmp_eq_u32_e32 vcc_lo, s98, v9
	s_and_b32 exec_lo, exec_lo, vcc_lo
	s_cbranch_execz .LBB37_97
; %bb.102:                              ;   in Loop: Header=BB37_98 Depth=2
	v_perm_b32 v8, v8, 1, 0x5040100
	ds_store_b32 v13, v8 offset:3072
	s_branch .LBB37_97
.LBB37_103:                             ;   in Loop: Header=BB37_17 Depth=1
	s_mov_b32 s4, -1
                                        ; implicit-def: $sgpr5
                                        ; implicit-def: $sgpr22
                                        ; implicit-def: $sgpr21
	s_branch .LBB37_120
.LBB37_104:                             ;   in Loop: Header=BB37_17 Depth=1
	s_mov_b32 s5, -1
	s_mov_b32 s4, 0
                                        ; implicit-def: $sgpr21
                                        ; implicit-def: $vgpr42
	s_mov_b32 s22, s5
	s_cbranch_execnz .LBB37_107
	s_branch .LBB37_120
.LBB37_105:                             ;   in Loop: Header=BB37_17 Depth=1
	s_set_inst_prefetch_distance 0x2
	s_or_b32 exec_lo, exec_lo, s21
	v_lshrrev_b32_e32 v42, 16, v8
	s_and_b32 s4, s22, exec_lo
.LBB37_106:                             ;   in Loop: Header=BB37_17 Depth=1
	s_or_b32 exec_lo, exec_lo, s5
	s_mov_b32 s21, -1
	s_mov_b32 s5, 0
	s_delay_alu instid0(SALU_CYCLE_1)
	s_mov_b32 s22, s5
	s_branch .LBB37_120
.LBB37_107:                             ;   in Loop: Header=BB37_17 Depth=1
	s_add_u32 s21, s79, s14
	s_addc_u32 s5, s80, s15
	s_mov_b32 s4, s55
	s_delay_alu instid0(SALU_CYCLE_1)
	s_cmp_lg_u64 s[4:5], 0
	s_cbranch_scc0 .LBB37_150
; %bb.108:                              ;   in Loop: Header=BB37_17 Depth=1
	v_cvt_f32_u32_e32 v2, s33
	s_sub_u32 s23, 0, s33
	s_subb_u32 s54, 0, 0
	s_delay_alu instid0(VALU_DEP_1) | instskip(NEXT) | instid1(VALU_DEP_1)
	v_fmac_f32_e32 v2, 0x4f800000, v41
	v_rcp_f32_e32 v2, v2
	s_waitcnt_depctr 0xfff
	v_mul_f32_e32 v2, 0x5f7ffffc, v2
	s_delay_alu instid0(VALU_DEP_1) | instskip(NEXT) | instid1(VALU_DEP_1)
	v_mul_f32_e32 v3, 0x2f800000, v2
	v_trunc_f32_e32 v3, v3
	s_delay_alu instid0(VALU_DEP_1) | instskip(SKIP_1) | instid1(VALU_DEP_2)
	v_fmac_f32_e32 v2, 0xcf800000, v3
	v_cvt_u32_f32_e32 v3, v3
	v_cvt_u32_f32_e32 v2, v2
	s_delay_alu instid0(VALU_DEP_2) | instskip(NEXT) | instid1(VALU_DEP_2)
	v_readfirstlane_b32 s4, v3
	v_readfirstlane_b32 s22, v2
	s_delay_alu instid0(VALU_DEP_2) | instskip(NEXT) | instid1(VALU_DEP_1)
	s_mul_i32 s60, s23, s4
	s_mul_hi_u32 s69, s23, s22
	s_mul_i32 s68, s54, s22
	s_add_i32 s60, s69, s60
	s_mul_i32 s70, s23, s22
	s_add_i32 s60, s60, s68
	s_mul_hi_u32 s69, s22, s70
	s_mul_hi_u32 s71, s4, s70
	s_mul_i32 s68, s4, s70
	s_mul_hi_u32 s70, s22, s60
	s_mul_i32 s22, s22, s60
	s_mul_hi_u32 s72, s4, s60
	s_add_u32 s22, s69, s22
	s_addc_u32 s69, 0, s70
	s_add_u32 s22, s22, s68
	s_mul_i32 s60, s4, s60
	s_addc_u32 s22, s69, s71
	s_addc_u32 s68, s72, 0
	s_add_u32 s22, s22, s60
	s_addc_u32 s60, 0, s68
	v_add_co_u32 v2, s22, v2, s22
	s_delay_alu instid0(VALU_DEP_1) | instskip(SKIP_1) | instid1(VALU_DEP_1)
	s_cmp_lg_u32 s22, 0
	s_addc_u32 s4, s4, s60
	v_readfirstlane_b32 s22, v2
	s_mul_i32 s60, s23, s4
	s_delay_alu instid0(VALU_DEP_1)
	s_mul_hi_u32 s68, s23, s22
	s_mul_i32 s54, s54, s22
	s_add_i32 s60, s68, s60
	s_mul_i32 s23, s23, s22
	s_add_i32 s60, s60, s54
	s_mul_hi_u32 s68, s4, s23
	s_mul_i32 s69, s4, s23
	s_mul_hi_u32 s23, s22, s23
	s_mul_hi_u32 s70, s22, s60
	s_mul_i32 s22, s22, s60
	s_mul_hi_u32 s54, s4, s60
	s_add_u32 s22, s23, s22
	s_addc_u32 s23, 0, s70
	s_add_u32 s22, s22, s69
	s_mul_i32 s60, s4, s60
	s_addc_u32 s22, s23, s68
	s_addc_u32 s23, s54, 0
	s_add_u32 s22, s22, s60
	s_addc_u32 s23, 0, s23
	v_add_co_u32 v2, s22, v2, s22
	s_delay_alu instid0(VALU_DEP_1) | instskip(SKIP_2) | instid1(VALU_DEP_1)
	s_cmp_lg_u32 s22, 0
	s_addc_u32 s4, s4, s23
	s_ashr_i32 s22, s5, 31
	v_readfirstlane_b32 s54, v2
	s_add_u32 s68, s21, s22
	s_mov_b32 s23, s22
	s_addc_u32 s69, s5, s22
	s_delay_alu instid0(SALU_CYCLE_1) | instskip(NEXT) | instid1(SALU_CYCLE_1)
	s_xor_b64 s[68:69], s[68:69], s[22:23]
	s_mul_i32 s60, s68, s4
	s_mul_hi_u32 s70, s68, s54
	s_mul_hi_u32 s23, s68, s4
	;; [unrolled: 1-line block ×3, first 2 shown]
	s_mul_i32 s54, s69, s54
	s_add_u32 s60, s70, s60
	s_addc_u32 s23, 0, s23
	s_mul_hi_u32 s71, s69, s4
	s_add_u32 s54, s60, s54
	s_mul_i32 s4, s69, s4
	s_addc_u32 s23, s23, s72
	s_addc_u32 s54, s71, 0
	s_add_u32 s4, s23, s4
	s_addc_u32 s23, 0, s54
	s_mul_hi_u32 s54, s33, s4
	s_mul_i32 s4, s33, s4
	s_mul_i32 s23, s33, s23
	v_sub_co_u32 v2, s4, s68, s4
	s_add_i32 s54, s54, s23
	s_cmp_lg_u32 s4, 0
	s_delay_alu instid0(VALU_DEP_1) | instskip(SKIP_2) | instid1(VALU_DEP_1)
	v_sub_co_u32 v3, s4, v2, s33
	s_subb_u32 s23, s69, s54
	s_cmp_lg_u32 s4, 0
	v_cmp_le_u32_e32 vcc_lo, s33, v3
	v_sub_co_u32 v4, s4, v3, s33
	s_subb_u32 s54, s23, 0
	s_cmp_lg_u32 s4, 0
	v_cndmask_b32_e64 v5, 0, -1, vcc_lo
	s_subb_u32 s4, s54, 0
	s_cmp_eq_u32 s54, 0
	v_mov_b32_e32 v7, s4
	s_cselect_b32 vcc_lo, -1, 0
	s_cmp_eq_u32 s23, 0
	v_cndmask_b32_e32 v5, -1, v5, vcc_lo
	v_cmp_le_u32_e32 vcc_lo, s33, v2
	s_cselect_b32 s4, -1, 0
	v_cndmask_b32_e64 v6, 0, -1, vcc_lo
	s_delay_alu instid0(VALU_DEP_3) | instskip(NEXT) | instid1(VALU_DEP_2)
	v_cmp_ne_u32_e32 vcc_lo, 0, v5
	v_cndmask_b32_e64 v5, -1, v6, s4
	v_cndmask_b32_e32 v3, v3, v4, vcc_lo
	v_cndmask_b32_e32 v6, s54, v7, vcc_lo
	s_delay_alu instid0(VALU_DEP_3) | instskip(NEXT) | instid1(VALU_DEP_3)
	v_cmp_ne_u32_e32 vcc_lo, 0, v5
	v_cndmask_b32_e32 v2, v2, v3, vcc_lo
	s_delay_alu instid0(VALU_DEP_3) | instskip(NEXT) | instid1(VALU_DEP_2)
	v_cndmask_b32_e32 v4, s23, v6, vcc_lo
	v_xor_b32_e32 v2, s22, v2
	s_delay_alu instid0(VALU_DEP_2) | instskip(NEXT) | instid1(VALU_DEP_2)
	v_xor_b32_e32 v3, s22, v4
	v_sub_co_u32 v2, vcc_lo, v2, s22
	s_delay_alu instid0(VALU_DEP_2)
	v_subrev_co_ci_u32_e32 v3, vcc_lo, s22, v3, vcc_lo
	s_cbranch_execnz .LBB37_110
.LBB37_109:                             ;   in Loop: Header=BB37_17 Depth=1
	v_cvt_f32_u32_e32 v2, s33
	s_sub_i32 s4, 0, s33
	s_delay_alu instid0(VALU_DEP_1) | instskip(SKIP_2) | instid1(VALU_DEP_1)
	v_rcp_iflag_f32_e32 v2, v2
	s_waitcnt_depctr 0xfff
	v_mul_f32_e32 v2, 0x4f7ffffe, v2
	v_cvt_u32_f32_e32 v2, v2
	s_delay_alu instid0(VALU_DEP_1) | instskip(NEXT) | instid1(VALU_DEP_1)
	v_mul_lo_u32 v3, s4, v2
	v_mul_hi_u32 v3, v2, v3
	s_delay_alu instid0(VALU_DEP_1) | instskip(NEXT) | instid1(VALU_DEP_1)
	v_add_nc_u32_e32 v2, v2, v3
	v_mul_hi_u32 v2, s21, v2
	s_delay_alu instid0(VALU_DEP_1) | instskip(NEXT) | instid1(VALU_DEP_1)
	v_mul_lo_u32 v2, v2, s33
	v_sub_nc_u32_e32 v2, s21, v2
	s_delay_alu instid0(VALU_DEP_1) | instskip(SKIP_1) | instid1(VALU_DEP_2)
	v_subrev_nc_u32_e32 v3, s33, v2
	v_cmp_le_u32_e32 vcc_lo, s33, v2
	v_cndmask_b32_e32 v2, v2, v3, vcc_lo
	s_delay_alu instid0(VALU_DEP_1) | instskip(SKIP_1) | instid1(VALU_DEP_2)
	v_subrev_nc_u32_e32 v3, s33, v2
	v_cmp_le_u32_e32 vcc_lo, s33, v2
	v_cndmask_b32_e32 v12, v2, v3, vcc_lo
	s_delay_alu instid0(VALU_DEP_1)
	v_dual_mov_b32 v2, v12 :: v_dual_mov_b32 v3, v13
.LBB37_110:                             ;   in Loop: Header=BB37_17 Depth=1
	s_delay_alu instid0(VALU_DEP_1) | instskip(NEXT) | instid1(VALU_DEP_2)
	v_sub_co_u32 v2, vcc_lo, s21, v2
	v_sub_co_ci_u32_e32 v3, vcc_lo, s5, v3, vcc_lo
	s_mov_b32 s4, 0
	s_mov_b32 s5, exec_lo
                                        ; implicit-def: $vgpr42
	s_delay_alu instid0(VALU_DEP_1)
	v_cmpx_gt_i64_e64 v[2:3], v[0:1]
	s_cbranch_execz .LBB37_119
; %bb.111:                              ;   in Loop: Header=BB37_17 Depth=1
	v_dual_mov_b32 v6, v32 :: v_dual_mov_b32 v5, v1
	v_mov_b32_e32 v4, v0
	s_mov_b32 s21, 0
                                        ; implicit-def: $sgpr22
	s_set_inst_prefetch_distance 0x1
	s_branch .LBB37_113
	.p2align	6
.LBB37_112:                             ;   in Loop: Header=BB37_113 Depth=2
	s_or_b32 exec_lo, exec_lo, s4
	s_waitcnt lgkmcnt(0)
	s_barrier
	buffer_gl0_inv
	ds_load_b32 v7, v13 offset:3072
	v_add_co_u32 v4, vcc_lo, v4, s33
	v_add_co_ci_u32_e32 v5, vcc_lo, 0, v5, vcc_lo
	v_add_nc_u32_e32 v6, s87, v6
	s_waitcnt lgkmcnt(0)
	s_barrier
	s_delay_alu instid0(VALU_DEP_2) | instskip(SKIP_2) | instid1(VALU_DEP_1)
	v_cmp_ge_i64_e32 vcc_lo, v[4:5], v[2:3]
	buffer_gl0_inv
	v_cmp_ne_u16_e64 s4, 0, v7
	s_or_b32 s23, s4, vcc_lo
	s_delay_alu instid0(SALU_CYCLE_1) | instskip(NEXT) | instid1(SALU_CYCLE_1)
	s_and_b32 s23, exec_lo, s23
	s_or_b32 s21, s23, s21
	s_and_not1_b32 s22, s22, exec_lo
	s_and_b32 s4, s4, exec_lo
	s_delay_alu instid0(SALU_CYCLE_1)
	s_or_b32 s22, s22, s4
	s_and_not1_b32 exec_lo, exec_lo, s21
	s_cbranch_execz .LBB37_118
.LBB37_113:                             ;   Parent Loop BB37_17 Depth=1
                                        ; =>  This Inner Loop Header: Depth=2
	s_delay_alu instid0(VALU_DEP_1)
	v_cmp_gt_i64_e32 vcc_lo, s[14:15], v[4:5]
	v_mov_b32_e32 v7, 0
	s_and_saveexec_b32 s4, vcc_lo
	s_cbranch_execz .LBB37_115
; %bb.114:                              ;   in Loop: Header=BB37_113 Depth=2
	ds_load_u16 v7, v6
.LBB37_115:                             ;   in Loop: Header=BB37_113 Depth=2
	s_or_b32 exec_lo, exec_lo, s4
	s_and_saveexec_b32 s4, vcc_lo
	s_cbranch_execz .LBB37_112
; %bb.116:                              ;   in Loop: Header=BB37_113 Depth=2
	s_waitcnt lgkmcnt(0)
	v_bfe_i32 v8, v7, 0, 16
	s_delay_alu instid0(VALU_DEP_1) | instskip(NEXT) | instid1(VALU_DEP_1)
	v_add_nc_u32_e32 v8, 0x8000, v8
	v_and_b32_e32 v8, s97, v8
	s_delay_alu instid0(VALU_DEP_1)
	v_cmp_eq_u32_e32 vcc_lo, s98, v8
	s_and_b32 exec_lo, exec_lo, vcc_lo
	s_cbranch_execz .LBB37_112
; %bb.117:                              ;   in Loop: Header=BB37_113 Depth=2
	v_perm_b32 v7, v7, 1, 0x5040100
	ds_store_b32 v13, v7 offset:3072
	s_branch .LBB37_112
.LBB37_118:                             ;   in Loop: Header=BB37_17 Depth=1
	s_set_inst_prefetch_distance 0x2
	s_or_b32 exec_lo, exec_lo, s21
	v_lshrrev_b32_e32 v42, 16, v7
	s_and_b32 s4, s22, exec_lo
.LBB37_119:                             ;   in Loop: Header=BB37_17 Depth=1
	s_or_b32 exec_lo, exec_lo, s5
	s_mov_b32 s22, -1
	s_mov_b32 s5, 0
	s_mov_b32 s21, 0
.LBB37_120:                             ;   in Loop: Header=BB37_17 Depth=1
	s_and_not1_b32 s14, s94, exec_lo
	s_and_b32 s5, s5, exec_lo
	s_and_not1_b32 s15, s95, exec_lo
	s_or_b32 s94, s14, s5
	s_and_not1_b32 s5, s96, exec_lo
	s_and_b32 s14, s22, exec_lo
	s_and_b32 s21, s21, exec_lo
	s_or_b32 s96, s5, s14
	s_or_b32 s95, s15, s21
	s_and_saveexec_b32 s14, s4
	s_cbranch_execz .LBB37_16
; %bb.121:                              ;   in Loop: Header=BB37_17 Depth=1
	s_xor_b32 s4, s20, -1
	s_mov_b32 s60, 1
	s_and_not1_b32 vcc_lo, exec_lo, s4
	s_cbranch_vccnz .LBB37_132
; %bb.122:                              ;   in Loop: Header=BB37_17 Depth=1
	v_cmp_gt_i64_e64 s4, s[26:27], s[12:13]
                                        ; implicit-def: $sgpr60
                                        ; implicit-def: $sgpr5
                                        ; implicit-def: $sgpr15
	s_delay_alu instid0(VALU_DEP_1)
	s_and_b32 vcc_lo, exec_lo, s4
	s_mov_b32 s4, -1
	s_cbranch_vccnz .LBB37_128
; %bb.123:                              ;   in Loop: Header=BB37_17 Depth=1
	ds_load_b64 v[2:3], v13 offset:5120
	s_waitcnt lgkmcnt(0)
	v_cmp_ne_u64_e32 vcc_lo, 0, v[2:3]
	s_cbranch_vccnz .LBB37_127
; %bb.124:                              ;   in Loop: Header=BB37_17 Depth=1
	s_and_saveexec_b32 s4, s2
	s_cbranch_execz .LBB37_126
; %bb.125:                              ;   in Loop: Header=BB37_17 Depth=1
	v_dual_mov_b32 v2, s12 :: v_dual_mov_b32 v3, s13
	ds_store_b64 v13, v[2:3] offset:5128
.LBB37_126:                             ;   in Loop: Header=BB37_17 Depth=1
	s_or_b32 exec_lo, exec_lo, s4
	s_waitcnt lgkmcnt(0)
	s_barrier
	buffer_gl0_inv
.LBB37_127:                             ;   in Loop: Header=BB37_17 Depth=1
	s_and_b32 s5, s98, s18
	s_or_b32 s15, s97, s16
	s_mov_b32 s4, 0
	s_mov_b32 s60, 8
.LBB37_128:                             ;   in Loop: Header=BB37_17 Depth=1
	s_and_not1_b32 vcc_lo, exec_lo, s4
	s_cbranch_vccnz .LBB37_130
; %bb.129:                              ;   in Loop: Header=BB37_17 Depth=1
	s_sub_u32 s26, s26, s12
	s_subb_u32 s27, s27, s13
	s_mov_b32 s4, -1
	s_mov_b32 s60, 0
	s_mov_b32 s5, s98
	;; [unrolled: 1-line block ×3, first 2 shown]
.LBB37_130:                             ;   in Loop: Header=BB37_17 Depth=1
	s_delay_alu instid0(SALU_CYCLE_1)
	s_mov_b32 s97, s15
	s_mov_b32 s98, s5
	s_and_b32 vcc_lo, exec_lo, s4
	s_mov_b32 s15, -1
	s_cbranch_vccnz .LBB37_133
.LBB37_131:                             ;   in Loop: Header=BB37_17 Depth=1
	s_mov_b32 s5, -1
                                        ; implicit-def: $sgpr19
                                        ; implicit-def: $sgpr21
                                        ; implicit-def: $sgpr20
	s_delay_alu instid0(SALU_CYCLE_1) | instskip(NEXT) | instid1(SALU_CYCLE_1)
	s_and_saveexec_b32 s4, s5
	s_xor_b32 s4, exec_lo, s4
	s_cbranch_execz .LBB37_15
	s_branch .LBB37_279
.LBB37_132:                             ;   in Loop: Header=BB37_17 Depth=1
	s_mov_b64 s[26:27], 1
	s_mov_b32 s15, -1
	s_branch .LBB37_131
.LBB37_133:                             ;   in Loop: Header=BB37_17 Depth=1
	s_cmp_eq_u64 s[10:11], 1
	s_cselect_b32 s4, -1, 0
	s_cmp_eq_u64 s[26:27], 1
	s_cselect_b32 s5, -1, 0
	s_delay_alu instid0(SALU_CYCLE_1)
	s_and_b32 s22, s4, s5
	s_mov_b32 s4, -1
	s_and_b32 vcc_lo, exec_lo, s22
	s_cbranch_vccz .LBB37_148
; %bb.134:                              ;   in Loop: Header=BB37_17 Depth=1
	ds_load_b64 v[2:3], v13 offset:5120
	s_waitcnt lgkmcnt(0)
	s_barrier
	buffer_gl0_inv
	v_readfirstlane_b32 s12, v2
	v_readfirstlane_b32 s13, v3
	s_and_saveexec_b32 s4, s3
	s_cbranch_execz .LBB37_136
; %bb.135:                              ;   in Loop: Header=BB37_17 Depth=1
	ds_store_b16 v33, v13
.LBB37_136:                             ;   in Loop: Header=BB37_17 Depth=1
	s_or_b32 exec_lo, exec_lo, s4
	s_delay_alu instid0(VALU_DEP_1)
	v_cmp_gt_i64_e64 s19, s[12:13], 0
	s_lshl_b32 s4, 1, s17
	s_and_b32 s5, s98, s18
	s_or_b32 s97, s97, s16
	s_or_b32 s98, s5, s4
	s_waitcnt lgkmcnt(0)
	s_and_b32 vcc_lo, exec_lo, s19
	s_barrier
	buffer_gl0_inv
	s_cbranch_vccnz .LBB37_151
; %bb.137:                              ;   in Loop: Header=BB37_17 Depth=1
	s_mov_b32 s60, s55
	s_delay_alu instid0(SALU_CYCLE_1)
	s_cmp_lg_u64 s[60:61], 0
	s_cbranch_scc0 .LBB37_196
; %bb.138:                              ;   in Loop: Header=BB37_17 Depth=1
	v_cvt_f32_u32_e32 v2, s33
	s_sub_u32 s19, 0, s33
	s_subb_u32 s20, 0, 0
	s_delay_alu instid0(VALU_DEP_1) | instskip(NEXT) | instid1(VALU_DEP_1)
	v_fmac_f32_e32 v2, 0x4f800000, v41
	v_rcp_f32_e32 v2, v2
	s_waitcnt_depctr 0xfff
	v_mul_f32_e32 v2, 0x5f7ffffc, v2
	s_delay_alu instid0(VALU_DEP_1) | instskip(NEXT) | instid1(VALU_DEP_1)
	v_mul_f32_e32 v3, 0x2f800000, v2
	v_trunc_f32_e32 v3, v3
	s_delay_alu instid0(VALU_DEP_1) | instskip(SKIP_1) | instid1(VALU_DEP_2)
	v_fmac_f32_e32 v2, 0xcf800000, v3
	v_cvt_u32_f32_e32 v3, v3
	v_cvt_u32_f32_e32 v2, v2
	s_delay_alu instid0(VALU_DEP_2) | instskip(NEXT) | instid1(VALU_DEP_2)
	v_readfirstlane_b32 s4, v3
	v_readfirstlane_b32 s5, v2
	s_delay_alu instid0(VALU_DEP_2) | instskip(NEXT) | instid1(VALU_DEP_1)
	s_mul_i32 s21, s19, s4
	s_mul_hi_u32 s54, s19, s5
	s_mul_i32 s23, s20, s5
	s_add_i32 s21, s54, s21
	s_mul_i32 s60, s19, s5
	s_add_i32 s21, s21, s23
	s_mul_hi_u32 s54, s5, s60
	s_mul_hi_u32 s68, s4, s60
	s_mul_i32 s23, s4, s60
	s_mul_hi_u32 s60, s5, s21
	s_mul_i32 s5, s5, s21
	s_mul_hi_u32 s69, s4, s21
	s_add_u32 s5, s54, s5
	s_addc_u32 s54, 0, s60
	s_add_u32 s5, s5, s23
	s_mul_i32 s21, s4, s21
	s_addc_u32 s5, s54, s68
	s_addc_u32 s23, s69, 0
	s_add_u32 s5, s5, s21
	s_addc_u32 s21, 0, s23
	v_add_co_u32 v2, s5, v2, s5
	s_delay_alu instid0(VALU_DEP_1) | instskip(SKIP_1) | instid1(VALU_DEP_1)
	s_cmp_lg_u32 s5, 0
	s_addc_u32 s4, s4, s21
	v_readfirstlane_b32 s5, v2
	s_mul_i32 s21, s19, s4
	s_delay_alu instid0(VALU_DEP_1)
	s_mul_hi_u32 s23, s19, s5
	s_mul_i32 s20, s20, s5
	s_add_i32 s21, s23, s21
	s_mul_i32 s19, s19, s5
	s_add_i32 s21, s21, s20
	s_mul_hi_u32 s23, s4, s19
	s_mul_i32 s54, s4, s19
	s_mul_hi_u32 s19, s5, s19
	s_mul_hi_u32 s60, s5, s21
	s_mul_i32 s5, s5, s21
	s_mul_hi_u32 s20, s4, s21
	s_add_u32 s5, s19, s5
	s_addc_u32 s19, 0, s60
	s_add_u32 s5, s5, s54
	s_mul_i32 s21, s4, s21
	s_addc_u32 s5, s19, s23
	s_addc_u32 s19, s20, 0
	s_add_u32 s5, s5, s21
	s_addc_u32 s19, 0, s19
	v_add_co_u32 v2, s5, v2, s5
	s_delay_alu instid0(VALU_DEP_1) | instskip(SKIP_2) | instid1(VALU_DEP_1)
	s_cmp_lg_u32 s5, 0
	s_addc_u32 s19, s4, s19
	s_ashr_i32 s20, s61, 31
	v_readfirstlane_b32 s23, v2
	s_add_u32 s4, s81, s20
	s_mov_b32 s21, s20
	s_addc_u32 s5, s61, s20
	s_delay_alu instid0(SALU_CYCLE_1) | instskip(NEXT) | instid1(SALU_CYCLE_1)
	s_xor_b64 s[4:5], s[4:5], s[20:21]
	s_mul_i32 s54, s4, s19
	s_mul_hi_u32 s60, s4, s23
	s_mul_hi_u32 s21, s4, s19
	;; [unrolled: 1-line block ×3, first 2 shown]
	s_mul_i32 s23, s5, s23
	s_add_u32 s54, s60, s54
	s_addc_u32 s21, 0, s21
	s_mul_hi_u32 s68, s5, s19
	s_add_u32 s23, s54, s23
	s_mul_i32 s19, s5, s19
	s_addc_u32 s21, s21, s69
	s_addc_u32 s23, s68, 0
	s_add_u32 s19, s21, s19
	s_addc_u32 s21, 0, s23
	s_mul_hi_u32 s23, s33, s19
	s_mul_i32 s19, s33, s19
	s_mul_i32 s21, s33, s21
	v_sub_co_u32 v2, s4, s4, s19
	s_add_i32 s23, s23, s21
	s_cmp_lg_u32 s4, 0
	s_delay_alu instid0(VALU_DEP_1) | instskip(SKIP_2) | instid1(VALU_DEP_1)
	v_sub_co_u32 v3, s4, v2, s33
	s_subb_u32 s5, s5, s23
	s_cmp_lg_u32 s4, 0
	v_cmp_le_u32_e32 vcc_lo, s33, v3
	v_sub_co_u32 v4, s4, v3, s33
	s_subb_u32 s19, s5, 0
	s_cmp_lg_u32 s4, 0
	v_cndmask_b32_e64 v5, 0, -1, vcc_lo
	s_subb_u32 s4, s19, 0
	s_cmp_eq_u32 s19, 0
	v_mov_b32_e32 v7, s4
	s_cselect_b32 vcc_lo, -1, 0
	s_cmp_eq_u32 s5, 0
	v_cndmask_b32_e32 v5, -1, v5, vcc_lo
	v_cmp_le_u32_e32 vcc_lo, s33, v2
	s_cselect_b32 s4, -1, 0
	v_cndmask_b32_e64 v6, 0, -1, vcc_lo
	s_delay_alu instid0(VALU_DEP_3) | instskip(NEXT) | instid1(VALU_DEP_2)
	v_cmp_ne_u32_e32 vcc_lo, 0, v5
	v_cndmask_b32_e64 v5, -1, v6, s4
	v_cndmask_b32_e32 v3, v3, v4, vcc_lo
	v_cndmask_b32_e32 v6, s19, v7, vcc_lo
	s_delay_alu instid0(VALU_DEP_3) | instskip(NEXT) | instid1(VALU_DEP_3)
	v_cmp_ne_u32_e32 vcc_lo, 0, v5
	v_cndmask_b32_e32 v2, v2, v3, vcc_lo
	s_delay_alu instid0(VALU_DEP_3) | instskip(NEXT) | instid1(VALU_DEP_2)
	v_cndmask_b32_e32 v4, s5, v6, vcc_lo
	v_xor_b32_e32 v2, s20, v2
	s_delay_alu instid0(VALU_DEP_2) | instskip(NEXT) | instid1(VALU_DEP_2)
	v_xor_b32_e32 v3, s20, v4
	v_sub_co_u32 v2, vcc_lo, v2, s20
	s_delay_alu instid0(VALU_DEP_2)
	v_subrev_co_ci_u32_e32 v3, vcc_lo, s20, v3, vcc_lo
	s_cbranch_execnz .LBB37_140
.LBB37_139:                             ;   in Loop: Header=BB37_17 Depth=1
	v_cvt_f32_u32_e32 v2, s33
	s_sub_i32 s4, 0, s33
	s_delay_alu instid0(VALU_DEP_1) | instskip(SKIP_2) | instid1(VALU_DEP_1)
	v_rcp_iflag_f32_e32 v2, v2
	s_waitcnt_depctr 0xfff
	v_mul_f32_e32 v2, 0x4f7ffffe, v2
	v_cvt_u32_f32_e32 v2, v2
	s_delay_alu instid0(VALU_DEP_1) | instskip(NEXT) | instid1(VALU_DEP_1)
	v_mul_lo_u32 v3, s4, v2
	v_mul_hi_u32 v3, v2, v3
	s_delay_alu instid0(VALU_DEP_1) | instskip(NEXT) | instid1(VALU_DEP_1)
	v_add_nc_u32_e32 v2, v2, v3
	v_mul_hi_u32 v2, s81, v2
	s_delay_alu instid0(VALU_DEP_1) | instskip(NEXT) | instid1(VALU_DEP_1)
	v_mul_lo_u32 v2, v2, s33
	v_sub_nc_u32_e32 v2, s81, v2
	s_delay_alu instid0(VALU_DEP_1) | instskip(SKIP_1) | instid1(VALU_DEP_2)
	v_subrev_nc_u32_e32 v3, s33, v2
	v_cmp_le_u32_e32 vcc_lo, s33, v2
	v_cndmask_b32_e32 v2, v2, v3, vcc_lo
	s_delay_alu instid0(VALU_DEP_1) | instskip(SKIP_1) | instid1(VALU_DEP_2)
	v_subrev_nc_u32_e32 v3, s33, v2
	v_cmp_le_u32_e32 vcc_lo, s33, v2
	v_cndmask_b32_e32 v12, v2, v3, vcc_lo
	s_delay_alu instid0(VALU_DEP_1)
	v_dual_mov_b32 v2, v12 :: v_dual_mov_b32 v3, v13
.LBB37_140:                             ;   in Loop: Header=BB37_17 Depth=1
	s_delay_alu instid0(VALU_DEP_1) | instskip(NEXT) | instid1(VALU_DEP_2)
	v_sub_co_u32 v2, vcc_lo, s81, v2
	v_sub_co_ci_u32_e32 v3, vcc_lo, s61, v3, vcc_lo
	s_mov_b32 s4, 0
	s_mov_b32 s5, exec_lo
                                        ; implicit-def: $vgpr42
	s_delay_alu instid0(VALU_DEP_1)
	v_cmpx_gt_i64_e64 v[2:3], v[0:1]
	s_cbranch_execz .LBB37_153
; %bb.141:                              ;   in Loop: Header=BB37_17 Depth=1
	v_dual_mov_b32 v4, v10 :: v_dual_mov_b32 v5, v11
	v_dual_mov_b32 v7, v1 :: v_dual_mov_b32 v6, v0
	s_mov_b32 s19, 0
                                        ; implicit-def: $sgpr20
	s_set_inst_prefetch_distance 0x1
	s_branch .LBB37_143
	.p2align	6
.LBB37_142:                             ;   in Loop: Header=BB37_143 Depth=2
	s_or_b32 exec_lo, exec_lo, s4
	s_waitcnt vmcnt(0) lgkmcnt(0)
	s_barrier
	buffer_gl0_inv
	ds_load_b32 v8, v13 offset:3072
	v_add_co_u32 v6, vcc_lo, v6, s33
	v_add_co_ci_u32_e32 v7, vcc_lo, 0, v7, vcc_lo
	s_waitcnt lgkmcnt(0)
	s_barrier
	buffer_gl0_inv
	v_cmp_ge_i64_e32 vcc_lo, v[6:7], v[2:3]
	v_cmp_ne_u16_e64 s4, 0, v8
	s_delay_alu instid0(VALU_DEP_1)
	s_or_b32 s21, s4, vcc_lo
	v_add_co_u32 v4, vcc_lo, v4, s56
	s_and_b32 s21, exec_lo, s21
	v_add_co_ci_u32_e32 v5, vcc_lo, s57, v5, vcc_lo
	s_or_b32 s19, s21, s19
	s_and_not1_b32 s20, s20, exec_lo
	s_and_b32 s4, s4, exec_lo
	s_delay_alu instid0(SALU_CYCLE_1)
	s_or_b32 s20, s20, s4
	s_and_not1_b32 exec_lo, exec_lo, s19
	s_cbranch_execz .LBB37_152
.LBB37_143:                             ;   Parent Loop BB37_17 Depth=1
                                        ; =>  This Inner Loop Header: Depth=2
	s_delay_alu instid0(VALU_DEP_1)
	v_cmp_gt_i64_e32 vcc_lo, s[24:25], v[6:7]
	v_mov_b32_e32 v8, 0
	s_and_saveexec_b32 s4, vcc_lo
	s_cbranch_execz .LBB37_145
; %bb.144:                              ;   in Loop: Header=BB37_143 Depth=2
	global_load_u16 v8, v[4:5], off
.LBB37_145:                             ;   in Loop: Header=BB37_143 Depth=2
	s_or_b32 exec_lo, exec_lo, s4
	s_and_saveexec_b32 s4, vcc_lo
	s_cbranch_execz .LBB37_142
; %bb.146:                              ;   in Loop: Header=BB37_143 Depth=2
	s_waitcnt vmcnt(0)
	v_bfe_i32 v9, v8, 0, 16
	s_delay_alu instid0(VALU_DEP_1) | instskip(NEXT) | instid1(VALU_DEP_1)
	v_add_nc_u32_e32 v9, 0x8000, v9
	v_and_b32_e32 v9, s97, v9
	s_delay_alu instid0(VALU_DEP_1)
	v_cmp_eq_u32_e32 vcc_lo, s98, v9
	s_and_b32 exec_lo, exec_lo, vcc_lo
	s_cbranch_execz .LBB37_142
; %bb.147:                              ;   in Loop: Header=BB37_143 Depth=2
	v_perm_b32 v8, v8, 1, 0x5040100
	ds_store_b32 v13, v8 offset:3072
	s_branch .LBB37_142
.LBB37_148:                             ;   in Loop: Header=BB37_17 Depth=1
                                        ; implicit-def: $sgpr20
                                        ; implicit-def: $sgpr21
                                        ; implicit-def: $sgpr19
	s_branch .LBB37_167
.LBB37_149:                             ;   in Loop: Header=BB37_17 Depth=1
                                        ; implicit-def: $vgpr2_vgpr3
	s_branch .LBB37_94
.LBB37_150:                             ;   in Loop: Header=BB37_17 Depth=1
                                        ; implicit-def: $vgpr2_vgpr3
	s_branch .LBB37_109
.LBB37_151:                             ;   in Loop: Header=BB37_17 Depth=1
	s_mov_b32 s20, -1
	s_mov_b32 s4, 0
                                        ; implicit-def: $sgpr19
                                        ; implicit-def: $vgpr42
	s_mov_b32 s21, s20
	s_cbranch_execnz .LBB37_154
	s_branch .LBB37_167
.LBB37_152:                             ;   in Loop: Header=BB37_17 Depth=1
	s_set_inst_prefetch_distance 0x2
	s_or_b32 exec_lo, exec_lo, s19
	v_lshrrev_b32_e32 v42, 16, v8
	s_and_b32 s4, s20, exec_lo
.LBB37_153:                             ;   in Loop: Header=BB37_17 Depth=1
	s_or_b32 exec_lo, exec_lo, s5
	s_mov_b32 s19, -1
	s_mov_b32 s20, 0
	s_delay_alu instid0(SALU_CYCLE_1)
	s_mov_b32 s21, s20
	s_branch .LBB37_167
.LBB37_154:                             ;   in Loop: Header=BB37_17 Depth=1
	s_add_u32 s19, s79, s12
	s_addc_u32 s5, s80, s13
	s_mov_b32 s4, s55
	s_delay_alu instid0(SALU_CYCLE_1)
	s_cmp_lg_u64 s[4:5], 0
	s_cbranch_scc0 .LBB37_197
; %bb.155:                              ;   in Loop: Header=BB37_17 Depth=1
	v_cvt_f32_u32_e32 v2, s33
	s_sub_u32 s21, 0, s33
	s_subb_u32 s23, 0, 0
	s_delay_alu instid0(VALU_DEP_1) | instskip(NEXT) | instid1(VALU_DEP_1)
	v_fmac_f32_e32 v2, 0x4f800000, v41
	v_rcp_f32_e32 v2, v2
	s_waitcnt_depctr 0xfff
	v_mul_f32_e32 v2, 0x5f7ffffc, v2
	s_delay_alu instid0(VALU_DEP_1) | instskip(NEXT) | instid1(VALU_DEP_1)
	v_mul_f32_e32 v3, 0x2f800000, v2
	v_trunc_f32_e32 v3, v3
	s_delay_alu instid0(VALU_DEP_1) | instskip(SKIP_1) | instid1(VALU_DEP_2)
	v_fmac_f32_e32 v2, 0xcf800000, v3
	v_cvt_u32_f32_e32 v3, v3
	v_cvt_u32_f32_e32 v2, v2
	s_delay_alu instid0(VALU_DEP_2) | instskip(NEXT) | instid1(VALU_DEP_2)
	v_readfirstlane_b32 s4, v3
	v_readfirstlane_b32 s20, v2
	s_delay_alu instid0(VALU_DEP_2) | instskip(NEXT) | instid1(VALU_DEP_1)
	s_mul_i32 s54, s21, s4
	s_mul_hi_u32 s68, s21, s20
	s_mul_i32 s60, s23, s20
	s_add_i32 s54, s68, s54
	s_mul_i32 s69, s21, s20
	s_add_i32 s54, s54, s60
	s_mul_hi_u32 s68, s20, s69
	s_mul_hi_u32 s70, s4, s69
	s_mul_i32 s60, s4, s69
	s_mul_hi_u32 s69, s20, s54
	s_mul_i32 s20, s20, s54
	s_mul_hi_u32 s71, s4, s54
	s_add_u32 s20, s68, s20
	s_addc_u32 s68, 0, s69
	s_add_u32 s20, s20, s60
	s_mul_i32 s54, s4, s54
	s_addc_u32 s20, s68, s70
	s_addc_u32 s60, s71, 0
	s_add_u32 s20, s20, s54
	s_addc_u32 s54, 0, s60
	v_add_co_u32 v2, s20, v2, s20
	s_delay_alu instid0(VALU_DEP_1) | instskip(SKIP_1) | instid1(VALU_DEP_1)
	s_cmp_lg_u32 s20, 0
	s_addc_u32 s4, s4, s54
	v_readfirstlane_b32 s20, v2
	s_mul_i32 s54, s21, s4
	s_delay_alu instid0(VALU_DEP_1)
	s_mul_hi_u32 s60, s21, s20
	s_mul_i32 s23, s23, s20
	s_add_i32 s54, s60, s54
	s_mul_i32 s21, s21, s20
	s_add_i32 s54, s54, s23
	s_mul_hi_u32 s60, s4, s21
	s_mul_i32 s68, s4, s21
	s_mul_hi_u32 s21, s20, s21
	s_mul_hi_u32 s69, s20, s54
	s_mul_i32 s20, s20, s54
	s_mul_hi_u32 s23, s4, s54
	s_add_u32 s20, s21, s20
	s_addc_u32 s21, 0, s69
	s_add_u32 s20, s20, s68
	s_mul_i32 s54, s4, s54
	s_addc_u32 s20, s21, s60
	s_addc_u32 s21, s23, 0
	s_add_u32 s20, s20, s54
	s_addc_u32 s21, 0, s21
	v_add_co_u32 v2, s20, v2, s20
	s_delay_alu instid0(VALU_DEP_1) | instskip(SKIP_2) | instid1(VALU_DEP_1)
	s_cmp_lg_u32 s20, 0
	s_addc_u32 s4, s4, s21
	s_ashr_i32 s20, s5, 31
	v_readfirstlane_b32 s23, v2
	s_add_u32 s68, s19, s20
	s_mov_b32 s21, s20
	s_addc_u32 s69, s5, s20
	s_delay_alu instid0(SALU_CYCLE_1) | instskip(NEXT) | instid1(SALU_CYCLE_1)
	s_xor_b64 s[68:69], s[68:69], s[20:21]
	s_mul_i32 s54, s68, s4
	s_mul_hi_u32 s60, s68, s23
	s_mul_hi_u32 s21, s68, s4
	s_mul_hi_u32 s71, s69, s23
	s_mul_i32 s23, s69, s23
	s_add_u32 s54, s60, s54
	s_addc_u32 s21, 0, s21
	s_mul_hi_u32 s70, s69, s4
	s_add_u32 s23, s54, s23
	s_mul_i32 s4, s69, s4
	s_addc_u32 s21, s21, s71
	s_addc_u32 s23, s70, 0
	s_add_u32 s4, s21, s4
	s_addc_u32 s21, 0, s23
	s_mul_hi_u32 s23, s33, s4
	s_mul_i32 s4, s33, s4
	s_mul_i32 s21, s33, s21
	v_sub_co_u32 v2, s4, s68, s4
	s_add_i32 s23, s23, s21
	s_cmp_lg_u32 s4, 0
	s_delay_alu instid0(VALU_DEP_1) | instskip(SKIP_2) | instid1(VALU_DEP_1)
	v_sub_co_u32 v3, s4, v2, s33
	s_subb_u32 s21, s69, s23
	s_cmp_lg_u32 s4, 0
	v_cmp_le_u32_e32 vcc_lo, s33, v3
	v_sub_co_u32 v4, s4, v3, s33
	s_subb_u32 s23, s21, 0
	s_cmp_lg_u32 s4, 0
	v_cndmask_b32_e64 v5, 0, -1, vcc_lo
	s_subb_u32 s4, s23, 0
	s_cmp_eq_u32 s23, 0
	v_mov_b32_e32 v7, s4
	s_cselect_b32 vcc_lo, -1, 0
	s_cmp_eq_u32 s21, 0
	v_cndmask_b32_e32 v5, -1, v5, vcc_lo
	v_cmp_le_u32_e32 vcc_lo, s33, v2
	s_cselect_b32 s4, -1, 0
	v_cndmask_b32_e64 v6, 0, -1, vcc_lo
	s_delay_alu instid0(VALU_DEP_3) | instskip(NEXT) | instid1(VALU_DEP_2)
	v_cmp_ne_u32_e32 vcc_lo, 0, v5
	v_cndmask_b32_e64 v5, -1, v6, s4
	v_cndmask_b32_e32 v3, v3, v4, vcc_lo
	v_cndmask_b32_e32 v6, s23, v7, vcc_lo
	s_delay_alu instid0(VALU_DEP_3) | instskip(NEXT) | instid1(VALU_DEP_3)
	v_cmp_ne_u32_e32 vcc_lo, 0, v5
	v_cndmask_b32_e32 v2, v2, v3, vcc_lo
	s_delay_alu instid0(VALU_DEP_3) | instskip(NEXT) | instid1(VALU_DEP_2)
	v_cndmask_b32_e32 v4, s21, v6, vcc_lo
	v_xor_b32_e32 v2, s20, v2
	s_delay_alu instid0(VALU_DEP_2) | instskip(NEXT) | instid1(VALU_DEP_2)
	v_xor_b32_e32 v3, s20, v4
	v_sub_co_u32 v2, vcc_lo, v2, s20
	s_delay_alu instid0(VALU_DEP_2)
	v_subrev_co_ci_u32_e32 v3, vcc_lo, s20, v3, vcc_lo
	s_cbranch_execnz .LBB37_157
.LBB37_156:                             ;   in Loop: Header=BB37_17 Depth=1
	v_cvt_f32_u32_e32 v2, s33
	s_sub_i32 s4, 0, s33
	s_delay_alu instid0(VALU_DEP_1) | instskip(SKIP_2) | instid1(VALU_DEP_1)
	v_rcp_iflag_f32_e32 v2, v2
	s_waitcnt_depctr 0xfff
	v_mul_f32_e32 v2, 0x4f7ffffe, v2
	v_cvt_u32_f32_e32 v2, v2
	s_delay_alu instid0(VALU_DEP_1) | instskip(NEXT) | instid1(VALU_DEP_1)
	v_mul_lo_u32 v3, s4, v2
	v_mul_hi_u32 v3, v2, v3
	s_delay_alu instid0(VALU_DEP_1) | instskip(NEXT) | instid1(VALU_DEP_1)
	v_add_nc_u32_e32 v2, v2, v3
	v_mul_hi_u32 v2, s19, v2
	s_delay_alu instid0(VALU_DEP_1) | instskip(NEXT) | instid1(VALU_DEP_1)
	v_mul_lo_u32 v2, v2, s33
	v_sub_nc_u32_e32 v2, s19, v2
	s_delay_alu instid0(VALU_DEP_1) | instskip(SKIP_1) | instid1(VALU_DEP_2)
	v_subrev_nc_u32_e32 v3, s33, v2
	v_cmp_le_u32_e32 vcc_lo, s33, v2
	v_cndmask_b32_e32 v2, v2, v3, vcc_lo
	s_delay_alu instid0(VALU_DEP_1) | instskip(SKIP_1) | instid1(VALU_DEP_2)
	v_subrev_nc_u32_e32 v3, s33, v2
	v_cmp_le_u32_e32 vcc_lo, s33, v2
	v_cndmask_b32_e32 v12, v2, v3, vcc_lo
	s_delay_alu instid0(VALU_DEP_1)
	v_dual_mov_b32 v2, v12 :: v_dual_mov_b32 v3, v13
.LBB37_157:                             ;   in Loop: Header=BB37_17 Depth=1
	s_delay_alu instid0(VALU_DEP_1) | instskip(NEXT) | instid1(VALU_DEP_2)
	v_sub_co_u32 v2, vcc_lo, s19, v2
	v_sub_co_ci_u32_e32 v3, vcc_lo, s5, v3, vcc_lo
	s_mov_b32 s4, 0
	s_mov_b32 s5, exec_lo
                                        ; implicit-def: $vgpr42
	s_delay_alu instid0(VALU_DEP_1)
	v_cmpx_gt_i64_e64 v[2:3], v[0:1]
	s_cbranch_execz .LBB37_166
; %bb.158:                              ;   in Loop: Header=BB37_17 Depth=1
	v_dual_mov_b32 v6, v32 :: v_dual_mov_b32 v5, v1
	v_mov_b32_e32 v4, v0
	s_mov_b32 s19, 0
                                        ; implicit-def: $sgpr20
	s_set_inst_prefetch_distance 0x1
	s_branch .LBB37_160
	.p2align	6
.LBB37_159:                             ;   in Loop: Header=BB37_160 Depth=2
	s_or_b32 exec_lo, exec_lo, s4
	s_waitcnt lgkmcnt(0)
	s_barrier
	buffer_gl0_inv
	ds_load_b32 v7, v13 offset:3072
	v_add_co_u32 v4, vcc_lo, v4, s33
	v_add_co_ci_u32_e32 v5, vcc_lo, 0, v5, vcc_lo
	v_add_nc_u32_e32 v6, s87, v6
	s_waitcnt lgkmcnt(0)
	s_barrier
	s_delay_alu instid0(VALU_DEP_2) | instskip(SKIP_2) | instid1(VALU_DEP_1)
	v_cmp_ge_i64_e32 vcc_lo, v[4:5], v[2:3]
	buffer_gl0_inv
	v_cmp_ne_u16_e64 s4, 0, v7
	s_or_b32 s21, s4, vcc_lo
	s_delay_alu instid0(SALU_CYCLE_1) | instskip(NEXT) | instid1(SALU_CYCLE_1)
	s_and_b32 s21, exec_lo, s21
	s_or_b32 s19, s21, s19
	s_and_not1_b32 s20, s20, exec_lo
	s_and_b32 s4, s4, exec_lo
	s_delay_alu instid0(SALU_CYCLE_1)
	s_or_b32 s20, s20, s4
	s_and_not1_b32 exec_lo, exec_lo, s19
	s_cbranch_execz .LBB37_165
.LBB37_160:                             ;   Parent Loop BB37_17 Depth=1
                                        ; =>  This Inner Loop Header: Depth=2
	s_delay_alu instid0(VALU_DEP_1)
	v_cmp_gt_i64_e32 vcc_lo, s[12:13], v[4:5]
	v_mov_b32_e32 v7, 0
	s_and_saveexec_b32 s4, vcc_lo
	s_cbranch_execz .LBB37_162
; %bb.161:                              ;   in Loop: Header=BB37_160 Depth=2
	ds_load_u16 v7, v6
.LBB37_162:                             ;   in Loop: Header=BB37_160 Depth=2
	s_or_b32 exec_lo, exec_lo, s4
	s_and_saveexec_b32 s4, vcc_lo
	s_cbranch_execz .LBB37_159
; %bb.163:                              ;   in Loop: Header=BB37_160 Depth=2
	s_waitcnt lgkmcnt(0)
	v_bfe_i32 v8, v7, 0, 16
	s_delay_alu instid0(VALU_DEP_1) | instskip(NEXT) | instid1(VALU_DEP_1)
	v_add_nc_u32_e32 v8, 0x8000, v8
	v_and_b32_e32 v8, s97, v8
	s_delay_alu instid0(VALU_DEP_1)
	v_cmp_eq_u32_e32 vcc_lo, s98, v8
	s_and_b32 exec_lo, exec_lo, vcc_lo
	s_cbranch_execz .LBB37_159
; %bb.164:                              ;   in Loop: Header=BB37_160 Depth=2
	v_perm_b32 v7, v7, 1, 0x5040100
	ds_store_b32 v13, v7 offset:3072
	s_branch .LBB37_159
.LBB37_165:                             ;   in Loop: Header=BB37_17 Depth=1
	s_set_inst_prefetch_distance 0x2
	s_or_b32 exec_lo, exec_lo, s19
	v_lshrrev_b32_e32 v42, 16, v7
	s_and_b32 s4, s20, exec_lo
.LBB37_166:                             ;   in Loop: Header=BB37_17 Depth=1
	s_or_b32 exec_lo, exec_lo, s5
	s_mov_b32 s21, -1
	s_mov_b32 s20, 0
	s_mov_b32 s19, 0
.LBB37_167:                             ;   in Loop: Header=BB37_17 Depth=1
	s_mov_b32 s5, 0
                                        ; implicit-def: $sgpr60
	s_and_saveexec_b32 s12, s4
	s_cbranch_execz .LBB37_278
; %bb.168:                              ;   in Loop: Header=BB37_17 Depth=1
	s_xor_b32 s4, s22, -1
	s_mov_b32 s60, 1
	s_and_not1_b32 vcc_lo, exec_lo, s4
	s_cbranch_vccnz .LBB37_179
; %bb.169:                              ;   in Loop: Header=BB37_17 Depth=1
	v_cmp_gt_i64_e64 s4, s[26:27], s[10:11]
                                        ; implicit-def: $sgpr60
                                        ; implicit-def: $sgpr5
                                        ; implicit-def: $sgpr13
	s_delay_alu instid0(VALU_DEP_1)
	s_and_b32 vcc_lo, exec_lo, s4
	s_mov_b32 s4, -1
	s_cbranch_vccnz .LBB37_175
; %bb.170:                              ;   in Loop: Header=BB37_17 Depth=1
	ds_load_b64 v[2:3], v13 offset:5120
	s_waitcnt lgkmcnt(0)
	v_cmp_ne_u64_e32 vcc_lo, 0, v[2:3]
	s_cbranch_vccnz .LBB37_174
; %bb.171:                              ;   in Loop: Header=BB37_17 Depth=1
	s_and_saveexec_b32 s4, s2
	s_cbranch_execz .LBB37_173
; %bb.172:                              ;   in Loop: Header=BB37_17 Depth=1
	v_dual_mov_b32 v2, s10 :: v_dual_mov_b32 v3, s11
	ds_store_b64 v13, v[2:3] offset:5128
.LBB37_173:                             ;   in Loop: Header=BB37_17 Depth=1
	s_or_b32 exec_lo, exec_lo, s4
	s_waitcnt lgkmcnt(0)
	s_barrier
	buffer_gl0_inv
.LBB37_174:                             ;   in Loop: Header=BB37_17 Depth=1
	s_lshl_b32 s4, 1, s17
	s_and_b32 s5, s98, s18
	s_or_b32 s13, s97, s16
	s_or_b32 s5, s5, s4
	s_mov_b32 s4, 0
	s_mov_b32 s60, 8
.LBB37_175:                             ;   in Loop: Header=BB37_17 Depth=1
	s_and_not1_b32 vcc_lo, exec_lo, s4
	s_cbranch_vccnz .LBB37_177
; %bb.176:                              ;   in Loop: Header=BB37_17 Depth=1
	s_sub_u32 s26, s26, s10
	s_subb_u32 s27, s27, s11
	s_mov_b32 s4, -1
	s_mov_b32 s60, 0
	s_mov_b32 s5, s98
	;; [unrolled: 1-line block ×3, first 2 shown]
.LBB37_177:                             ;   in Loop: Header=BB37_17 Depth=1
	s_delay_alu instid0(SALU_CYCLE_1)
	s_mov_b32 s97, s13
	s_mov_b32 s98, s5
	s_and_not1_b32 vcc_lo, exec_lo, s4
	s_mov_b32 s5, -1
	s_cbranch_vccz .LBB37_180
.LBB37_178:                             ;   in Loop: Header=BB37_17 Depth=1
                                        ; implicit-def: $sgpr22
                                        ; implicit-def: $sgpr23
                                        ; implicit-def: $sgpr13
	s_branch .LBB37_277
.LBB37_179:                             ;   in Loop: Header=BB37_17 Depth=1
	s_mov_b64 s[26:27], 1
	s_mov_b32 s5, -1
	s_cbranch_execnz .LBB37_178
.LBB37_180:                             ;   in Loop: Header=BB37_17 Depth=1
	s_cmp_eq_u64 s[8:9], 1
	s_cselect_b32 s4, -1, 0
	s_cmp_eq_u64 s[26:27], 1
	s_cselect_b32 s5, -1, 0
	s_delay_alu instid0(SALU_CYCLE_1)
	s_and_b32 s54, s4, s5
	s_mov_b32 s4, -1
	s_and_b32 vcc_lo, exec_lo, s54
	s_cbranch_vccz .LBB37_195
; %bb.181:                              ;   in Loop: Header=BB37_17 Depth=1
	ds_load_b64 v[2:3], v13 offset:5120
	s_waitcnt lgkmcnt(0)
	s_barrier
	buffer_gl0_inv
	v_readfirstlane_b32 s10, v2
	v_readfirstlane_b32 s11, v3
	s_and_saveexec_b32 s4, s3
	s_cbranch_execz .LBB37_183
; %bb.182:                              ;   in Loop: Header=BB37_17 Depth=1
	ds_store_b16 v33, v13
.LBB37_183:                             ;   in Loop: Header=BB37_17 Depth=1
	s_or_b32 exec_lo, exec_lo, s4
	s_delay_alu instid0(VALU_DEP_1)
	v_cmp_gt_i64_e64 s13, s[10:11], 0
	s_lshl_b32 s4, 2, s17
	s_and_b32 s5, s98, s18
	s_or_b32 s97, s97, s16
	s_or_b32 s98, s5, s4
	s_waitcnt lgkmcnt(0)
	s_and_b32 vcc_lo, exec_lo, s13
	s_barrier
	buffer_gl0_inv
	s_cbranch_vccnz .LBB37_198
; %bb.184:                              ;   in Loop: Header=BB37_17 Depth=1
	s_mov_b32 s60, s55
	s_delay_alu instid0(SALU_CYCLE_1)
	s_cmp_lg_u64 s[60:61], 0
	s_cbranch_scc0 .LBB37_243
; %bb.185:                              ;   in Loop: Header=BB37_17 Depth=1
	v_cvt_f32_u32_e32 v2, s33
	s_sub_u32 s13, 0, s33
	s_subb_u32 s22, 0, 0
	s_delay_alu instid0(VALU_DEP_1) | instskip(NEXT) | instid1(VALU_DEP_1)
	v_fmac_f32_e32 v2, 0x4f800000, v41
	v_rcp_f32_e32 v2, v2
	s_waitcnt_depctr 0xfff
	v_mul_f32_e32 v2, 0x5f7ffffc, v2
	s_delay_alu instid0(VALU_DEP_1) | instskip(NEXT) | instid1(VALU_DEP_1)
	v_mul_f32_e32 v3, 0x2f800000, v2
	v_trunc_f32_e32 v3, v3
	s_delay_alu instid0(VALU_DEP_1) | instskip(SKIP_1) | instid1(VALU_DEP_2)
	v_fmac_f32_e32 v2, 0xcf800000, v3
	v_cvt_u32_f32_e32 v3, v3
	v_cvt_u32_f32_e32 v2, v2
	s_delay_alu instid0(VALU_DEP_2) | instskip(NEXT) | instid1(VALU_DEP_2)
	v_readfirstlane_b32 s4, v3
	v_readfirstlane_b32 s5, v2
	s_delay_alu instid0(VALU_DEP_2) | instskip(NEXT) | instid1(VALU_DEP_1)
	s_mul_i32 s23, s13, s4
	s_mul_hi_u32 s68, s13, s5
	s_mul_i32 s60, s22, s5
	s_add_i32 s23, s68, s23
	s_mul_i32 s69, s13, s5
	s_add_i32 s23, s23, s60
	s_mul_hi_u32 s68, s5, s69
	s_mul_hi_u32 s70, s4, s69
	s_mul_i32 s60, s4, s69
	s_mul_hi_u32 s69, s5, s23
	s_mul_i32 s5, s5, s23
	s_mul_hi_u32 s71, s4, s23
	s_add_u32 s5, s68, s5
	s_addc_u32 s68, 0, s69
	s_add_u32 s5, s5, s60
	s_mul_i32 s23, s4, s23
	s_addc_u32 s5, s68, s70
	s_addc_u32 s60, s71, 0
	s_add_u32 s5, s5, s23
	s_addc_u32 s23, 0, s60
	v_add_co_u32 v2, s5, v2, s5
	s_delay_alu instid0(VALU_DEP_1) | instskip(SKIP_1) | instid1(VALU_DEP_1)
	s_cmp_lg_u32 s5, 0
	s_addc_u32 s4, s4, s23
	v_readfirstlane_b32 s5, v2
	s_mul_i32 s23, s13, s4
	s_delay_alu instid0(VALU_DEP_1)
	s_mul_hi_u32 s60, s13, s5
	s_mul_i32 s22, s22, s5
	s_add_i32 s23, s60, s23
	s_mul_i32 s13, s13, s5
	s_add_i32 s23, s23, s22
	s_mul_hi_u32 s60, s4, s13
	s_mul_i32 s68, s4, s13
	s_mul_hi_u32 s13, s5, s13
	s_mul_hi_u32 s69, s5, s23
	s_mul_i32 s5, s5, s23
	s_mul_hi_u32 s22, s4, s23
	s_add_u32 s5, s13, s5
	s_addc_u32 s13, 0, s69
	s_add_u32 s5, s5, s68
	s_mul_i32 s23, s4, s23
	s_addc_u32 s5, s13, s60
	s_addc_u32 s13, s22, 0
	s_add_u32 s5, s5, s23
	s_addc_u32 s13, 0, s13
	v_add_co_u32 v2, s5, v2, s5
	s_delay_alu instid0(VALU_DEP_1) | instskip(SKIP_2) | instid1(VALU_DEP_1)
	s_cmp_lg_u32 s5, 0
	s_addc_u32 s13, s4, s13
	s_ashr_i32 s22, s61, 31
	v_readfirstlane_b32 s60, v2
	s_add_u32 s4, s81, s22
	s_mov_b32 s23, s22
	s_addc_u32 s5, s61, s22
	s_delay_alu instid0(SALU_CYCLE_1) | instskip(NEXT) | instid1(SALU_CYCLE_1)
	s_xor_b64 s[4:5], s[4:5], s[22:23]
	s_mul_i32 s68, s4, s13
	s_mul_hi_u32 s69, s4, s60
	s_mul_hi_u32 s23, s4, s13
	;; [unrolled: 1-line block ×3, first 2 shown]
	s_mul_i32 s60, s5, s60
	s_add_u32 s68, s69, s68
	s_addc_u32 s23, 0, s23
	s_mul_hi_u32 s70, s5, s13
	s_add_u32 s60, s68, s60
	s_mul_i32 s13, s5, s13
	s_addc_u32 s23, s23, s71
	s_addc_u32 s60, s70, 0
	s_add_u32 s13, s23, s13
	s_addc_u32 s23, 0, s60
	s_mul_hi_u32 s60, s33, s13
	s_mul_i32 s13, s33, s13
	s_mul_i32 s23, s33, s23
	v_sub_co_u32 v2, s4, s4, s13
	s_add_i32 s60, s60, s23
	s_cmp_lg_u32 s4, 0
	s_delay_alu instid0(VALU_DEP_1) | instskip(SKIP_2) | instid1(VALU_DEP_1)
	v_sub_co_u32 v3, s4, v2, s33
	s_subb_u32 s5, s5, s60
	s_cmp_lg_u32 s4, 0
	v_cmp_le_u32_e32 vcc_lo, s33, v3
	v_sub_co_u32 v4, s4, v3, s33
	s_subb_u32 s13, s5, 0
	s_cmp_lg_u32 s4, 0
	v_cndmask_b32_e64 v5, 0, -1, vcc_lo
	s_subb_u32 s4, s13, 0
	s_cmp_eq_u32 s13, 0
	v_mov_b32_e32 v7, s4
	s_cselect_b32 vcc_lo, -1, 0
	s_cmp_eq_u32 s5, 0
	v_cndmask_b32_e32 v5, -1, v5, vcc_lo
	v_cmp_le_u32_e32 vcc_lo, s33, v2
	s_cselect_b32 s4, -1, 0
	v_cndmask_b32_e64 v6, 0, -1, vcc_lo
	s_delay_alu instid0(VALU_DEP_3) | instskip(NEXT) | instid1(VALU_DEP_2)
	v_cmp_ne_u32_e32 vcc_lo, 0, v5
	v_cndmask_b32_e64 v5, -1, v6, s4
	v_cndmask_b32_e32 v3, v3, v4, vcc_lo
	v_cndmask_b32_e32 v6, s13, v7, vcc_lo
	s_delay_alu instid0(VALU_DEP_3) | instskip(NEXT) | instid1(VALU_DEP_3)
	v_cmp_ne_u32_e32 vcc_lo, 0, v5
	v_cndmask_b32_e32 v2, v2, v3, vcc_lo
	s_delay_alu instid0(VALU_DEP_3) | instskip(NEXT) | instid1(VALU_DEP_2)
	v_cndmask_b32_e32 v4, s5, v6, vcc_lo
	v_xor_b32_e32 v2, s22, v2
	s_delay_alu instid0(VALU_DEP_2) | instskip(NEXT) | instid1(VALU_DEP_2)
	v_xor_b32_e32 v3, s22, v4
	v_sub_co_u32 v2, vcc_lo, v2, s22
	s_delay_alu instid0(VALU_DEP_2)
	v_subrev_co_ci_u32_e32 v3, vcc_lo, s22, v3, vcc_lo
	s_cbranch_execnz .LBB37_187
.LBB37_186:                             ;   in Loop: Header=BB37_17 Depth=1
	v_cvt_f32_u32_e32 v2, s33
	s_sub_i32 s4, 0, s33
	s_delay_alu instid0(VALU_DEP_1) | instskip(SKIP_2) | instid1(VALU_DEP_1)
	v_rcp_iflag_f32_e32 v2, v2
	s_waitcnt_depctr 0xfff
	v_mul_f32_e32 v2, 0x4f7ffffe, v2
	v_cvt_u32_f32_e32 v2, v2
	s_delay_alu instid0(VALU_DEP_1) | instskip(NEXT) | instid1(VALU_DEP_1)
	v_mul_lo_u32 v3, s4, v2
	v_mul_hi_u32 v3, v2, v3
	s_delay_alu instid0(VALU_DEP_1) | instskip(NEXT) | instid1(VALU_DEP_1)
	v_add_nc_u32_e32 v2, v2, v3
	v_mul_hi_u32 v2, s81, v2
	s_delay_alu instid0(VALU_DEP_1) | instskip(NEXT) | instid1(VALU_DEP_1)
	v_mul_lo_u32 v2, v2, s33
	v_sub_nc_u32_e32 v2, s81, v2
	s_delay_alu instid0(VALU_DEP_1) | instskip(SKIP_1) | instid1(VALU_DEP_2)
	v_subrev_nc_u32_e32 v3, s33, v2
	v_cmp_le_u32_e32 vcc_lo, s33, v2
	v_cndmask_b32_e32 v2, v2, v3, vcc_lo
	s_delay_alu instid0(VALU_DEP_1) | instskip(SKIP_1) | instid1(VALU_DEP_2)
	v_subrev_nc_u32_e32 v3, s33, v2
	v_cmp_le_u32_e32 vcc_lo, s33, v2
	v_cndmask_b32_e32 v12, v2, v3, vcc_lo
	s_delay_alu instid0(VALU_DEP_1)
	v_dual_mov_b32 v2, v12 :: v_dual_mov_b32 v3, v13
.LBB37_187:                             ;   in Loop: Header=BB37_17 Depth=1
	s_delay_alu instid0(VALU_DEP_1) | instskip(NEXT) | instid1(VALU_DEP_2)
	v_sub_co_u32 v2, vcc_lo, s81, v2
	v_sub_co_ci_u32_e32 v3, vcc_lo, s61, v3, vcc_lo
	s_mov_b32 s4, 0
	s_mov_b32 s5, exec_lo
                                        ; implicit-def: $vgpr42
	s_delay_alu instid0(VALU_DEP_1)
	v_cmpx_gt_i64_e64 v[2:3], v[0:1]
	s_cbranch_execz .LBB37_200
; %bb.188:                              ;   in Loop: Header=BB37_17 Depth=1
	v_dual_mov_b32 v4, v10 :: v_dual_mov_b32 v5, v11
	v_dual_mov_b32 v7, v1 :: v_dual_mov_b32 v6, v0
	s_mov_b32 s13, 0
                                        ; implicit-def: $sgpr22
	s_set_inst_prefetch_distance 0x1
	s_branch .LBB37_190
	.p2align	6
.LBB37_189:                             ;   in Loop: Header=BB37_190 Depth=2
	s_or_b32 exec_lo, exec_lo, s4
	s_waitcnt vmcnt(0) lgkmcnt(0)
	s_barrier
	buffer_gl0_inv
	ds_load_b32 v8, v13 offset:3072
	v_add_co_u32 v6, vcc_lo, v6, s33
	v_add_co_ci_u32_e32 v7, vcc_lo, 0, v7, vcc_lo
	s_waitcnt lgkmcnt(0)
	s_barrier
	buffer_gl0_inv
	v_cmp_ge_i64_e32 vcc_lo, v[6:7], v[2:3]
	v_cmp_ne_u16_e64 s4, 0, v8
	s_delay_alu instid0(VALU_DEP_1)
	s_or_b32 s23, s4, vcc_lo
	v_add_co_u32 v4, vcc_lo, v4, s56
	s_and_b32 s23, exec_lo, s23
	v_add_co_ci_u32_e32 v5, vcc_lo, s57, v5, vcc_lo
	s_or_b32 s13, s23, s13
	s_and_not1_b32 s22, s22, exec_lo
	s_and_b32 s4, s4, exec_lo
	s_delay_alu instid0(SALU_CYCLE_1)
	s_or_b32 s22, s22, s4
	s_and_not1_b32 exec_lo, exec_lo, s13
	s_cbranch_execz .LBB37_199
.LBB37_190:                             ;   Parent Loop BB37_17 Depth=1
                                        ; =>  This Inner Loop Header: Depth=2
	s_delay_alu instid0(VALU_DEP_1)
	v_cmp_gt_i64_e32 vcc_lo, s[24:25], v[6:7]
	v_mov_b32_e32 v8, 0
	s_and_saveexec_b32 s4, vcc_lo
	s_cbranch_execz .LBB37_192
; %bb.191:                              ;   in Loop: Header=BB37_190 Depth=2
	global_load_u16 v8, v[4:5], off
.LBB37_192:                             ;   in Loop: Header=BB37_190 Depth=2
	s_or_b32 exec_lo, exec_lo, s4
	s_and_saveexec_b32 s4, vcc_lo
	s_cbranch_execz .LBB37_189
; %bb.193:                              ;   in Loop: Header=BB37_190 Depth=2
	s_waitcnt vmcnt(0)
	v_bfe_i32 v9, v8, 0, 16
	s_delay_alu instid0(VALU_DEP_1) | instskip(NEXT) | instid1(VALU_DEP_1)
	v_add_nc_u32_e32 v9, 0x8000, v9
	v_and_b32_e32 v9, s97, v9
	s_delay_alu instid0(VALU_DEP_1)
	v_cmp_eq_u32_e32 vcc_lo, s98, v9
	s_and_b32 exec_lo, exec_lo, vcc_lo
	s_cbranch_execz .LBB37_189
; %bb.194:                              ;   in Loop: Header=BB37_190 Depth=2
	v_perm_b32 v8, v8, 1, 0x5040100
	ds_store_b32 v13, v8 offset:3072
	s_branch .LBB37_189
.LBB37_195:                             ;   in Loop: Header=BB37_17 Depth=1
                                        ; implicit-def: $sgpr13
                                        ; implicit-def: $sgpr23
                                        ; implicit-def: $sgpr22
	s_branch .LBB37_214
.LBB37_196:                             ;   in Loop: Header=BB37_17 Depth=1
                                        ; implicit-def: $vgpr2_vgpr3
	s_branch .LBB37_139
.LBB37_197:                             ;   in Loop: Header=BB37_17 Depth=1
                                        ; implicit-def: $vgpr2_vgpr3
	s_branch .LBB37_156
.LBB37_198:                             ;   in Loop: Header=BB37_17 Depth=1
	s_mov_b32 s13, -1
	s_mov_b32 s4, 0
                                        ; implicit-def: $sgpr22
                                        ; implicit-def: $vgpr42
	s_mov_b32 s23, s13
	s_cbranch_execnz .LBB37_201
	s_branch .LBB37_214
.LBB37_199:                             ;   in Loop: Header=BB37_17 Depth=1
	s_set_inst_prefetch_distance 0x2
	s_or_b32 exec_lo, exec_lo, s13
	v_lshrrev_b32_e32 v42, 16, v8
	s_and_b32 s4, s22, exec_lo
.LBB37_200:                             ;   in Loop: Header=BB37_17 Depth=1
	s_or_b32 exec_lo, exec_lo, s5
	s_mov_b32 s22, -1
	s_mov_b32 s13, 0
	s_delay_alu instid0(SALU_CYCLE_1)
	s_mov_b32 s23, s13
	s_branch .LBB37_214
.LBB37_201:                             ;   in Loop: Header=BB37_17 Depth=1
	s_add_u32 s13, s79, s10
	s_addc_u32 s5, s80, s11
	s_mov_b32 s4, s55
	s_delay_alu instid0(SALU_CYCLE_1)
	s_cmp_lg_u64 s[4:5], 0
	s_cbranch_scc0 .LBB37_244
; %bb.202:                              ;   in Loop: Header=BB37_17 Depth=1
	v_cvt_f32_u32_e32 v2, s33
	s_sub_u32 s23, 0, s33
	s_subb_u32 s60, 0, 0
	s_delay_alu instid0(VALU_DEP_1) | instskip(NEXT) | instid1(VALU_DEP_1)
	v_fmac_f32_e32 v2, 0x4f800000, v41
	v_rcp_f32_e32 v2, v2
	s_waitcnt_depctr 0xfff
	v_mul_f32_e32 v2, 0x5f7ffffc, v2
	s_delay_alu instid0(VALU_DEP_1) | instskip(NEXT) | instid1(VALU_DEP_1)
	v_mul_f32_e32 v3, 0x2f800000, v2
	v_trunc_f32_e32 v3, v3
	s_delay_alu instid0(VALU_DEP_1) | instskip(SKIP_1) | instid1(VALU_DEP_2)
	v_fmac_f32_e32 v2, 0xcf800000, v3
	v_cvt_u32_f32_e32 v3, v3
	v_cvt_u32_f32_e32 v2, v2
	s_delay_alu instid0(VALU_DEP_2) | instskip(NEXT) | instid1(VALU_DEP_2)
	v_readfirstlane_b32 s4, v3
	v_readfirstlane_b32 s22, v2
	s_delay_alu instid0(VALU_DEP_2) | instskip(NEXT) | instid1(VALU_DEP_1)
	s_mul_i32 s68, s23, s4
	s_mul_hi_u32 s70, s23, s22
	s_mul_i32 s69, s60, s22
	s_add_i32 s68, s70, s68
	s_mul_i32 s71, s23, s22
	s_add_i32 s68, s68, s69
	s_mul_hi_u32 s70, s22, s71
	s_mul_hi_u32 s72, s4, s71
	s_mul_i32 s69, s4, s71
	s_mul_hi_u32 s71, s22, s68
	s_mul_i32 s22, s22, s68
	s_mul_hi_u32 s73, s4, s68
	s_add_u32 s22, s70, s22
	s_addc_u32 s70, 0, s71
	s_add_u32 s22, s22, s69
	s_mul_i32 s68, s4, s68
	s_addc_u32 s22, s70, s72
	s_addc_u32 s69, s73, 0
	s_add_u32 s22, s22, s68
	s_addc_u32 s68, 0, s69
	v_add_co_u32 v2, s22, v2, s22
	s_delay_alu instid0(VALU_DEP_1) | instskip(SKIP_1) | instid1(VALU_DEP_1)
	s_cmp_lg_u32 s22, 0
	s_addc_u32 s4, s4, s68
	v_readfirstlane_b32 s22, v2
	s_mul_i32 s68, s23, s4
	s_delay_alu instid0(VALU_DEP_1)
	s_mul_hi_u32 s69, s23, s22
	s_mul_i32 s60, s60, s22
	s_add_i32 s68, s69, s68
	s_mul_i32 s23, s23, s22
	s_add_i32 s68, s68, s60
	s_mul_hi_u32 s69, s4, s23
	s_mul_i32 s70, s4, s23
	s_mul_hi_u32 s23, s22, s23
	s_mul_hi_u32 s71, s22, s68
	s_mul_i32 s22, s22, s68
	s_mul_hi_u32 s60, s4, s68
	s_add_u32 s22, s23, s22
	s_addc_u32 s23, 0, s71
	s_add_u32 s22, s22, s70
	s_mul_i32 s68, s4, s68
	s_addc_u32 s22, s23, s69
	s_addc_u32 s23, s60, 0
	s_add_u32 s22, s22, s68
	s_addc_u32 s23, 0, s23
	v_add_co_u32 v2, s22, v2, s22
	s_delay_alu instid0(VALU_DEP_1) | instskip(SKIP_2) | instid1(VALU_DEP_1)
	s_cmp_lg_u32 s22, 0
	s_addc_u32 s4, s4, s23
	s_ashr_i32 s22, s5, 31
	v_readfirstlane_b32 s60, v2
	s_add_u32 s68, s13, s22
	s_mov_b32 s23, s22
	s_addc_u32 s69, s5, s22
	s_delay_alu instid0(SALU_CYCLE_1) | instskip(NEXT) | instid1(SALU_CYCLE_1)
	s_xor_b64 s[68:69], s[68:69], s[22:23]
	s_mul_i32 s70, s68, s4
	s_mul_hi_u32 s71, s68, s60
	s_mul_hi_u32 s23, s68, s4
	;; [unrolled: 1-line block ×3, first 2 shown]
	s_mul_i32 s60, s69, s60
	s_add_u32 s70, s71, s70
	s_addc_u32 s23, 0, s23
	s_mul_hi_u32 s72, s69, s4
	s_add_u32 s60, s70, s60
	s_mul_i32 s4, s69, s4
	s_addc_u32 s23, s23, s73
	s_addc_u32 s60, s72, 0
	s_add_u32 s4, s23, s4
	s_addc_u32 s23, 0, s60
	s_mul_hi_u32 s60, s33, s4
	s_mul_i32 s4, s33, s4
	s_mul_i32 s23, s33, s23
	v_sub_co_u32 v2, s4, s68, s4
	s_add_i32 s60, s60, s23
	s_cmp_lg_u32 s4, 0
	s_delay_alu instid0(VALU_DEP_1) | instskip(SKIP_2) | instid1(VALU_DEP_1)
	v_sub_co_u32 v3, s4, v2, s33
	s_subb_u32 s23, s69, s60
	s_cmp_lg_u32 s4, 0
	v_cmp_le_u32_e32 vcc_lo, s33, v3
	v_sub_co_u32 v4, s4, v3, s33
	s_subb_u32 s60, s23, 0
	s_cmp_lg_u32 s4, 0
	v_cndmask_b32_e64 v5, 0, -1, vcc_lo
	s_subb_u32 s4, s60, 0
	s_cmp_eq_u32 s60, 0
	v_mov_b32_e32 v7, s4
	s_cselect_b32 vcc_lo, -1, 0
	s_cmp_eq_u32 s23, 0
	v_cndmask_b32_e32 v5, -1, v5, vcc_lo
	v_cmp_le_u32_e32 vcc_lo, s33, v2
	s_cselect_b32 s4, -1, 0
	v_cndmask_b32_e64 v6, 0, -1, vcc_lo
	s_delay_alu instid0(VALU_DEP_3) | instskip(NEXT) | instid1(VALU_DEP_2)
	v_cmp_ne_u32_e32 vcc_lo, 0, v5
	v_cndmask_b32_e64 v5, -1, v6, s4
	v_cndmask_b32_e32 v3, v3, v4, vcc_lo
	v_cndmask_b32_e32 v6, s60, v7, vcc_lo
	s_delay_alu instid0(VALU_DEP_3) | instskip(NEXT) | instid1(VALU_DEP_3)
	v_cmp_ne_u32_e32 vcc_lo, 0, v5
	v_cndmask_b32_e32 v2, v2, v3, vcc_lo
	s_delay_alu instid0(VALU_DEP_3) | instskip(NEXT) | instid1(VALU_DEP_2)
	v_cndmask_b32_e32 v4, s23, v6, vcc_lo
	v_xor_b32_e32 v2, s22, v2
	s_delay_alu instid0(VALU_DEP_2) | instskip(NEXT) | instid1(VALU_DEP_2)
	v_xor_b32_e32 v3, s22, v4
	v_sub_co_u32 v2, vcc_lo, v2, s22
	s_delay_alu instid0(VALU_DEP_2)
	v_subrev_co_ci_u32_e32 v3, vcc_lo, s22, v3, vcc_lo
	s_cbranch_execnz .LBB37_204
.LBB37_203:                             ;   in Loop: Header=BB37_17 Depth=1
	v_cvt_f32_u32_e32 v2, s33
	s_sub_i32 s4, 0, s33
	s_delay_alu instid0(VALU_DEP_1) | instskip(SKIP_2) | instid1(VALU_DEP_1)
	v_rcp_iflag_f32_e32 v2, v2
	s_waitcnt_depctr 0xfff
	v_mul_f32_e32 v2, 0x4f7ffffe, v2
	v_cvt_u32_f32_e32 v2, v2
	s_delay_alu instid0(VALU_DEP_1) | instskip(NEXT) | instid1(VALU_DEP_1)
	v_mul_lo_u32 v3, s4, v2
	v_mul_hi_u32 v3, v2, v3
	s_delay_alu instid0(VALU_DEP_1) | instskip(NEXT) | instid1(VALU_DEP_1)
	v_add_nc_u32_e32 v2, v2, v3
	v_mul_hi_u32 v2, s13, v2
	s_delay_alu instid0(VALU_DEP_1) | instskip(NEXT) | instid1(VALU_DEP_1)
	v_mul_lo_u32 v2, v2, s33
	v_sub_nc_u32_e32 v2, s13, v2
	s_delay_alu instid0(VALU_DEP_1) | instskip(SKIP_1) | instid1(VALU_DEP_2)
	v_subrev_nc_u32_e32 v3, s33, v2
	v_cmp_le_u32_e32 vcc_lo, s33, v2
	v_cndmask_b32_e32 v2, v2, v3, vcc_lo
	s_delay_alu instid0(VALU_DEP_1) | instskip(SKIP_1) | instid1(VALU_DEP_2)
	v_subrev_nc_u32_e32 v3, s33, v2
	v_cmp_le_u32_e32 vcc_lo, s33, v2
	v_cndmask_b32_e32 v12, v2, v3, vcc_lo
	s_delay_alu instid0(VALU_DEP_1)
	v_dual_mov_b32 v2, v12 :: v_dual_mov_b32 v3, v13
.LBB37_204:                             ;   in Loop: Header=BB37_17 Depth=1
	s_delay_alu instid0(VALU_DEP_1) | instskip(NEXT) | instid1(VALU_DEP_2)
	v_sub_co_u32 v2, vcc_lo, s13, v2
	v_sub_co_ci_u32_e32 v3, vcc_lo, s5, v3, vcc_lo
	s_mov_b32 s4, 0
	s_mov_b32 s5, exec_lo
                                        ; implicit-def: $vgpr42
	s_delay_alu instid0(VALU_DEP_1)
	v_cmpx_gt_i64_e64 v[2:3], v[0:1]
	s_cbranch_execz .LBB37_213
; %bb.205:                              ;   in Loop: Header=BB37_17 Depth=1
	v_dual_mov_b32 v6, v32 :: v_dual_mov_b32 v5, v1
	v_mov_b32_e32 v4, v0
	s_mov_b32 s13, 0
                                        ; implicit-def: $sgpr22
	s_set_inst_prefetch_distance 0x1
	s_branch .LBB37_207
	.p2align	6
.LBB37_206:                             ;   in Loop: Header=BB37_207 Depth=2
	s_or_b32 exec_lo, exec_lo, s4
	s_waitcnt lgkmcnt(0)
	s_barrier
	buffer_gl0_inv
	ds_load_b32 v7, v13 offset:3072
	v_add_co_u32 v4, vcc_lo, v4, s33
	v_add_co_ci_u32_e32 v5, vcc_lo, 0, v5, vcc_lo
	v_add_nc_u32_e32 v6, s87, v6
	s_waitcnt lgkmcnt(0)
	s_barrier
	s_delay_alu instid0(VALU_DEP_2) | instskip(SKIP_2) | instid1(VALU_DEP_1)
	v_cmp_ge_i64_e32 vcc_lo, v[4:5], v[2:3]
	buffer_gl0_inv
	v_cmp_ne_u16_e64 s4, 0, v7
	s_or_b32 s23, s4, vcc_lo
	s_delay_alu instid0(SALU_CYCLE_1) | instskip(NEXT) | instid1(SALU_CYCLE_1)
	s_and_b32 s23, exec_lo, s23
	s_or_b32 s13, s23, s13
	s_and_not1_b32 s22, s22, exec_lo
	s_and_b32 s4, s4, exec_lo
	s_delay_alu instid0(SALU_CYCLE_1)
	s_or_b32 s22, s22, s4
	s_and_not1_b32 exec_lo, exec_lo, s13
	s_cbranch_execz .LBB37_212
.LBB37_207:                             ;   Parent Loop BB37_17 Depth=1
                                        ; =>  This Inner Loop Header: Depth=2
	s_delay_alu instid0(VALU_DEP_1)
	v_cmp_gt_i64_e32 vcc_lo, s[10:11], v[4:5]
	v_mov_b32_e32 v7, 0
	s_and_saveexec_b32 s4, vcc_lo
	s_cbranch_execz .LBB37_209
; %bb.208:                              ;   in Loop: Header=BB37_207 Depth=2
	ds_load_u16 v7, v6
.LBB37_209:                             ;   in Loop: Header=BB37_207 Depth=2
	s_or_b32 exec_lo, exec_lo, s4
	s_and_saveexec_b32 s4, vcc_lo
	s_cbranch_execz .LBB37_206
; %bb.210:                              ;   in Loop: Header=BB37_207 Depth=2
	s_waitcnt lgkmcnt(0)
	v_bfe_i32 v8, v7, 0, 16
	s_delay_alu instid0(VALU_DEP_1) | instskip(NEXT) | instid1(VALU_DEP_1)
	v_add_nc_u32_e32 v8, 0x8000, v8
	v_and_b32_e32 v8, s97, v8
	s_delay_alu instid0(VALU_DEP_1)
	v_cmp_eq_u32_e32 vcc_lo, s98, v8
	s_and_b32 exec_lo, exec_lo, vcc_lo
	s_cbranch_execz .LBB37_206
; %bb.211:                              ;   in Loop: Header=BB37_207 Depth=2
	v_perm_b32 v7, v7, 1, 0x5040100
	ds_store_b32 v13, v7 offset:3072
	s_branch .LBB37_206
.LBB37_212:                             ;   in Loop: Header=BB37_17 Depth=1
	s_set_inst_prefetch_distance 0x2
	s_or_b32 exec_lo, exec_lo, s13
	v_lshrrev_b32_e32 v42, 16, v7
	s_and_b32 s4, s22, exec_lo
.LBB37_213:                             ;   in Loop: Header=BB37_17 Depth=1
	s_or_b32 exec_lo, exec_lo, s5
	s_mov_b32 s23, -1
	s_mov_b32 s13, 0
	s_mov_b32 s22, 0
.LBB37_214:                             ;   in Loop: Header=BB37_17 Depth=1
	s_mov_b32 s5, 0
                                        ; implicit-def: $sgpr60
	s_and_saveexec_b32 s10, s4
	s_cbranch_execz .LBB37_276
; %bb.215:                              ;   in Loop: Header=BB37_17 Depth=1
	s_xor_b32 s4, s54, -1
	s_mov_b32 s60, 1
	s_and_not1_b32 vcc_lo, exec_lo, s4
	s_cbranch_vccnz .LBB37_226
; %bb.216:                              ;   in Loop: Header=BB37_17 Depth=1
	v_cmp_gt_i64_e64 s4, s[26:27], s[8:9]
                                        ; implicit-def: $sgpr60
                                        ; implicit-def: $sgpr5
                                        ; implicit-def: $sgpr11
	s_delay_alu instid0(VALU_DEP_1)
	s_and_b32 vcc_lo, exec_lo, s4
	s_mov_b32 s4, -1
	s_cbranch_vccnz .LBB37_222
; %bb.217:                              ;   in Loop: Header=BB37_17 Depth=1
	ds_load_b64 v[2:3], v13 offset:5120
	s_waitcnt lgkmcnt(0)
	v_cmp_ne_u64_e32 vcc_lo, 0, v[2:3]
	s_cbranch_vccnz .LBB37_221
; %bb.218:                              ;   in Loop: Header=BB37_17 Depth=1
	s_and_saveexec_b32 s4, s2
	s_cbranch_execz .LBB37_220
; %bb.219:                              ;   in Loop: Header=BB37_17 Depth=1
	v_dual_mov_b32 v2, s8 :: v_dual_mov_b32 v3, s9
	ds_store_b64 v13, v[2:3] offset:5128
.LBB37_220:                             ;   in Loop: Header=BB37_17 Depth=1
	s_or_b32 exec_lo, exec_lo, s4
	s_waitcnt lgkmcnt(0)
	s_barrier
	buffer_gl0_inv
.LBB37_221:                             ;   in Loop: Header=BB37_17 Depth=1
	s_lshl_b32 s4, 2, s17
	s_and_b32 s5, s98, s18
	s_or_b32 s11, s97, s16
	s_or_b32 s5, s5, s4
	s_mov_b32 s4, 0
	s_mov_b32 s60, 8
.LBB37_222:                             ;   in Loop: Header=BB37_17 Depth=1
	s_and_not1_b32 vcc_lo, exec_lo, s4
	s_cbranch_vccnz .LBB37_224
; %bb.223:                              ;   in Loop: Header=BB37_17 Depth=1
	s_sub_u32 s26, s26, s8
	s_subb_u32 s27, s27, s9
	s_mov_b32 s4, -1
	s_mov_b32 s60, 0
	s_mov_b32 s5, s98
	;; [unrolled: 1-line block ×3, first 2 shown]
.LBB37_224:                             ;   in Loop: Header=BB37_17 Depth=1
	s_delay_alu instid0(SALU_CYCLE_1)
	s_mov_b32 s97, s11
	s_mov_b32 s98, s5
	s_and_not1_b32 vcc_lo, exec_lo, s4
	s_mov_b32 s9, -1
	s_cbranch_vccz .LBB37_227
.LBB37_225:                             ;   in Loop: Header=BB37_17 Depth=1
                                        ; implicit-def: $sgpr17
                                        ; implicit-def: $sgpr54
                                        ; implicit-def: $sgpr18
	s_branch .LBB37_275
.LBB37_226:                             ;   in Loop: Header=BB37_17 Depth=1
	s_mov_b64 s[26:27], 1
	s_mov_b32 s9, -1
	s_cbranch_execnz .LBB37_225
.LBB37_227:                             ;   in Loop: Header=BB37_17 Depth=1
	s_cmp_eq_u64 s[6:7], 1
	s_mov_b32 s68, -1
	s_cselect_b32 s4, -1, 0
	s_cmp_eq_u64 s[26:27], 1
	s_cselect_b32 s5, -1, 0
	s_delay_alu instid0(SALU_CYCLE_1) | instskip(NEXT) | instid1(SALU_CYCLE_1)
	s_and_b32 s11, s4, s5
	s_and_b32 vcc_lo, exec_lo, s11
	s_cbranch_vccz .LBB37_242
; %bb.228:                              ;   in Loop: Header=BB37_17 Depth=1
	ds_load_b64 v[2:3], v13 offset:5120
	s_waitcnt lgkmcnt(0)
	s_barrier
	buffer_gl0_inv
	v_readfirstlane_b32 s8, v2
	v_readfirstlane_b32 s9, v3
	s_and_saveexec_b32 s4, s3
	s_cbranch_execz .LBB37_230
; %bb.229:                              ;   in Loop: Header=BB37_17 Depth=1
	ds_store_b16 v33, v13
.LBB37_230:                             ;   in Loop: Header=BB37_17 Depth=1
	s_or_b32 exec_lo, exec_lo, s4
	s_delay_alu instid0(VALU_DEP_1)
	v_cmp_gt_i64_e64 s4, s[8:9], 0
	s_or_b32 s98, s98, s16
	s_or_b32 s97, s97, s16
	s_waitcnt lgkmcnt(0)
	s_barrier
	buffer_gl0_inv
	s_and_b32 vcc_lo, exec_lo, s4
	s_cbranch_vccnz .LBB37_245
; %bb.231:                              ;   in Loop: Header=BB37_17 Depth=1
	s_mov_b32 s60, s55
	s_delay_alu instid0(SALU_CYCLE_1)
	s_cmp_lg_u64 s[60:61], 0
	s_cbranch_scc0 .LBB37_281
; %bb.232:                              ;   in Loop: Header=BB37_17 Depth=1
	v_cvt_f32_u32_e32 v2, s33
	s_sub_u32 s17, 0, s33
	s_subb_u32 s18, 0, 0
	s_delay_alu instid0(VALU_DEP_1) | instskip(NEXT) | instid1(VALU_DEP_1)
	v_fmac_f32_e32 v2, 0x4f800000, v41
	v_rcp_f32_e32 v2, v2
	s_waitcnt_depctr 0xfff
	v_mul_f32_e32 v2, 0x5f7ffffc, v2
	s_delay_alu instid0(VALU_DEP_1) | instskip(NEXT) | instid1(VALU_DEP_1)
	v_mul_f32_e32 v3, 0x2f800000, v2
	v_trunc_f32_e32 v3, v3
	s_delay_alu instid0(VALU_DEP_1) | instskip(SKIP_1) | instid1(VALU_DEP_2)
	v_fmac_f32_e32 v2, 0xcf800000, v3
	v_cvt_u32_f32_e32 v3, v3
	v_cvt_u32_f32_e32 v2, v2
	s_delay_alu instid0(VALU_DEP_2) | instskip(NEXT) | instid1(VALU_DEP_2)
	v_readfirstlane_b32 s4, v3
	v_readfirstlane_b32 s5, v2
	s_delay_alu instid0(VALU_DEP_2) | instskip(NEXT) | instid1(VALU_DEP_1)
	s_mul_i32 s54, s17, s4
	s_mul_hi_u32 s68, s17, s5
	s_mul_i32 s60, s18, s5
	s_add_i32 s54, s68, s54
	s_mul_i32 s69, s17, s5
	s_add_i32 s54, s54, s60
	s_mul_hi_u32 s68, s5, s69
	s_mul_hi_u32 s70, s4, s69
	s_mul_i32 s60, s4, s69
	s_mul_hi_u32 s69, s5, s54
	s_mul_i32 s5, s5, s54
	s_mul_hi_u32 s71, s4, s54
	s_add_u32 s5, s68, s5
	s_addc_u32 s68, 0, s69
	s_add_u32 s5, s5, s60
	s_mul_i32 s54, s4, s54
	s_addc_u32 s5, s68, s70
	s_addc_u32 s60, s71, 0
	s_add_u32 s5, s5, s54
	s_addc_u32 s54, 0, s60
	v_add_co_u32 v2, s5, v2, s5
	s_delay_alu instid0(VALU_DEP_1) | instskip(SKIP_1) | instid1(VALU_DEP_1)
	s_cmp_lg_u32 s5, 0
	s_addc_u32 s4, s4, s54
	v_readfirstlane_b32 s5, v2
	s_mul_i32 s54, s17, s4
	s_delay_alu instid0(VALU_DEP_1)
	s_mul_hi_u32 s60, s17, s5
	s_mul_i32 s18, s18, s5
	s_add_i32 s54, s60, s54
	s_mul_i32 s17, s17, s5
	s_add_i32 s54, s54, s18
	s_mul_hi_u32 s60, s4, s17
	s_mul_i32 s68, s4, s17
	s_mul_hi_u32 s17, s5, s17
	s_mul_hi_u32 s69, s5, s54
	s_mul_i32 s5, s5, s54
	s_mul_hi_u32 s18, s4, s54
	s_add_u32 s5, s17, s5
	s_addc_u32 s17, 0, s69
	s_add_u32 s5, s5, s68
	s_mul_i32 s54, s4, s54
	s_addc_u32 s5, s17, s60
	s_addc_u32 s17, s18, 0
	s_add_u32 s5, s5, s54
	s_addc_u32 s17, 0, s17
	v_add_co_u32 v2, s5, v2, s5
	s_delay_alu instid0(VALU_DEP_1) | instskip(SKIP_2) | instid1(VALU_DEP_1)
	s_cmp_lg_u32 s5, 0
	s_addc_u32 s17, s4, s17
	s_ashr_i32 s68, s61, 31
	v_readfirstlane_b32 s18, v2
	s_add_u32 s4, s81, s68
	s_mov_b32 s69, s68
	s_addc_u32 s5, s61, s68
	s_delay_alu instid0(SALU_CYCLE_1) | instskip(NEXT) | instid1(SALU_CYCLE_1)
	s_xor_b64 s[4:5], s[4:5], s[68:69]
	s_mul_i32 s60, s4, s17
	s_mul_hi_u32 s69, s4, s18
	s_mul_hi_u32 s54, s4, s17
	;; [unrolled: 1-line block ×3, first 2 shown]
	s_mul_i32 s18, s5, s18
	s_add_u32 s60, s69, s60
	s_addc_u32 s54, 0, s54
	s_mul_hi_u32 s70, s5, s17
	s_add_u32 s18, s60, s18
	s_mul_i32 s17, s5, s17
	s_addc_u32 s18, s54, s71
	s_addc_u32 s54, s70, 0
	s_add_u32 s17, s18, s17
	s_addc_u32 s18, 0, s54
	s_mul_hi_u32 s54, s33, s17
	s_mul_i32 s17, s33, s17
	s_mul_i32 s18, s33, s18
	v_sub_co_u32 v2, s4, s4, s17
	s_add_i32 s54, s54, s18
	s_cmp_lg_u32 s4, 0
	s_delay_alu instid0(VALU_DEP_1) | instskip(SKIP_2) | instid1(VALU_DEP_1)
	v_sub_co_u32 v3, s4, v2, s33
	s_subb_u32 s5, s5, s54
	s_cmp_lg_u32 s4, 0
	v_cmp_le_u32_e32 vcc_lo, s33, v3
	v_sub_co_u32 v4, s4, v3, s33
	s_subb_u32 s17, s5, 0
	s_cmp_lg_u32 s4, 0
	v_cndmask_b32_e64 v5, 0, -1, vcc_lo
	s_subb_u32 s4, s17, 0
	s_cmp_eq_u32 s17, 0
	v_mov_b32_e32 v7, s4
	s_cselect_b32 vcc_lo, -1, 0
	s_cmp_eq_u32 s5, 0
	v_cndmask_b32_e32 v5, -1, v5, vcc_lo
	v_cmp_le_u32_e32 vcc_lo, s33, v2
	s_cselect_b32 s4, -1, 0
	v_cndmask_b32_e64 v6, 0, -1, vcc_lo
	s_delay_alu instid0(VALU_DEP_3) | instskip(NEXT) | instid1(VALU_DEP_2)
	v_cmp_ne_u32_e32 vcc_lo, 0, v5
	v_cndmask_b32_e64 v5, -1, v6, s4
	v_cndmask_b32_e32 v3, v3, v4, vcc_lo
	v_cndmask_b32_e32 v6, s17, v7, vcc_lo
	s_delay_alu instid0(VALU_DEP_3) | instskip(NEXT) | instid1(VALU_DEP_3)
	v_cmp_ne_u32_e32 vcc_lo, 0, v5
	v_cndmask_b32_e32 v2, v2, v3, vcc_lo
	s_delay_alu instid0(VALU_DEP_3) | instskip(NEXT) | instid1(VALU_DEP_2)
	v_cndmask_b32_e32 v4, s5, v6, vcc_lo
	v_xor_b32_e32 v2, s68, v2
	s_delay_alu instid0(VALU_DEP_2) | instskip(NEXT) | instid1(VALU_DEP_2)
	v_xor_b32_e32 v3, s68, v4
	v_sub_co_u32 v2, vcc_lo, v2, s68
	s_delay_alu instid0(VALU_DEP_2)
	v_subrev_co_ci_u32_e32 v3, vcc_lo, s68, v3, vcc_lo
	s_cbranch_execnz .LBB37_234
.LBB37_233:                             ;   in Loop: Header=BB37_17 Depth=1
	v_cvt_f32_u32_e32 v2, s33
	s_sub_i32 s4, 0, s33
	s_delay_alu instid0(VALU_DEP_1) | instskip(SKIP_2) | instid1(VALU_DEP_1)
	v_rcp_iflag_f32_e32 v2, v2
	s_waitcnt_depctr 0xfff
	v_mul_f32_e32 v2, 0x4f7ffffe, v2
	v_cvt_u32_f32_e32 v2, v2
	s_delay_alu instid0(VALU_DEP_1) | instskip(NEXT) | instid1(VALU_DEP_1)
	v_mul_lo_u32 v3, s4, v2
	v_mul_hi_u32 v3, v2, v3
	s_delay_alu instid0(VALU_DEP_1) | instskip(NEXT) | instid1(VALU_DEP_1)
	v_add_nc_u32_e32 v2, v2, v3
	v_mul_hi_u32 v2, s81, v2
	s_delay_alu instid0(VALU_DEP_1) | instskip(NEXT) | instid1(VALU_DEP_1)
	v_mul_lo_u32 v2, v2, s33
	v_sub_nc_u32_e32 v2, s81, v2
	s_delay_alu instid0(VALU_DEP_1) | instskip(SKIP_1) | instid1(VALU_DEP_2)
	v_subrev_nc_u32_e32 v3, s33, v2
	v_cmp_le_u32_e32 vcc_lo, s33, v2
	v_cndmask_b32_e32 v2, v2, v3, vcc_lo
	s_delay_alu instid0(VALU_DEP_1) | instskip(SKIP_1) | instid1(VALU_DEP_2)
	v_subrev_nc_u32_e32 v3, s33, v2
	v_cmp_le_u32_e32 vcc_lo, s33, v2
	v_cndmask_b32_e32 v12, v2, v3, vcc_lo
	s_delay_alu instid0(VALU_DEP_1)
	v_dual_mov_b32 v2, v12 :: v_dual_mov_b32 v3, v13
.LBB37_234:                             ;   in Loop: Header=BB37_17 Depth=1
	s_delay_alu instid0(VALU_DEP_1) | instskip(NEXT) | instid1(VALU_DEP_2)
	v_sub_co_u32 v2, vcc_lo, s81, v2
	v_sub_co_ci_u32_e32 v3, vcc_lo, s61, v3, vcc_lo
	s_mov_b32 s68, 0
	s_mov_b32 s5, exec_lo
                                        ; implicit-def: $vgpr42
	s_delay_alu instid0(VALU_DEP_1)
	v_cmpx_gt_i64_e64 v[2:3], v[0:1]
	s_cbranch_execz .LBB37_247
; %bb.235:                              ;   in Loop: Header=BB37_17 Depth=1
	v_dual_mov_b32 v4, v10 :: v_dual_mov_b32 v5, v11
	v_dual_mov_b32 v7, v1 :: v_dual_mov_b32 v6, v0
	s_mov_b32 s17, 0
                                        ; implicit-def: $sgpr18
	s_set_inst_prefetch_distance 0x1
	s_branch .LBB37_237
	.p2align	6
.LBB37_236:                             ;   in Loop: Header=BB37_237 Depth=2
	s_or_b32 exec_lo, exec_lo, s4
	s_waitcnt vmcnt(0) lgkmcnt(0)
	s_barrier
	buffer_gl0_inv
	ds_load_b32 v8, v13 offset:3072
	v_add_co_u32 v6, vcc_lo, v6, s33
	v_add_co_ci_u32_e32 v7, vcc_lo, 0, v7, vcc_lo
	s_waitcnt lgkmcnt(0)
	s_barrier
	buffer_gl0_inv
	v_cmp_ge_i64_e32 vcc_lo, v[6:7], v[2:3]
	v_cmp_ne_u16_e64 s4, 0, v8
	s_delay_alu instid0(VALU_DEP_1)
	s_or_b32 s54, s4, vcc_lo
	v_add_co_u32 v4, vcc_lo, v4, s56
	s_and_b32 s54, exec_lo, s54
	v_add_co_ci_u32_e32 v5, vcc_lo, s57, v5, vcc_lo
	s_or_b32 s17, s54, s17
	s_and_not1_b32 s18, s18, exec_lo
	s_and_b32 s4, s4, exec_lo
	s_delay_alu instid0(SALU_CYCLE_1)
	s_or_b32 s18, s18, s4
	s_and_not1_b32 exec_lo, exec_lo, s17
	s_cbranch_execz .LBB37_246
.LBB37_237:                             ;   Parent Loop BB37_17 Depth=1
                                        ; =>  This Inner Loop Header: Depth=2
	s_delay_alu instid0(VALU_DEP_1)
	v_cmp_gt_i64_e32 vcc_lo, s[24:25], v[6:7]
	v_mov_b32_e32 v8, 0
	s_and_saveexec_b32 s4, vcc_lo
	s_cbranch_execz .LBB37_239
; %bb.238:                              ;   in Loop: Header=BB37_237 Depth=2
	global_load_u16 v8, v[4:5], off
.LBB37_239:                             ;   in Loop: Header=BB37_237 Depth=2
	s_or_b32 exec_lo, exec_lo, s4
	s_and_saveexec_b32 s4, vcc_lo
	s_cbranch_execz .LBB37_236
; %bb.240:                              ;   in Loop: Header=BB37_237 Depth=2
	s_waitcnt vmcnt(0)
	v_bfe_i32 v9, v8, 0, 16
	s_delay_alu instid0(VALU_DEP_1) | instskip(NEXT) | instid1(VALU_DEP_1)
	v_add_nc_u32_e32 v9, 0x8000, v9
	v_and_b32_e32 v9, s97, v9
	s_delay_alu instid0(VALU_DEP_1)
	v_cmp_eq_u32_e32 vcc_lo, s98, v9
	s_and_b32 exec_lo, exec_lo, vcc_lo
	s_cbranch_execz .LBB37_236
; %bb.241:                              ;   in Loop: Header=BB37_237 Depth=2
	v_perm_b32 v8, v8, 1, 0x5040100
	ds_store_b32 v13, v8 offset:3072
	s_branch .LBB37_236
.LBB37_242:                             ;   in Loop: Header=BB37_17 Depth=1
                                        ; implicit-def: $sgpr17
                                        ; implicit-def: $sgpr54
                                        ; implicit-def: $sgpr18
	s_branch .LBB37_261
.LBB37_243:                             ;   in Loop: Header=BB37_17 Depth=1
                                        ; implicit-def: $vgpr2_vgpr3
	s_branch .LBB37_186
.LBB37_244:                             ;   in Loop: Header=BB37_17 Depth=1
                                        ; implicit-def: $vgpr2_vgpr3
	s_branch .LBB37_203
.LBB37_245:                             ;   in Loop: Header=BB37_17 Depth=1
	s_mov_b32 s17, -1
	s_mov_b32 s68, 0
                                        ; implicit-def: $sgpr18
                                        ; implicit-def: $vgpr42
	s_mov_b32 s54, s17
	s_cbranch_execnz .LBB37_248
	s_branch .LBB37_261
.LBB37_246:                             ;   in Loop: Header=BB37_17 Depth=1
	s_set_inst_prefetch_distance 0x2
	s_or_b32 exec_lo, exec_lo, s17
	v_lshrrev_b32_e32 v42, 16, v8
	s_and_b32 s68, s18, exec_lo
.LBB37_247:                             ;   in Loop: Header=BB37_17 Depth=1
	s_or_b32 exec_lo, exec_lo, s5
	s_mov_b32 s18, -1
	s_mov_b32 s17, 0
	s_delay_alu instid0(SALU_CYCLE_1)
	s_mov_b32 s54, s17
	s_branch .LBB37_261
.LBB37_248:                             ;   in Loop: Header=BB37_17 Depth=1
	s_add_u32 s17, s79, s8
	s_addc_u32 s5, s80, s9
	s_mov_b32 s4, s55
	s_delay_alu instid0(SALU_CYCLE_1)
	s_cmp_lg_u64 s[4:5], 0
	s_cbranch_scc0 .LBB37_282
; %bb.249:                              ;   in Loop: Header=BB37_17 Depth=1
	v_cvt_f32_u32_e32 v2, s33
	s_sub_u32 s54, 0, s33
	s_subb_u32 s60, 0, 0
	s_delay_alu instid0(VALU_DEP_1) | instskip(NEXT) | instid1(VALU_DEP_1)
	v_fmac_f32_e32 v2, 0x4f800000, v41
	v_rcp_f32_e32 v2, v2
	s_waitcnt_depctr 0xfff
	v_mul_f32_e32 v2, 0x5f7ffffc, v2
	s_delay_alu instid0(VALU_DEP_1) | instskip(NEXT) | instid1(VALU_DEP_1)
	v_mul_f32_e32 v3, 0x2f800000, v2
	v_trunc_f32_e32 v3, v3
	s_delay_alu instid0(VALU_DEP_1) | instskip(SKIP_1) | instid1(VALU_DEP_2)
	v_fmac_f32_e32 v2, 0xcf800000, v3
	v_cvt_u32_f32_e32 v3, v3
	v_cvt_u32_f32_e32 v2, v2
	s_delay_alu instid0(VALU_DEP_2) | instskip(NEXT) | instid1(VALU_DEP_2)
	v_readfirstlane_b32 s4, v3
	v_readfirstlane_b32 s18, v2
	s_delay_alu instid0(VALU_DEP_2) | instskip(NEXT) | instid1(VALU_DEP_1)
	s_mul_i32 s68, s54, s4
	s_mul_hi_u32 s70, s54, s18
	s_mul_i32 s69, s60, s18
	s_add_i32 s68, s70, s68
	s_mul_i32 s71, s54, s18
	s_add_i32 s68, s68, s69
	s_mul_hi_u32 s70, s18, s71
	s_mul_hi_u32 s72, s4, s71
	s_mul_i32 s69, s4, s71
	s_mul_hi_u32 s71, s18, s68
	s_mul_i32 s18, s18, s68
	s_mul_hi_u32 s73, s4, s68
	s_add_u32 s18, s70, s18
	s_addc_u32 s70, 0, s71
	s_add_u32 s18, s18, s69
	s_mul_i32 s68, s4, s68
	s_addc_u32 s18, s70, s72
	s_addc_u32 s69, s73, 0
	s_add_u32 s18, s18, s68
	s_addc_u32 s68, 0, s69
	v_add_co_u32 v2, s18, v2, s18
	s_delay_alu instid0(VALU_DEP_1) | instskip(SKIP_1) | instid1(VALU_DEP_1)
	s_cmp_lg_u32 s18, 0
	s_addc_u32 s4, s4, s68
	v_readfirstlane_b32 s18, v2
	s_mul_i32 s68, s54, s4
	s_delay_alu instid0(VALU_DEP_1)
	s_mul_hi_u32 s69, s54, s18
	s_mul_i32 s60, s60, s18
	s_add_i32 s68, s69, s68
	s_mul_i32 s54, s54, s18
	s_add_i32 s68, s68, s60
	s_mul_hi_u32 s69, s4, s54
	s_mul_i32 s70, s4, s54
	s_mul_hi_u32 s54, s18, s54
	s_mul_hi_u32 s71, s18, s68
	s_mul_i32 s18, s18, s68
	s_mul_hi_u32 s60, s4, s68
	s_add_u32 s18, s54, s18
	s_addc_u32 s54, 0, s71
	s_add_u32 s18, s18, s70
	s_mul_i32 s68, s4, s68
	s_addc_u32 s18, s54, s69
	s_addc_u32 s54, s60, 0
	s_add_u32 s18, s18, s68
	s_addc_u32 s54, 0, s54
	v_add_co_u32 v2, s18, v2, s18
	s_delay_alu instid0(VALU_DEP_1) | instskip(SKIP_2) | instid1(VALU_DEP_1)
	s_cmp_lg_u32 s18, 0
	s_addc_u32 s4, s4, s54
	s_ashr_i32 s68, s5, 31
	v_readfirstlane_b32 s18, v2
	s_add_u32 s70, s17, s68
	s_mov_b32 s69, s68
	s_addc_u32 s71, s5, s68
	s_delay_alu instid0(SALU_CYCLE_1) | instskip(NEXT) | instid1(SALU_CYCLE_1)
	s_xor_b64 s[70:71], s[70:71], s[68:69]
	s_mul_i32 s60, s70, s4
	s_mul_hi_u32 s69, s70, s18
	s_mul_hi_u32 s54, s70, s4
	;; [unrolled: 1-line block ×3, first 2 shown]
	s_mul_i32 s18, s71, s18
	s_add_u32 s60, s69, s60
	s_addc_u32 s54, 0, s54
	s_mul_hi_u32 s72, s71, s4
	s_add_u32 s18, s60, s18
	s_mul_i32 s4, s71, s4
	s_addc_u32 s18, s54, s73
	s_addc_u32 s54, s72, 0
	s_add_u32 s4, s18, s4
	s_addc_u32 s18, 0, s54
	s_mul_hi_u32 s54, s33, s4
	s_mul_i32 s4, s33, s4
	s_mul_i32 s18, s33, s18
	v_sub_co_u32 v2, s4, s70, s4
	s_add_i32 s54, s54, s18
	s_cmp_lg_u32 s4, 0
	s_delay_alu instid0(VALU_DEP_1) | instskip(SKIP_2) | instid1(VALU_DEP_1)
	v_sub_co_u32 v3, s4, v2, s33
	s_subb_u32 s18, s71, s54
	s_cmp_lg_u32 s4, 0
	v_cmp_le_u32_e32 vcc_lo, s33, v3
	v_sub_co_u32 v4, s4, v3, s33
	s_subb_u32 s54, s18, 0
	s_cmp_lg_u32 s4, 0
	v_cndmask_b32_e64 v5, 0, -1, vcc_lo
	s_subb_u32 s4, s54, 0
	s_cmp_eq_u32 s54, 0
	v_mov_b32_e32 v7, s4
	s_cselect_b32 vcc_lo, -1, 0
	s_cmp_eq_u32 s18, 0
	v_cndmask_b32_e32 v5, -1, v5, vcc_lo
	v_cmp_le_u32_e32 vcc_lo, s33, v2
	s_cselect_b32 s4, -1, 0
	v_cndmask_b32_e64 v6, 0, -1, vcc_lo
	s_delay_alu instid0(VALU_DEP_3) | instskip(NEXT) | instid1(VALU_DEP_2)
	v_cmp_ne_u32_e32 vcc_lo, 0, v5
	v_cndmask_b32_e64 v5, -1, v6, s4
	v_cndmask_b32_e32 v3, v3, v4, vcc_lo
	v_cndmask_b32_e32 v6, s54, v7, vcc_lo
	s_delay_alu instid0(VALU_DEP_3) | instskip(NEXT) | instid1(VALU_DEP_3)
	v_cmp_ne_u32_e32 vcc_lo, 0, v5
	v_cndmask_b32_e32 v2, v2, v3, vcc_lo
	s_delay_alu instid0(VALU_DEP_3) | instskip(NEXT) | instid1(VALU_DEP_2)
	v_cndmask_b32_e32 v4, s18, v6, vcc_lo
	v_xor_b32_e32 v2, s68, v2
	s_delay_alu instid0(VALU_DEP_2) | instskip(NEXT) | instid1(VALU_DEP_2)
	v_xor_b32_e32 v3, s68, v4
	v_sub_co_u32 v2, vcc_lo, v2, s68
	s_delay_alu instid0(VALU_DEP_2)
	v_subrev_co_ci_u32_e32 v3, vcc_lo, s68, v3, vcc_lo
	s_cbranch_execnz .LBB37_251
.LBB37_250:                             ;   in Loop: Header=BB37_17 Depth=1
	v_cvt_f32_u32_e32 v2, s33
	s_sub_i32 s4, 0, s33
	s_delay_alu instid0(VALU_DEP_1) | instskip(SKIP_2) | instid1(VALU_DEP_1)
	v_rcp_iflag_f32_e32 v2, v2
	s_waitcnt_depctr 0xfff
	v_mul_f32_e32 v2, 0x4f7ffffe, v2
	v_cvt_u32_f32_e32 v2, v2
	s_delay_alu instid0(VALU_DEP_1) | instskip(NEXT) | instid1(VALU_DEP_1)
	v_mul_lo_u32 v3, s4, v2
	v_mul_hi_u32 v3, v2, v3
	s_delay_alu instid0(VALU_DEP_1) | instskip(NEXT) | instid1(VALU_DEP_1)
	v_add_nc_u32_e32 v2, v2, v3
	v_mul_hi_u32 v2, s17, v2
	s_delay_alu instid0(VALU_DEP_1) | instskip(NEXT) | instid1(VALU_DEP_1)
	v_mul_lo_u32 v2, v2, s33
	v_sub_nc_u32_e32 v2, s17, v2
	s_delay_alu instid0(VALU_DEP_1) | instskip(SKIP_1) | instid1(VALU_DEP_2)
	v_subrev_nc_u32_e32 v3, s33, v2
	v_cmp_le_u32_e32 vcc_lo, s33, v2
	v_cndmask_b32_e32 v2, v2, v3, vcc_lo
	s_delay_alu instid0(VALU_DEP_1) | instskip(SKIP_1) | instid1(VALU_DEP_2)
	v_subrev_nc_u32_e32 v3, s33, v2
	v_cmp_le_u32_e32 vcc_lo, s33, v2
	v_cndmask_b32_e32 v12, v2, v3, vcc_lo
	s_delay_alu instid0(VALU_DEP_1)
	v_dual_mov_b32 v2, v12 :: v_dual_mov_b32 v3, v13
.LBB37_251:                             ;   in Loop: Header=BB37_17 Depth=1
	s_delay_alu instid0(VALU_DEP_1) | instskip(NEXT) | instid1(VALU_DEP_2)
	v_sub_co_u32 v2, vcc_lo, s17, v2
	v_sub_co_ci_u32_e32 v3, vcc_lo, s5, v3, vcc_lo
	s_mov_b32 s68, 0
	s_mov_b32 s5, exec_lo
                                        ; implicit-def: $vgpr42
	s_delay_alu instid0(VALU_DEP_1)
	v_cmpx_gt_i64_e64 v[2:3], v[0:1]
	s_cbranch_execz .LBB37_260
; %bb.252:                              ;   in Loop: Header=BB37_17 Depth=1
	v_dual_mov_b32 v6, v32 :: v_dual_mov_b32 v5, v1
	v_mov_b32_e32 v4, v0
	s_mov_b32 s17, 0
                                        ; implicit-def: $sgpr18
	s_set_inst_prefetch_distance 0x1
	s_branch .LBB37_254
	.p2align	6
.LBB37_253:                             ;   in Loop: Header=BB37_254 Depth=2
	s_or_b32 exec_lo, exec_lo, s4
	s_waitcnt lgkmcnt(0)
	s_barrier
	buffer_gl0_inv
	ds_load_b32 v7, v13 offset:3072
	v_add_co_u32 v4, vcc_lo, v4, s33
	v_add_co_ci_u32_e32 v5, vcc_lo, 0, v5, vcc_lo
	v_add_nc_u32_e32 v6, s87, v6
	s_waitcnt lgkmcnt(0)
	s_barrier
	s_delay_alu instid0(VALU_DEP_2) | instskip(SKIP_2) | instid1(VALU_DEP_1)
	v_cmp_ge_i64_e32 vcc_lo, v[4:5], v[2:3]
	buffer_gl0_inv
	v_cmp_ne_u16_e64 s4, 0, v7
	s_or_b32 s54, s4, vcc_lo
	s_delay_alu instid0(SALU_CYCLE_1) | instskip(NEXT) | instid1(SALU_CYCLE_1)
	s_and_b32 s54, exec_lo, s54
	s_or_b32 s17, s54, s17
	s_and_not1_b32 s18, s18, exec_lo
	s_and_b32 s4, s4, exec_lo
	s_delay_alu instid0(SALU_CYCLE_1)
	s_or_b32 s18, s18, s4
	s_and_not1_b32 exec_lo, exec_lo, s17
	s_cbranch_execz .LBB37_259
.LBB37_254:                             ;   Parent Loop BB37_17 Depth=1
                                        ; =>  This Inner Loop Header: Depth=2
	s_delay_alu instid0(VALU_DEP_1)
	v_cmp_gt_i64_e32 vcc_lo, s[8:9], v[4:5]
	v_mov_b32_e32 v7, 0
	s_and_saveexec_b32 s4, vcc_lo
	s_cbranch_execz .LBB37_256
; %bb.255:                              ;   in Loop: Header=BB37_254 Depth=2
	ds_load_u16 v7, v6
.LBB37_256:                             ;   in Loop: Header=BB37_254 Depth=2
	s_or_b32 exec_lo, exec_lo, s4
	s_and_saveexec_b32 s4, vcc_lo
	s_cbranch_execz .LBB37_253
; %bb.257:                              ;   in Loop: Header=BB37_254 Depth=2
	s_waitcnt lgkmcnt(0)
	v_bfe_i32 v8, v7, 0, 16
	s_delay_alu instid0(VALU_DEP_1) | instskip(NEXT) | instid1(VALU_DEP_1)
	v_add_nc_u32_e32 v8, 0x8000, v8
	v_and_b32_e32 v8, s97, v8
	s_delay_alu instid0(VALU_DEP_1)
	v_cmp_eq_u32_e32 vcc_lo, s98, v8
	s_and_b32 exec_lo, exec_lo, vcc_lo
	s_cbranch_execz .LBB37_253
; %bb.258:                              ;   in Loop: Header=BB37_254 Depth=2
	v_perm_b32 v7, v7, 1, 0x5040100
	ds_store_b32 v13, v7 offset:3072
	s_branch .LBB37_253
.LBB37_259:                             ;   in Loop: Header=BB37_17 Depth=1
	s_set_inst_prefetch_distance 0x2
	s_or_b32 exec_lo, exec_lo, s17
	v_lshrrev_b32_e32 v42, 16, v7
	s_and_b32 s68, s18, exec_lo
.LBB37_260:                             ;   in Loop: Header=BB37_17 Depth=1
	s_or_b32 exec_lo, exec_lo, s5
	s_mov_b32 s54, -1
	s_mov_b32 s17, 0
	s_mov_b32 s18, 0
.LBB37_261:                             ;   in Loop: Header=BB37_17 Depth=1
	s_mov_b32 s9, 0
                                        ; implicit-def: $sgpr60
                                        ; implicit-def: $sgpr4_sgpr5
	s_and_saveexec_b32 s8, s68
	s_cbranch_execz .LBB37_274
; %bb.262:                              ;   in Loop: Header=BB37_17 Depth=1
	s_xor_b32 s9, s11, -1
	s_mov_b64 s[4:5], 1
	s_and_not1_b32 vcc_lo, exec_lo, s9
	s_mov_b32 s60, 1
	s_cbranch_vccnz .LBB37_273
; %bb.263:                              ;   in Loop: Header=BB37_17 Depth=1
	v_cmp_gt_i64_e64 s4, s[26:27], s[6:7]
	s_delay_alu instid0(VALU_DEP_1)
	s_and_b32 vcc_lo, exec_lo, s4
	s_cbranch_vccnz .LBB37_269
; %bb.264:                              ;   in Loop: Header=BB37_17 Depth=1
	ds_load_b64 v[2:3], v13 offset:5120
	s_waitcnt lgkmcnt(0)
	v_cmp_ne_u64_e32 vcc_lo, 0, v[2:3]
	s_cbranch_vccnz .LBB37_268
; %bb.265:                              ;   in Loop: Header=BB37_17 Depth=1
	s_and_saveexec_b32 s4, s2
	s_cbranch_execz .LBB37_267
; %bb.266:                              ;   in Loop: Header=BB37_17 Depth=1
	v_dual_mov_b32 v2, s6 :: v_dual_mov_b32 v3, s7
	ds_store_b64 v13, v[2:3] offset:5128
.LBB37_267:                             ;   in Loop: Header=BB37_17 Depth=1
	s_or_b32 exec_lo, exec_lo, s4
	s_waitcnt lgkmcnt(0)
	s_barrier
	buffer_gl0_inv
.LBB37_268:                             ;   in Loop: Header=BB37_17 Depth=1
	s_or_b32 s9, s98, s16
	s_or_b32 s11, s97, s16
	s_mov_b32 s4, 0
	s_mov_b32 s60, 8
	s_branch .LBB37_270
.LBB37_269:                             ;   in Loop: Header=BB37_17 Depth=1
	s_mov_b32 s4, -1
                                        ; implicit-def: $sgpr60
                                        ; implicit-def: $sgpr9
                                        ; implicit-def: $sgpr11
.LBB37_270:                             ;   in Loop: Header=BB37_17 Depth=1
	s_delay_alu instid0(SALU_CYCLE_1)
	s_and_not1_b32 vcc_lo, exec_lo, s4
	s_cbranch_vccnz .LBB37_272
; %bb.271:                              ;   in Loop: Header=BB37_17 Depth=1
	s_sub_u32 s26, s26, s6
	s_subb_u32 s27, s27, s7
	s_mov_b32 s60, 8
	s_mov_b32 s9, s98
	s_mov_b32 s11, s97
.LBB37_272:                             ;   in Loop: Header=BB37_17 Depth=1
	s_mov_b64 s[4:5], s[26:27]
	s_mov_b32 s98, s9
	s_mov_b32 s97, s11
.LBB37_273:                             ;   in Loop: Header=BB37_17 Depth=1
	s_mov_b32 s9, exec_lo
.LBB37_274:                             ;   in Loop: Header=BB37_17 Depth=1
	s_or_b32 exec_lo, exec_lo, s8
	s_mov_b64 s[26:27], s[4:5]
.LBB37_275:                             ;   in Loop: Header=BB37_17 Depth=1
	s_and_not1_b32 s4, s13, exec_lo
	s_and_b32 s5, s17, exec_lo
	s_and_not1_b32 s6, s22, exec_lo
	s_or_b32 s13, s4, s5
	s_and_not1_b32 s4, s23, exec_lo
	s_and_b32 s5, s54, exec_lo
	s_and_b32 s7, s18, exec_lo
	s_or_b32 s23, s4, s5
	s_or_b32 s22, s6, s7
	s_and_b32 s5, s9, exec_lo
.LBB37_276:                             ;   in Loop: Header=BB37_17 Depth=1
	s_or_b32 exec_lo, exec_lo, s10
.LBB37_277:                             ;   in Loop: Header=BB37_17 Depth=1
	s_delay_alu instid0(SALU_CYCLE_1)
	s_and_not1_b32 s4, s20, exec_lo
	s_and_b32 s6, s13, exec_lo
	s_and_not1_b32 s7, s19, exec_lo
	s_or_b32 s20, s4, s6
	s_and_not1_b32 s4, s21, exec_lo
	s_and_b32 s6, s23, exec_lo
	s_and_b32 s8, s22, exec_lo
	s_or_b32 s21, s4, s6
	s_or_b32 s19, s7, s8
	s_and_b32 s5, s5, exec_lo
.LBB37_278:                             ;   in Loop: Header=BB37_17 Depth=1
	s_or_b32 exec_lo, exec_lo, s12
	s_and_saveexec_b32 s4, s5
	s_delay_alu instid0(SALU_CYCLE_1)
	s_xor_b32 s4, exec_lo, s4
	s_cbranch_execz .LBB37_15
.LBB37_279:                             ;   in Loop: Header=BB37_17 Depth=1
	s_and_b32 s5, s60, -9
	s_delay_alu instid0(SALU_CYCLE_1)
	s_cmp_eq_u32 s5, 0
	s_cbranch_scc1 .LBB37_13
; %bb.280:                              ;   in Loop: Header=BB37_17 Depth=1
	s_mov_b32 s5, -1
	s_mov_b32 s6, -1
                                        ; implicit-def: $sgpr97
                                        ; implicit-def: $sgpr92
                                        ; implicit-def: $sgpr93
	s_branch .LBB37_14
.LBB37_281:                             ;   in Loop: Header=BB37_17 Depth=1
                                        ; implicit-def: $vgpr2_vgpr3
	s_branch .LBB37_233
.LBB37_282:                             ;   in Loop: Header=BB37_17 Depth=1
                                        ; implicit-def: $vgpr2_vgpr3
	s_branch .LBB37_250
.LBB37_283:
	s_or_b32 exec_lo, exec_lo, s88
	s_xor_b32 s5, s91, -1
	s_xor_b32 s1, s89, -1
	;; [unrolled: 1-line block ×3, first 2 shown]
	s_mov_b32 s3, 0
	s_and_saveexec_b32 s6, s1
	s_delay_alu instid0(SALU_CYCLE_1)
	s_xor_b32 s1, exec_lo, s6
	s_cbranch_execz .LBB37_309
; %bb.284:
	s_and_saveexec_b32 s3, s5
	s_delay_alu instid0(SALU_CYCLE_1)
	s_xor_b32 s3, exec_lo, s3
	s_cbranch_execz .LBB37_307
; %bb.285:
	s_and_saveexec_b32 s5, s4
	s_delay_alu instid0(SALU_CYCLE_1)
	s_xor_b32 s4, exec_lo, s5
; %bb.286:
	v_xor_b32_e32 v42, 0xffff8000, v2
; %bb.287:
	s_or_b32 exec_lo, exec_lo, s4
	s_and_saveexec_b32 s4, s2
	s_cbranch_execz .LBB37_289
; %bb.288:
	v_dual_mov_b32 v2, 0 :: v_dual_mov_b32 v3, s24
	ds_store_b32 v2, v3 offset:5140
.LBB37_289:
	s_or_b32 exec_lo, exec_lo, s4
	s_waitcnt lgkmcnt(0)
	s_barrier
	buffer_gl0_inv
	s_and_saveexec_b32 s4, s0
	s_cbranch_execz .LBB37_304
; %bb.290:
	v_mov_b32_e32 v2, 0
	s_mov_b32 s5, 0
                                        ; implicit-def: $sgpr6
                                        ; implicit-def: $sgpr7
                                        ; implicit-def: $sgpr8
	ds_load_b32 v4, v2 offset:5140
	s_waitcnt lgkmcnt(0)
	v_ashrrev_i32_e32 v5, 31, v4
	s_set_inst_prefetch_distance 0x1
	s_branch .LBB37_293
	.p2align	6
.LBB37_291:                             ;   in Loop: Header=BB37_293 Depth=1
	s_or_b32 exec_lo, exec_lo, s11
	s_delay_alu instid0(SALU_CYCLE_1)
	s_and_not1_b32 s8, s8, exec_lo
	s_and_b32 s10, s10, exec_lo
	s_and_not1_b32 s7, s7, exec_lo
	s_and_b32 s0, s0, exec_lo
	s_or_b32 s8, s8, s10
	s_or_b32 s7, s7, s0
.LBB37_292:                             ;   in Loop: Header=BB37_293 Depth=1
	s_or_b32 exec_lo, exec_lo, s9
	s_delay_alu instid0(SALU_CYCLE_1) | instskip(NEXT) | instid1(SALU_CYCLE_1)
	s_and_b32 s0, exec_lo, s7
	s_or_b32 s5, s0, s5
	s_and_not1_b32 s0, s6, exec_lo
	s_and_b32 s6, s8, exec_lo
	s_delay_alu instid0(SALU_CYCLE_1)
	s_or_b32 s6, s0, s6
	s_and_not1_b32 exec_lo, exec_lo, s5
	s_cbranch_execz .LBB37_299
.LBB37_293:                             ; =>This Inner Loop Header: Depth=1
	v_dual_mov_b32 v3, v1 :: v_dual_mov_b32 v2, v0
	s_or_b32 s8, s8, exec_lo
	s_or_b32 s7, s7, exec_lo
	s_mov_b32 s9, exec_lo
                                        ; implicit-def: $vgpr0_vgpr1
	s_delay_alu instid0(VALU_DEP_1)
	v_cmpx_lt_i64_e64 v[2:3], v[4:5]
	s_cbranch_execz .LBB37_292
; %bb.294:                              ;   in Loop: Header=BB37_293 Depth=1
	global_load_u16 v0, v[10:11], off
	s_mov_b32 s0, -1
	s_mov_b32 s10, 0
	s_waitcnt vmcnt(0)
	v_cmp_ne_u16_e32 vcc_lo, v0, v42
                                        ; implicit-def: $vgpr0_vgpr1
	s_and_saveexec_b32 s11, vcc_lo
	s_cbranch_execz .LBB37_291
; %bb.295:                              ;   in Loop: Header=BB37_293 Depth=1
	v_add_co_u32 v0, vcc_lo, v2, s33
	v_add_co_ci_u32_e32 v1, vcc_lo, 0, v3, vcc_lo
	v_add_co_u32 v10, s0, v10, s56
	s_delay_alu instid0(VALU_DEP_1) | instskip(NEXT) | instid1(VALU_DEP_3)
	v_add_co_ci_u32_e64 v11, s0, s57, v11, s0
	v_cmp_le_i64_e32 vcc_lo, s[24:25], v[0:1]
	s_mov_b32 s10, exec_lo
	s_or_not1_b32 s0, vcc_lo, exec_lo
	s_branch .LBB37_291
.LBB37_296:
                                        ; implicit-def: $sgpr16_sgpr17
	s_branch .LBB37_3
.LBB37_297:
                                        ; implicit-def: $sgpr46_sgpr47
	s_branch .LBB37_6
.LBB37_298:
                                        ; implicit-def: $sgpr48_sgpr49
	s_load_b64 s[18:19], s[0:1], 0x0
	s_branch .LBB37_9
.LBB37_299:
	s_set_inst_prefetch_distance 0x2
	s_or_b32 exec_lo, exec_lo, s5
	s_xor_b32 s0, s6, -1
	s_delay_alu instid0(SALU_CYCLE_1) | instskip(NEXT) | instid1(SALU_CYCLE_1)
	s_and_saveexec_b32 s5, s0
	s_xor_b32 s5, exec_lo, s5
	s_cbranch_execz .LBB37_304
; %bb.300:
	s_mov_b32 s5, exec_lo
	s_brev_b32 s0, -2
.LBB37_301:                             ; =>This Inner Loop Header: Depth=1
	s_ctz_i32_b32 s6, s5
	s_delay_alu instid0(SALU_CYCLE_1) | instskip(SKIP_1) | instid1(SALU_CYCLE_1)
	v_readlane_b32 s7, v2, s6
	s_lshl_b32 s6, 1, s6
	s_and_not1_b32 s5, s5, s6
	s_delay_alu instid0(VALU_DEP_1)
	s_min_i32 s0, s0, s7
	s_cmp_lg_u32 s5, 0
	s_cbranch_scc1 .LBB37_301
; %bb.302:
	v_mbcnt_lo_u32_b32 v0, exec_lo, 0
	s_mov_b32 s5, exec_lo
	s_delay_alu instid0(VALU_DEP_1)
	v_cmpx_eq_u32_e32 0, v0
	s_xor_b32 s5, exec_lo, s5
	s_cbranch_execz .LBB37_304
; %bb.303:
	v_dual_mov_b32 v0, 0 :: v_dual_mov_b32 v1, s0
	ds_min_i32 v0, v1 offset:5140
.LBB37_304:
	s_or_b32 exec_lo, exec_lo, s4
	s_waitcnt lgkmcnt(0)
	s_barrier
	buffer_gl0_inv
	s_and_saveexec_b32 s0, s2
	s_cbranch_execz .LBB37_306
; %bb.305:
	s_mul_i32 s2, s46, s29
	s_mul_hi_u32 s4, s46, s28
	s_mul_i32 s5, s46, s28
	s_add_i32 s2, s4, s2
	s_mul_i32 s4, s47, s28
	s_mul_hi_u32 s7, s46, s40
	s_add_i32 s2, s2, s4
	s_sub_u32 s4, s34, s5
	s_subb_u32 s2, 0, s2
	s_mul_i32 s5, s4, s43
	s_mul_hi_u32 s6, s4, s42
	s_mul_i32 s2, s2, s42
	s_add_i32 s5, s6, s5
	s_mul_i32 s6, s46, s41
	v_mov_b32_e32 v2, 0
	s_add_i32 s5, s5, s2
	s_add_i32 s2, s7, s6
	s_mul_i32 s6, s47, s40
	s_mul_hi_u32 s8, s48, s44
	s_add_i32 s7, s2, s6
	s_mul_i32 s2, s48, s45
	ds_load_b32 v0, v2 offset:5140
	s_add_i32 s2, s8, s2
	s_mul_i32 s8, s49, s44
	s_mul_i32 s9, s48, s44
	s_add_i32 s2, s2, s8
	s_sub_u32 s8, s34, s9
	s_subb_u32 s2, 0, s2
	s_mul_i32 s9, s8, s39
	s_mul_hi_u32 s10, s8, s38
	s_mul_i32 s2, s2, s38
	s_add_i32 s9, s10, s9
	s_mul_i32 s10, s48, s37
	s_mul_hi_u32 s11, s48, s36
	s_mul_i32 s6, s46, s40
	s_add_i32 s9, s9, s2
	s_add_i32 s2, s11, s10
	s_mul_i32 s10, s49, s36
	s_lshl_b64 s[6:7], s[6:7], 1
	s_mul_i32 s4, s4, s42
	s_add_i32 s11, s2, s10
	s_add_u32 s2, s52, s6
	s_addc_u32 s6, s53, s7
	s_lshl_b64 s[4:5], s[4:5], 1
	s_mul_i32 s10, s48, s36
	s_add_u32 s4, s2, s4
	s_addc_u32 s5, s6, s5
	s_lshl_b64 s[6:7], s[10:11], 3
	s_mul_i32 s8, s8, s38
	s_add_u32 s2, s50, s6
	s_addc_u32 s10, s51, s7
	s_lshl_b64 s[6:7], s[8:9], 3
	s_waitcnt lgkmcnt(0)
	v_ashrrev_i32_e32 v1, 31, v0
	s_add_u32 s6, s2, s6
	s_addc_u32 s7, s10, s7
	s_clause 0x1
	global_store_b64 v2, v[0:1], s[6:7]
	global_store_b16 v2, v42, s[4:5]
.LBB37_306:
	s_or_b32 exec_lo, exec_lo, s0
.LBB37_307:
	s_or_saveexec_b32 s0, s3
	s_mov_b32 s2, 0
	s_xor_b32 exec_lo, exec_lo, s0
	s_cbranch_execnz .LBB37_315
.LBB37_308:
	s_or_b32 exec_lo, exec_lo, s0
	s_delay_alu instid0(SALU_CYCLE_1)
	s_and_b32 s3, s2, exec_lo
.LBB37_309:
	s_and_not1_saveexec_b32 s0, s1
	s_cbranch_execnz .LBB37_313
; %bb.310:
	s_or_b32 exec_lo, exec_lo, s0
	s_and_saveexec_b32 s0, s3
.LBB37_311:
	; divergent unreachable
.LBB37_312:
	s_nop 0
	s_sendmsg sendmsg(MSG_DEALLOC_VGPRS)
	s_endpgm
.LBB37_313:
	s_cbranch_execnz .LBB37_317
; %bb.314:
	s_or_b32 s3, s3, exec_lo
	s_or_b32 exec_lo, exec_lo, s0
	s_and_saveexec_b32 s0, s3
	s_cbranch_execnz .LBB37_311
	s_branch .LBB37_312
.LBB37_315:
	s_cbranch_execnz .LBB37_319
; %bb.316:
	s_mov_b32 s2, exec_lo
	s_branch .LBB37_308
.LBB37_317:
	s_trap 2
	s_sendmsg_rtn_b32 s0, sendmsg(MSG_RTN_GET_DOORBELL)
	s_mov_b32 ttmp2, m0
	s_waitcnt lgkmcnt(0)
	s_and_b32 s0, s0, 0x3ff
	s_delay_alu instid0(SALU_CYCLE_1) | instskip(NEXT) | instid1(SALU_CYCLE_1)
	s_bitset1_b32 s0, 10
	s_mov_b32 m0, s0
	s_sendmsg sendmsg(MSG_INTERRUPT)
	s_mov_b32 m0, ttmp2
.LBB37_318:                             ; =>This Inner Loop Header: Depth=1
	s_sethalt 5
	s_branch .LBB37_318
.LBB37_319:
	s_trap 2
	s_sendmsg_rtn_b32 s0, sendmsg(MSG_RTN_GET_DOORBELL)
	s_mov_b32 ttmp2, m0
	s_waitcnt lgkmcnt(0)
	s_and_b32 s0, s0, 0x3ff
	s_delay_alu instid0(SALU_CYCLE_1) | instskip(NEXT) | instid1(SALU_CYCLE_1)
	s_bitset1_b32 s0, 10
	s_mov_b32 m0, s0
	s_sendmsg sendmsg(MSG_INTERRUPT)
	s_mov_b32 m0, ttmp2
.LBB37_320:                             ; =>This Inner Loop Header: Depth=1
	s_sethalt 5
	s_branch .LBB37_320
	.section	.rodata,"a",@progbits
	.p2align	6, 0x0
	.amdhsa_kernel _ZN2at6native12_GLOBAL__N_114gatherKthValueIslLi2EEEvNS_4cuda6detail10TensorInfoIKT_T0_EES8_S8_S8_S8_NS5_IS6_S8_EENS5_IlS8_EE
		.amdhsa_group_segment_fixed_size 5144
		.amdhsa_private_segment_fixed_size 0
		.amdhsa_kernarg_size 1536
		.amdhsa_user_sgpr_count 13
		.amdhsa_user_sgpr_dispatch_ptr 0
		.amdhsa_user_sgpr_queue_ptr 0
		.amdhsa_user_sgpr_kernarg_segment_ptr 1
		.amdhsa_user_sgpr_dispatch_id 0
		.amdhsa_user_sgpr_private_segment_size 0
		.amdhsa_wavefront_size32 1
		.amdhsa_uses_dynamic_stack 0
		.amdhsa_enable_private_segment 0
		.amdhsa_system_sgpr_workgroup_id_x 1
		.amdhsa_system_sgpr_workgroup_id_y 1
		.amdhsa_system_sgpr_workgroup_id_z 1
		.amdhsa_system_sgpr_workgroup_info 0
		.amdhsa_system_vgpr_workitem_id 0
		.amdhsa_next_free_vgpr 46
		.amdhsa_next_free_sgpr 101
		.amdhsa_reserve_vcc 1
		.amdhsa_float_round_mode_32 0
		.amdhsa_float_round_mode_16_64 0
		.amdhsa_float_denorm_mode_32 3
		.amdhsa_float_denorm_mode_16_64 3
		.amdhsa_dx10_clamp 1
		.amdhsa_ieee_mode 1
		.amdhsa_fp16_overflow 0
		.amdhsa_workgroup_processor_mode 1
		.amdhsa_memory_ordered 1
		.amdhsa_forward_progress 0
		.amdhsa_shared_vgpr_count 0
		.amdhsa_exception_fp_ieee_invalid_op 0
		.amdhsa_exception_fp_denorm_src 0
		.amdhsa_exception_fp_ieee_div_zero 0
		.amdhsa_exception_fp_ieee_overflow 0
		.amdhsa_exception_fp_ieee_underflow 0
		.amdhsa_exception_fp_ieee_inexact 0
		.amdhsa_exception_int_div_zero 0
	.end_amdhsa_kernel
	.section	.text._ZN2at6native12_GLOBAL__N_114gatherKthValueIslLi2EEEvNS_4cuda6detail10TensorInfoIKT_T0_EES8_S8_S8_S8_NS5_IS6_S8_EENS5_IlS8_EE,"axG",@progbits,_ZN2at6native12_GLOBAL__N_114gatherKthValueIslLi2EEEvNS_4cuda6detail10TensorInfoIKT_T0_EES8_S8_S8_S8_NS5_IS6_S8_EENS5_IlS8_EE,comdat
.Lfunc_end37:
	.size	_ZN2at6native12_GLOBAL__N_114gatherKthValueIslLi2EEEvNS_4cuda6detail10TensorInfoIKT_T0_EES8_S8_S8_S8_NS5_IS6_S8_EENS5_IlS8_EE, .Lfunc_end37-_ZN2at6native12_GLOBAL__N_114gatherKthValueIslLi2EEEvNS_4cuda6detail10TensorInfoIKT_T0_EES8_S8_S8_S8_NS5_IS6_S8_EENS5_IlS8_EE
                                        ; -- End function
	.section	.AMDGPU.csdata,"",@progbits
; Kernel info:
; codeLenInByte = 19716
; NumSgprs: 103
; NumVgprs: 46
; ScratchSize: 0
; MemoryBound: 0
; FloatMode: 240
; IeeeMode: 1
; LDSByteSize: 5144 bytes/workgroup (compile time only)
; SGPRBlocks: 12
; VGPRBlocks: 5
; NumSGPRsForWavesPerEU: 103
; NumVGPRsForWavesPerEU: 46
; Occupancy: 16
; WaveLimiterHint : 1
; COMPUTE_PGM_RSRC2:SCRATCH_EN: 0
; COMPUTE_PGM_RSRC2:USER_SGPR: 13
; COMPUTE_PGM_RSRC2:TRAP_HANDLER: 0
; COMPUTE_PGM_RSRC2:TGID_X_EN: 1
; COMPUTE_PGM_RSRC2:TGID_Y_EN: 1
; COMPUTE_PGM_RSRC2:TGID_Z_EN: 1
; COMPUTE_PGM_RSRC2:TIDIG_COMP_CNT: 0
	.section	.text._ZN2at6native12_GLOBAL__N_114gatherKthValueIslLi3EEEvNS_4cuda6detail10TensorInfoIKT_T0_EES8_S8_S8_S8_NS5_IS6_S8_EENS5_IlS8_EE,"axG",@progbits,_ZN2at6native12_GLOBAL__N_114gatherKthValueIslLi3EEEvNS_4cuda6detail10TensorInfoIKT_T0_EES8_S8_S8_S8_NS5_IS6_S8_EENS5_IlS8_EE,comdat
	.globl	_ZN2at6native12_GLOBAL__N_114gatherKthValueIslLi3EEEvNS_4cuda6detail10TensorInfoIKT_T0_EES8_S8_S8_S8_NS5_IS6_S8_EENS5_IlS8_EE ; -- Begin function _ZN2at6native12_GLOBAL__N_114gatherKthValueIslLi3EEEvNS_4cuda6detail10TensorInfoIKT_T0_EES8_S8_S8_S8_NS5_IS6_S8_EENS5_IlS8_EE
	.p2align	8
	.type	_ZN2at6native12_GLOBAL__N_114gatherKthValueIslLi3EEEvNS_4cuda6detail10TensorInfoIKT_T0_EES8_S8_S8_S8_NS5_IS6_S8_EENS5_IlS8_EE,@function
_ZN2at6native12_GLOBAL__N_114gatherKthValueIslLi3EEEvNS_4cuda6detail10TensorInfoIKT_T0_EES8_S8_S8_S8_NS5_IS6_S8_EENS5_IlS8_EE: ; @_ZN2at6native12_GLOBAL__N_114gatherKthValueIslLi3EEEvNS_4cuda6detail10TensorInfoIKT_T0_EES8_S8_S8_S8_NS5_IS6_S8_EENS5_IlS8_EE
; %bb.0:
	s_clause 0x1
	s_load_b64 s[18:19], s[0:1], 0x500
	s_load_b256 s[24:31], s[0:1], 0x1a0
	s_add_u32 s16, s0, 0x500
	s_addc_u32 s17, s1, 0
	s_mov_b32 s35, 0
	s_waitcnt lgkmcnt(0)
	s_mul_i32 s2, s19, s15
	s_delay_alu instid0(SALU_CYCLE_1) | instskip(NEXT) | instid1(SALU_CYCLE_1)
	s_add_i32 s2, s2, s14
	s_mul_i32 s2, s2, s18
	s_delay_alu instid0(SALU_CYCLE_1) | instskip(NEXT) | instid1(SALU_CYCLE_1)
	s_add_i32 s34, s2, s13
	v_cmp_ge_i64_e64 s2, s[34:35], s[28:29]
	s_delay_alu instid0(VALU_DEP_1)
	s_and_b32 vcc_lo, exec_lo, s2
	s_cbranch_vccnz .LBB38_325
; %bb.1:
	s_load_b128 s[4:7], s[0:1], 0x10
	s_mov_b32 s2, s35
	s_waitcnt lgkmcnt(0)
	s_mov_b32 s3, s7
	s_delay_alu instid0(SALU_CYCLE_1)
	s_cmp_lg_u64 s[2:3], 0
	s_cbranch_scc0 .LBB38_18
; %bb.2:
	s_ashr_i32 s2, s7, 31
	s_delay_alu instid0(SALU_CYCLE_1) | instskip(SKIP_2) | instid1(SALU_CYCLE_1)
	s_add_u32 s8, s6, s2
	s_mov_b32 s3, s2
	s_addc_u32 s9, s7, s2
	s_xor_b64 s[8:9], s[8:9], s[2:3]
	s_delay_alu instid0(SALU_CYCLE_1) | instskip(SKIP_3) | instid1(VALU_DEP_1)
	v_cvt_f32_u32_e32 v1, s8
	v_cvt_f32_u32_e32 v2, s9
	s_sub_u32 s12, 0, s8
	s_subb_u32 s14, 0, s9
	v_fmamk_f32 v1, v2, 0x4f800000, v1
	s_delay_alu instid0(VALU_DEP_1) | instskip(SKIP_2) | instid1(VALU_DEP_1)
	v_rcp_f32_e32 v1, v1
	s_waitcnt_depctr 0xfff
	v_mul_f32_e32 v1, 0x5f7ffffc, v1
	v_mul_f32_e32 v2, 0x2f800000, v1
	s_delay_alu instid0(VALU_DEP_1) | instskip(NEXT) | instid1(VALU_DEP_1)
	v_trunc_f32_e32 v2, v2
	v_fmamk_f32 v1, v2, 0xcf800000, v1
	v_cvt_u32_f32_e32 v2, v2
	s_delay_alu instid0(VALU_DEP_2) | instskip(NEXT) | instid1(VALU_DEP_2)
	v_cvt_u32_f32_e32 v1, v1
	v_readfirstlane_b32 s10, v2
	s_delay_alu instid0(VALU_DEP_2) | instskip(NEXT) | instid1(VALU_DEP_2)
	v_readfirstlane_b32 s11, v1
	s_mul_i32 s15, s12, s10
	s_delay_alu instid0(VALU_DEP_1)
	s_mul_hi_u32 s20, s12, s11
	s_mul_i32 s19, s14, s11
	s_add_i32 s15, s20, s15
	s_mul_i32 s21, s12, s11
	s_add_i32 s15, s15, s19
	s_mul_hi_u32 s20, s11, s21
	s_mul_hi_u32 s22, s10, s21
	s_mul_i32 s19, s10, s21
	s_mul_hi_u32 s21, s11, s15
	s_mul_i32 s11, s11, s15
	s_mul_hi_u32 s23, s10, s15
	s_add_u32 s11, s20, s11
	s_addc_u32 s20, 0, s21
	s_add_u32 s11, s11, s19
	s_mul_i32 s15, s10, s15
	s_addc_u32 s11, s20, s22
	s_addc_u32 s19, s23, 0
	s_add_u32 s11, s11, s15
	s_addc_u32 s15, 0, s19
	v_add_co_u32 v1, s11, v1, s11
	s_delay_alu instid0(VALU_DEP_1) | instskip(SKIP_1) | instid1(VALU_DEP_1)
	s_cmp_lg_u32 s11, 0
	s_addc_u32 s10, s10, s15
	v_readfirstlane_b32 s11, v1
	s_mul_i32 s15, s12, s10
	s_delay_alu instid0(VALU_DEP_1)
	s_mul_hi_u32 s19, s12, s11
	s_mul_i32 s14, s14, s11
	s_add_i32 s15, s19, s15
	s_mul_i32 s12, s12, s11
	s_add_i32 s15, s15, s14
	s_mul_hi_u32 s19, s10, s12
	s_mul_i32 s20, s10, s12
	s_mul_hi_u32 s12, s11, s12
	s_mul_hi_u32 s21, s11, s15
	s_mul_i32 s11, s11, s15
	s_mul_hi_u32 s14, s10, s15
	s_add_u32 s11, s12, s11
	s_addc_u32 s12, 0, s21
	s_add_u32 s11, s11, s20
	s_mul_i32 s15, s10, s15
	s_addc_u32 s11, s12, s19
	s_addc_u32 s12, s14, 0
	s_add_u32 s11, s11, s15
	s_addc_u32 s12, 0, s12
	v_add_co_u32 v1, s11, v1, s11
	s_delay_alu instid0(VALU_DEP_1) | instskip(SKIP_2) | instid1(VALU_DEP_1)
	s_cmp_lg_u32 s11, 0
	s_addc_u32 s12, s10, s12
	s_ashr_i32 s10, 0, 31
	v_readfirstlane_b32 s19, v1
	s_add_u32 s14, s34, s10
	s_mov_b32 s11, s10
	s_addc_u32 s15, 0, s10
	s_delay_alu instid0(SALU_CYCLE_1) | instskip(NEXT) | instid1(SALU_CYCLE_1)
	s_xor_b64 s[14:15], s[14:15], s[10:11]
	s_mul_i32 s21, s14, s12
	s_mul_hi_u32 s22, s14, s19
	s_mul_hi_u32 s20, s14, s12
	s_mul_hi_u32 s28, s15, s19
	s_mul_i32 s19, s15, s19
	s_add_u32 s21, s22, s21
	s_addc_u32 s20, 0, s20
	s_mul_hi_u32 s23, s15, s12
	s_add_u32 s19, s21, s19
	s_mul_i32 s12, s15, s12
	s_addc_u32 s19, s20, s28
	s_addc_u32 s20, s23, 0
	s_add_u32 s12, s19, s12
	s_addc_u32 s19, 0, s20
	s_mul_i32 s23, s8, s12
	s_mul_hi_u32 s20, s8, s12
	s_mul_i32 s22, s8, s19
	v_sub_co_u32 v1, s14, s14, s23
	s_mul_i32 s21, s9, s12
	s_add_i32 s20, s20, s22
	s_delay_alu instid0(SALU_CYCLE_1) | instskip(NEXT) | instid1(VALU_DEP_1)
	s_add_i32 s20, s20, s21
	v_sub_co_u32 v2, s22, v1, s8
	s_sub_i32 s21, s15, s20
	s_cmp_lg_u32 s14, 0
	s_subb_u32 s21, s21, s9
	s_cmp_lg_u32 s22, 0
	v_readfirstlane_b32 s22, v2
	s_subb_u32 s21, s21, 0
	s_delay_alu instid0(SALU_CYCLE_1) | instskip(SKIP_1) | instid1(VALU_DEP_1)
	s_cmp_ge_u32 s21, s9
	s_cselect_b32 s23, -1, 0
	s_cmp_ge_u32 s22, s8
	s_cselect_b32 s22, -1, 0
	s_cmp_eq_u32 s21, s9
	s_cselect_b32 s21, s22, s23
	s_add_u32 s22, s12, 1
	s_addc_u32 s23, s19, 0
	s_add_u32 s28, s12, 2
	s_addc_u32 s29, s19, 0
	s_cmp_lg_u32 s21, 0
	s_cselect_b32 s21, s28, s22
	s_cselect_b32 s22, s29, s23
	s_cmp_lg_u32 s14, 0
	v_readfirstlane_b32 s14, v1
	s_subb_u32 s15, s15, s20
	s_delay_alu instid0(SALU_CYCLE_1) | instskip(SKIP_1) | instid1(VALU_DEP_1)
	s_cmp_ge_u32 s15, s9
	s_cselect_b32 s20, -1, 0
	s_cmp_ge_u32 s14, s8
	s_cselect_b32 s8, -1, 0
	s_cmp_eq_u32 s15, s9
	s_cselect_b32 s8, s8, s20
	s_delay_alu instid0(SALU_CYCLE_1) | instskip(SKIP_3) | instid1(SALU_CYCLE_1)
	s_cmp_lg_u32 s8, 0
	s_cselect_b32 s9, s22, s19
	s_cselect_b32 s8, s21, s12
	s_xor_b64 s[2:3], s[10:11], s[2:3]
	s_xor_b64 s[10:11], s[8:9], s[2:3]
	s_delay_alu instid0(SALU_CYCLE_1)
	s_sub_u32 s2, s10, s2
	s_subb_u32 s3, s11, s3
	s_cbranch_execnz .LBB38_4
.LBB38_3:
	v_cvt_f32_u32_e32 v1, s6
	s_sub_i32 s3, 0, s6
	s_delay_alu instid0(VALU_DEP_1) | instskip(SKIP_2) | instid1(VALU_DEP_1)
	v_rcp_iflag_f32_e32 v1, v1
	s_waitcnt_depctr 0xfff
	v_mul_f32_e32 v1, 0x4f7ffffe, v1
	v_cvt_u32_f32_e32 v1, v1
	s_delay_alu instid0(VALU_DEP_1) | instskip(NEXT) | instid1(VALU_DEP_1)
	v_readfirstlane_b32 s2, v1
	s_mul_i32 s3, s3, s2
	s_delay_alu instid0(SALU_CYCLE_1) | instskip(NEXT) | instid1(SALU_CYCLE_1)
	s_mul_hi_u32 s3, s2, s3
	s_add_i32 s2, s2, s3
	s_delay_alu instid0(SALU_CYCLE_1) | instskip(NEXT) | instid1(SALU_CYCLE_1)
	s_mul_hi_u32 s2, s34, s2
	s_mul_i32 s3, s2, s6
	s_add_i32 s8, s2, 1
	s_sub_i32 s3, s34, s3
	s_delay_alu instid0(SALU_CYCLE_1)
	s_sub_i32 s9, s3, s6
	s_cmp_ge_u32 s3, s6
	s_cselect_b32 s2, s8, s2
	s_cselect_b32 s3, s9, s3
	s_add_i32 s8, s2, 1
	s_cmp_ge_u32 s3, s6
	s_mov_b32 s3, 0
	s_cselect_b32 s2, s8, s2
.LBB38_4:
	s_delay_alu instid0(SALU_CYCLE_1) | instskip(SKIP_1) | instid1(SALU_CYCLE_1)
	s_or_b64 s[8:9], s[2:3], s[4:5]
	s_mov_b32 s8, 0
	s_cmp_lg_u64 s[8:9], 0
	s_cbranch_scc0 .LBB38_19
; %bb.5:
	s_ashr_i32 s10, s5, 31
	s_delay_alu instid0(SALU_CYCLE_1) | instskip(SKIP_2) | instid1(SALU_CYCLE_1)
	s_add_u32 s14, s4, s10
	s_mov_b32 s11, s10
	s_addc_u32 s15, s5, s10
	s_xor_b64 s[14:15], s[14:15], s[10:11]
	s_delay_alu instid0(SALU_CYCLE_1) | instskip(SKIP_3) | instid1(VALU_DEP_1)
	v_cvt_f32_u32_e32 v1, s14
	v_cvt_f32_u32_e32 v2, s15
	s_sub_u32 s19, 0, s14
	s_subb_u32 s20, 0, s15
	v_fmamk_f32 v1, v2, 0x4f800000, v1
	s_delay_alu instid0(VALU_DEP_1) | instskip(SKIP_2) | instid1(VALU_DEP_1)
	v_rcp_f32_e32 v1, v1
	s_waitcnt_depctr 0xfff
	v_mul_f32_e32 v1, 0x5f7ffffc, v1
	v_mul_f32_e32 v2, 0x2f800000, v1
	s_delay_alu instid0(VALU_DEP_1) | instskip(NEXT) | instid1(VALU_DEP_1)
	v_trunc_f32_e32 v2, v2
	v_fmamk_f32 v1, v2, 0xcf800000, v1
	v_cvt_u32_f32_e32 v2, v2
	s_delay_alu instid0(VALU_DEP_2) | instskip(NEXT) | instid1(VALU_DEP_2)
	v_cvt_u32_f32_e32 v1, v1
	v_readfirstlane_b32 s9, v2
	s_delay_alu instid0(VALU_DEP_2) | instskip(NEXT) | instid1(VALU_DEP_2)
	v_readfirstlane_b32 s12, v1
	s_mul_i32 s21, s19, s9
	s_delay_alu instid0(VALU_DEP_1)
	s_mul_hi_u32 s23, s19, s12
	s_mul_i32 s22, s20, s12
	s_add_i32 s21, s23, s21
	s_mul_i32 s28, s19, s12
	s_add_i32 s21, s21, s22
	s_mul_hi_u32 s23, s12, s28
	s_mul_hi_u32 s29, s9, s28
	s_mul_i32 s22, s9, s28
	s_mul_hi_u32 s28, s12, s21
	s_mul_i32 s12, s12, s21
	s_mul_hi_u32 s33, s9, s21
	s_add_u32 s12, s23, s12
	s_addc_u32 s23, 0, s28
	s_add_u32 s12, s12, s22
	s_mul_i32 s21, s9, s21
	s_addc_u32 s12, s23, s29
	s_addc_u32 s22, s33, 0
	s_add_u32 s12, s12, s21
	s_addc_u32 s21, 0, s22
	v_add_co_u32 v1, s12, v1, s12
	s_delay_alu instid0(VALU_DEP_1) | instskip(SKIP_1) | instid1(VALU_DEP_1)
	s_cmp_lg_u32 s12, 0
	s_addc_u32 s9, s9, s21
	v_readfirstlane_b32 s12, v1
	s_mul_i32 s21, s19, s9
	s_delay_alu instid0(VALU_DEP_1)
	s_mul_hi_u32 s22, s19, s12
	s_mul_i32 s20, s20, s12
	s_add_i32 s21, s22, s21
	s_mul_i32 s19, s19, s12
	s_add_i32 s21, s21, s20
	s_mul_hi_u32 s22, s9, s19
	s_mul_i32 s23, s9, s19
	s_mul_hi_u32 s19, s12, s19
	s_mul_hi_u32 s28, s12, s21
	s_mul_i32 s12, s12, s21
	s_mul_hi_u32 s20, s9, s21
	s_add_u32 s12, s19, s12
	s_addc_u32 s19, 0, s28
	s_add_u32 s12, s12, s23
	s_mul_i32 s21, s9, s21
	s_addc_u32 s12, s19, s22
	s_addc_u32 s19, s20, 0
	s_add_u32 s12, s12, s21
	s_addc_u32 s19, 0, s19
	v_add_co_u32 v1, s12, v1, s12
	s_delay_alu instid0(VALU_DEP_1) | instskip(SKIP_2) | instid1(VALU_DEP_1)
	s_cmp_lg_u32 s12, 0
	s_addc_u32 s9, s9, s19
	s_ashr_i32 s20, s3, 31
	v_readfirstlane_b32 s12, v1
	s_add_u32 s22, s2, s20
	s_mov_b32 s21, s20
	s_addc_u32 s23, s3, s20
	s_delay_alu instid0(SALU_CYCLE_1) | instskip(NEXT) | instid1(SALU_CYCLE_1)
	s_xor_b64 s[22:23], s[22:23], s[20:21]
	s_mul_i32 s28, s22, s9
	s_mul_hi_u32 s29, s22, s12
	s_mul_hi_u32 s19, s22, s9
	;; [unrolled: 1-line block ×3, first 2 shown]
	s_mul_i32 s12, s23, s12
	s_add_u32 s28, s29, s28
	s_addc_u32 s19, 0, s19
	s_mul_hi_u32 s33, s23, s9
	s_add_u32 s12, s28, s12
	s_mul_i32 s9, s23, s9
	s_addc_u32 s12, s19, s35
	s_addc_u32 s19, s33, 0
	s_add_u32 s9, s12, s9
	s_addc_u32 s12, 0, s19
	s_mul_i32 s33, s14, s9
	s_mul_hi_u32 s19, s14, s9
	s_mul_i32 s29, s14, s12
	v_sub_co_u32 v1, s22, s22, s33
	s_mul_i32 s28, s15, s9
	s_add_i32 s19, s19, s29
	s_delay_alu instid0(SALU_CYCLE_1) | instskip(NEXT) | instid1(VALU_DEP_1)
	s_add_i32 s19, s19, s28
	v_sub_co_u32 v2, s29, v1, s14
	s_sub_i32 s28, s23, s19
	s_cmp_lg_u32 s22, 0
	s_subb_u32 s28, s28, s15
	s_cmp_lg_u32 s29, 0
	v_readfirstlane_b32 s29, v2
	s_subb_u32 s28, s28, 0
	s_delay_alu instid0(SALU_CYCLE_1) | instskip(SKIP_1) | instid1(VALU_DEP_1)
	s_cmp_ge_u32 s28, s15
	s_cselect_b32 s33, -1, 0
	s_cmp_ge_u32 s29, s14
	s_cselect_b32 s29, -1, 0
	s_cmp_eq_u32 s28, s15
	s_cselect_b32 s28, s29, s33
	s_add_u32 s29, s9, 1
	s_addc_u32 s33, s12, 0
	s_add_u32 s35, s9, 2
	s_addc_u32 s36, s12, 0
	s_cmp_lg_u32 s28, 0
	s_cselect_b32 s28, s35, s29
	s_cselect_b32 s29, s36, s33
	s_cmp_lg_u32 s22, 0
	v_readfirstlane_b32 s22, v1
	s_subb_u32 s19, s23, s19
	s_delay_alu instid0(SALU_CYCLE_1) | instskip(SKIP_1) | instid1(VALU_DEP_1)
	s_cmp_ge_u32 s19, s15
	s_cselect_b32 s23, -1, 0
	s_cmp_ge_u32 s22, s14
	s_cselect_b32 s14, -1, 0
	s_cmp_eq_u32 s19, s15
	s_cselect_b32 s14, s14, s23
	s_delay_alu instid0(SALU_CYCLE_1) | instskip(SKIP_3) | instid1(SALU_CYCLE_1)
	s_cmp_lg_u32 s14, 0
	s_cselect_b32 s15, s29, s12
	s_cselect_b32 s14, s28, s9
	s_xor_b64 s[10:11], s[20:21], s[10:11]
	s_xor_b64 s[14:15], s[14:15], s[10:11]
	s_delay_alu instid0(SALU_CYCLE_1)
	s_sub_u32 s14, s14, s10
	s_subb_u32 s15, s15, s11
	s_load_b128 s[36:39], s[0:1], 0x1d0
	s_and_not1_b32 vcc_lo, exec_lo, s8
	s_cbranch_vccnz .LBB38_7
.LBB38_6:
	v_cvt_f32_u32_e32 v1, s4
	s_sub_i32 s9, 0, s4
	s_mov_b32 s15, 0
	s_delay_alu instid0(VALU_DEP_1) | instskip(SKIP_2) | instid1(VALU_DEP_1)
	v_rcp_iflag_f32_e32 v1, v1
	s_waitcnt_depctr 0xfff
	v_mul_f32_e32 v1, 0x4f7ffffe, v1
	v_cvt_u32_f32_e32 v1, v1
	s_delay_alu instid0(VALU_DEP_1) | instskip(NEXT) | instid1(VALU_DEP_1)
	v_readfirstlane_b32 s8, v1
	s_mul_i32 s9, s9, s8
	s_delay_alu instid0(SALU_CYCLE_1) | instskip(NEXT) | instid1(SALU_CYCLE_1)
	s_mul_hi_u32 s9, s8, s9
	s_add_i32 s8, s8, s9
	s_delay_alu instid0(SALU_CYCLE_1) | instskip(NEXT) | instid1(SALU_CYCLE_1)
	s_mul_hi_u32 s8, s2, s8
	s_mul_i32 s9, s8, s4
	s_add_i32 s10, s8, 1
	s_sub_i32 s9, s2, s9
	s_delay_alu instid0(SALU_CYCLE_1)
	s_sub_i32 s11, s9, s4
	s_cmp_ge_u32 s9, s4
	s_cselect_b32 s8, s10, s8
	s_cselect_b32 s9, s11, s9
	s_add_i32 s10, s8, 1
	s_cmp_ge_u32 s9, s4
	s_cselect_b32 s14, s10, s8
.LBB38_7:
	s_mov_b32 s8, 0
	s_waitcnt lgkmcnt(0)
	s_mov_b32 s9, s39
	s_delay_alu instid0(SALU_CYCLE_1)
	s_cmp_lg_u64 s[8:9], 0
	s_cbranch_scc0 .LBB38_20
; %bb.8:
	s_ashr_i32 s10, s39, 31
	s_delay_alu instid0(SALU_CYCLE_1) | instskip(SKIP_2) | instid1(SALU_CYCLE_1)
	s_add_u32 s20, s38, s10
	s_mov_b32 s11, s10
	s_addc_u32 s21, s39, s10
	s_xor_b64 s[20:21], s[20:21], s[10:11]
	s_delay_alu instid0(SALU_CYCLE_1) | instskip(SKIP_3) | instid1(VALU_DEP_1)
	v_cvt_f32_u32_e32 v1, s20
	v_cvt_f32_u32_e32 v2, s21
	s_sub_u32 s19, 0, s20
	s_subb_u32 s22, 0, s21
	v_fmamk_f32 v1, v2, 0x4f800000, v1
	s_delay_alu instid0(VALU_DEP_1) | instskip(SKIP_2) | instid1(VALU_DEP_1)
	v_rcp_f32_e32 v1, v1
	s_waitcnt_depctr 0xfff
	v_mul_f32_e32 v1, 0x5f7ffffc, v1
	v_mul_f32_e32 v2, 0x2f800000, v1
	s_delay_alu instid0(VALU_DEP_1) | instskip(NEXT) | instid1(VALU_DEP_1)
	v_trunc_f32_e32 v2, v2
	v_fmamk_f32 v1, v2, 0xcf800000, v1
	v_cvt_u32_f32_e32 v2, v2
	s_delay_alu instid0(VALU_DEP_2) | instskip(NEXT) | instid1(VALU_DEP_2)
	v_cvt_u32_f32_e32 v1, v1
	v_readfirstlane_b32 s9, v2
	s_delay_alu instid0(VALU_DEP_2) | instskip(NEXT) | instid1(VALU_DEP_2)
	v_readfirstlane_b32 s12, v1
	s_mul_i32 s23, s19, s9
	s_delay_alu instid0(VALU_DEP_1)
	s_mul_hi_u32 s29, s19, s12
	s_mul_i32 s28, s22, s12
	s_add_i32 s23, s29, s23
	s_mul_i32 s33, s19, s12
	s_add_i32 s23, s23, s28
	s_mul_hi_u32 s29, s12, s33
	s_mul_hi_u32 s35, s9, s33
	s_mul_i32 s28, s9, s33
	s_mul_hi_u32 s33, s12, s23
	s_mul_i32 s12, s12, s23
	s_mul_hi_u32 s40, s9, s23
	s_add_u32 s12, s29, s12
	s_addc_u32 s29, 0, s33
	s_add_u32 s12, s12, s28
	s_mul_i32 s23, s9, s23
	s_addc_u32 s12, s29, s35
	s_addc_u32 s28, s40, 0
	s_add_u32 s12, s12, s23
	s_addc_u32 s23, 0, s28
	v_add_co_u32 v1, s12, v1, s12
	s_delay_alu instid0(VALU_DEP_1) | instskip(SKIP_1) | instid1(VALU_DEP_1)
	s_cmp_lg_u32 s12, 0
	s_addc_u32 s9, s9, s23
	v_readfirstlane_b32 s12, v1
	s_mul_i32 s23, s19, s9
	s_delay_alu instid0(VALU_DEP_1)
	s_mul_hi_u32 s28, s19, s12
	s_mul_i32 s22, s22, s12
	s_add_i32 s23, s28, s23
	s_mul_i32 s19, s19, s12
	s_add_i32 s23, s23, s22
	s_mul_hi_u32 s28, s9, s19
	s_mul_i32 s29, s9, s19
	s_mul_hi_u32 s19, s12, s19
	s_mul_hi_u32 s33, s12, s23
	s_mul_i32 s12, s12, s23
	s_mul_hi_u32 s22, s9, s23
	s_add_u32 s12, s19, s12
	s_addc_u32 s19, 0, s33
	s_add_u32 s12, s12, s29
	s_mul_i32 s23, s9, s23
	s_addc_u32 s12, s19, s28
	s_addc_u32 s19, s22, 0
	s_add_u32 s12, s12, s23
	s_addc_u32 s19, 0, s19
	v_add_co_u32 v1, s12, v1, s12
	s_delay_alu instid0(VALU_DEP_1) | instskip(SKIP_2) | instid1(VALU_DEP_1)
	s_cmp_lg_u32 s12, 0
	s_addc_u32 s9, s9, s19
	s_ashr_i32 s22, 0, 31
	v_readfirstlane_b32 s12, v1
	s_add_u32 s28, s34, s22
	s_mov_b32 s23, s22
	s_addc_u32 s29, 0, s22
	s_delay_alu instid0(SALU_CYCLE_1) | instskip(NEXT) | instid1(SALU_CYCLE_1)
	s_xor_b64 s[28:29], s[28:29], s[22:23]
	s_mul_i32 s33, s28, s9
	s_mul_hi_u32 s35, s28, s12
	s_mul_hi_u32 s19, s28, s9
	;; [unrolled: 1-line block ×3, first 2 shown]
	s_mul_i32 s12, s29, s12
	s_add_u32 s33, s35, s33
	s_addc_u32 s19, 0, s19
	s_mul_hi_u32 s40, s29, s9
	s_add_u32 s12, s33, s12
	s_mul_i32 s9, s29, s9
	s_addc_u32 s12, s19, s41
	s_addc_u32 s19, s40, 0
	s_add_u32 s9, s12, s9
	s_addc_u32 s12, 0, s19
	s_mul_i32 s40, s20, s9
	s_mul_hi_u32 s19, s20, s9
	s_mul_i32 s35, s20, s12
	v_sub_co_u32 v1, s28, s28, s40
	s_mul_i32 s33, s21, s9
	s_add_i32 s19, s19, s35
	s_delay_alu instid0(SALU_CYCLE_1) | instskip(NEXT) | instid1(VALU_DEP_1)
	s_add_i32 s19, s19, s33
	v_sub_co_u32 v2, s35, v1, s20
	s_sub_i32 s33, s29, s19
	s_cmp_lg_u32 s28, 0
	s_subb_u32 s33, s33, s21
	s_cmp_lg_u32 s35, 0
	v_readfirstlane_b32 s35, v2
	s_subb_u32 s33, s33, 0
	s_delay_alu instid0(SALU_CYCLE_1) | instskip(SKIP_1) | instid1(VALU_DEP_1)
	s_cmp_ge_u32 s33, s21
	s_cselect_b32 s40, -1, 0
	s_cmp_ge_u32 s35, s20
	s_cselect_b32 s35, -1, 0
	s_cmp_eq_u32 s33, s21
	s_cselect_b32 s33, s35, s40
	s_add_u32 s35, s9, 1
	s_addc_u32 s40, s12, 0
	s_add_u32 s41, s9, 2
	s_addc_u32 s42, s12, 0
	s_cmp_lg_u32 s33, 0
	s_cselect_b32 s33, s41, s35
	s_cselect_b32 s35, s42, s40
	s_cmp_lg_u32 s28, 0
	v_readfirstlane_b32 s28, v1
	s_subb_u32 s19, s29, s19
	s_delay_alu instid0(SALU_CYCLE_1) | instskip(SKIP_1) | instid1(VALU_DEP_1)
	s_cmp_ge_u32 s19, s21
	s_cselect_b32 s29, -1, 0
	s_cmp_ge_u32 s28, s20
	s_cselect_b32 s20, -1, 0
	s_cmp_eq_u32 s19, s21
	s_cselect_b32 s19, s20, s29
	s_delay_alu instid0(SALU_CYCLE_1) | instskip(SKIP_3) | instid1(SALU_CYCLE_1)
	s_cmp_lg_u32 s19, 0
	s_cselect_b32 s21, s35, s12
	s_cselect_b32 s20, s33, s9
	s_xor_b64 s[10:11], s[22:23], s[10:11]
	s_xor_b64 s[20:21], s[20:21], s[10:11]
	s_delay_alu instid0(SALU_CYCLE_1)
	s_sub_u32 s28, s20, s10
	s_subb_u32 s29, s21, s11
	s_and_not1_b32 vcc_lo, exec_lo, s8
	s_cbranch_vccnz .LBB38_10
.LBB38_9:
	v_cvt_f32_u32_e32 v1, s38
	s_sub_i32 s9, 0, s38
	s_mov_b32 s29, 0
	s_delay_alu instid0(VALU_DEP_1) | instskip(SKIP_2) | instid1(VALU_DEP_1)
	v_rcp_iflag_f32_e32 v1, v1
	s_waitcnt_depctr 0xfff
	v_mul_f32_e32 v1, 0x4f7ffffe, v1
	v_cvt_u32_f32_e32 v1, v1
	s_delay_alu instid0(VALU_DEP_1) | instskip(NEXT) | instid1(VALU_DEP_1)
	v_readfirstlane_b32 s8, v1
	s_mul_i32 s9, s9, s8
	s_delay_alu instid0(SALU_CYCLE_1) | instskip(NEXT) | instid1(SALU_CYCLE_1)
	s_mul_hi_u32 s9, s8, s9
	s_add_i32 s8, s8, s9
	s_delay_alu instid0(SALU_CYCLE_1) | instskip(NEXT) | instid1(SALU_CYCLE_1)
	s_mul_hi_u32 s8, s34, s8
	s_mul_i32 s9, s8, s38
	s_add_i32 s10, s8, 1
	s_sub_i32 s9, s34, s9
	s_delay_alu instid0(SALU_CYCLE_1)
	s_sub_i32 s11, s9, s38
	s_cmp_ge_u32 s9, s38
	s_cselect_b32 s8, s10, s8
	s_cselect_b32 s9, s11, s9
	s_add_i32 s10, s8, 1
	s_cmp_ge_u32 s9, s38
	s_cselect_b32 s28, s10, s8
.LBB38_10:
	s_delay_alu instid0(SALU_CYCLE_1) | instskip(SKIP_1) | instid1(SALU_CYCLE_1)
	s_or_b64 s[8:9], s[28:29], s[36:37]
	s_mov_b32 s8, 0
	s_cmp_lg_u64 s[8:9], 0
	s_cbranch_scc0 .LBB38_21
; %bb.11:
	s_ashr_i32 s10, s37, 31
	s_delay_alu instid0(SALU_CYCLE_1) | instskip(SKIP_2) | instid1(SALU_CYCLE_1)
	s_add_u32 s20, s36, s10
	s_mov_b32 s11, s10
	s_addc_u32 s21, s37, s10
	s_xor_b64 s[20:21], s[20:21], s[10:11]
	s_delay_alu instid0(SALU_CYCLE_1) | instskip(SKIP_3) | instid1(VALU_DEP_1)
	v_cvt_f32_u32_e32 v1, s20
	v_cvt_f32_u32_e32 v2, s21
	s_sub_u32 s19, 0, s20
	s_subb_u32 s22, 0, s21
	v_fmamk_f32 v1, v2, 0x4f800000, v1
	s_delay_alu instid0(VALU_DEP_1) | instskip(SKIP_2) | instid1(VALU_DEP_1)
	v_rcp_f32_e32 v1, v1
	s_waitcnt_depctr 0xfff
	v_mul_f32_e32 v1, 0x5f7ffffc, v1
	v_mul_f32_e32 v2, 0x2f800000, v1
	s_delay_alu instid0(VALU_DEP_1) | instskip(NEXT) | instid1(VALU_DEP_1)
	v_trunc_f32_e32 v2, v2
	v_fmamk_f32 v1, v2, 0xcf800000, v1
	v_cvt_u32_f32_e32 v2, v2
	s_delay_alu instid0(VALU_DEP_2) | instskip(NEXT) | instid1(VALU_DEP_2)
	v_cvt_u32_f32_e32 v1, v1
	v_readfirstlane_b32 s9, v2
	s_delay_alu instid0(VALU_DEP_2) | instskip(NEXT) | instid1(VALU_DEP_2)
	v_readfirstlane_b32 s12, v1
	s_mul_i32 s23, s19, s9
	s_delay_alu instid0(VALU_DEP_1)
	s_mul_hi_u32 s35, s19, s12
	s_mul_i32 s33, s22, s12
	s_add_i32 s23, s35, s23
	s_mul_i32 s40, s19, s12
	s_add_i32 s23, s23, s33
	s_mul_hi_u32 s35, s12, s40
	s_mul_hi_u32 s41, s9, s40
	s_mul_i32 s33, s9, s40
	s_mul_hi_u32 s40, s12, s23
	s_mul_i32 s12, s12, s23
	s_mul_hi_u32 s42, s9, s23
	s_add_u32 s12, s35, s12
	s_addc_u32 s35, 0, s40
	s_add_u32 s12, s12, s33
	s_mul_i32 s23, s9, s23
	s_addc_u32 s12, s35, s41
	s_addc_u32 s33, s42, 0
	s_add_u32 s12, s12, s23
	s_addc_u32 s23, 0, s33
	v_add_co_u32 v1, s12, v1, s12
	s_delay_alu instid0(VALU_DEP_1) | instskip(SKIP_1) | instid1(VALU_DEP_1)
	s_cmp_lg_u32 s12, 0
	s_addc_u32 s9, s9, s23
	v_readfirstlane_b32 s12, v1
	s_mul_i32 s23, s19, s9
	s_delay_alu instid0(VALU_DEP_1)
	s_mul_hi_u32 s33, s19, s12
	s_mul_i32 s22, s22, s12
	s_add_i32 s23, s33, s23
	s_mul_i32 s19, s19, s12
	s_add_i32 s23, s23, s22
	s_mul_hi_u32 s33, s9, s19
	s_mul_i32 s35, s9, s19
	s_mul_hi_u32 s19, s12, s19
	s_mul_hi_u32 s40, s12, s23
	s_mul_i32 s12, s12, s23
	s_mul_hi_u32 s22, s9, s23
	s_add_u32 s12, s19, s12
	s_addc_u32 s19, 0, s40
	s_add_u32 s12, s12, s35
	s_mul_i32 s23, s9, s23
	s_addc_u32 s12, s19, s33
	s_addc_u32 s19, s22, 0
	s_add_u32 s12, s12, s23
	s_addc_u32 s19, 0, s19
	v_add_co_u32 v1, s12, v1, s12
	s_delay_alu instid0(VALU_DEP_1) | instskip(SKIP_2) | instid1(VALU_DEP_1)
	s_cmp_lg_u32 s12, 0
	s_addc_u32 s9, s9, s19
	s_ashr_i32 s22, s29, 31
	v_readfirstlane_b32 s12, v1
	s_add_u32 s40, s28, s22
	s_mov_b32 s23, s22
	s_addc_u32 s41, s29, s22
	s_delay_alu instid0(SALU_CYCLE_1) | instskip(NEXT) | instid1(SALU_CYCLE_1)
	s_xor_b64 s[40:41], s[40:41], s[22:23]
	s_mul_i32 s33, s40, s9
	s_mul_hi_u32 s35, s40, s12
	s_mul_hi_u32 s19, s40, s9
	s_mul_hi_u32 s43, s41, s12
	s_mul_i32 s12, s41, s12
	s_add_u32 s33, s35, s33
	s_addc_u32 s19, 0, s19
	s_mul_hi_u32 s42, s41, s9
	s_add_u32 s12, s33, s12
	s_mul_i32 s9, s41, s9
	s_addc_u32 s12, s19, s43
	s_addc_u32 s19, s42, 0
	s_add_u32 s9, s12, s9
	s_addc_u32 s12, 0, s19
	s_mul_hi_u32 s19, s20, s9
	s_mul_i32 s35, s20, s12
	s_mul_i32 s42, s20, s9
	s_add_i32 s19, s19, s35
	v_sub_co_u32 v1, s35, s40, s42
	s_mul_i32 s33, s21, s9
	s_delay_alu instid0(SALU_CYCLE_1) | instskip(NEXT) | instid1(VALU_DEP_1)
	s_add_i32 s19, s19, s33
	v_sub_co_u32 v2, s40, v1, s20
	s_sub_i32 s33, s41, s19
	s_cmp_lg_u32 s35, 0
	s_subb_u32 s33, s33, s21
	s_cmp_lg_u32 s40, 0
	v_readfirstlane_b32 s40, v2
	s_subb_u32 s33, s33, 0
	s_delay_alu instid0(SALU_CYCLE_1) | instskip(SKIP_1) | instid1(VALU_DEP_1)
	s_cmp_ge_u32 s33, s21
	s_cselect_b32 s42, -1, 0
	s_cmp_ge_u32 s40, s20
	s_cselect_b32 s40, -1, 0
	s_cmp_eq_u32 s33, s21
	s_cselect_b32 s33, s40, s42
	s_add_u32 s40, s9, 1
	s_addc_u32 s42, s12, 0
	s_add_u32 s43, s9, 2
	s_addc_u32 s44, s12, 0
	s_cmp_lg_u32 s33, 0
	s_cselect_b32 s33, s43, s40
	s_cselect_b32 s40, s44, s42
	s_cmp_lg_u32 s35, 0
	v_readfirstlane_b32 s35, v1
	s_subb_u32 s19, s41, s19
	s_delay_alu instid0(SALU_CYCLE_1) | instskip(SKIP_1) | instid1(VALU_DEP_1)
	s_cmp_ge_u32 s19, s21
	s_cselect_b32 s41, -1, 0
	s_cmp_ge_u32 s35, s20
	s_cselect_b32 s20, -1, 0
	s_cmp_eq_u32 s19, s21
	s_cselect_b32 s19, s20, s41
	s_delay_alu instid0(SALU_CYCLE_1) | instskip(SKIP_3) | instid1(SALU_CYCLE_1)
	s_cmp_lg_u32 s19, 0
	s_cselect_b32 s21, s40, s12
	s_cselect_b32 s20, s33, s9
	s_xor_b64 s[10:11], s[22:23], s[10:11]
	s_xor_b64 s[20:21], s[20:21], s[10:11]
	s_delay_alu instid0(SALU_CYCLE_1)
	s_sub_u32 s52, s20, s10
	s_subb_u32 s53, s21, s11
	s_load_b128 s[40:43], s[0:1], 0x370
	s_and_not1_b32 vcc_lo, exec_lo, s8
	s_cbranch_vccnz .LBB38_13
.LBB38_12:
	v_cvt_f32_u32_e32 v1, s36
	s_sub_i32 s9, 0, s36
	s_mov_b32 s53, 0
	s_delay_alu instid0(VALU_DEP_1) | instskip(SKIP_2) | instid1(VALU_DEP_1)
	v_rcp_iflag_f32_e32 v1, v1
	s_waitcnt_depctr 0xfff
	v_mul_f32_e32 v1, 0x4f7ffffe, v1
	v_cvt_u32_f32_e32 v1, v1
	s_delay_alu instid0(VALU_DEP_1) | instskip(NEXT) | instid1(VALU_DEP_1)
	v_readfirstlane_b32 s8, v1
	s_mul_i32 s9, s9, s8
	s_delay_alu instid0(SALU_CYCLE_1) | instskip(NEXT) | instid1(SALU_CYCLE_1)
	s_mul_hi_u32 s9, s8, s9
	s_add_i32 s8, s8, s9
	s_delay_alu instid0(SALU_CYCLE_1) | instskip(NEXT) | instid1(SALU_CYCLE_1)
	s_mul_hi_u32 s8, s28, s8
	s_mul_i32 s9, s8, s36
	s_add_i32 s10, s8, 1
	s_sub_i32 s9, s28, s9
	s_delay_alu instid0(SALU_CYCLE_1)
	s_sub_i32 s11, s9, s36
	s_cmp_ge_u32 s9, s36
	s_cselect_b32 s8, s10, s8
	s_cselect_b32 s9, s11, s9
	s_add_i32 s10, s8, 1
	s_cmp_ge_u32 s9, s36
	s_cselect_b32 s52, s10, s8
.LBB38_13:
	s_mov_b32 s8, 0
	s_waitcnt lgkmcnt(0)
	s_mov_b32 s9, s43
	s_delay_alu instid0(SALU_CYCLE_1)
	s_cmp_lg_u64 s[8:9], 0
	s_cbranch_scc0 .LBB38_22
; %bb.14:
	s_ashr_i32 s10, s43, 31
	s_delay_alu instid0(SALU_CYCLE_1) | instskip(SKIP_2) | instid1(SALU_CYCLE_1)
	s_add_u32 s20, s42, s10
	s_mov_b32 s11, s10
	s_addc_u32 s21, s43, s10
	s_xor_b64 s[20:21], s[20:21], s[10:11]
	s_delay_alu instid0(SALU_CYCLE_1) | instskip(SKIP_3) | instid1(VALU_DEP_1)
	v_cvt_f32_u32_e32 v1, s20
	v_cvt_f32_u32_e32 v2, s21
	s_sub_u32 s19, 0, s20
	s_subb_u32 s22, 0, s21
	v_fmamk_f32 v1, v2, 0x4f800000, v1
	s_delay_alu instid0(VALU_DEP_1) | instskip(SKIP_2) | instid1(VALU_DEP_1)
	v_rcp_f32_e32 v1, v1
	s_waitcnt_depctr 0xfff
	v_mul_f32_e32 v1, 0x5f7ffffc, v1
	v_mul_f32_e32 v2, 0x2f800000, v1
	s_delay_alu instid0(VALU_DEP_1) | instskip(NEXT) | instid1(VALU_DEP_1)
	v_trunc_f32_e32 v2, v2
	v_fmamk_f32 v1, v2, 0xcf800000, v1
	v_cvt_u32_f32_e32 v2, v2
	s_delay_alu instid0(VALU_DEP_2) | instskip(NEXT) | instid1(VALU_DEP_2)
	v_cvt_u32_f32_e32 v1, v1
	v_readfirstlane_b32 s9, v2
	s_delay_alu instid0(VALU_DEP_2) | instskip(NEXT) | instid1(VALU_DEP_2)
	v_readfirstlane_b32 s12, v1
	s_mul_i32 s23, s19, s9
	s_delay_alu instid0(VALU_DEP_1)
	s_mul_hi_u32 s35, s19, s12
	s_mul_i32 s33, s22, s12
	s_add_i32 s23, s35, s23
	s_mul_i32 s44, s19, s12
	s_add_i32 s23, s23, s33
	s_mul_hi_u32 s35, s12, s44
	s_mul_hi_u32 s45, s9, s44
	s_mul_i32 s33, s9, s44
	s_mul_hi_u32 s44, s12, s23
	s_mul_i32 s12, s12, s23
	s_mul_hi_u32 s46, s9, s23
	s_add_u32 s12, s35, s12
	s_addc_u32 s35, 0, s44
	s_add_u32 s12, s12, s33
	s_mul_i32 s23, s9, s23
	s_addc_u32 s12, s35, s45
	s_addc_u32 s33, s46, 0
	s_add_u32 s12, s12, s23
	s_addc_u32 s23, 0, s33
	v_add_co_u32 v1, s12, v1, s12
	s_delay_alu instid0(VALU_DEP_1) | instskip(SKIP_1) | instid1(VALU_DEP_1)
	s_cmp_lg_u32 s12, 0
	s_addc_u32 s9, s9, s23
	v_readfirstlane_b32 s12, v1
	s_mul_i32 s23, s19, s9
	s_delay_alu instid0(VALU_DEP_1)
	s_mul_hi_u32 s33, s19, s12
	s_mul_i32 s22, s22, s12
	s_add_i32 s23, s33, s23
	s_mul_i32 s19, s19, s12
	s_add_i32 s23, s23, s22
	s_mul_hi_u32 s33, s9, s19
	s_mul_i32 s35, s9, s19
	s_mul_hi_u32 s19, s12, s19
	s_mul_hi_u32 s44, s12, s23
	s_mul_i32 s12, s12, s23
	s_mul_hi_u32 s22, s9, s23
	s_add_u32 s12, s19, s12
	s_addc_u32 s19, 0, s44
	s_add_u32 s12, s12, s35
	s_mul_i32 s23, s9, s23
	s_addc_u32 s12, s19, s33
	s_addc_u32 s19, s22, 0
	s_add_u32 s12, s12, s23
	s_addc_u32 s19, 0, s19
	v_add_co_u32 v1, s12, v1, s12
	s_delay_alu instid0(VALU_DEP_1) | instskip(SKIP_2) | instid1(VALU_DEP_1)
	s_cmp_lg_u32 s12, 0
	s_addc_u32 s9, s9, s19
	s_ashr_i32 s22, 0, 31
	v_readfirstlane_b32 s12, v1
	s_add_u32 s44, s34, s22
	s_mov_b32 s23, s22
	s_addc_u32 s45, 0, s22
	s_delay_alu instid0(SALU_CYCLE_1) | instskip(NEXT) | instid1(SALU_CYCLE_1)
	s_xor_b64 s[44:45], s[44:45], s[22:23]
	s_mul_i32 s33, s44, s9
	s_mul_hi_u32 s35, s44, s12
	s_mul_hi_u32 s19, s44, s9
	s_mul_hi_u32 s47, s45, s12
	s_mul_i32 s12, s45, s12
	s_add_u32 s33, s35, s33
	s_addc_u32 s19, 0, s19
	s_mul_hi_u32 s46, s45, s9
	s_add_u32 s12, s33, s12
	s_mul_i32 s9, s45, s9
	s_addc_u32 s12, s19, s47
	s_addc_u32 s19, s46, 0
	s_add_u32 s9, s12, s9
	s_addc_u32 s12, 0, s19
	s_mul_hi_u32 s19, s20, s9
	s_mul_i32 s35, s20, s12
	s_mul_i32 s46, s20, s9
	s_add_i32 s19, s19, s35
	v_sub_co_u32 v1, s35, s44, s46
	s_mul_i32 s33, s21, s9
	s_delay_alu instid0(SALU_CYCLE_1) | instskip(NEXT) | instid1(VALU_DEP_1)
	s_add_i32 s19, s19, s33
	v_sub_co_u32 v2, s44, v1, s20
	s_sub_i32 s33, s45, s19
	s_cmp_lg_u32 s35, 0
	s_subb_u32 s33, s33, s21
	s_cmp_lg_u32 s44, 0
	v_readfirstlane_b32 s44, v2
	s_subb_u32 s33, s33, 0
	s_delay_alu instid0(SALU_CYCLE_1) | instskip(SKIP_1) | instid1(VALU_DEP_1)
	s_cmp_ge_u32 s33, s21
	s_cselect_b32 s46, -1, 0
	s_cmp_ge_u32 s44, s20
	s_cselect_b32 s44, -1, 0
	s_cmp_eq_u32 s33, s21
	s_cselect_b32 s33, s44, s46
	s_add_u32 s44, s9, 1
	s_addc_u32 s46, s12, 0
	s_add_u32 s47, s9, 2
	s_addc_u32 s48, s12, 0
	s_cmp_lg_u32 s33, 0
	s_cselect_b32 s33, s47, s44
	s_cselect_b32 s44, s48, s46
	s_cmp_lg_u32 s35, 0
	v_readfirstlane_b32 s35, v1
	s_subb_u32 s19, s45, s19
	s_delay_alu instid0(SALU_CYCLE_1) | instskip(SKIP_1) | instid1(VALU_DEP_1)
	s_cmp_ge_u32 s19, s21
	s_cselect_b32 s45, -1, 0
	s_cmp_ge_u32 s35, s20
	s_cselect_b32 s20, -1, 0
	s_cmp_eq_u32 s19, s21
	s_cselect_b32 s19, s20, s45
	s_delay_alu instid0(SALU_CYCLE_1) | instskip(SKIP_3) | instid1(SALU_CYCLE_1)
	s_cmp_lg_u32 s19, 0
	s_cselect_b32 s21, s44, s12
	s_cselect_b32 s20, s33, s9
	s_xor_b64 s[10:11], s[22:23], s[10:11]
	s_xor_b64 s[20:21], s[20:21], s[10:11]
	s_delay_alu instid0(SALU_CYCLE_1)
	s_sub_u32 s54, s20, s10
	s_subb_u32 s55, s21, s11
	s_and_not1_b32 vcc_lo, exec_lo, s8
	s_cbranch_vccnz .LBB38_16
.LBB38_15:
	v_cvt_f32_u32_e32 v1, s42
	s_sub_i32 s9, 0, s42
	s_mov_b32 s55, 0
	s_delay_alu instid0(VALU_DEP_1) | instskip(SKIP_2) | instid1(VALU_DEP_1)
	v_rcp_iflag_f32_e32 v1, v1
	s_waitcnt_depctr 0xfff
	v_mul_f32_e32 v1, 0x4f7ffffe, v1
	v_cvt_u32_f32_e32 v1, v1
	s_delay_alu instid0(VALU_DEP_1) | instskip(NEXT) | instid1(VALU_DEP_1)
	v_readfirstlane_b32 s8, v1
	s_mul_i32 s9, s9, s8
	s_delay_alu instid0(SALU_CYCLE_1) | instskip(NEXT) | instid1(SALU_CYCLE_1)
	s_mul_hi_u32 s9, s8, s9
	s_add_i32 s8, s8, s9
	s_delay_alu instid0(SALU_CYCLE_1) | instskip(NEXT) | instid1(SALU_CYCLE_1)
	s_mul_hi_u32 s8, s34, s8
	s_mul_i32 s9, s8, s42
	s_add_i32 s10, s8, 1
	s_sub_i32 s9, s34, s9
	s_delay_alu instid0(SALU_CYCLE_1)
	s_sub_i32 s11, s9, s42
	s_cmp_ge_u32 s9, s42
	s_cselect_b32 s8, s10, s8
	s_cselect_b32 s9, s11, s9
	s_add_i32 s10, s8, 1
	s_cmp_ge_u32 s9, s42
	s_cselect_b32 s54, s10, s8
.LBB38_16:
	s_clause 0x1
	s_load_b64 s[20:21], s[0:1], 0xe0
	s_load_b128 s[8:11], s[0:1], 0xd0
	s_or_b64 s[62:63], s[54:55], s[40:41]
	s_mov_b32 s62, 0
	s_delay_alu instid0(SALU_CYCLE_1)
	s_cmp_lg_u64 s[62:63], 0
	s_cbranch_scc0 .LBB38_23
; %bb.17:
	s_ashr_i32 s22, s41, 31
	s_delay_alu instid0(SALU_CYCLE_1) | instskip(SKIP_2) | instid1(SALU_CYCLE_1)
	s_add_u32 s44, s40, s22
	s_mov_b32 s23, s22
	s_addc_u32 s45, s41, s22
	s_xor_b64 s[44:45], s[44:45], s[22:23]
	s_delay_alu instid0(SALU_CYCLE_1) | instskip(SKIP_3) | instid1(VALU_DEP_1)
	v_cvt_f32_u32_e32 v1, s44
	v_cvt_f32_u32_e32 v2, s45
	s_sub_u32 s33, 0, s44
	s_subb_u32 s35, 0, s45
	v_fmamk_f32 v1, v2, 0x4f800000, v1
	s_delay_alu instid0(VALU_DEP_1) | instskip(SKIP_2) | instid1(VALU_DEP_1)
	v_rcp_f32_e32 v1, v1
	s_waitcnt_depctr 0xfff
	v_mul_f32_e32 v1, 0x5f7ffffc, v1
	v_mul_f32_e32 v2, 0x2f800000, v1
	s_delay_alu instid0(VALU_DEP_1) | instskip(NEXT) | instid1(VALU_DEP_1)
	v_trunc_f32_e32 v2, v2
	v_fmamk_f32 v1, v2, 0xcf800000, v1
	v_cvt_u32_f32_e32 v2, v2
	s_delay_alu instid0(VALU_DEP_2) | instskip(NEXT) | instid1(VALU_DEP_2)
	v_cvt_u32_f32_e32 v1, v1
	v_readfirstlane_b32 s12, v2
	s_delay_alu instid0(VALU_DEP_2) | instskip(NEXT) | instid1(VALU_DEP_2)
	v_readfirstlane_b32 s19, v1
	s_mul_i32 s46, s33, s12
	s_delay_alu instid0(VALU_DEP_1)
	s_mul_hi_u32 s48, s33, s19
	s_mul_i32 s47, s35, s19
	s_add_i32 s46, s48, s46
	s_mul_i32 s49, s33, s19
	s_add_i32 s46, s46, s47
	s_mul_hi_u32 s48, s19, s49
	s_mul_hi_u32 s50, s12, s49
	s_mul_i32 s47, s12, s49
	s_mul_hi_u32 s49, s19, s46
	s_mul_i32 s19, s19, s46
	s_mul_hi_u32 s51, s12, s46
	s_add_u32 s19, s48, s19
	s_addc_u32 s48, 0, s49
	s_add_u32 s19, s19, s47
	s_mul_i32 s46, s12, s46
	s_addc_u32 s19, s48, s50
	s_addc_u32 s47, s51, 0
	s_add_u32 s19, s19, s46
	s_addc_u32 s46, 0, s47
	v_add_co_u32 v1, s19, v1, s19
	s_delay_alu instid0(VALU_DEP_1) | instskip(SKIP_1) | instid1(VALU_DEP_1)
	s_cmp_lg_u32 s19, 0
	s_addc_u32 s12, s12, s46
	v_readfirstlane_b32 s19, v1
	s_mul_i32 s46, s33, s12
	s_delay_alu instid0(VALU_DEP_1)
	s_mul_hi_u32 s47, s33, s19
	s_mul_i32 s35, s35, s19
	s_add_i32 s46, s47, s46
	s_mul_i32 s33, s33, s19
	s_add_i32 s46, s46, s35
	s_mul_hi_u32 s47, s12, s33
	s_mul_i32 s48, s12, s33
	s_mul_hi_u32 s33, s19, s33
	s_mul_hi_u32 s49, s19, s46
	s_mul_i32 s19, s19, s46
	s_mul_hi_u32 s35, s12, s46
	s_add_u32 s19, s33, s19
	s_addc_u32 s33, 0, s49
	s_add_u32 s19, s19, s48
	s_mul_i32 s46, s12, s46
	s_addc_u32 s19, s33, s47
	s_addc_u32 s33, s35, 0
	s_add_u32 s19, s19, s46
	s_addc_u32 s33, 0, s33
	v_add_co_u32 v1, s19, v1, s19
	s_delay_alu instid0(VALU_DEP_1) | instskip(SKIP_2) | instid1(VALU_DEP_1)
	s_cmp_lg_u32 s19, 0
	s_addc_u32 s12, s12, s33
	s_ashr_i32 s46, s55, 31
	v_readfirstlane_b32 s19, v1
	s_add_u32 s48, s54, s46
	s_mov_b32 s47, s46
	s_addc_u32 s49, s55, s46
	s_delay_alu instid0(SALU_CYCLE_1) | instskip(NEXT) | instid1(SALU_CYCLE_1)
	s_xor_b64 s[48:49], s[48:49], s[46:47]
	s_mul_i32 s35, s48, s12
	s_mul_hi_u32 s50, s48, s19
	s_mul_hi_u32 s33, s48, s12
	;; [unrolled: 1-line block ×3, first 2 shown]
	s_mul_i32 s19, s49, s19
	s_add_u32 s35, s50, s35
	s_addc_u32 s33, 0, s33
	s_mul_hi_u32 s51, s49, s12
	s_add_u32 s19, s35, s19
	s_mul_i32 s12, s49, s12
	s_addc_u32 s19, s33, s56
	s_addc_u32 s33, s51, 0
	s_add_u32 s12, s19, s12
	s_addc_u32 s19, 0, s33
	s_mul_i32 s51, s44, s12
	s_mul_hi_u32 s33, s44, s12
	s_mul_i32 s50, s44, s19
	v_sub_co_u32 v1, s48, s48, s51
	s_mul_i32 s35, s45, s12
	s_add_i32 s33, s33, s50
	s_delay_alu instid0(SALU_CYCLE_1) | instskip(NEXT) | instid1(VALU_DEP_1)
	s_add_i32 s33, s33, s35
	v_sub_co_u32 v2, s50, v1, s44
	s_sub_i32 s35, s49, s33
	s_cmp_lg_u32 s48, 0
	s_subb_u32 s35, s35, s45
	s_cmp_lg_u32 s50, 0
	v_readfirstlane_b32 s50, v2
	s_subb_u32 s35, s35, 0
	s_delay_alu instid0(SALU_CYCLE_1) | instskip(SKIP_1) | instid1(VALU_DEP_1)
	s_cmp_ge_u32 s35, s45
	s_cselect_b32 s51, -1, 0
	s_cmp_ge_u32 s50, s44
	s_cselect_b32 s50, -1, 0
	s_cmp_eq_u32 s35, s45
	s_cselect_b32 s35, s50, s51
	s_add_u32 s50, s12, 1
	s_addc_u32 s51, s19, 0
	s_add_u32 s56, s12, 2
	s_addc_u32 s57, s19, 0
	s_cmp_lg_u32 s35, 0
	s_cselect_b32 s35, s56, s50
	s_cselect_b32 s50, s57, s51
	s_cmp_lg_u32 s48, 0
	v_readfirstlane_b32 s48, v1
	s_subb_u32 s33, s49, s33
	s_delay_alu instid0(SALU_CYCLE_1) | instskip(SKIP_1) | instid1(VALU_DEP_1)
	s_cmp_ge_u32 s33, s45
	s_cselect_b32 s49, -1, 0
	s_cmp_ge_u32 s48, s44
	s_cselect_b32 s44, -1, 0
	s_cmp_eq_u32 s33, s45
	s_cselect_b32 s33, s44, s49
	s_delay_alu instid0(SALU_CYCLE_1) | instskip(SKIP_3) | instid1(SALU_CYCLE_1)
	s_cmp_lg_u32 s33, 0
	s_cselect_b32 s45, s50, s19
	s_cselect_b32 s44, s35, s12
	s_xor_b64 s[22:23], s[46:47], s[22:23]
	s_xor_b64 s[44:45], s[44:45], s[22:23]
	s_delay_alu instid0(SALU_CYCLE_1)
	s_sub_u32 s60, s44, s22
	s_subb_u32 s61, s45, s23
	s_branch .LBB38_24
.LBB38_18:
                                        ; implicit-def: $sgpr2_sgpr3
	s_branch .LBB38_3
.LBB38_19:
                                        ; implicit-def: $sgpr14_sgpr15
	s_load_b128 s[36:39], s[0:1], 0x1d0
	s_branch .LBB38_6
.LBB38_20:
                                        ; implicit-def: $sgpr28_sgpr29
	s_branch .LBB38_9
.LBB38_21:
                                        ; implicit-def: $sgpr52_sgpr53
	s_load_b128 s[40:43], s[0:1], 0x370
	s_branch .LBB38_12
.LBB38_22:
                                        ; implicit-def: $sgpr54_sgpr55
	s_branch .LBB38_15
.LBB38_23:
	s_mov_b32 s62, -1
                                        ; implicit-def: $sgpr60_sgpr61
.LBB38_24:
	s_clause 0x1
	s_load_b64 s[22:23], s[0:1], 0x440
	s_load_b128 s[44:47], s[0:1], 0x430
                                        ; implicit-def: $vgpr48 : SGPR spill to VGPR lane
	s_and_not1_b32 vcc_lo, exec_lo, s62
	s_waitcnt lgkmcnt(0)
	v_writelane_b32 v48, s22, 0
	v_writelane_b32 v48, s23, 1
	s_load_b64 s[22:23], s[0:1], 0x2a0
	v_writelane_b32 v48, s44, 2
	v_writelane_b32 v48, s45, 3
	;; [unrolled: 1-line block ×4, first 2 shown]
	s_waitcnt lgkmcnt(0)
	v_writelane_b32 v48, s22, 6
	v_writelane_b32 v48, s23, 7
	s_clause 0x1
	s_load_b128 s[48:51], s[0:1], 0x290
	s_load_b64 s[22:23], s[0:1], 0x0
	s_cbranch_vccnz .LBB38_26
; %bb.25:
	v_cvt_f32_u32_e32 v1, s40
	s_sub_i32 s19, 0, s40
	s_mov_b32 s61, 0
	s_delay_alu instid0(VALU_DEP_1) | instskip(SKIP_2) | instid1(VALU_DEP_1)
	v_rcp_iflag_f32_e32 v1, v1
	s_waitcnt_depctr 0xfff
	v_mul_f32_e32 v1, 0x4f7ffffe, v1
	v_cvt_u32_f32_e32 v1, v1
	s_delay_alu instid0(VALU_DEP_1) | instskip(NEXT) | instid1(VALU_DEP_1)
	v_readfirstlane_b32 s12, v1
	s_mul_i32 s19, s19, s12
	s_delay_alu instid0(SALU_CYCLE_1) | instskip(NEXT) | instid1(SALU_CYCLE_1)
	s_mul_hi_u32 s19, s12, s19
	s_add_i32 s12, s12, s19
	s_delay_alu instid0(SALU_CYCLE_1) | instskip(NEXT) | instid1(SALU_CYCLE_1)
	s_mul_hi_u32 s12, s54, s12
	s_mul_i32 s19, s12, s40
	s_add_i32 s33, s12, 1
	s_sub_i32 s19, s54, s19
	s_delay_alu instid0(SALU_CYCLE_1)
	s_sub_i32 s35, s19, s40
	s_cmp_ge_u32 s19, s40
	s_cselect_b32 s12, s33, s12
	s_cselect_b32 s19, s35, s19
	s_add_i32 s33, s12, 1
	s_cmp_ge_u32 s19, s40
	s_cselect_b32 s60, s33, s12
.LBB38_26:
	s_clause 0x1
	s_load_b64 s[44:45], s[0:1], 0x360
	s_load_b64 s[0:1], s[0:1], 0x1c0
	s_mov_b32 s67, 0
	s_waitcnt lgkmcnt(0)
	v_writelane_b32 v48, s44, 8
	v_writelane_b32 v48, s45, 9
	;; [unrolled: 1-line block ×4, first 2 shown]
	v_cmp_eq_u32_e64 s0, 0, v0
	s_delay_alu instid0(VALU_DEP_1)
	s_and_saveexec_b32 s1, s0
	s_cbranch_execz .LBB38_28
; %bb.27:
	v_dual_mov_b32 v1, 0 :: v_dual_mov_b32 v4, s25
	s_delay_alu instid0(VALU_DEP_1)
	v_dual_mov_b32 v3, s24 :: v_dual_mov_b32 v2, v1
	ds_store_b32 v1, v1 offset:5136
	ds_store_b128 v1, v[1:4] offset:5120
.LBB38_28:
	s_or_b32 exec_lo, exec_lo, s1
	s_mul_i32 s1, s14, s5
	s_mul_hi_u32 s5, s14, s4
	s_mul_i32 s9, s14, s9
	s_add_i32 s1, s5, s1
	s_mul_i32 s5, s15, s4
	s_mul_i32 s4, s14, s4
	s_add_i32 s1, s1, s5
	s_sub_u32 s4, s2, s4
	s_subb_u32 s1, s3, s1
	s_mul_i32 s5, s4, s11
	s_mul_hi_u32 s11, s4, s10
	s_mul_i32 s1, s1, s10
	s_add_i32 s5, s11, s5
	s_mul_hi_u32 s12, s14, s8
	s_add_i32 s11, s5, s1
	s_add_i32 s1, s12, s9
	s_mul_i32 s5, s15, s8
	s_mul_i32 s7, s2, s7
	s_mul_hi_u32 s9, s2, s6
	s_add_i32 s5, s1, s5
	s_add_i32 s1, s9, s7
	s_mul_i32 s3, s3, s6
	s_mul_i32 s2, s2, s6
	s_add_i32 s1, s1, s3
	s_sub_u32 s2, s34, s2
	s_mul_i32 s10, s4, s10
	s_mul_i32 s3, s2, s21
	s_mul_hi_u32 s4, s2, s20
	s_subb_u32 s1, 0, s1
	s_add_i32 s3, s4, s3
	s_mul_i32 s4, s14, s8
	s_mul_i32 s1, s1, s20
	s_lshl_b64 s[4:5], s[4:5], 1
	s_add_i32 s3, s3, s1
	s_add_u32 s1, s22, s4
	s_addc_u32 s8, s23, s5
	s_lshl_b64 s[6:7], s[10:11], 1
	s_mul_i32 s2, s2, s20
	s_add_u32 s1, s1, s6
	s_addc_u32 s10, s8, s7
	s_lshl_b64 s[8:9], s[2:3], 1
	s_waitcnt lgkmcnt(0)
	s_add_u32 s70, s1, s8
	s_addc_u32 s71, s10, s9
	s_barrier
	buffer_gl0_inv
	s_load_b32 s10, s[16:17], 0xc
	v_mad_u64_u32 v[2:3], null, v0, s30, 0
	v_dual_mov_b32 v44, 0 :: v_dual_lshlrev_b32 v37, 3, v0
	v_mbcnt_lo_u32_b32 v33, -1, 0
	v_dual_mov_b32 v13, 0 :: v_dual_lshlrev_b32 v16, 2, v0
	s_delay_alu instid0(VALU_DEP_3)
	v_or_b32_e32 v11, 6, v37
	v_or_b32_e32 v12, 4, v37
	v_dual_mov_b32 v1, v3 :: v_dual_lshlrev_b32 v34, 1, v0
	v_lshrrev_b32_e32 v6, 3, v0
	v_cmp_gt_u32_e32 vcc_lo, 32, v0
	v_cmp_gt_i32_e64 s1, 4, v33
	v_mad_u64_u32 v[18:19], null, s30, v11, 0
	v_mad_u64_u32 v[20:21], null, s30, v12, 0
	v_or_b32_e32 v24, 2, v37
	v_mad_u64_u32 v[3:4], null, v0, s31, v[1:2]
	v_dual_mov_b32 v1, v13 :: v_dual_and_b32 v36, 0x7c, v6
	v_lshlrev_b64 v[6:7], v33, -1
	s_waitcnt lgkmcnt(0)
	s_and_b32 s33, s10, 0xffff
	s_and_b32 s35, vcc_lo, s1
	s_bfe_u32 s11, s10, 0xb0005
	s_add_u32 s93, s33, -1
	s_addc_u32 s94, 0, -1
	v_mad_u64_u32 v[22:23], null, s30, v24, 0
	s_add_u32 s95, s93, s24
	v_add_nc_u32_e32 v35, 0xc00, v34
	s_addc_u32 s73, s94, s25
	v_not_b32_e32 v38, v6
	v_dual_mov_b32 v6, v19 :: v_dual_mov_b32 v7, v21
	s_cmp_lt_u32 s13, s18
	s_delay_alu instid0(VALU_DEP_4) | instskip(SKIP_1) | instid1(VALU_DEP_2)
	v_dual_mov_b32 v17, v13 :: v_dual_mov_b32 v8, v23
	s_cselect_b32 s12, 12, 18
	v_mad_u64_u32 v[9:10], null, s31, v11, v[6:7]
	s_add_u32 s74, s16, s12
	s_addc_u32 s75, s17, 0
	s_add_i32 s12, s11, -1
	s_bfe_u32 s96, s33, 0x30005
	s_cmp_gt_u32 s12, 6
	v_lshlrev_b64 v[4:5], 1, v[2:3]
	s_cselect_b32 s97, -1, 0
	s_and_b32 s98, s11, 0x7f8
	s_cmp_lg_u32 s96, 0
	v_mad_u64_u32 v[10:11], null, s31, v12, v[7:8]
	s_cselect_b32 s100, -1, 0
	s_add_u32 s4, s4, s8
	v_mad_u64_u32 v[6:7], null, s31, v24, v[8:9]
	s_addc_u32 s5, s5, s9
	s_add_u32 s4, s4, s6
	v_add_co_u32 v14, vcc_lo, s70, v4
	s_addc_u32 s5, s5, s7
	s_add_u32 s76, s22, s4
	v_add_co_ci_u32_e32 v15, vcc_lo, s71, v5, vcc_lo
	v_add_co_u32 v40, s4, s24, v0
	s_addc_u32 s77, s23, s5
	v_mov_b32_e32 v21, v10
	v_add_co_u32 v10, vcc_lo, s76, v4
	v_cmp_lt_i64_e64 s92, 0x600, s[24:25]
	v_cmp_gt_i64_e64 s1, s[24:25], v[0:1]
	v_lshlrev_b64 v[23:24], 3, v[2:3]
	v_add_co_ci_u32_e64 v41, null, s25, 0, s4
	s_mul_i32 s4, s31, s33
	s_mul_hi_u32 s5, s30, s33
	v_cmp_eq_u32_e64 s2, 0, v33
	v_cmp_gt_u32_e64 s3, 2, v0
	v_cmp_gt_u16_e64 s99, s10, 31
	v_mov_b32_e32 v19, v9
	v_mov_b32_e32 v39, v6
	v_lshl_or_b32 v42, v33, 3, 0xc00
	v_add_co_ci_u32_e32 v11, vcc_lo, s77, v5, vcc_lo
	v_cvt_f32_ubyte0_e32 v43, 0
	s_add_i32 s5, s5, s4
	s_mul_i32 s4, s30, s33
	s_lshl_b64 s[78:79], s[30:31], 1
	s_lshl_b64 s[80:81], s[30:31], 3
	;; [unrolled: 1-line block ×3, first 2 shown]
	s_lshl_b32 s101, s33, 1
	s_mov_b32 s62, 14
	s_mov_b32 s102, 0
	s_mov_b32 s63, 0
	s_mov_b32 s58, 0
	s_mov_b32 s57, 0
                                        ; implicit-def: $sgpr103
                                        ; implicit-def: $vcc_hi
                                        ; implicit-def: $sgpr104
                                        ; implicit-def: $sgpr65
                                        ; implicit-def: $sgpr56
                                        ; implicit-def: $sgpr64
	s_branch .LBB38_33
.LBB38_29:                              ;   in Loop: Header=BB38_33 Depth=1
	s_xor_b32 s63, s63, 1
	s_add_i32 s7, s62, -2
	s_cmp_eq_u32 s62, 0
	s_mov_b32 s5, 0
	s_cselect_b32 s6, -1, 0
	s_mov_b32 s62, s7
.LBB38_30:                              ;   in Loop: Header=BB38_33 Depth=1
	s_and_not1_b32 s7, s20, exec_lo
	s_and_b32 s5, s5, exec_lo
	s_and_not1_b32 s21, s21, exec_lo
	s_or_b32 s20, s7, s5
	s_and_not1_b32 s19, s19, exec_lo
	s_or_not1_b32 s15, s6, exec_lo
.LBB38_31:                              ;   in Loop: Header=BB38_33 Depth=1
	s_or_b32 exec_lo, exec_lo, s4
	s_delay_alu instid0(SALU_CYCLE_1)
	s_and_not1_b32 s4, s64, exec_lo
	s_and_b32 s5, s20, exec_lo
	s_and_not1_b32 s6, s65, exec_lo
	s_or_b32 s64, s4, s5
	s_and_not1_b32 s4, s56, exec_lo
	s_and_b32 s5, s21, exec_lo
	s_and_b32 s7, s19, exec_lo
	s_or_b32 s56, s4, s5
	s_or_b32 s65, s6, s7
	s_or_not1_b32 s19, s15, exec_lo
.LBB38_32:                              ;   in Loop: Header=BB38_33 Depth=1
	s_or_b32 exec_lo, exec_lo, s14
	s_delay_alu instid0(SALU_CYCLE_1)
	s_and_b32 s4, exec_lo, s19
	v_mov_b32_e32 v2, s58
	s_or_b32 s102, s4, s102
	s_and_not1_b32 s4, s104, exec_lo
	s_and_b32 s5, s64, exec_lo
	s_and_not1_b32 s6, s103, exec_lo
	s_or_b32 s104, s4, s5
	s_and_not1_b32 s4, vcc_hi, exec_lo
	s_and_b32 s5, s56, exec_lo
	s_and_b32 s7, s65, exec_lo
	s_or_b32 vcc_hi, s4, s5
	s_or_b32 s103, s6, s7
	s_and_not1_b32 exec_lo, exec_lo, s102
	s_cbranch_execz .LBB38_299
.LBB38_33:                              ; =>This Loop Header: Depth=1
                                        ;     Child Loop BB38_38 Depth 2
                                        ;     Child Loop BB38_57 Depth 2
	;; [unrolled: 1-line block ×16, first 2 shown]
	ds_load_b128 v[2:5], v13 offset:5120
	s_waitcnt lgkmcnt(0)
	v_readfirstlane_b32 s83, v3
	v_readfirstlane_b32 s82, v2
	s_delay_alu instid0(VALU_DEP_1) | instskip(NEXT) | instid1(VALU_DEP_1)
	v_cmp_gt_i64_e64 s4, s[82:83], 0
	s_and_b32 vcc_lo, exec_lo, s4
	s_cbranch_vccnz .LBB38_64
; %bb.34:                               ;   in Loop: Header=BB38_33 Depth=1
	s_and_b32 vcc_lo, exec_lo, s92
	s_cbranch_vccz .LBB38_46
; %bb.35:                               ;   in Loop: Header=BB38_33 Depth=1
	v_cmp_gt_i64_e32 vcc_lo, 0x601, v[4:5]
	s_mov_b32 s6, 0
	s_mov_b32 s4, 0
	s_cbranch_vccz .LBB38_51
; %bb.36:                               ;   in Loop: Header=BB38_33 Depth=1
	global_load_u16 v6, v13, s[74:75]
	global_load_u16 v7, v[14:15], off
	s_mov_b32 s8, 0
	s_waitcnt vmcnt(1)
	v_readfirstlane_b32 s4, v6
	v_and_b32_e32 v6, 0xffff, v6
	s_delay_alu instid0(VALU_DEP_2) | instskip(NEXT) | instid1(SALU_CYCLE_1)
	s_and_b32 s4, 0xffff, s4
	v_add_nc_u32_e32 v8, s4, v0
	s_mul_i32 s5, s79, s4
	s_mul_hi_u32 s7, s78, s4
	s_mul_i32 s9, s78, s4
	s_add_i32 s7, s7, s5
	v_mad_u64_u32 v[2:3], null, s78, v8, s[76:77]
	s_delay_alu instid0(VALU_DEP_1) | instskip(NEXT) | instid1(VALU_DEP_1)
	v_mad_u64_u32 v[4:5], null, s79, v8, v[3:4]
	v_mov_b32_e32 v3, v4
	v_dual_mov_b32 v5, v1 :: v_dual_mov_b32 v4, v0
	s_branch .LBB38_38
.LBB38_37:                              ;   in Loop: Header=BB38_38 Depth=2
	s_or_b32 exec_lo, exec_lo, s5
	v_add_co_u32 v2, vcc_lo, v2, s9
	v_add_co_ci_u32_e32 v3, vcc_lo, s7, v3, vcc_lo
	v_mov_b32_e32 v7, v8
	s_and_not1_b32 exec_lo, exec_lo, s8
	s_cbranch_execz .LBB38_47
.LBB38_38:                              ;   Parent Loop BB38_33 Depth=1
                                        ; =>  This Inner Loop Header: Depth=2
	s_delay_alu instid0(VALU_DEP_1) | instskip(NEXT) | instid1(VALU_DEP_2)
	v_add_co_u32 v4, vcc_lo, v4, v6
	v_add_co_ci_u32_e32 v5, vcc_lo, 0, v5, vcc_lo
	s_waitcnt lgkmcnt(0)
	v_dual_mov_b32 v9, 0 :: v_dual_mov_b32 v8, 0
	s_mov_b32 s5, exec_lo
	s_delay_alu instid0(VALU_DEP_2)
	v_cmp_le_i64_e32 vcc_lo, s[24:25], v[4:5]
	v_cmpx_gt_i64_e64 s[24:25], v[4:5]
	s_cbranch_execz .LBB38_40
; %bb.39:                               ;   in Loop: Header=BB38_38 Depth=2
	global_load_u16 v8, v[2:3], off
.LBB38_40:                              ;   in Loop: Header=BB38_38 Depth=2
	s_or_b32 exec_lo, exec_lo, s5
	s_waitcnt vmcnt(0)
	v_bfe_i32 v12, v7, 0, 16
	s_delay_alu instid0(VALU_DEP_1) | instskip(NEXT) | instid1(VALU_DEP_1)
	v_add_nc_u32_e32 v12, 0x8000, v12
	v_and_b32_e32 v12, s57, v12
	s_delay_alu instid0(VALU_DEP_1) | instskip(NEXT) | instid1(VALU_DEP_1)
	v_cmp_eq_u32_e64 s4, s58, v12
	s_cmp_lg_u32 s4, 0
	s_cselect_b32 s5, -1, 0
	s_delay_alu instid0(SALU_CYCLE_1) | instskip(NEXT) | instid1(SALU_CYCLE_1)
	s_and_b32 s5, s2, s5
	s_and_saveexec_b32 s10, s5
	s_cbranch_execz .LBB38_44
; %bb.41:                               ;   in Loop: Header=BB38_38 Depth=2
	s_mov_b32 s13, exec_lo
	s_bcnt1_i32_b32 s11, s4
	v_mbcnt_lo_u32_b32 v9, s13, 0
	s_mov_b32 s12, exec_lo
                                        ; implicit-def: $vgpr12
	s_delay_alu instid0(VALU_DEP_1)
	v_cmpx_eq_u32_e32 0, v9
	s_cbranch_execz .LBB38_43
; %bb.42:                               ;   in Loop: Header=BB38_38 Depth=2
	s_bcnt1_i32_b32 s5, s13
	s_delay_alu instid0(SALU_CYCLE_1) | instskip(NEXT) | instid1(SALU_CYCLE_1)
	s_mul_i32 s5, s11, s5
	v_mov_b32_e32 v12, s5
	ds_add_rtn_u32 v12, v13, v12 offset:5136
.LBB38_43:                              ;   in Loop: Header=BB38_38 Depth=2
	s_or_b32 exec_lo, exec_lo, s12
	s_waitcnt lgkmcnt(0)
	v_readfirstlane_b32 s5, v12
	s_delay_alu instid0(VALU_DEP_1)
	v_mad_u32_u24 v9, s11, v9, s5
.LBB38_44:                              ;   in Loop: Header=BB38_38 Depth=2
	s_or_b32 exec_lo, exec_lo, s10
	ds_bpermute_b32 v9, v13, v9
	s_and_b32 s5, exec_lo, vcc_lo
	s_delay_alu instid0(SALU_CYCLE_1)
	s_or_b32 s8, s5, s8
	s_and_saveexec_b32 s5, s4
	s_cbranch_execz .LBB38_37
; %bb.45:                               ;   in Loop: Header=BB38_38 Depth=2
	v_and_b32_e32 v12, s4, v38
	s_delay_alu instid0(VALU_DEP_1) | instskip(NEXT) | instid1(VALU_DEP_1)
	v_bcnt_u32_b32 v12, v12, 0
	v_lshlrev_b32_e32 v12, 1, v12
	s_waitcnt lgkmcnt(0)
	s_delay_alu instid0(VALU_DEP_1)
	v_lshl_add_u32 v9, v9, 1, v12
	ds_store_b16 v9, v7
	s_branch .LBB38_37
.LBB38_46:                              ;   in Loop: Header=BB38_33 Depth=1
	s_mov_b32 s6, -1
	s_mov_b32 s4, 0
	s_branch .LBB38_50
.LBB38_47:                              ;   in Loop: Header=BB38_33 Depth=1
	s_or_b32 exec_lo, exec_lo, s8
	s_waitcnt lgkmcnt(0)
	s_barrier
	buffer_gl0_inv
	s_and_saveexec_b32 s4, s0
	s_cbranch_execz .LBB38_49
; %bb.48:                               ;   in Loop: Header=BB38_33 Depth=1
	ds_load_b32 v2, v13 offset:5136
	s_waitcnt lgkmcnt(0)
	v_ashrrev_i32_e32 v3, 31, v2
	ds_store_b64 v13, v[2:3] offset:5120
.LBB38_49:                              ;   in Loop: Header=BB38_33 Depth=1
	s_or_b32 exec_lo, exec_lo, s4
	s_waitcnt lgkmcnt(0)
	s_mov_b32 s4, -1
	s_barrier
.LBB38_50:                              ;   in Loop: Header=BB38_33 Depth=1
                                        ; implicit-def: $sgpr82_sgpr83
.LBB38_51:                              ;   in Loop: Header=BB38_33 Depth=1
	s_and_b32 vcc_lo, exec_lo, s6
	s_cbranch_vccz .LBB38_62
; %bb.52:                               ;   in Loop: Header=BB38_33 Depth=1
	v_mov_b32_e32 v6, 0
	s_and_saveexec_b32 s4, s1
	s_cbranch_execz .LBB38_54
; %bb.53:                               ;   in Loop: Header=BB38_33 Depth=1
	global_load_u16 v6, v[14:15], off
.LBB38_54:                              ;   in Loop: Header=BB38_33 Depth=1
	s_or_b32 exec_lo, exec_lo, s4
	s_and_saveexec_b32 s5, s1
	s_cbranch_execz .LBB38_59
; %bb.55:                               ;   in Loop: Header=BB38_33 Depth=1
	global_load_u16 v8, v13, s[74:75]
	s_mov_b32 s9, 0
	s_waitcnt vmcnt(0)
	v_readfirstlane_b32 s4, v8
	v_and_b32_e32 v8, 0xffff, v8
	s_delay_alu instid0(VALU_DEP_2) | instskip(NEXT) | instid1(SALU_CYCLE_1)
	s_and_b32 s4, 0xffff, s4
	v_add_nc_u32_e32 v7, s4, v0
	s_mul_i32 s7, s79, s4
	s_mul_hi_u32 s8, s78, s4
	s_lshl_b32 s6, s4, 1
	s_add_i32 s7, s8, s7
	v_mad_u64_u32 v[2:3], null, s78, v7, s[76:77]
	s_mul_i32 s8, s78, s4
	s_delay_alu instid0(VALU_DEP_1) | instskip(SKIP_1) | instid1(VALU_DEP_2)
	v_mad_u64_u32 v[4:5], null, s79, v7, v[3:4]
	v_mov_b32_e32 v7, v34
	v_mov_b32_e32 v3, v4
	v_dual_mov_b32 v5, v1 :: v_dual_mov_b32 v4, v0
	s_branch .LBB38_57
	.p2align	6
.LBB38_56:                              ;   in Loop: Header=BB38_57 Depth=2
	s_or_b32 exec_lo, exec_lo, s10
	s_delay_alu instid0(SALU_CYCLE_1)
	s_and_b32 s4, exec_lo, vcc_lo
	v_add_co_u32 v2, vcc_lo, v2, s8
	ds_store_b16 v7, v6
	s_waitcnt vmcnt(0)
	v_dual_mov_b32 v6, v9 :: v_dual_add_nc_u32 v7, s6, v7
	v_add_co_ci_u32_e32 v3, vcc_lo, s7, v3, vcc_lo
	s_or_b32 s9, s4, s9
	s_delay_alu instid0(SALU_CYCLE_1)
	s_and_not1_b32 exec_lo, exec_lo, s9
	s_cbranch_execz .LBB38_59
.LBB38_57:                              ;   Parent Loop BB38_33 Depth=1
                                        ; =>  This Inner Loop Header: Depth=2
	s_delay_alu instid0(VALU_DEP_1) | instskip(NEXT) | instid1(VALU_DEP_2)
	v_add_co_u32 v4, vcc_lo, v4, v8
	v_add_co_ci_u32_e32 v5, vcc_lo, 0, v5, vcc_lo
	v_mov_b32_e32 v9, 0
	s_mov_b32 s10, exec_lo
	s_delay_alu instid0(VALU_DEP_2)
	v_cmp_le_i64_e32 vcc_lo, s[24:25], v[4:5]
	v_cmpx_gt_i64_e64 s[24:25], v[4:5]
	s_cbranch_execz .LBB38_56
; %bb.58:                               ;   in Loop: Header=BB38_57 Depth=2
	global_load_u16 v9, v[2:3], off
	s_branch .LBB38_56
.LBB38_59:                              ;   in Loop: Header=BB38_33 Depth=1
	s_or_b32 exec_lo, exec_lo, s5
	s_waitcnt vmcnt(0) lgkmcnt(0)
	s_barrier
	buffer_gl0_inv
	s_and_saveexec_b32 s4, s0
	s_cbranch_execz .LBB38_61
; %bb.60:                               ;   in Loop: Header=BB38_33 Depth=1
	v_dual_mov_b32 v2, s24 :: v_dual_mov_b32 v3, s25
	ds_store_b64 v13, v[2:3] offset:5120
.LBB38_61:                              ;   in Loop: Header=BB38_33 Depth=1
	s_or_b32 exec_lo, exec_lo, s4
	s_mov_b32 s4, -1
	s_waitcnt lgkmcnt(0)
	s_barrier
                                        ; implicit-def: $sgpr82_sgpr83
.LBB38_62:                              ;   in Loop: Header=BB38_33 Depth=1
	s_and_b32 vcc_lo, exec_lo, s4
	s_cbranch_vccz .LBB38_64
; %bb.63:                               ;   in Loop: Header=BB38_33 Depth=1
	buffer_gl0_inv
	ds_load_b64 v[2:3], v13 offset:5120
	s_waitcnt lgkmcnt(0)
	v_readfirstlane_b32 s82, v2
.LBB38_64:                              ;   in Loop: Header=BB38_33 Depth=1
	s_delay_alu instid0(VALU_DEP_1)
	s_cmp_lt_i32 s82, 1
	s_cbranch_scc0 .LBB38_79
; %bb.65:                               ;   in Loop: Header=BB38_33 Depth=1
	global_load_u16 v4, v13, s[74:75]
	s_mov_b32 s5, s25
	s_waitcnt vmcnt(0)
	v_readfirstlane_b32 s4, v4
	s_delay_alu instid0(VALU_DEP_1)
	s_and_b32 s6, 0xffff, s4
	s_mov_b32 s4, s67
	s_lshl_b32 s23, s6, 2
	s_cmp_lg_u64 s[4:5], 0
	s_cbranch_scc0 .LBB38_99
; %bb.66:                               ;   in Loop: Header=BB38_33 Depth=1
	v_cvt_f32_u32_e32 v2, s23
	s_sub_u32 s6, 0, s23
	s_subb_u32 s7, 0, 0
	s_delay_alu instid0(VALU_DEP_1) | instskip(NEXT) | instid1(VALU_DEP_1)
	v_fmac_f32_e32 v2, 0x4f800000, v43
	v_rcp_f32_e32 v2, v2
	s_waitcnt_depctr 0xfff
	v_mul_f32_e32 v2, 0x5f7ffffc, v2
	s_delay_alu instid0(VALU_DEP_1) | instskip(NEXT) | instid1(VALU_DEP_1)
	v_mul_f32_e32 v3, 0x2f800000, v2
	v_trunc_f32_e32 v3, v3
	s_delay_alu instid0(VALU_DEP_1) | instskip(SKIP_1) | instid1(VALU_DEP_2)
	v_fmac_f32_e32 v2, 0xcf800000, v3
	v_cvt_u32_f32_e32 v3, v3
	v_cvt_u32_f32_e32 v2, v2
	s_delay_alu instid0(VALU_DEP_2) | instskip(NEXT) | instid1(VALU_DEP_2)
	v_readfirstlane_b32 s4, v3
	v_readfirstlane_b32 s5, v2
	s_delay_alu instid0(VALU_DEP_2) | instskip(NEXT) | instid1(VALU_DEP_1)
	s_mul_i32 s8, s6, s4
	s_mul_hi_u32 s10, s6, s5
	s_mul_i32 s9, s7, s5
	s_add_i32 s8, s10, s8
	s_mul_i32 s11, s6, s5
	s_add_i32 s8, s8, s9
	s_mul_hi_u32 s10, s5, s11
	s_mul_hi_u32 s12, s4, s11
	s_mul_i32 s9, s4, s11
	s_mul_hi_u32 s11, s5, s8
	s_mul_i32 s5, s5, s8
	s_mul_hi_u32 s13, s4, s8
	s_add_u32 s5, s10, s5
	s_addc_u32 s10, 0, s11
	s_add_u32 s5, s5, s9
	s_mul_i32 s8, s4, s8
	s_addc_u32 s5, s10, s12
	s_addc_u32 s9, s13, 0
	s_add_u32 s5, s5, s8
	s_addc_u32 s8, 0, s9
	v_add_co_u32 v2, s5, v2, s5
	s_delay_alu instid0(VALU_DEP_1) | instskip(SKIP_1) | instid1(VALU_DEP_1)
	s_cmp_lg_u32 s5, 0
	s_addc_u32 s4, s4, s8
	v_readfirstlane_b32 s5, v2
	s_mul_i32 s8, s6, s4
	s_delay_alu instid0(VALU_DEP_1)
	s_mul_hi_u32 s9, s6, s5
	s_mul_i32 s7, s7, s5
	s_add_i32 s8, s9, s8
	s_mul_i32 s6, s6, s5
	s_add_i32 s8, s8, s7
	s_mul_hi_u32 s9, s4, s6
	s_mul_i32 s10, s4, s6
	s_mul_hi_u32 s6, s5, s6
	s_mul_hi_u32 s11, s5, s8
	s_mul_i32 s5, s5, s8
	s_mul_hi_u32 s7, s4, s8
	s_add_u32 s5, s6, s5
	s_addc_u32 s6, 0, s11
	s_add_u32 s5, s5, s10
	s_mul_i32 s8, s4, s8
	s_addc_u32 s5, s6, s9
	s_addc_u32 s6, s7, 0
	s_add_u32 s5, s5, s8
	s_addc_u32 s6, 0, s6
	v_add_co_u32 v2, s5, v2, s5
	s_delay_alu instid0(VALU_DEP_1) | instskip(SKIP_2) | instid1(VALU_DEP_1)
	s_cmp_lg_u32 s5, 0
	s_addc_u32 s8, s4, s6
	s_ashr_i32 s6, s25, 31
	v_readfirstlane_b32 s9, v2
	s_add_u32 s4, s24, s6
	s_mov_b32 s7, s6
	s_addc_u32 s5, s25, s6
	s_delay_alu instid0(SALU_CYCLE_1) | instskip(NEXT) | instid1(SALU_CYCLE_1)
	s_xor_b64 s[4:5], s[4:5], s[6:7]
	s_mul_i32 s10, s4, s8
	s_mul_hi_u32 s11, s4, s9
	s_mul_hi_u32 s7, s4, s8
	;; [unrolled: 1-line block ×3, first 2 shown]
	s_mul_i32 s9, s5, s9
	s_add_u32 s10, s11, s10
	s_addc_u32 s7, 0, s7
	s_mul_hi_u32 s12, s5, s8
	s_add_u32 s9, s10, s9
	s_mul_i32 s8, s5, s8
	s_addc_u32 s7, s7, s13
	s_addc_u32 s9, s12, 0
	s_add_u32 s7, s7, s8
	s_addc_u32 s8, 0, s9
	s_mul_hi_u32 s9, s23, s7
	s_mul_i32 s7, s23, s7
	s_mul_i32 s8, s23, s8
	v_sub_co_u32 v2, s4, s4, s7
	s_add_i32 s9, s9, s8
	s_cmp_lg_u32 s4, 0
	s_delay_alu instid0(VALU_DEP_1) | instskip(SKIP_2) | instid1(VALU_DEP_1)
	v_sub_co_u32 v3, s4, v2, s23
	s_subb_u32 s5, s5, s9
	s_cmp_lg_u32 s4, 0
	v_cmp_le_u32_e32 vcc_lo, s23, v3
	v_sub_co_u32 v5, s4, v3, s23
	s_subb_u32 s7, s5, 0
	s_cmp_lg_u32 s4, 0
	v_cndmask_b32_e64 v6, 0, -1, vcc_lo
	s_subb_u32 s4, s7, 0
	s_cmp_eq_u32 s7, 0
	v_mov_b32_e32 v8, s4
	s_cselect_b32 vcc_lo, -1, 0
	s_cmp_eq_u32 s5, 0
	v_cndmask_b32_e32 v6, -1, v6, vcc_lo
	v_cmp_le_u32_e32 vcc_lo, s23, v2
	s_cselect_b32 s4, -1, 0
	v_cndmask_b32_e64 v7, 0, -1, vcc_lo
	s_delay_alu instid0(VALU_DEP_3) | instskip(NEXT) | instid1(VALU_DEP_2)
	v_cmp_ne_u32_e32 vcc_lo, 0, v6
	v_cndmask_b32_e64 v6, -1, v7, s4
	v_cndmask_b32_e32 v7, s7, v8, vcc_lo
	v_cndmask_b32_e32 v3, v3, v5, vcc_lo
	s_delay_alu instid0(VALU_DEP_3) | instskip(NEXT) | instid1(VALU_DEP_2)
	v_cmp_ne_u32_e32 vcc_lo, 0, v6
	v_cndmask_b32_e32 v2, v2, v3, vcc_lo
	s_delay_alu instid0(VALU_DEP_4) | instskip(NEXT) | instid1(VALU_DEP_2)
	v_cndmask_b32_e32 v5, s5, v7, vcc_lo
	v_xor_b32_e32 v2, s6, v2
	s_delay_alu instid0(VALU_DEP_2) | instskip(NEXT) | instid1(VALU_DEP_2)
	v_xor_b32_e32 v3, s6, v5
	v_sub_co_u32 v25, vcc_lo, v2, s6
	s_delay_alu instid0(VALU_DEP_2)
	v_subrev_co_ci_u32_e32 v26, vcc_lo, s6, v3, vcc_lo
	s_cbranch_execnz .LBB38_68
.LBB38_67:                              ;   in Loop: Header=BB38_33 Depth=1
	v_cvt_f32_u32_e32 v2, s23
	s_sub_i32 s4, 0, s23
	s_delay_alu instid0(VALU_DEP_1) | instskip(SKIP_2) | instid1(VALU_DEP_1)
	v_rcp_iflag_f32_e32 v2, v2
	s_waitcnt_depctr 0xfff
	v_mul_f32_e32 v2, 0x4f7ffffe, v2
	v_cvt_u32_f32_e32 v2, v2
	s_delay_alu instid0(VALU_DEP_1) | instskip(NEXT) | instid1(VALU_DEP_1)
	v_mul_lo_u32 v3, s4, v2
	v_mul_hi_u32 v3, v2, v3
	s_delay_alu instid0(VALU_DEP_1) | instskip(NEXT) | instid1(VALU_DEP_1)
	v_add_nc_u32_e32 v2, v2, v3
	v_mul_hi_u32 v2, s24, v2
	s_delay_alu instid0(VALU_DEP_1) | instskip(NEXT) | instid1(VALU_DEP_1)
	v_mul_lo_u32 v2, v2, s23
	v_sub_nc_u32_e32 v2, s24, v2
	s_delay_alu instid0(VALU_DEP_1) | instskip(SKIP_1) | instid1(VALU_DEP_2)
	v_subrev_nc_u32_e32 v3, s23, v2
	v_cmp_le_u32_e32 vcc_lo, s23, v2
	v_cndmask_b32_e32 v2, v2, v3, vcc_lo
	s_delay_alu instid0(VALU_DEP_1) | instskip(SKIP_1) | instid1(VALU_DEP_2)
	v_subrev_nc_u32_e32 v3, s23, v2
	v_cmp_le_u32_e32 vcc_lo, s23, v2
	v_cndmask_b32_e32 v12, v2, v3, vcc_lo
	s_delay_alu instid0(VALU_DEP_1)
	v_dual_mov_b32 v26, v13 :: v_dual_mov_b32 v25, v12
.LBB38_68:                              ;   in Loop: Header=BB38_33 Depth=1
	v_mov_b32_e32 v2, 0
	v_dual_mov_b32 v3, 0 :: v_dual_and_b32 v12, 0xffff, v4
	s_delay_alu instid0(VALU_DEP_3) | instskip(NEXT) | instid1(VALU_DEP_4)
	v_sub_co_u32 v27, vcc_lo, s24, v25
	v_sub_co_ci_u32_e32 v28, vcc_lo, s25, v26, vcc_lo
	s_delay_alu instid0(VALU_DEP_3)
	v_dual_mov_b32 v5, v3 :: v_dual_mov_b32 v4, v2
	v_dual_mov_b32 v7, v3 :: v_dual_mov_b32 v6, v2
	;; [unrolled: 1-line block ×3, first 2 shown]
	s_mov_b64 s[84:85], 0
	s_mov_b32 s59, exec_lo
	v_cmpx_gt_i64_e64 v[27:28], v[16:17]
	s_cbranch_execz .LBB38_72
; %bb.69:                               ;   in Loop: Header=BB38_33 Depth=1
	v_mul_lo_u32 v2, s81, v12
	v_mul_hi_u32 v3, s80, v12
	v_mul_lo_u32 v45, s80, v12
	v_dual_mov_b32 v32, v17 :: v_dual_mov_b32 v29, s70
	v_mov_b32_e32 v30, s71
	s_and_b32 s66, s62, 0xfe
	s_mov_b32 s72, 0
	s_delay_alu instid0(VALU_DEP_4)
	v_dual_mov_b32 v31, v16 :: v_dual_add_nc_u32 v46, v3, v2
	s_mov_b64 s[86:87], 0
	s_mov_b64 s[88:89], 0
	;; [unrolled: 1-line block ×3, first 2 shown]
.LBB38_70:                              ;   Parent Loop BB38_33 Depth=1
                                        ; =>  This Inner Loop Header: Depth=2
	v_add_co_u32 v2, vcc_lo, v29, v23
	v_add_co_ci_u32_e32 v3, vcc_lo, v30, v24, vcc_lo
	global_load_i16 v4, v[2:3], off
	v_add_co_u32 v2, vcc_lo, v29, v22
	v_add_co_ci_u32_e32 v3, vcc_lo, v30, v39, vcc_lo
	global_load_i16 v5, v[2:3], off
	;; [unrolled: 3-line block ×4, first 2 shown]
	s_waitcnt vmcnt(3)
	v_add_nc_u32_e32 v3, 0x8000, v4
	s_delay_alu instid0(VALU_DEP_1) | instskip(SKIP_1) | instid1(VALU_DEP_2)
	v_and_b32_e32 v4, s57, v3
	v_bfe_u32 v3, v3, s66, 2
	v_cmp_eq_u32_e32 vcc_lo, s58, v4
	s_waitcnt vmcnt(2)
	v_add_nc_u32_e32 v4, 0x8000, v5
	s_delay_alu instid0(VALU_DEP_3)
	v_cmp_eq_u32_e64 s7, 0, v3
	v_cmp_eq_u32_e64 s8, 1, v3
	v_cmp_eq_u32_e64 s9, 2, v3
	v_cmp_eq_u32_e64 s10, 3, v3
	v_and_b32_e32 v5, s57, v4
	v_bfe_u32 v3, v4, s66, 2
	s_and_b32 s7, vcc_lo, s7
	s_delay_alu instid0(VALU_DEP_2)
	v_cmp_eq_u32_e64 s4, s58, v5
	s_waitcnt vmcnt(1)
	v_add_nc_u32_e32 v5, 0x8000, v6
	v_cmp_eq_u32_e64 s11, 0, v3
	s_waitcnt vmcnt(0)
	v_add_nc_u32_e32 v2, 0x8000, v2
	v_cmp_eq_u32_e64 s12, 1, v3
	v_cmp_eq_u32_e64 s13, 2, v3
	v_and_b32_e32 v6, s57, v5
	v_cmp_eq_u32_e64 s14, 3, v3
	v_bfe_u32 v3, v5, s66, 2
	s_and_b32 s11, s4, s11
	s_delay_alu instid0(VALU_DEP_3)
	v_cmp_eq_u32_e64 s5, s58, v6
	v_and_b32_e32 v6, s57, v2
	v_bfe_u32 v2, v2, s66, 2
	v_cmp_eq_u32_e64 s15, 0, v3
	v_cmp_eq_u32_e64 s16, 1, v3
	;; [unrolled: 1-line block ×8, first 2 shown]
	v_cndmask_b32_e64 v2, 0, 1, s7
	s_and_b32 s15, s5, s15
	s_and_b32 s19, s6, s19
	v_cmp_eq_u32_e64 s18, 3, v3
	s_delay_alu instid0(VALU_DEP_2) | instskip(SKIP_1) | instid1(VALU_DEP_2)
	v_cmp_ne_u32_e64 s7, 0, v2
	v_cndmask_b32_e64 v2, 0, 1, s11
	s_bcnt1_i32_b32 s7, s7
	s_delay_alu instid0(VALU_DEP_1) | instskip(SKIP_1) | instid1(VALU_DEP_2)
	v_cmp_ne_u32_e64 s11, 0, v2
	v_cndmask_b32_e64 v2, 0, 1, s15
	s_bcnt1_i32_b32 s11, s11
	s_delay_alu instid0(VALU_DEP_1) | instskip(SKIP_2) | instid1(VALU_DEP_2)
	v_cmp_ne_u32_e64 s15, 0, v2
	v_cndmask_b32_e64 v2, 0, 1, s19
	s_add_i32 s7, s11, s7
	s_bcnt1_i32_b32 s15, s15
	s_delay_alu instid0(VALU_DEP_1) | instskip(SKIP_1) | instid1(VALU_DEP_1)
	v_cmp_ne_u32_e64 s19, 0, v2
	s_add_i32 s7, s7, s15
	s_bcnt1_i32_b32 s19, s19
	s_delay_alu instid0(SALU_CYCLE_1) | instskip(NEXT) | instid1(SALU_CYCLE_1)
	s_add_i32 s7, s7, s19
	s_add_u32 s90, s90, s7
	s_addc_u32 s91, s91, 0
	s_and_b32 s7, vcc_lo, s8
	s_and_b32 s8, s4, s12
	v_cndmask_b32_e64 v2, 0, 1, s7
	s_and_b32 s11, s5, s16
	s_and_b32 s12, s6, s20
	s_delay_alu instid0(VALU_DEP_1) | instskip(SKIP_1) | instid1(VALU_DEP_2)
	v_cmp_ne_u32_e64 s7, 0, v2
	v_cndmask_b32_e64 v2, 0, 1, s8
	s_bcnt1_i32_b32 s7, s7
	s_delay_alu instid0(VALU_DEP_1) | instskip(SKIP_1) | instid1(VALU_DEP_2)
	v_cmp_ne_u32_e64 s8, 0, v2
	v_cndmask_b32_e64 v2, 0, 1, s11
	s_bcnt1_i32_b32 s8, s8
	s_delay_alu instid0(VALU_DEP_1) | instskip(SKIP_2) | instid1(VALU_DEP_2)
	v_cmp_ne_u32_e64 s11, 0, v2
	v_cndmask_b32_e64 v2, 0, 1, s12
	s_add_i32 s7, s8, s7
	s_bcnt1_i32_b32 s11, s11
	s_delay_alu instid0(VALU_DEP_1) | instskip(SKIP_1) | instid1(VALU_DEP_1)
	v_cmp_ne_u32_e64 s12, 0, v2
	s_add_i32 s7, s7, s11
	s_bcnt1_i32_b32 s12, s12
	s_delay_alu instid0(SALU_CYCLE_1) | instskip(NEXT) | instid1(SALU_CYCLE_1)
	s_add_i32 s7, s7, s12
	s_add_u32 s88, s88, s7
	s_addc_u32 s89, s89, 0
	s_and_b32 s7, vcc_lo, s9
	s_and_b32 s8, s4, s13
	v_cndmask_b32_e64 v2, 0, 1, s7
	s_and_b32 s9, s5, s17
	s_and_b32 s11, s6, s21
	v_dual_mov_b32 v4, s88 :: v_dual_mov_b32 v5, s89
	s_delay_alu instid0(VALU_DEP_2) | instskip(SKIP_1) | instid1(VALU_DEP_2)
	v_cmp_ne_u32_e64 s7, 0, v2
	v_cndmask_b32_e64 v2, 0, 1, s8
	s_bcnt1_i32_b32 s7, s7
	s_delay_alu instid0(VALU_DEP_1) | instskip(SKIP_1) | instid1(VALU_DEP_2)
	v_cmp_ne_u32_e64 s8, 0, v2
	v_cndmask_b32_e64 v2, 0, 1, s9
	s_bcnt1_i32_b32 s8, s8
	s_delay_alu instid0(VALU_DEP_1) | instskip(SKIP_3) | instid1(VALU_DEP_3)
	v_cmp_ne_u32_e64 s9, 0, v2
	v_cndmask_b32_e64 v2, 0, 1, s11
	s_add_i32 s7, s8, s7
	v_add_co_u32 v29, s8, v29, v45
	s_bcnt1_i32_b32 s9, s9
	s_delay_alu instid0(VALU_DEP_2) | instskip(SKIP_1) | instid1(VALU_DEP_1)
	v_cmp_ne_u32_e64 s11, 0, v2
	s_add_i32 s7, s7, s9
	s_bcnt1_i32_b32 s11, s11
	s_delay_alu instid0(SALU_CYCLE_1) | instskip(NEXT) | instid1(SALU_CYCLE_1)
	s_add_i32 s7, s7, s11
	s_add_u32 s86, s86, s7
	s_addc_u32 s87, s87, 0
	s_and_b32 s7, vcc_lo, s10
	s_and_b32 s4, s4, s14
	v_cndmask_b32_e64 v2, 0, 1, s7
	s_and_b32 s5, s5, s18
	s_and_b32 s6, s6, s22
	v_add_co_u32 v31, s7, v31, s23
	s_delay_alu instid0(VALU_DEP_2) | instskip(SKIP_3) | instid1(VALU_DEP_3)
	v_cmp_ne_u32_e32 vcc_lo, 0, v2
	v_cndmask_b32_e64 v2, 0, 1, s4
	v_add_co_ci_u32_e64 v32, s7, 0, v32, s7
	v_add_co_ci_u32_e64 v30, s7, v30, v46, s8
	v_cmp_ne_u32_e64 s4, 0, v2
	v_cndmask_b32_e64 v2, 0, 1, s5
	s_bcnt1_i32_b32 s8, vcc_lo
	v_cmp_ge_i64_e64 s7, v[31:32], v[27:28]
	v_dual_mov_b32 v6, s86 :: v_dual_mov_b32 v7, s87
	s_delay_alu instid0(VALU_DEP_3) | instskip(SKIP_2) | instid1(SALU_CYCLE_1)
	v_cmp_ne_u32_e64 s5, 0, v2
	v_cndmask_b32_e64 v2, 0, 1, s6
	s_bcnt1_i32_b32 s4, s4
	s_add_i32 s4, s4, s8
	s_delay_alu instid0(VALU_DEP_2) | instskip(NEXT) | instid1(VALU_DEP_1)
	s_bcnt1_i32_b32 s5, s5
	v_cmp_ne_u32_e64 s6, 0, v2
	s_add_i32 s4, s4, s5
	v_dual_mov_b32 v2, s90 :: v_dual_mov_b32 v3, s91
	s_delay_alu instid0(VALU_DEP_2) | instskip(NEXT) | instid1(SALU_CYCLE_1)
	s_bcnt1_i32_b32 s6, s6
	s_add_i32 s4, s4, s6
	s_delay_alu instid0(SALU_CYCLE_1) | instskip(SKIP_1) | instid1(SALU_CYCLE_1)
	s_add_u32 s84, s84, s4
	s_addc_u32 s85, s85, 0
	v_dual_mov_b32 v8, s84 :: v_dual_mov_b32 v9, s85
	s_or_b32 s72, s7, s72
	s_delay_alu instid0(SALU_CYCLE_1)
	s_and_not1_b32 exec_lo, exec_lo, s72
	s_cbranch_execnz .LBB38_70
; %bb.71:                               ;   in Loop: Header=BB38_33 Depth=1
	s_or_b32 exec_lo, exec_lo, s72
.LBB38_72:                              ;   in Loop: Header=BB38_33 Depth=1
	s_delay_alu instid0(SALU_CYCLE_1) | instskip(SKIP_3) | instid1(VALU_DEP_2)
	s_or_b32 exec_lo, exec_lo, s59
	v_add_co_u32 v27, vcc_lo, v27, v0
	v_add_co_ci_u32_e32 v28, vcc_lo, 0, v28, vcc_lo
	v_mov_b32_e32 v31, 0
	v_cmp_gt_i64_e32 vcc_lo, s[24:25], v[27:28]
	s_and_saveexec_b32 s5, vcc_lo
	s_cbranch_execz .LBB38_74
; %bb.73:                               ;   in Loop: Header=BB38_33 Depth=1
	v_mul_lo_u32 v31, v28, s30
	v_mul_lo_u32 v32, v27, s31
	v_mad_u64_u32 v[29:30], null, v27, s30, 0
	s_delay_alu instid0(VALU_DEP_1) | instskip(NEXT) | instid1(VALU_DEP_1)
	v_add3_u32 v30, v30, v32, v31
	v_lshlrev_b64 v[29:30], 1, v[29:30]
	s_delay_alu instid0(VALU_DEP_1) | instskip(NEXT) | instid1(VALU_DEP_1)
	v_add_co_u32 v29, s4, s70, v29
	v_add_co_ci_u32_e64 v30, s4, s71, v30, s4
	global_load_u16 v31, v[29:30], off
.LBB38_74:                              ;   in Loop: Header=BB38_33 Depth=1
	s_or_b32 exec_lo, exec_lo, s5
	s_and_saveexec_b32 s8, vcc_lo
	s_cbranch_execz .LBB38_81
; %bb.75:                               ;   in Loop: Header=BB38_33 Depth=1
	v_add_co_u32 v29, vcc_lo, v40, v12
	v_add_co_ci_u32_e32 v30, vcc_lo, 0, v41, vcc_lo
	v_mul_lo_u32 v45, s79, v12
	s_delay_alu instid0(VALU_DEP_3) | instskip(NEXT) | instid1(VALU_DEP_3)
	v_sub_co_u32 v29, vcc_lo, v29, v25
	v_sub_co_ci_u32_e32 v25, vcc_lo, v30, v26, vcc_lo
	v_mul_hi_u32 v46, s78, v12
	s_delay_alu instid0(VALU_DEP_3) | instskip(SKIP_1) | instid1(VALU_DEP_3)
	v_mul_lo_u32 v32, s79, v29
	s_and_b32 s10, s62, 0xfe
	v_mul_lo_u32 v30, s78, v25
	v_mad_u64_u32 v[25:26], null, s78, v29, s[76:77]
	v_mul_lo_u32 v29, s78, v12
	s_mov_b32 s9, 0
	s_delay_alu instid0(VALU_DEP_2)
	v_add3_u32 v26, v32, v26, v30
	v_add_nc_u32_e32 v30, v46, v45
	s_branch .LBB38_77
.LBB38_76:                              ;   in Loop: Header=BB38_77 Depth=2
	s_or_b32 exec_lo, exec_lo, s5
	s_waitcnt vmcnt(0)
	v_bfe_i32 v31, v31, 0, 16
	s_and_b32 s6, exec_lo, vcc_lo
	s_delay_alu instid0(SALU_CYCLE_1) | instskip(NEXT) | instid1(VALU_DEP_1)
	s_or_b32 s9, s6, s9
	v_add_nc_u32_e32 v31, 0x8000, v31
	s_delay_alu instid0(VALU_DEP_1) | instskip(SKIP_1) | instid1(VALU_DEP_2)
	v_and_b32_e32 v45, s57, v31
	v_bfe_u32 v31, v31, s10, 2
	v_cmp_eq_u32_e64 s4, s58, v45
	s_delay_alu instid0(VALU_DEP_2) | instskip(SKIP_2) | instid1(VALU_DEP_3)
	v_cmp_eq_u32_e64 s5, 0, v31
	v_cmp_eq_u32_e32 vcc_lo, 1, v31
	v_cmp_eq_u32_e64 s6, 2, v31
	s_and_b32 s5, s4, s5
	s_delay_alu instid0(SALU_CYCLE_1) | instskip(SKIP_4) | instid1(SALU_CYCLE_1)
	v_cndmask_b32_e64 v45, 0, 1, s5
	s_and_b32 s5, s4, vcc_lo
	v_cmp_eq_u32_e32 vcc_lo, 3, v31
	v_cndmask_b32_e64 v46, 0, 1, s5
	s_and_b32 s5, s4, s6
	v_cndmask_b32_e64 v47, 0, 1, s5
	v_cmp_ne_u32_e64 s5, 0, v45
	s_delay_alu instid0(VALU_DEP_3) | instskip(SKIP_1) | instid1(SALU_CYCLE_1)
	v_cmp_ne_u32_e64 s6, 0, v46
	s_and_b32 s4, s4, vcc_lo
	v_cndmask_b32_e64 v31, 0, 1, s4
	s_delay_alu instid0(VALU_DEP_3)
	s_bcnt1_i32_b32 s4, s5
	v_cmp_ne_u32_e64 s7, 0, v47
	v_add_co_u32 v2, vcc_lo, v2, s4
	s_bcnt1_i32_b32 s5, s6
	v_add_co_ci_u32_e32 v3, vcc_lo, 0, v3, vcc_lo
	v_add_co_u32 v4, vcc_lo, v4, s5
	v_add_co_ci_u32_e32 v5, vcc_lo, 0, v5, vcc_lo
	s_bcnt1_i32_b32 s6, s7
	v_cmp_ne_u32_e32 vcc_lo, 0, v31
	v_add_co_u32 v6, s4, v6, s6
	s_delay_alu instid0(VALU_DEP_1)
	v_add_co_ci_u32_e64 v7, s4, 0, v7, s4
	s_bcnt1_i32_b32 s4, vcc_lo
	v_mov_b32_e32 v31, v32
	v_add_co_u32 v8, vcc_lo, v8, s4
	v_add_co_ci_u32_e32 v9, vcc_lo, 0, v9, vcc_lo
	v_add_co_u32 v25, vcc_lo, v25, v29
	v_add_co_ci_u32_e32 v26, vcc_lo, v26, v30, vcc_lo
	s_and_not1_b32 exec_lo, exec_lo, s9
	s_cbranch_execz .LBB38_80
.LBB38_77:                              ;   Parent Loop BB38_33 Depth=1
                                        ; =>  This Inner Loop Header: Depth=2
	v_add_co_u32 v27, vcc_lo, v27, v12
	v_add_co_ci_u32_e32 v28, vcc_lo, 0, v28, vcc_lo
	v_mov_b32_e32 v32, 0
	s_mov_b32 s5, exec_lo
	s_delay_alu instid0(VALU_DEP_2)
	v_cmp_le_i64_e32 vcc_lo, s[24:25], v[27:28]
	v_cmpx_gt_i64_e64 s[24:25], v[27:28]
	s_cbranch_execz .LBB38_76
; %bb.78:                               ;   in Loop: Header=BB38_77 Depth=2
	global_load_u16 v32, v[25:26], off
	s_branch .LBB38_76
.LBB38_79:                              ;   in Loop: Header=BB38_33 Depth=1
                                        ; implicit-def: $vgpr8_vgpr9
                                        ; implicit-def: $vgpr4_vgpr5
	s_cbranch_execnz .LBB38_82
	s_branch .LBB38_91
.LBB38_80:                              ;   in Loop: Header=BB38_33 Depth=1
	s_or_b32 exec_lo, exec_lo, s9
.LBB38_81:                              ;   in Loop: Header=BB38_33 Depth=1
	s_delay_alu instid0(SALU_CYCLE_1)
	s_or_b32 exec_lo, exec_lo, s8
	s_branch .LBB38_91
.LBB38_82:                              ;   in Loop: Header=BB38_33 Depth=1
	global_load_u16 v8, v13, s[74:75]
	s_mov_b64 s[84:85], 0
	s_mov_b32 s72, exec_lo
	s_waitcnt vmcnt(0)
	v_readfirstlane_b32 s4, v8
	v_and_b32_e32 v27, 0xffff, v8
	s_delay_alu instid0(VALU_DEP_2) | instskip(NEXT) | instid1(SALU_CYCLE_1)
	s_and_b32 s4, 0xffff, s4
	s_lshl_b32 s59, s4, 2
	s_delay_alu instid0(SALU_CYCLE_1) | instskip(SKIP_1) | instid1(VALU_DEP_1)
	v_cvt_f32_u32_e32 v2, s59
	s_sub_i32 s5, 0, s59
	v_rcp_iflag_f32_e32 v2, v2
	s_waitcnt_depctr 0xfff
	v_mul_f32_e32 v2, 0x4f7ffffe, v2
	s_delay_alu instid0(VALU_DEP_1) | instskip(NEXT) | instid1(VALU_DEP_1)
	v_cvt_u32_f32_e32 v2, v2
	v_readfirstlane_b32 s4, v2
	v_mov_b32_e32 v2, 0
	v_mov_b32_e32 v3, 0
	s_delay_alu instid0(VALU_DEP_3) | instskip(NEXT) | instid1(VALU_DEP_1)
	s_mul_i32 s5, s5, s4
	v_dual_mov_b32 v5, v3 :: v_dual_mov_b32 v4, v2
	s_mul_hi_u32 s5, s4, s5
	v_dual_mov_b32 v7, v3 :: v_dual_mov_b32 v6, v2
	s_add_i32 s4, s4, s5
	v_dual_mov_b32 v9, v3 :: v_dual_mov_b32 v8, v2
	s_mul_hi_u32 s4, s82, s4
	s_delay_alu instid0(SALU_CYCLE_1) | instskip(NEXT) | instid1(SALU_CYCLE_1)
	s_mul_i32 s4, s4, s59
	s_sub_i32 s4, s82, s4
	s_delay_alu instid0(SALU_CYCLE_1) | instskip(SKIP_2) | instid1(SALU_CYCLE_1)
	s_sub_i32 s5, s4, s59
	s_cmp_ge_u32 s4, s59
	s_cselect_b32 s4, s5, s4
	s_sub_i32 s5, s4, s59
	s_cmp_ge_u32 s4, s59
	s_cselect_b32 s4, s5, s4
	s_delay_alu instid0(SALU_CYCLE_1) | instskip(NEXT) | instid1(SALU_CYCLE_1)
	s_sub_i32 s66, s82, s4
	v_cmpx_gt_u32_e64 s66, v16
	s_cbranch_execz .LBB38_86
; %bb.83:                               ;   in Loop: Header=BB38_33 Depth=1
	v_mov_b32_e32 v26, v17
	v_dual_mov_b32 v25, v16 :: v_dual_lshlrev_b32 v12, 3, v27
	v_mov_b32_e32 v28, v37
	s_and_b32 s83, s62, 0xfe
	s_mov_b32 s44, 0
	s_mov_b64 s[86:87], 0
	s_mov_b64 s[88:89], 0
	;; [unrolled: 1-line block ×3, first 2 shown]
.LBB38_84:                              ;   Parent Loop BB38_33 Depth=1
                                        ; =>  This Inner Loop Header: Depth=2
	ds_load_b64 v[2:3], v28
	v_add_co_u32 v25, vcc_lo, v25, s59
	v_add_co_ci_u32_e32 v26, vcc_lo, 0, v26, vcc_lo
	s_delay_alu instid0(VALU_DEP_1)
	v_cmp_le_u64_e32 vcc_lo, s[66:67], v[25:26]
	s_waitcnt lgkmcnt(0)
	v_bfe_i32 v4, v2, 0, 16
	v_ashrrev_i32_e32 v2, 16, v2
	v_bfe_i32 v5, v3, 0, 16
	v_ashrrev_i32_e32 v3, 16, v3
	s_delay_alu instid0(VALU_DEP_4) | instskip(NEXT) | instid1(VALU_DEP_4)
	v_add_nc_u32_e32 v4, 0x8000, v4
	v_add_nc_u32_e32 v2, 0x8000, v2
	s_delay_alu instid0(VALU_DEP_4) | instskip(NEXT) | instid1(VALU_DEP_4)
	v_add_nc_u32_e32 v5, 0x8000, v5
	v_add_nc_u32_e32 v3, 0x8000, v3
	s_delay_alu instid0(VALU_DEP_4) | instskip(NEXT) | instid1(VALU_DEP_4)
	v_and_b32_e32 v6, s57, v4
	v_and_b32_e32 v7, s57, v2
	v_bfe_u32 v4, v4, s83, 2
	v_bfe_u32 v2, v2, s83, 2
	v_and_b32_e32 v8, s57, v5
	v_bfe_u32 v5, v5, s83, 2
	v_and_b32_e32 v9, s57, v3
	v_bfe_u32 v3, v3, s83, 2
	v_cmp_eq_u32_e64 s4, s58, v6
	v_cmp_eq_u32_e64 s5, s58, v7
	v_cmp_eq_u32_e64 s8, 0, v4
	v_cmp_eq_u32_e64 s9, 0, v2
	v_cmp_eq_u32_e64 s6, s58, v8
	v_cmp_eq_u32_e64 s10, 0, v5
	v_cmp_eq_u32_e64 s7, s58, v9
	v_cmp_eq_u32_e64 s11, 0, v3
	s_and_b32 s8, s4, s8
	s_and_b32 s9, s5, s9
	v_cmp_eq_u32_e64 s13, 1, v2
	v_cmp_eq_u32_e64 s15, 1, v3
	v_cmp_eq_u32_e64 s17, 2, v2
	v_cmp_eq_u32_e64 s19, 2, v3
	v_cmp_eq_u32_e64 s21, 3, v2
	v_cmp_eq_u32_e64 s23, 3, v3
	s_and_b32 s10, s6, s10
	v_cndmask_b32_e64 v2, 0, 1, s8
	v_cndmask_b32_e64 v3, 0, 1, s9
	v_cmp_eq_u32_e64 s12, 1, v4
	v_cmp_eq_u32_e64 s16, 2, v4
	;; [unrolled: 1-line block ×3, first 2 shown]
	s_and_b32 s11, s7, s11
	v_cndmask_b32_e64 v4, 0, 1, s10
	v_cmp_eq_u32_e64 s14, 1, v5
	v_cmp_eq_u32_e64 s18, 2, v5
	;; [unrolled: 1-line block ×3, first 2 shown]
	v_cndmask_b32_e64 v5, 0, 1, s11
	v_cmp_ne_u32_e64 s8, 0, v2
	v_cmp_ne_u32_e64 s9, 0, v3
	;; [unrolled: 1-line block ×3, first 2 shown]
	s_delay_alu instid0(VALU_DEP_4) | instskip(NEXT) | instid1(VALU_DEP_4)
	v_cmp_ne_u32_e64 s11, 0, v5
	s_bcnt1_i32_b32 s8, s8
	s_delay_alu instid0(VALU_DEP_3) | instskip(NEXT) | instid1(VALU_DEP_2)
	s_bcnt1_i32_b32 s9, s9
	s_bcnt1_i32_b32 s10, s10
	s_add_i32 s8, s9, s8
	s_bcnt1_i32_b32 s11, s11
	s_add_i32 s8, s8, s10
	s_delay_alu instid0(SALU_CYCLE_1) | instskip(NEXT) | instid1(SALU_CYCLE_1)
	s_add_i32 s8, s8, s11
	s_add_u32 s90, s90, s8
	s_addc_u32 s91, s91, 0
	s_and_b32 s8, s4, s12
	s_and_b32 s9, s5, s13
	;; [unrolled: 1-line block ×3, first 2 shown]
	v_cndmask_b32_e64 v2, 0, 1, s8
	v_cndmask_b32_e64 v3, 0, 1, s9
	s_and_b32 s11, s7, s15
	v_cndmask_b32_e64 v4, 0, 1, s10
	v_cndmask_b32_e64 v5, 0, 1, s11
	v_cmp_ne_u32_e64 s8, 0, v2
	v_cmp_ne_u32_e64 s9, 0, v3
	v_add_nc_u32_e32 v28, v28, v12
	v_cmp_ne_u32_e64 s10, 0, v4
	v_cmp_ne_u32_e64 s11, 0, v5
	s_bcnt1_i32_b32 s8, s8
	s_bcnt1_i32_b32 s9, s9
	s_delay_alu instid0(VALU_DEP_2) | instskip(SKIP_3) | instid1(SALU_CYCLE_1)
	s_bcnt1_i32_b32 s10, s10
	s_add_i32 s8, s9, s8
	s_bcnt1_i32_b32 s11, s11
	s_add_i32 s8, s8, s10
	s_add_i32 s8, s8, s11
	s_delay_alu instid0(SALU_CYCLE_1)
	s_add_u32 s88, s88, s8
	s_addc_u32 s89, s89, 0
	s_and_b32 s8, s4, s16
	s_and_b32 s9, s5, s17
	;; [unrolled: 1-line block ×3, first 2 shown]
	v_cndmask_b32_e64 v2, 0, 1, s8
	v_cndmask_b32_e64 v3, 0, 1, s9
	s_and_b32 s11, s7, s19
	v_cndmask_b32_e64 v4, 0, 1, s10
	v_cndmask_b32_e64 v5, 0, 1, s11
	v_cmp_ne_u32_e64 s8, 0, v2
	v_cmp_ne_u32_e64 s9, 0, v3
	s_delay_alu instid0(VALU_DEP_4) | instskip(NEXT) | instid1(VALU_DEP_4)
	v_cmp_ne_u32_e64 s10, 0, v4
	v_cmp_ne_u32_e64 s11, 0, v5
	s_delay_alu instid0(VALU_DEP_4) | instskip(NEXT) | instid1(VALU_DEP_3)
	s_bcnt1_i32_b32 s8, s8
	s_bcnt1_i32_b32 s9, s9
	s_delay_alu instid0(VALU_DEP_2) | instskip(SKIP_3) | instid1(SALU_CYCLE_1)
	s_bcnt1_i32_b32 s10, s10
	s_add_i32 s8, s9, s8
	s_bcnt1_i32_b32 s11, s11
	s_add_i32 s8, s8, s10
	s_add_i32 s8, s8, s11
	s_delay_alu instid0(SALU_CYCLE_1)
	s_add_u32 s86, s86, s8
	s_addc_u32 s87, s87, 0
	s_and_b32 s4, s4, s20
	s_and_b32 s5, s5, s21
	;; [unrolled: 1-line block ×3, first 2 shown]
	v_cndmask_b32_e64 v2, 0, 1, s4
	v_cndmask_b32_e64 v3, 0, 1, s5
	s_and_b32 s7, s7, s23
	v_cndmask_b32_e64 v4, 0, 1, s6
	v_cndmask_b32_e64 v5, 0, 1, s7
	v_cmp_ne_u32_e64 s4, 0, v2
	v_cmp_ne_u32_e64 s5, 0, v3
	v_dual_mov_b32 v2, s90 :: v_dual_mov_b32 v3, s91
	v_cmp_ne_u32_e64 s6, 0, v4
	v_cmp_ne_u32_e64 s7, 0, v5
	s_bcnt1_i32_b32 s4, s4
	s_bcnt1_i32_b32 s5, s5
	v_mov_b32_e32 v4, s88
	s_bcnt1_i32_b32 s6, s6
	s_add_i32 s4, s5, s4
	s_bcnt1_i32_b32 s5, s7
	s_add_i32 s4, s4, s6
	v_mov_b32_e32 v6, s86
	s_add_i32 s4, s4, s5
	v_mov_b32_e32 v5, s89
	s_add_u32 s84, s84, s4
	s_addc_u32 s85, s85, 0
	v_dual_mov_b32 v8, s84 :: v_dual_mov_b32 v7, s87
	v_mov_b32_e32 v9, s85
	s_or_b32 s44, vcc_lo, s44
	s_delay_alu instid0(SALU_CYCLE_1)
	s_and_not1_b32 exec_lo, exec_lo, s44
	s_cbranch_execnz .LBB38_84
; %bb.85:                               ;   in Loop: Header=BB38_33 Depth=1
	s_or_b32 exec_lo, exec_lo, s44
.LBB38_86:                              ;   in Loop: Header=BB38_33 Depth=1
	s_delay_alu instid0(SALU_CYCLE_1) | instskip(SKIP_2) | instid1(VALU_DEP_1)
	s_or_b32 exec_lo, exec_lo, s72
	v_add_nc_u32_e32 v12, s66, v0
	s_mov_b32 s9, exec_lo
	v_cmpx_gt_u32_e64 s82, v12
	s_cbranch_execz .LBB38_90
; %bb.87:                               ;   in Loop: Header=BB38_33 Depth=1
	v_dual_mov_b32 v26, v13 :: v_dual_lshlrev_b32 v29, 1, v27
	v_dual_mov_b32 v25, v12 :: v_dual_lshlrev_b32 v28, 1, v12
	s_mov_b32 s11, 0
	s_and_b32 s10, s82, 0x7fffffff
	s_and_b32 s13, s62, 0xfe
	s_mov_b32 s12, s11
.LBB38_88:                              ;   Parent Loop BB38_33 Depth=1
                                        ; =>  This Inner Loop Header: Depth=2
	ds_load_i16 v12, v28
	v_add_co_u32 v25, vcc_lo, v25, v27
	v_add_co_ci_u32_e32 v26, vcc_lo, 0, v26, vcc_lo
	v_add_nc_u32_e32 v28, v28, v29
	s_delay_alu instid0(VALU_DEP_2) | instskip(SKIP_2) | instid1(VALU_DEP_1)
	v_cmp_le_u64_e32 vcc_lo, s[10:11], v[25:26]
	s_waitcnt lgkmcnt(0)
	v_add_nc_u32_e32 v12, 0x8000, v12
	v_and_b32_e32 v30, s57, v12
	v_bfe_u32 v12, v12, s13, 2
	s_delay_alu instid0(VALU_DEP_2) | instskip(NEXT) | instid1(VALU_DEP_2)
	v_cmp_eq_u32_e64 s4, s58, v30
	v_cmp_eq_u32_e64 s5, 0, v12
	;; [unrolled: 1-line block ×5, first 2 shown]
	s_delay_alu instid0(VALU_DEP_4) | instskip(NEXT) | instid1(SALU_CYCLE_1)
	s_and_b32 s5, s4, s5
	v_cndmask_b32_e64 v12, 0, 1, s5
	s_and_b32 s5, s4, s6
	s_delay_alu instid0(SALU_CYCLE_1)
	v_cndmask_b32_e64 v30, 0, 1, s5
	s_and_b32 s5, s4, s7
	s_and_b32 s4, s4, s8
	v_cndmask_b32_e64 v31, 0, 1, s5
	v_cndmask_b32_e64 v32, 0, 1, s4
	v_cmp_ne_u32_e64 s4, 0, v12
	v_cmp_ne_u32_e64 s5, 0, v30
	s_delay_alu instid0(VALU_DEP_4) | instskip(NEXT) | instid1(VALU_DEP_4)
	v_cmp_ne_u32_e64 s6, 0, v31
	v_cmp_ne_u32_e64 s7, 0, v32
	s_delay_alu instid0(VALU_DEP_4) | instskip(NEXT) | instid1(VALU_DEP_3)
	s_bcnt1_i32_b32 s4, s4
	s_bcnt1_i32_b32 s5, s5
	v_add_co_u32 v2, s4, v2, s4
	s_delay_alu instid0(VALU_DEP_1)
	v_add_co_ci_u32_e64 v3, s4, 0, v3, s4
	v_add_co_u32 v4, s4, v4, s5
	s_bcnt1_i32_b32 s6, s6
	v_add_co_ci_u32_e64 v5, s4, 0, v5, s4
	v_add_co_u32 v6, s4, v6, s6
	s_bcnt1_i32_b32 s7, s7
	v_add_co_ci_u32_e64 v7, s4, 0, v7, s4
	v_add_co_u32 v8, s4, v8, s7
	s_delay_alu instid0(VALU_DEP_1) | instskip(SKIP_1) | instid1(SALU_CYCLE_1)
	v_add_co_ci_u32_e64 v9, s4, 0, v9, s4
	s_or_b32 s12, vcc_lo, s12
	s_and_not1_b32 exec_lo, exec_lo, s12
	s_cbranch_execnz .LBB38_88
; %bb.89:                               ;   in Loop: Header=BB38_33 Depth=1
	s_or_b32 exec_lo, exec_lo, s12
.LBB38_90:                              ;   in Loop: Header=BB38_33 Depth=1
	s_delay_alu instid0(SALU_CYCLE_1)
	s_or_b32 exec_lo, exec_lo, s9
.LBB38_91:                              ;   in Loop: Header=BB38_33 Depth=1
	s_lshl_b32 s4, s63, 7
	s_and_saveexec_b32 s5, s2
	s_cbranch_execz .LBB38_93
; %bb.92:                               ;   in Loop: Header=BB38_33 Depth=1
	v_or_b32_e32 v12, s4, v36
	s_delay_alu instid0(VALU_DEP_1)
	v_lshlrev_b32_e32 v12, 3, v12
	ds_store_b128 v12, v[2:5] offset:3072
	ds_store_b128 v12, v[6:9] offset:3088
.LBB38_93:                              ;   in Loop: Header=BB38_33 Depth=1
	s_or_b32 exec_lo, exec_lo, s5
	s_waitcnt vmcnt(0) lgkmcnt(0)
	s_barrier
	buffer_gl0_inv
	s_and_saveexec_b32 s5, s35
	s_cbranch_execz .LBB38_104
; %bb.94:                               ;   in Loop: Header=BB38_33 Depth=1
	v_mov_b32_e32 v2, 0
	v_mov_b32_e32 v3, 0
	s_and_not1_b32 vcc_lo, exec_lo, s99
	s_cbranch_vccnz .LBB38_103
; %bb.95:                               ;   in Loop: Header=BB38_33 Depth=1
	v_mov_b32_e32 v2, 0
	v_mov_b32_e32 v3, 0
	s_and_not1_b32 vcc_lo, exec_lo, s97
	s_cbranch_vccnz .LBB38_100
; %bb.96:                               ;   in Loop: Header=BB38_33 Depth=1
	v_lshl_add_u32 v4, s63, 10, v42
	s_mov_b32 s6, 0
	s_set_inst_prefetch_distance 0x1
	.p2align	6
.LBB38_97:                              ;   Parent Loop BB38_33 Depth=1
                                        ; =>  This Inner Loop Header: Depth=2
	ds_load_2addr_b64 v[5:8], v4 offset1:4
	ds_load_2addr_b64 v[25:28], v4 offset0:8 offset1:12
	ds_load_2addr_b64 v[29:32], v4 offset0:16 offset1:20
	s_add_i32 s6, s6, 8
	s_delay_alu instid0(SALU_CYCLE_1) | instskip(SKIP_3) | instid1(VALU_DEP_2)
	s_cmp_eq_u32 s98, s6
	s_waitcnt lgkmcnt(2)
	v_add_co_u32 v2, vcc_lo, v5, v2
	v_add_co_ci_u32_e32 v3, vcc_lo, v6, v3, vcc_lo
	v_add_co_u32 v2, vcc_lo, v7, v2
	s_delay_alu instid0(VALU_DEP_2)
	v_add_co_ci_u32_e32 v3, vcc_lo, v8, v3, vcc_lo
	ds_load_2addr_b64 v[5:8], v4 offset0:24 offset1:28
	s_waitcnt lgkmcnt(2)
	v_add_co_u32 v2, vcc_lo, v25, v2
	v_add_co_ci_u32_e32 v3, vcc_lo, v26, v3, vcc_lo
	v_add_nc_u32_e32 v4, 0x100, v4
	s_delay_alu instid0(VALU_DEP_3) | instskip(NEXT) | instid1(VALU_DEP_3)
	v_add_co_u32 v2, vcc_lo, v27, v2
	v_add_co_ci_u32_e32 v3, vcc_lo, v28, v3, vcc_lo
	s_waitcnt lgkmcnt(1)
	s_delay_alu instid0(VALU_DEP_2) | instskip(NEXT) | instid1(VALU_DEP_2)
	v_add_co_u32 v2, vcc_lo, v29, v2
	v_add_co_ci_u32_e32 v3, vcc_lo, v30, v3, vcc_lo
	s_delay_alu instid0(VALU_DEP_2) | instskip(NEXT) | instid1(VALU_DEP_2)
	v_add_co_u32 v2, vcc_lo, v31, v2
	v_add_co_ci_u32_e32 v3, vcc_lo, v32, v3, vcc_lo
	s_waitcnt lgkmcnt(0)
	s_delay_alu instid0(VALU_DEP_2) | instskip(NEXT) | instid1(VALU_DEP_2)
	v_add_co_u32 v2, vcc_lo, v5, v2
	v_add_co_ci_u32_e32 v3, vcc_lo, v6, v3, vcc_lo
	s_delay_alu instid0(VALU_DEP_2) | instskip(NEXT) | instid1(VALU_DEP_2)
	v_add_co_u32 v2, vcc_lo, v7, v2
	v_add_co_ci_u32_e32 v3, vcc_lo, v8, v3, vcc_lo
	s_cbranch_scc0 .LBB38_97
; %bb.98:                               ;   in Loop: Header=BB38_33 Depth=1
	s_set_inst_prefetch_distance 0x2
	s_mov_b32 s6, s98
	s_and_not1_b32 vcc_lo, exec_lo, s100
	s_cbranch_vccz .LBB38_101
	s_branch .LBB38_103
.LBB38_99:                              ;   in Loop: Header=BB38_33 Depth=1
                                        ; implicit-def: $vgpr25_vgpr26
	s_branch .LBB38_67
.LBB38_100:                             ;   in Loop: Header=BB38_33 Depth=1
	s_mov_b32 s6, 0
	s_and_not1_b32 vcc_lo, exec_lo, s100
	s_cbranch_vccnz .LBB38_103
.LBB38_101:                             ;   in Loop: Header=BB38_33 Depth=1
	s_lshl_b32 s7, s63, 10
	s_lshl_b32 s6, s6, 5
	s_delay_alu instid0(SALU_CYCLE_1)
	v_add3_u32 v4, s7, s6, v42
	s_mov_b32 s6, s96
.LBB38_102:                             ;   Parent Loop BB38_33 Depth=1
                                        ; =>  This Inner Loop Header: Depth=2
	ds_load_b64 v[5:6], v4
	v_add_nc_u32_e32 v4, 32, v4
	s_add_i32 s6, s6, -1
	s_delay_alu instid0(SALU_CYCLE_1)
	s_cmp_lg_u32 s6, 0
	s_waitcnt lgkmcnt(0)
	v_add_co_u32 v2, vcc_lo, v5, v2
	v_add_co_ci_u32_e32 v3, vcc_lo, v6, v3, vcc_lo
	s_cbranch_scc1 .LBB38_102
.LBB38_103:                             ;   in Loop: Header=BB38_33 Depth=1
	v_add_lshl_u32 v4, s4, v33, 3
	ds_store_b64 v4, v[2:3] offset:3072
.LBB38_104:                             ;   in Loop: Header=BB38_33 Depth=1
	s_or_b32 exec_lo, exec_lo, s5
	s_lshl_b32 s4, s4, 3
	s_waitcnt lgkmcnt(0)
	v_mov_b32_e32 v6, s4
	s_barrier
	buffer_gl0_inv
	s_and_b32 s17, s62, 0xfe
	s_mov_b32 s19, -1
	ds_load_b128 v[2:5], v6 offset:3072
	ds_load_b128 v[6:9], v6 offset:3088
	s_lshl_b32 s16, 3, s17
	s_delay_alu instid0(SALU_CYCLE_1)
	s_not_b32 s18, s16
	s_waitcnt lgkmcnt(1)
	v_readfirstlane_b32 s13, v3
	v_readfirstlane_b32 s12, v2
	;; [unrolled: 1-line block ×4, first 2 shown]
	s_waitcnt lgkmcnt(0)
	v_readfirstlane_b32 s8, v6
	v_readfirstlane_b32 s9, v7
	s_cmp_eq_u64 s[12:13], 1
	v_readfirstlane_b32 s6, v8
	s_cselect_b32 s4, -1, 0
	s_cmp_eq_u64 s[26:27], 1
	v_readfirstlane_b32 s7, v9
	s_cselect_b32 s5, -1, 0
	s_delay_alu instid0(SALU_CYCLE_1) | instskip(NEXT) | instid1(SALU_CYCLE_1)
	s_and_b32 s20, s4, s5
	s_and_b32 vcc_lo, exec_lo, s20
	s_cbranch_vccz .LBB38_119
; %bb.105:                              ;   in Loop: Header=BB38_33 Depth=1
	ds_load_b64 v[2:3], v13 offset:5120
	s_waitcnt lgkmcnt(0)
	s_barrier
	buffer_gl0_inv
	v_readfirstlane_b32 s14, v2
	v_readfirstlane_b32 s15, v3
	s_and_saveexec_b32 s4, s3
	s_cbranch_execz .LBB38_107
; %bb.106:                              ;   in Loop: Header=BB38_33 Depth=1
	ds_store_b16 v35, v13
.LBB38_107:                             ;   in Loop: Header=BB38_33 Depth=1
	s_or_b32 exec_lo, exec_lo, s4
	s_delay_alu instid0(VALU_DEP_1)
	v_cmp_lt_i64_e64 s4, s[14:15], 1
	s_and_b32 s58, s58, s18
	s_or_b32 s57, s57, s16
	s_waitcnt lgkmcnt(0)
	s_barrier
	buffer_gl0_inv
	s_and_b32 vcc_lo, exec_lo, s4
	s_cbranch_vccz .LBB38_120
; %bb.108:                              ;   in Loop: Header=BB38_33 Depth=1
	s_mov_b32 s72, s67
	s_delay_alu instid0(SALU_CYCLE_1)
	s_cmp_lg_u64 s[72:73], 0
	s_cbranch_scc0 .LBB38_165
; %bb.109:                              ;   in Loop: Header=BB38_33 Depth=1
	v_cvt_f32_u32_e32 v2, s33
	s_sub_u32 s21, 0, s33
	s_subb_u32 s22, 0, 0
	s_delay_alu instid0(VALU_DEP_1) | instskip(NEXT) | instid1(VALU_DEP_1)
	v_fmac_f32_e32 v2, 0x4f800000, v43
	v_rcp_f32_e32 v2, v2
	s_waitcnt_depctr 0xfff
	v_mul_f32_e32 v2, 0x5f7ffffc, v2
	s_delay_alu instid0(VALU_DEP_1) | instskip(NEXT) | instid1(VALU_DEP_1)
	v_mul_f32_e32 v3, 0x2f800000, v2
	v_trunc_f32_e32 v3, v3
	s_delay_alu instid0(VALU_DEP_1) | instskip(SKIP_1) | instid1(VALU_DEP_2)
	v_fmac_f32_e32 v2, 0xcf800000, v3
	v_cvt_u32_f32_e32 v3, v3
	v_cvt_u32_f32_e32 v2, v2
	s_delay_alu instid0(VALU_DEP_2) | instskip(NEXT) | instid1(VALU_DEP_2)
	v_readfirstlane_b32 s4, v3
	v_readfirstlane_b32 s5, v2
	s_delay_alu instid0(VALU_DEP_2) | instskip(NEXT) | instid1(VALU_DEP_1)
	s_mul_i32 s23, s21, s4
	s_mul_hi_u32 s45, s21, s5
	s_mul_i32 s44, s22, s5
	s_add_i32 s23, s45, s23
	s_mul_i32 s46, s21, s5
	s_add_i32 s23, s23, s44
	s_mul_hi_u32 s45, s5, s46
	s_mul_hi_u32 s47, s4, s46
	s_mul_i32 s44, s4, s46
	s_mul_hi_u32 s46, s5, s23
	s_mul_i32 s5, s5, s23
	s_mul_hi_u32 s59, s4, s23
	s_add_u32 s5, s45, s5
	s_addc_u32 s45, 0, s46
	s_add_u32 s5, s5, s44
	s_mul_i32 s23, s4, s23
	s_addc_u32 s5, s45, s47
	s_addc_u32 s44, s59, 0
	s_add_u32 s5, s5, s23
	s_addc_u32 s23, 0, s44
	v_add_co_u32 v2, s5, v2, s5
	s_delay_alu instid0(VALU_DEP_1) | instskip(SKIP_1) | instid1(VALU_DEP_1)
	s_cmp_lg_u32 s5, 0
	s_addc_u32 s4, s4, s23
	v_readfirstlane_b32 s5, v2
	s_mul_i32 s23, s21, s4
	s_delay_alu instid0(VALU_DEP_1)
	s_mul_hi_u32 s44, s21, s5
	s_mul_i32 s22, s22, s5
	s_add_i32 s23, s44, s23
	s_mul_i32 s21, s21, s5
	s_add_i32 s23, s23, s22
	s_mul_hi_u32 s44, s4, s21
	s_mul_i32 s45, s4, s21
	s_mul_hi_u32 s21, s5, s21
	s_mul_hi_u32 s46, s5, s23
	s_mul_i32 s5, s5, s23
	s_mul_hi_u32 s22, s4, s23
	s_add_u32 s5, s21, s5
	s_addc_u32 s21, 0, s46
	s_add_u32 s5, s5, s45
	s_mul_i32 s23, s4, s23
	s_addc_u32 s5, s21, s44
	s_addc_u32 s21, s22, 0
	s_add_u32 s5, s5, s23
	s_addc_u32 s21, 0, s21
	v_add_co_u32 v2, s5, v2, s5
	s_delay_alu instid0(VALU_DEP_1) | instskip(SKIP_2) | instid1(VALU_DEP_1)
	s_cmp_lg_u32 s5, 0
	s_addc_u32 s21, s4, s21
	s_ashr_i32 s22, s73, 31
	v_readfirstlane_b32 s44, v2
	s_add_u32 s4, s95, s22
	s_mov_b32 s23, s22
	s_addc_u32 s5, s73, s22
	s_delay_alu instid0(SALU_CYCLE_1) | instskip(NEXT) | instid1(SALU_CYCLE_1)
	s_xor_b64 s[4:5], s[4:5], s[22:23]
	s_mul_i32 s45, s4, s21
	s_mul_hi_u32 s46, s4, s44
	s_mul_hi_u32 s23, s4, s21
	;; [unrolled: 1-line block ×3, first 2 shown]
	s_mul_i32 s44, s5, s44
	s_add_u32 s45, s46, s45
	s_addc_u32 s23, 0, s23
	s_mul_hi_u32 s47, s5, s21
	s_add_u32 s44, s45, s44
	s_mul_i32 s21, s5, s21
	s_addc_u32 s23, s23, s59
	s_addc_u32 s44, s47, 0
	s_add_u32 s21, s23, s21
	s_addc_u32 s23, 0, s44
	s_mul_hi_u32 s44, s33, s21
	s_mul_i32 s21, s33, s21
	s_mul_i32 s23, s33, s23
	v_sub_co_u32 v2, s4, s4, s21
	s_add_i32 s44, s44, s23
	s_cmp_lg_u32 s4, 0
	s_delay_alu instid0(VALU_DEP_1) | instskip(SKIP_2) | instid1(VALU_DEP_1)
	v_sub_co_u32 v3, s4, v2, s33
	s_subb_u32 s5, s5, s44
	s_cmp_lg_u32 s4, 0
	v_cmp_le_u32_e32 vcc_lo, s33, v3
	v_sub_co_u32 v4, s4, v3, s33
	s_subb_u32 s21, s5, 0
	s_cmp_lg_u32 s4, 0
	v_cndmask_b32_e64 v5, 0, -1, vcc_lo
	s_subb_u32 s4, s21, 0
	s_cmp_eq_u32 s21, 0
	v_mov_b32_e32 v7, s4
	s_cselect_b32 vcc_lo, -1, 0
	s_cmp_eq_u32 s5, 0
	v_cndmask_b32_e32 v5, -1, v5, vcc_lo
	v_cmp_le_u32_e32 vcc_lo, s33, v2
	s_cselect_b32 s4, -1, 0
	v_cndmask_b32_e64 v6, 0, -1, vcc_lo
	s_delay_alu instid0(VALU_DEP_3) | instskip(NEXT) | instid1(VALU_DEP_2)
	v_cmp_ne_u32_e32 vcc_lo, 0, v5
	v_cndmask_b32_e64 v5, -1, v6, s4
	v_cndmask_b32_e32 v3, v3, v4, vcc_lo
	v_cndmask_b32_e32 v6, s21, v7, vcc_lo
	s_delay_alu instid0(VALU_DEP_3) | instskip(NEXT) | instid1(VALU_DEP_3)
	v_cmp_ne_u32_e32 vcc_lo, 0, v5
	v_cndmask_b32_e32 v2, v2, v3, vcc_lo
	s_delay_alu instid0(VALU_DEP_3) | instskip(NEXT) | instid1(VALU_DEP_2)
	v_cndmask_b32_e32 v4, s5, v6, vcc_lo
	v_xor_b32_e32 v2, s22, v2
	s_delay_alu instid0(VALU_DEP_2) | instskip(NEXT) | instid1(VALU_DEP_2)
	v_xor_b32_e32 v3, s22, v4
	v_sub_co_u32 v2, vcc_lo, v2, s22
	s_delay_alu instid0(VALU_DEP_2)
	v_subrev_co_ci_u32_e32 v3, vcc_lo, s22, v3, vcc_lo
	s_cbranch_execnz .LBB38_111
.LBB38_110:                             ;   in Loop: Header=BB38_33 Depth=1
	v_cvt_f32_u32_e32 v2, s33
	s_sub_i32 s4, 0, s33
	s_delay_alu instid0(VALU_DEP_1) | instskip(SKIP_2) | instid1(VALU_DEP_1)
	v_rcp_iflag_f32_e32 v2, v2
	s_waitcnt_depctr 0xfff
	v_mul_f32_e32 v2, 0x4f7ffffe, v2
	v_cvt_u32_f32_e32 v2, v2
	s_delay_alu instid0(VALU_DEP_1) | instskip(NEXT) | instid1(VALU_DEP_1)
	v_mul_lo_u32 v3, s4, v2
	v_mul_hi_u32 v3, v2, v3
	s_delay_alu instid0(VALU_DEP_1) | instskip(NEXT) | instid1(VALU_DEP_1)
	v_add_nc_u32_e32 v2, v2, v3
	v_mul_hi_u32 v2, s95, v2
	s_delay_alu instid0(VALU_DEP_1) | instskip(NEXT) | instid1(VALU_DEP_1)
	v_mul_lo_u32 v2, v2, s33
	v_sub_nc_u32_e32 v2, s95, v2
	s_delay_alu instid0(VALU_DEP_1) | instskip(SKIP_1) | instid1(VALU_DEP_2)
	v_subrev_nc_u32_e32 v3, s33, v2
	v_cmp_le_u32_e32 vcc_lo, s33, v2
	v_cndmask_b32_e32 v2, v2, v3, vcc_lo
	s_delay_alu instid0(VALU_DEP_1) | instskip(SKIP_1) | instid1(VALU_DEP_2)
	v_subrev_nc_u32_e32 v3, s33, v2
	v_cmp_le_u32_e32 vcc_lo, s33, v2
	v_cndmask_b32_e32 v12, v2, v3, vcc_lo
	s_delay_alu instid0(VALU_DEP_1)
	v_dual_mov_b32 v2, v12 :: v_dual_mov_b32 v3, v13
.LBB38_111:                             ;   in Loop: Header=BB38_33 Depth=1
	s_delay_alu instid0(VALU_DEP_1) | instskip(NEXT) | instid1(VALU_DEP_2)
	v_sub_co_u32 v2, vcc_lo, s95, v2
	v_sub_co_ci_u32_e32 v3, vcc_lo, s73, v3, vcc_lo
	s_mov_b32 s4, 0
	s_mov_b32 s5, exec_lo
                                        ; implicit-def: $vgpr44
	s_delay_alu instid0(VALU_DEP_1)
	v_cmpx_gt_i64_e64 v[2:3], v[0:1]
	s_cbranch_execz .LBB38_122
; %bb.112:                              ;   in Loop: Header=BB38_33 Depth=1
	v_dual_mov_b32 v4, v10 :: v_dual_mov_b32 v5, v11
	v_dual_mov_b32 v7, v1 :: v_dual_mov_b32 v6, v0
	s_mov_b32 s21, 0
                                        ; implicit-def: $sgpr22
	s_set_inst_prefetch_distance 0x1
	s_branch .LBB38_114
	.p2align	6
.LBB38_113:                             ;   in Loop: Header=BB38_114 Depth=2
	s_or_b32 exec_lo, exec_lo, s4
	s_waitcnt vmcnt(0) lgkmcnt(0)
	s_barrier
	buffer_gl0_inv
	ds_load_b32 v8, v13 offset:3072
	v_add_co_u32 v6, vcc_lo, v6, s33
	v_add_co_ci_u32_e32 v7, vcc_lo, 0, v7, vcc_lo
	s_waitcnt lgkmcnt(0)
	s_barrier
	buffer_gl0_inv
	v_cmp_ge_i64_e32 vcc_lo, v[6:7], v[2:3]
	v_cmp_ne_u16_e64 s4, 0, v8
	s_delay_alu instid0(VALU_DEP_1)
	s_or_b32 s23, s4, vcc_lo
	v_add_co_u32 v4, vcc_lo, v4, s68
	s_and_b32 s23, exec_lo, s23
	v_add_co_ci_u32_e32 v5, vcc_lo, s69, v5, vcc_lo
	s_or_b32 s21, s23, s21
	s_and_not1_b32 s22, s22, exec_lo
	s_and_b32 s4, s4, exec_lo
	s_delay_alu instid0(SALU_CYCLE_1)
	s_or_b32 s22, s22, s4
	s_and_not1_b32 exec_lo, exec_lo, s21
	s_cbranch_execz .LBB38_121
.LBB38_114:                             ;   Parent Loop BB38_33 Depth=1
                                        ; =>  This Inner Loop Header: Depth=2
	s_delay_alu instid0(VALU_DEP_1)
	v_cmp_gt_i64_e32 vcc_lo, s[24:25], v[6:7]
	v_mov_b32_e32 v8, 0
	s_and_saveexec_b32 s4, vcc_lo
	s_cbranch_execz .LBB38_116
; %bb.115:                              ;   in Loop: Header=BB38_114 Depth=2
	global_load_u16 v8, v[4:5], off
.LBB38_116:                             ;   in Loop: Header=BB38_114 Depth=2
	s_or_b32 exec_lo, exec_lo, s4
	s_and_saveexec_b32 s4, vcc_lo
	s_cbranch_execz .LBB38_113
; %bb.117:                              ;   in Loop: Header=BB38_114 Depth=2
	s_waitcnt vmcnt(0)
	v_bfe_i32 v9, v8, 0, 16
	s_delay_alu instid0(VALU_DEP_1) | instskip(NEXT) | instid1(VALU_DEP_1)
	v_add_nc_u32_e32 v9, 0x8000, v9
	v_and_b32_e32 v9, s57, v9
	s_delay_alu instid0(VALU_DEP_1)
	v_cmp_eq_u32_e32 vcc_lo, s58, v9
	s_and_b32 exec_lo, exec_lo, vcc_lo
	s_cbranch_execz .LBB38_113
; %bb.118:                              ;   in Loop: Header=BB38_114 Depth=2
	v_perm_b32 v8, v8, 1, 0x5040100
	ds_store_b32 v13, v8 offset:3072
	s_branch .LBB38_113
.LBB38_119:                             ;   in Loop: Header=BB38_33 Depth=1
	s_mov_b32 s4, -1
                                        ; implicit-def: $sgpr5
                                        ; implicit-def: $sgpr22
                                        ; implicit-def: $sgpr21
	s_branch .LBB38_136
.LBB38_120:                             ;   in Loop: Header=BB38_33 Depth=1
	s_mov_b32 s5, -1
	s_mov_b32 s4, 0
                                        ; implicit-def: $sgpr21
                                        ; implicit-def: $vgpr44
	s_mov_b32 s22, s5
	s_cbranch_execnz .LBB38_123
	s_branch .LBB38_136
.LBB38_121:                             ;   in Loop: Header=BB38_33 Depth=1
	s_set_inst_prefetch_distance 0x2
	s_or_b32 exec_lo, exec_lo, s21
	v_lshrrev_b32_e32 v44, 16, v8
	s_and_b32 s4, s22, exec_lo
.LBB38_122:                             ;   in Loop: Header=BB38_33 Depth=1
	s_or_b32 exec_lo, exec_lo, s5
	s_mov_b32 s21, -1
	s_mov_b32 s5, 0
	s_delay_alu instid0(SALU_CYCLE_1)
	s_mov_b32 s22, s5
	s_branch .LBB38_136
.LBB38_123:                             ;   in Loop: Header=BB38_33 Depth=1
	s_add_u32 s21, s93, s14
	s_addc_u32 s5, s94, s15
	s_mov_b32 s4, s67
	s_delay_alu instid0(SALU_CYCLE_1)
	s_cmp_lg_u64 s[4:5], 0
	s_cbranch_scc0 .LBB38_166
; %bb.124:                              ;   in Loop: Header=BB38_33 Depth=1
	v_cvt_f32_u32_e32 v2, s33
	s_sub_u32 s23, 0, s33
	s_subb_u32 s44, 0, 0
	s_delay_alu instid0(VALU_DEP_1) | instskip(NEXT) | instid1(VALU_DEP_1)
	v_fmac_f32_e32 v2, 0x4f800000, v43
	v_rcp_f32_e32 v2, v2
	s_waitcnt_depctr 0xfff
	v_mul_f32_e32 v2, 0x5f7ffffc, v2
	s_delay_alu instid0(VALU_DEP_1) | instskip(NEXT) | instid1(VALU_DEP_1)
	v_mul_f32_e32 v3, 0x2f800000, v2
	v_trunc_f32_e32 v3, v3
	s_delay_alu instid0(VALU_DEP_1) | instskip(SKIP_1) | instid1(VALU_DEP_2)
	v_fmac_f32_e32 v2, 0xcf800000, v3
	v_cvt_u32_f32_e32 v3, v3
	v_cvt_u32_f32_e32 v2, v2
	s_delay_alu instid0(VALU_DEP_2) | instskip(NEXT) | instid1(VALU_DEP_2)
	v_readfirstlane_b32 s4, v3
	v_readfirstlane_b32 s22, v2
	s_delay_alu instid0(VALU_DEP_2) | instskip(NEXT) | instid1(VALU_DEP_1)
	s_mul_i32 s45, s23, s4
	s_mul_hi_u32 s47, s23, s22
	s_mul_i32 s46, s44, s22
	s_add_i32 s45, s47, s45
	s_mul_i32 s59, s23, s22
	s_add_i32 s45, s45, s46
	s_mul_hi_u32 s47, s22, s59
	s_mul_hi_u32 s66, s4, s59
	s_mul_i32 s46, s4, s59
	s_mul_hi_u32 s59, s22, s45
	s_mul_i32 s22, s22, s45
	s_mul_hi_u32 s72, s4, s45
	s_add_u32 s22, s47, s22
	s_addc_u32 s47, 0, s59
	s_add_u32 s22, s22, s46
	s_mul_i32 s45, s4, s45
	s_addc_u32 s22, s47, s66
	s_addc_u32 s46, s72, 0
	s_add_u32 s22, s22, s45
	s_addc_u32 s45, 0, s46
	v_add_co_u32 v2, s22, v2, s22
	s_delay_alu instid0(VALU_DEP_1) | instskip(SKIP_1) | instid1(VALU_DEP_1)
	s_cmp_lg_u32 s22, 0
	s_addc_u32 s4, s4, s45
	v_readfirstlane_b32 s22, v2
	s_mul_i32 s45, s23, s4
	s_delay_alu instid0(VALU_DEP_1)
	s_mul_hi_u32 s46, s23, s22
	s_mul_i32 s44, s44, s22
	s_add_i32 s45, s46, s45
	s_mul_i32 s23, s23, s22
	s_add_i32 s45, s45, s44
	s_mul_hi_u32 s46, s4, s23
	s_mul_i32 s47, s4, s23
	s_mul_hi_u32 s23, s22, s23
	s_mul_hi_u32 s59, s22, s45
	s_mul_i32 s22, s22, s45
	s_mul_hi_u32 s44, s4, s45
	s_add_u32 s22, s23, s22
	s_addc_u32 s23, 0, s59
	s_add_u32 s22, s22, s47
	s_mul_i32 s45, s4, s45
	s_addc_u32 s22, s23, s46
	s_addc_u32 s23, s44, 0
	s_add_u32 s22, s22, s45
	s_addc_u32 s23, 0, s23
	v_add_co_u32 v2, s22, v2, s22
	s_delay_alu instid0(VALU_DEP_1) | instskip(SKIP_2) | instid1(VALU_DEP_1)
	s_cmp_lg_u32 s22, 0
	s_addc_u32 s4, s4, s23
	s_ashr_i32 s22, s5, 31
	v_readfirstlane_b32 s46, v2
	s_add_u32 s44, s21, s22
	s_mov_b32 s23, s22
	s_addc_u32 s45, s5, s22
	s_delay_alu instid0(SALU_CYCLE_1) | instskip(NEXT) | instid1(SALU_CYCLE_1)
	s_xor_b64 s[44:45], s[44:45], s[22:23]
	s_mul_i32 s47, s44, s4
	s_mul_hi_u32 s59, s44, s46
	s_mul_hi_u32 s23, s44, s4
	;; [unrolled: 1-line block ×3, first 2 shown]
	s_mul_i32 s46, s45, s46
	s_add_u32 s47, s59, s47
	s_addc_u32 s23, 0, s23
	s_mul_hi_u32 s66, s45, s4
	s_add_u32 s46, s47, s46
	s_mul_i32 s4, s45, s4
	s_addc_u32 s23, s23, s72
	s_addc_u32 s46, s66, 0
	s_add_u32 s4, s23, s4
	s_addc_u32 s23, 0, s46
	s_mul_hi_u32 s46, s33, s4
	s_mul_i32 s4, s33, s4
	s_mul_i32 s23, s33, s23
	v_sub_co_u32 v2, s4, s44, s4
	s_add_i32 s46, s46, s23
	s_cmp_lg_u32 s4, 0
	s_delay_alu instid0(VALU_DEP_1) | instskip(SKIP_2) | instid1(VALU_DEP_1)
	v_sub_co_u32 v3, s4, v2, s33
	s_subb_u32 s23, s45, s46
	s_cmp_lg_u32 s4, 0
	v_cmp_le_u32_e32 vcc_lo, s33, v3
	v_sub_co_u32 v4, s4, v3, s33
	s_subb_u32 s44, s23, 0
	s_cmp_lg_u32 s4, 0
	v_cmp_le_u32_e64 s4, s33, v2
	s_subb_u32 s45, s44, 0
	v_cndmask_b32_e64 v5, 0, -1, vcc_lo
	s_cmp_eq_u32 s44, 0
	s_cselect_b32 vcc_lo, -1, 0
	v_cndmask_b32_e64 v6, 0, -1, s4
	s_delay_alu instid0(VALU_DEP_2) | instskip(SKIP_2) | instid1(VALU_DEP_1)
	v_cndmask_b32_e32 v5, -1, v5, vcc_lo
	s_cmp_eq_u32 s23, 0
	s_cselect_b32 vcc_lo, -1, 0
	v_cmp_ne_u32_e64 s4, 0, v5
	v_dual_cndmask_b32 v5, -1, v6 :: v_dual_mov_b32 v6, s45
	s_delay_alu instid0(VALU_DEP_2) | instskip(NEXT) | instid1(VALU_DEP_2)
	v_cndmask_b32_e64 v3, v3, v4, s4
	v_cmp_ne_u32_e32 vcc_lo, 0, v5
	s_delay_alu instid0(VALU_DEP_3) | instskip(NEXT) | instid1(VALU_DEP_3)
	v_cndmask_b32_e64 v4, s44, v6, s4
	v_cndmask_b32_e32 v2, v2, v3, vcc_lo
	s_delay_alu instid0(VALU_DEP_2) | instskip(NEXT) | instid1(VALU_DEP_2)
	v_cndmask_b32_e32 v3, s23, v4, vcc_lo
	v_xor_b32_e32 v2, s22, v2
	s_delay_alu instid0(VALU_DEP_2) | instskip(NEXT) | instid1(VALU_DEP_2)
	v_xor_b32_e32 v3, s22, v3
	v_sub_co_u32 v2, vcc_lo, v2, s22
	s_delay_alu instid0(VALU_DEP_2)
	v_subrev_co_ci_u32_e32 v3, vcc_lo, s22, v3, vcc_lo
	s_cbranch_execnz .LBB38_126
.LBB38_125:                             ;   in Loop: Header=BB38_33 Depth=1
	v_cvt_f32_u32_e32 v2, s33
	s_sub_i32 s4, 0, s33
	s_delay_alu instid0(VALU_DEP_1) | instskip(SKIP_2) | instid1(VALU_DEP_1)
	v_rcp_iflag_f32_e32 v2, v2
	s_waitcnt_depctr 0xfff
	v_mul_f32_e32 v2, 0x4f7ffffe, v2
	v_cvt_u32_f32_e32 v2, v2
	s_delay_alu instid0(VALU_DEP_1) | instskip(NEXT) | instid1(VALU_DEP_1)
	v_mul_lo_u32 v3, s4, v2
	v_mul_hi_u32 v3, v2, v3
	s_delay_alu instid0(VALU_DEP_1) | instskip(NEXT) | instid1(VALU_DEP_1)
	v_add_nc_u32_e32 v2, v2, v3
	v_mul_hi_u32 v2, s21, v2
	s_delay_alu instid0(VALU_DEP_1) | instskip(NEXT) | instid1(VALU_DEP_1)
	v_mul_lo_u32 v2, v2, s33
	v_sub_nc_u32_e32 v2, s21, v2
	s_delay_alu instid0(VALU_DEP_1) | instskip(SKIP_1) | instid1(VALU_DEP_2)
	v_subrev_nc_u32_e32 v3, s33, v2
	v_cmp_le_u32_e32 vcc_lo, s33, v2
	v_cndmask_b32_e32 v2, v2, v3, vcc_lo
	s_delay_alu instid0(VALU_DEP_1) | instskip(SKIP_1) | instid1(VALU_DEP_2)
	v_subrev_nc_u32_e32 v3, s33, v2
	v_cmp_le_u32_e32 vcc_lo, s33, v2
	v_cndmask_b32_e32 v12, v2, v3, vcc_lo
	s_delay_alu instid0(VALU_DEP_1)
	v_dual_mov_b32 v2, v12 :: v_dual_mov_b32 v3, v13
.LBB38_126:                             ;   in Loop: Header=BB38_33 Depth=1
	s_delay_alu instid0(VALU_DEP_1) | instskip(NEXT) | instid1(VALU_DEP_2)
	v_sub_co_u32 v2, vcc_lo, s21, v2
	v_sub_co_ci_u32_e32 v3, vcc_lo, s5, v3, vcc_lo
	s_mov_b32 s4, 0
	s_mov_b32 s5, exec_lo
                                        ; implicit-def: $vgpr44
	s_delay_alu instid0(VALU_DEP_1)
	v_cmpx_gt_i64_e64 v[2:3], v[0:1]
	s_cbranch_execz .LBB38_135
; %bb.127:                              ;   in Loop: Header=BB38_33 Depth=1
	v_dual_mov_b32 v6, v34 :: v_dual_mov_b32 v5, v1
	v_mov_b32_e32 v4, v0
	s_mov_b32 s21, 0
                                        ; implicit-def: $sgpr22
	s_set_inst_prefetch_distance 0x1
	s_branch .LBB38_129
	.p2align	6
.LBB38_128:                             ;   in Loop: Header=BB38_129 Depth=2
	s_or_b32 exec_lo, exec_lo, s4
	s_waitcnt lgkmcnt(0)
	s_barrier
	buffer_gl0_inv
	ds_load_b32 v7, v13 offset:3072
	v_add_co_u32 v4, vcc_lo, v4, s33
	v_add_co_ci_u32_e32 v5, vcc_lo, 0, v5, vcc_lo
	v_add_nc_u32_e32 v6, s101, v6
	s_waitcnt lgkmcnt(0)
	s_barrier
	s_delay_alu instid0(VALU_DEP_2) | instskip(SKIP_2) | instid1(VALU_DEP_1)
	v_cmp_ge_i64_e32 vcc_lo, v[4:5], v[2:3]
	buffer_gl0_inv
	v_cmp_ne_u16_e64 s4, 0, v7
	s_or_b32 s23, s4, vcc_lo
	s_delay_alu instid0(SALU_CYCLE_1) | instskip(NEXT) | instid1(SALU_CYCLE_1)
	s_and_b32 s23, exec_lo, s23
	s_or_b32 s21, s23, s21
	s_and_not1_b32 s22, s22, exec_lo
	s_and_b32 s4, s4, exec_lo
	s_delay_alu instid0(SALU_CYCLE_1)
	s_or_b32 s22, s22, s4
	s_and_not1_b32 exec_lo, exec_lo, s21
	s_cbranch_execz .LBB38_134
.LBB38_129:                             ;   Parent Loop BB38_33 Depth=1
                                        ; =>  This Inner Loop Header: Depth=2
	s_delay_alu instid0(VALU_DEP_1)
	v_cmp_gt_i64_e32 vcc_lo, s[14:15], v[4:5]
	v_mov_b32_e32 v7, 0
	s_and_saveexec_b32 s4, vcc_lo
	s_cbranch_execz .LBB38_131
; %bb.130:                              ;   in Loop: Header=BB38_129 Depth=2
	ds_load_u16 v7, v6
.LBB38_131:                             ;   in Loop: Header=BB38_129 Depth=2
	s_or_b32 exec_lo, exec_lo, s4
	s_and_saveexec_b32 s4, vcc_lo
	s_cbranch_execz .LBB38_128
; %bb.132:                              ;   in Loop: Header=BB38_129 Depth=2
	s_waitcnt lgkmcnt(0)
	v_bfe_i32 v8, v7, 0, 16
	s_delay_alu instid0(VALU_DEP_1) | instskip(NEXT) | instid1(VALU_DEP_1)
	v_add_nc_u32_e32 v8, 0x8000, v8
	v_and_b32_e32 v8, s57, v8
	s_delay_alu instid0(VALU_DEP_1)
	v_cmp_eq_u32_e32 vcc_lo, s58, v8
	s_and_b32 exec_lo, exec_lo, vcc_lo
	s_cbranch_execz .LBB38_128
; %bb.133:                              ;   in Loop: Header=BB38_129 Depth=2
	v_perm_b32 v7, v7, 1, 0x5040100
	ds_store_b32 v13, v7 offset:3072
	s_branch .LBB38_128
.LBB38_134:                             ;   in Loop: Header=BB38_33 Depth=1
	s_set_inst_prefetch_distance 0x2
	s_or_b32 exec_lo, exec_lo, s21
	v_lshrrev_b32_e32 v44, 16, v7
	s_and_b32 s4, s22, exec_lo
.LBB38_135:                             ;   in Loop: Header=BB38_33 Depth=1
	s_or_b32 exec_lo, exec_lo, s5
	s_mov_b32 s22, -1
	s_mov_b32 s5, 0
	s_mov_b32 s21, 0
.LBB38_136:                             ;   in Loop: Header=BB38_33 Depth=1
	s_and_not1_b32 s14, s64, exec_lo
	s_and_b32 s5, s5, exec_lo
	s_and_not1_b32 s15, s65, exec_lo
	s_or_b32 s64, s14, s5
	s_and_not1_b32 s5, s56, exec_lo
	s_and_b32 s14, s22, exec_lo
	s_and_b32 s21, s21, exec_lo
	s_or_b32 s56, s5, s14
	s_or_b32 s65, s15, s21
	s_and_saveexec_b32 s14, s4
	s_cbranch_execz .LBB38_32
; %bb.137:                              ;   in Loop: Header=BB38_33 Depth=1
	s_xor_b32 s4, s20, -1
	s_mov_b32 s66, 1
	s_and_not1_b32 vcc_lo, exec_lo, s4
	s_cbranch_vccnz .LBB38_148
; %bb.138:                              ;   in Loop: Header=BB38_33 Depth=1
	v_cmp_gt_i64_e64 s4, s[26:27], s[12:13]
                                        ; implicit-def: $sgpr66
                                        ; implicit-def: $sgpr5
                                        ; implicit-def: $sgpr15
	s_delay_alu instid0(VALU_DEP_1)
	s_and_b32 vcc_lo, exec_lo, s4
	s_mov_b32 s4, -1
	s_cbranch_vccnz .LBB38_144
; %bb.139:                              ;   in Loop: Header=BB38_33 Depth=1
	ds_load_b64 v[2:3], v13 offset:5120
	s_waitcnt lgkmcnt(0)
	v_cmp_ne_u64_e32 vcc_lo, 0, v[2:3]
	s_cbranch_vccnz .LBB38_143
; %bb.140:                              ;   in Loop: Header=BB38_33 Depth=1
	s_and_saveexec_b32 s4, s0
	s_cbranch_execz .LBB38_142
; %bb.141:                              ;   in Loop: Header=BB38_33 Depth=1
	v_dual_mov_b32 v2, s12 :: v_dual_mov_b32 v3, s13
	ds_store_b64 v13, v[2:3] offset:5128
.LBB38_142:                             ;   in Loop: Header=BB38_33 Depth=1
	s_or_b32 exec_lo, exec_lo, s4
	s_waitcnt lgkmcnt(0)
	s_barrier
	buffer_gl0_inv
.LBB38_143:                             ;   in Loop: Header=BB38_33 Depth=1
	s_and_b32 s5, s58, s18
	s_or_b32 s15, s57, s16
	s_mov_b32 s4, 0
	s_mov_b32 s66, 8
.LBB38_144:                             ;   in Loop: Header=BB38_33 Depth=1
	s_and_not1_b32 vcc_lo, exec_lo, s4
	s_cbranch_vccnz .LBB38_146
; %bb.145:                              ;   in Loop: Header=BB38_33 Depth=1
	s_sub_u32 s26, s26, s12
	s_subb_u32 s27, s27, s13
	s_mov_b32 s4, -1
	s_mov_b32 s66, 0
	s_mov_b32 s5, s58
	;; [unrolled: 1-line block ×3, first 2 shown]
.LBB38_146:                             ;   in Loop: Header=BB38_33 Depth=1
	s_delay_alu instid0(SALU_CYCLE_1)
	s_mov_b32 s57, s15
	s_mov_b32 s58, s5
	s_and_b32 vcc_lo, exec_lo, s4
	s_mov_b32 s15, -1
	s_cbranch_vccnz .LBB38_149
.LBB38_147:                             ;   in Loop: Header=BB38_33 Depth=1
	s_mov_b32 s5, -1
                                        ; implicit-def: $sgpr19
                                        ; implicit-def: $sgpr21
                                        ; implicit-def: $sgpr20
	s_delay_alu instid0(SALU_CYCLE_1) | instskip(NEXT) | instid1(SALU_CYCLE_1)
	s_and_saveexec_b32 s4, s5
	s_xor_b32 s4, exec_lo, s4
	s_cbranch_execz .LBB38_31
	s_branch .LBB38_295
.LBB38_148:                             ;   in Loop: Header=BB38_33 Depth=1
	s_mov_b64 s[26:27], 1
	s_mov_b32 s15, -1
	s_branch .LBB38_147
.LBB38_149:                             ;   in Loop: Header=BB38_33 Depth=1
	s_cmp_eq_u64 s[10:11], 1
	s_cselect_b32 s4, -1, 0
	s_cmp_eq_u64 s[26:27], 1
	s_cselect_b32 s5, -1, 0
	s_delay_alu instid0(SALU_CYCLE_1)
	s_and_b32 s22, s4, s5
	s_mov_b32 s4, -1
	s_and_b32 vcc_lo, exec_lo, s22
	s_cbranch_vccz .LBB38_164
; %bb.150:                              ;   in Loop: Header=BB38_33 Depth=1
	ds_load_b64 v[2:3], v13 offset:5120
	s_waitcnt lgkmcnt(0)
	s_barrier
	buffer_gl0_inv
	v_readfirstlane_b32 s12, v2
	v_readfirstlane_b32 s13, v3
	s_and_saveexec_b32 s4, s3
	s_cbranch_execz .LBB38_152
; %bb.151:                              ;   in Loop: Header=BB38_33 Depth=1
	ds_store_b16 v35, v13
.LBB38_152:                             ;   in Loop: Header=BB38_33 Depth=1
	s_or_b32 exec_lo, exec_lo, s4
	s_delay_alu instid0(VALU_DEP_1)
	v_cmp_gt_i64_e64 s19, s[12:13], 0
	s_lshl_b32 s4, 1, s17
	s_and_b32 s5, s58, s18
	s_or_b32 s57, s57, s16
	s_or_b32 s58, s5, s4
	s_waitcnt lgkmcnt(0)
	s_and_b32 vcc_lo, exec_lo, s19
	s_barrier
	buffer_gl0_inv
	s_cbranch_vccnz .LBB38_167
; %bb.153:                              ;   in Loop: Header=BB38_33 Depth=1
	s_mov_b32 s72, s67
	s_delay_alu instid0(SALU_CYCLE_1)
	s_cmp_lg_u64 s[72:73], 0
	s_cbranch_scc0 .LBB38_212
; %bb.154:                              ;   in Loop: Header=BB38_33 Depth=1
	v_cvt_f32_u32_e32 v2, s33
	s_sub_u32 s19, 0, s33
	s_subb_u32 s20, 0, 0
	s_delay_alu instid0(VALU_DEP_1) | instskip(NEXT) | instid1(VALU_DEP_1)
	v_fmac_f32_e32 v2, 0x4f800000, v43
	v_rcp_f32_e32 v2, v2
	s_waitcnt_depctr 0xfff
	v_mul_f32_e32 v2, 0x5f7ffffc, v2
	s_delay_alu instid0(VALU_DEP_1) | instskip(NEXT) | instid1(VALU_DEP_1)
	v_mul_f32_e32 v3, 0x2f800000, v2
	v_trunc_f32_e32 v3, v3
	s_delay_alu instid0(VALU_DEP_1) | instskip(SKIP_1) | instid1(VALU_DEP_2)
	v_fmac_f32_e32 v2, 0xcf800000, v3
	v_cvt_u32_f32_e32 v3, v3
	v_cvt_u32_f32_e32 v2, v2
	s_delay_alu instid0(VALU_DEP_2) | instskip(NEXT) | instid1(VALU_DEP_2)
	v_readfirstlane_b32 s4, v3
	v_readfirstlane_b32 s5, v2
	s_delay_alu instid0(VALU_DEP_2) | instskip(NEXT) | instid1(VALU_DEP_1)
	s_mul_i32 s21, s19, s4
	s_mul_hi_u32 s44, s19, s5
	s_mul_i32 s23, s20, s5
	s_add_i32 s21, s44, s21
	s_mul_i32 s45, s19, s5
	s_add_i32 s21, s21, s23
	s_mul_hi_u32 s44, s5, s45
	s_mul_hi_u32 s46, s4, s45
	s_mul_i32 s23, s4, s45
	s_mul_hi_u32 s45, s5, s21
	s_mul_i32 s5, s5, s21
	s_mul_hi_u32 s47, s4, s21
	s_add_u32 s5, s44, s5
	s_addc_u32 s44, 0, s45
	s_add_u32 s5, s5, s23
	s_mul_i32 s21, s4, s21
	s_addc_u32 s5, s44, s46
	s_addc_u32 s23, s47, 0
	s_add_u32 s5, s5, s21
	s_addc_u32 s21, 0, s23
	v_add_co_u32 v2, s5, v2, s5
	s_delay_alu instid0(VALU_DEP_1) | instskip(SKIP_1) | instid1(VALU_DEP_1)
	s_cmp_lg_u32 s5, 0
	s_addc_u32 s4, s4, s21
	v_readfirstlane_b32 s5, v2
	s_mul_i32 s21, s19, s4
	s_delay_alu instid0(VALU_DEP_1)
	s_mul_hi_u32 s23, s19, s5
	s_mul_i32 s20, s20, s5
	s_add_i32 s21, s23, s21
	s_mul_i32 s19, s19, s5
	s_add_i32 s21, s21, s20
	s_mul_hi_u32 s23, s4, s19
	s_mul_i32 s44, s4, s19
	s_mul_hi_u32 s19, s5, s19
	s_mul_hi_u32 s45, s5, s21
	s_mul_i32 s5, s5, s21
	s_mul_hi_u32 s20, s4, s21
	s_add_u32 s5, s19, s5
	s_addc_u32 s19, 0, s45
	s_add_u32 s5, s5, s44
	s_mul_i32 s21, s4, s21
	s_addc_u32 s5, s19, s23
	s_addc_u32 s19, s20, 0
	s_add_u32 s5, s5, s21
	s_addc_u32 s19, 0, s19
	v_add_co_u32 v2, s5, v2, s5
	s_delay_alu instid0(VALU_DEP_1) | instskip(SKIP_2) | instid1(VALU_DEP_1)
	s_cmp_lg_u32 s5, 0
	s_addc_u32 s19, s4, s19
	s_ashr_i32 s20, s73, 31
	v_readfirstlane_b32 s23, v2
	s_add_u32 s4, s95, s20
	s_mov_b32 s21, s20
	s_addc_u32 s5, s73, s20
	s_delay_alu instid0(SALU_CYCLE_1) | instskip(NEXT) | instid1(SALU_CYCLE_1)
	s_xor_b64 s[4:5], s[4:5], s[20:21]
	s_mul_i32 s44, s4, s19
	s_mul_hi_u32 s45, s4, s23
	s_mul_hi_u32 s21, s4, s19
	;; [unrolled: 1-line block ×3, first 2 shown]
	s_mul_i32 s23, s5, s23
	s_add_u32 s44, s45, s44
	s_addc_u32 s21, 0, s21
	s_mul_hi_u32 s46, s5, s19
	s_add_u32 s23, s44, s23
	s_mul_i32 s19, s5, s19
	s_addc_u32 s21, s21, s47
	s_addc_u32 s23, s46, 0
	s_add_u32 s19, s21, s19
	s_addc_u32 s21, 0, s23
	s_mul_hi_u32 s23, s33, s19
	s_mul_i32 s19, s33, s19
	s_mul_i32 s21, s33, s21
	v_sub_co_u32 v2, s4, s4, s19
	s_add_i32 s23, s23, s21
	s_cmp_lg_u32 s4, 0
	s_delay_alu instid0(VALU_DEP_1) | instskip(SKIP_2) | instid1(VALU_DEP_1)
	v_sub_co_u32 v3, s4, v2, s33
	s_subb_u32 s5, s5, s23
	s_cmp_lg_u32 s4, 0
	v_cmp_le_u32_e32 vcc_lo, s33, v3
	v_sub_co_u32 v4, s4, v3, s33
	s_subb_u32 s19, s5, 0
	s_cmp_lg_u32 s4, 0
	v_cndmask_b32_e64 v5, 0, -1, vcc_lo
	s_subb_u32 s4, s19, 0
	s_cmp_eq_u32 s19, 0
	v_mov_b32_e32 v7, s4
	s_cselect_b32 vcc_lo, -1, 0
	s_cmp_eq_u32 s5, 0
	v_cndmask_b32_e32 v5, -1, v5, vcc_lo
	v_cmp_le_u32_e32 vcc_lo, s33, v2
	s_cselect_b32 s4, -1, 0
	v_cndmask_b32_e64 v6, 0, -1, vcc_lo
	s_delay_alu instid0(VALU_DEP_3) | instskip(NEXT) | instid1(VALU_DEP_2)
	v_cmp_ne_u32_e32 vcc_lo, 0, v5
	v_cndmask_b32_e64 v5, -1, v6, s4
	v_cndmask_b32_e32 v3, v3, v4, vcc_lo
	v_cndmask_b32_e32 v6, s19, v7, vcc_lo
	s_delay_alu instid0(VALU_DEP_3) | instskip(NEXT) | instid1(VALU_DEP_3)
	v_cmp_ne_u32_e32 vcc_lo, 0, v5
	v_cndmask_b32_e32 v2, v2, v3, vcc_lo
	s_delay_alu instid0(VALU_DEP_3) | instskip(NEXT) | instid1(VALU_DEP_2)
	v_cndmask_b32_e32 v4, s5, v6, vcc_lo
	v_xor_b32_e32 v2, s20, v2
	s_delay_alu instid0(VALU_DEP_2) | instskip(NEXT) | instid1(VALU_DEP_2)
	v_xor_b32_e32 v3, s20, v4
	v_sub_co_u32 v2, vcc_lo, v2, s20
	s_delay_alu instid0(VALU_DEP_2)
	v_subrev_co_ci_u32_e32 v3, vcc_lo, s20, v3, vcc_lo
	s_cbranch_execnz .LBB38_156
.LBB38_155:                             ;   in Loop: Header=BB38_33 Depth=1
	v_cvt_f32_u32_e32 v2, s33
	s_sub_i32 s4, 0, s33
	s_delay_alu instid0(VALU_DEP_1) | instskip(SKIP_2) | instid1(VALU_DEP_1)
	v_rcp_iflag_f32_e32 v2, v2
	s_waitcnt_depctr 0xfff
	v_mul_f32_e32 v2, 0x4f7ffffe, v2
	v_cvt_u32_f32_e32 v2, v2
	s_delay_alu instid0(VALU_DEP_1) | instskip(NEXT) | instid1(VALU_DEP_1)
	v_mul_lo_u32 v3, s4, v2
	v_mul_hi_u32 v3, v2, v3
	s_delay_alu instid0(VALU_DEP_1) | instskip(NEXT) | instid1(VALU_DEP_1)
	v_add_nc_u32_e32 v2, v2, v3
	v_mul_hi_u32 v2, s95, v2
	s_delay_alu instid0(VALU_DEP_1) | instskip(NEXT) | instid1(VALU_DEP_1)
	v_mul_lo_u32 v2, v2, s33
	v_sub_nc_u32_e32 v2, s95, v2
	s_delay_alu instid0(VALU_DEP_1) | instskip(SKIP_1) | instid1(VALU_DEP_2)
	v_subrev_nc_u32_e32 v3, s33, v2
	v_cmp_le_u32_e32 vcc_lo, s33, v2
	v_cndmask_b32_e32 v2, v2, v3, vcc_lo
	s_delay_alu instid0(VALU_DEP_1) | instskip(SKIP_1) | instid1(VALU_DEP_2)
	v_subrev_nc_u32_e32 v3, s33, v2
	v_cmp_le_u32_e32 vcc_lo, s33, v2
	v_cndmask_b32_e32 v12, v2, v3, vcc_lo
	s_delay_alu instid0(VALU_DEP_1)
	v_dual_mov_b32 v2, v12 :: v_dual_mov_b32 v3, v13
.LBB38_156:                             ;   in Loop: Header=BB38_33 Depth=1
	s_delay_alu instid0(VALU_DEP_1) | instskip(NEXT) | instid1(VALU_DEP_2)
	v_sub_co_u32 v2, vcc_lo, s95, v2
	v_sub_co_ci_u32_e32 v3, vcc_lo, s73, v3, vcc_lo
	s_mov_b32 s4, 0
	s_mov_b32 s5, exec_lo
                                        ; implicit-def: $vgpr44
	s_delay_alu instid0(VALU_DEP_1)
	v_cmpx_gt_i64_e64 v[2:3], v[0:1]
	s_cbranch_execz .LBB38_169
; %bb.157:                              ;   in Loop: Header=BB38_33 Depth=1
	v_dual_mov_b32 v4, v10 :: v_dual_mov_b32 v5, v11
	v_dual_mov_b32 v7, v1 :: v_dual_mov_b32 v6, v0
	s_mov_b32 s19, 0
                                        ; implicit-def: $sgpr20
	s_set_inst_prefetch_distance 0x1
	s_branch .LBB38_159
	.p2align	6
.LBB38_158:                             ;   in Loop: Header=BB38_159 Depth=2
	s_or_b32 exec_lo, exec_lo, s4
	s_waitcnt vmcnt(0) lgkmcnt(0)
	s_barrier
	buffer_gl0_inv
	ds_load_b32 v8, v13 offset:3072
	v_add_co_u32 v6, vcc_lo, v6, s33
	v_add_co_ci_u32_e32 v7, vcc_lo, 0, v7, vcc_lo
	s_waitcnt lgkmcnt(0)
	s_barrier
	buffer_gl0_inv
	v_cmp_ge_i64_e32 vcc_lo, v[6:7], v[2:3]
	v_cmp_ne_u16_e64 s4, 0, v8
	s_delay_alu instid0(VALU_DEP_1)
	s_or_b32 s21, s4, vcc_lo
	v_add_co_u32 v4, vcc_lo, v4, s68
	s_and_b32 s21, exec_lo, s21
	v_add_co_ci_u32_e32 v5, vcc_lo, s69, v5, vcc_lo
	s_or_b32 s19, s21, s19
	s_and_not1_b32 s20, s20, exec_lo
	s_and_b32 s4, s4, exec_lo
	s_delay_alu instid0(SALU_CYCLE_1)
	s_or_b32 s20, s20, s4
	s_and_not1_b32 exec_lo, exec_lo, s19
	s_cbranch_execz .LBB38_168
.LBB38_159:                             ;   Parent Loop BB38_33 Depth=1
                                        ; =>  This Inner Loop Header: Depth=2
	s_delay_alu instid0(VALU_DEP_1)
	v_cmp_gt_i64_e32 vcc_lo, s[24:25], v[6:7]
	v_mov_b32_e32 v8, 0
	s_and_saveexec_b32 s4, vcc_lo
	s_cbranch_execz .LBB38_161
; %bb.160:                              ;   in Loop: Header=BB38_159 Depth=2
	global_load_u16 v8, v[4:5], off
.LBB38_161:                             ;   in Loop: Header=BB38_159 Depth=2
	s_or_b32 exec_lo, exec_lo, s4
	s_and_saveexec_b32 s4, vcc_lo
	s_cbranch_execz .LBB38_158
; %bb.162:                              ;   in Loop: Header=BB38_159 Depth=2
	s_waitcnt vmcnt(0)
	v_bfe_i32 v9, v8, 0, 16
	s_delay_alu instid0(VALU_DEP_1) | instskip(NEXT) | instid1(VALU_DEP_1)
	v_add_nc_u32_e32 v9, 0x8000, v9
	v_and_b32_e32 v9, s57, v9
	s_delay_alu instid0(VALU_DEP_1)
	v_cmp_eq_u32_e32 vcc_lo, s58, v9
	s_and_b32 exec_lo, exec_lo, vcc_lo
	s_cbranch_execz .LBB38_158
; %bb.163:                              ;   in Loop: Header=BB38_159 Depth=2
	v_perm_b32 v8, v8, 1, 0x5040100
	ds_store_b32 v13, v8 offset:3072
	s_branch .LBB38_158
.LBB38_164:                             ;   in Loop: Header=BB38_33 Depth=1
                                        ; implicit-def: $sgpr20
                                        ; implicit-def: $sgpr21
                                        ; implicit-def: $sgpr19
	s_branch .LBB38_183
.LBB38_165:                             ;   in Loop: Header=BB38_33 Depth=1
                                        ; implicit-def: $vgpr2_vgpr3
	s_branch .LBB38_110
.LBB38_166:                             ;   in Loop: Header=BB38_33 Depth=1
                                        ; implicit-def: $vgpr2_vgpr3
	s_branch .LBB38_125
.LBB38_167:                             ;   in Loop: Header=BB38_33 Depth=1
	s_mov_b32 s20, -1
	s_mov_b32 s4, 0
                                        ; implicit-def: $sgpr19
                                        ; implicit-def: $vgpr44
	s_mov_b32 s21, s20
	s_cbranch_execnz .LBB38_170
	s_branch .LBB38_183
.LBB38_168:                             ;   in Loop: Header=BB38_33 Depth=1
	s_set_inst_prefetch_distance 0x2
	s_or_b32 exec_lo, exec_lo, s19
	v_lshrrev_b32_e32 v44, 16, v8
	s_and_b32 s4, s20, exec_lo
.LBB38_169:                             ;   in Loop: Header=BB38_33 Depth=1
	s_or_b32 exec_lo, exec_lo, s5
	s_mov_b32 s19, -1
	s_mov_b32 s20, 0
	s_delay_alu instid0(SALU_CYCLE_1)
	s_mov_b32 s21, s20
	s_branch .LBB38_183
.LBB38_170:                             ;   in Loop: Header=BB38_33 Depth=1
	s_add_u32 s19, s93, s12
	s_addc_u32 s5, s94, s13
	s_mov_b32 s4, s67
	s_delay_alu instid0(SALU_CYCLE_1)
	s_cmp_lg_u64 s[4:5], 0
	s_cbranch_scc0 .LBB38_213
; %bb.171:                              ;   in Loop: Header=BB38_33 Depth=1
	v_cvt_f32_u32_e32 v2, s33
	s_sub_u32 s21, 0, s33
	s_subb_u32 s23, 0, 0
	s_delay_alu instid0(VALU_DEP_1) | instskip(NEXT) | instid1(VALU_DEP_1)
	v_fmac_f32_e32 v2, 0x4f800000, v43
	v_rcp_f32_e32 v2, v2
	s_waitcnt_depctr 0xfff
	v_mul_f32_e32 v2, 0x5f7ffffc, v2
	s_delay_alu instid0(VALU_DEP_1) | instskip(NEXT) | instid1(VALU_DEP_1)
	v_mul_f32_e32 v3, 0x2f800000, v2
	v_trunc_f32_e32 v3, v3
	s_delay_alu instid0(VALU_DEP_1) | instskip(SKIP_1) | instid1(VALU_DEP_2)
	v_fmac_f32_e32 v2, 0xcf800000, v3
	v_cvt_u32_f32_e32 v3, v3
	v_cvt_u32_f32_e32 v2, v2
	s_delay_alu instid0(VALU_DEP_2) | instskip(NEXT) | instid1(VALU_DEP_2)
	v_readfirstlane_b32 s4, v3
	v_readfirstlane_b32 s20, v2
	s_delay_alu instid0(VALU_DEP_2) | instskip(NEXT) | instid1(VALU_DEP_1)
	s_mul_i32 s44, s21, s4
	s_mul_hi_u32 s46, s21, s20
	s_mul_i32 s45, s23, s20
	s_add_i32 s44, s46, s44
	s_mul_i32 s47, s21, s20
	s_add_i32 s44, s44, s45
	s_mul_hi_u32 s46, s20, s47
	s_mul_hi_u32 s59, s4, s47
	s_mul_i32 s45, s4, s47
	s_mul_hi_u32 s47, s20, s44
	s_mul_i32 s20, s20, s44
	s_mul_hi_u32 s66, s4, s44
	s_add_u32 s20, s46, s20
	s_addc_u32 s46, 0, s47
	s_add_u32 s20, s20, s45
	s_mul_i32 s44, s4, s44
	s_addc_u32 s20, s46, s59
	s_addc_u32 s45, s66, 0
	s_add_u32 s20, s20, s44
	s_addc_u32 s44, 0, s45
	v_add_co_u32 v2, s20, v2, s20
	s_delay_alu instid0(VALU_DEP_1) | instskip(SKIP_1) | instid1(VALU_DEP_1)
	s_cmp_lg_u32 s20, 0
	s_addc_u32 s4, s4, s44
	v_readfirstlane_b32 s20, v2
	s_mul_i32 s44, s21, s4
	s_delay_alu instid0(VALU_DEP_1)
	s_mul_hi_u32 s45, s21, s20
	s_mul_i32 s23, s23, s20
	s_add_i32 s44, s45, s44
	s_mul_i32 s21, s21, s20
	s_add_i32 s44, s44, s23
	s_mul_hi_u32 s45, s4, s21
	s_mul_i32 s46, s4, s21
	s_mul_hi_u32 s21, s20, s21
	s_mul_hi_u32 s47, s20, s44
	s_mul_i32 s20, s20, s44
	s_mul_hi_u32 s23, s4, s44
	s_add_u32 s20, s21, s20
	s_addc_u32 s21, 0, s47
	s_add_u32 s20, s20, s46
	s_mul_i32 s44, s4, s44
	s_addc_u32 s20, s21, s45
	s_addc_u32 s21, s23, 0
	s_add_u32 s20, s20, s44
	s_addc_u32 s21, 0, s21
	v_add_co_u32 v2, s20, v2, s20
	s_delay_alu instid0(VALU_DEP_1) | instskip(SKIP_2) | instid1(VALU_DEP_1)
	s_cmp_lg_u32 s20, 0
	s_addc_u32 s4, s4, s21
	s_ashr_i32 s20, s5, 31
	v_readfirstlane_b32 s23, v2
	s_add_u32 s44, s19, s20
	s_mov_b32 s21, s20
	s_addc_u32 s45, s5, s20
	s_delay_alu instid0(SALU_CYCLE_1) | instskip(NEXT) | instid1(SALU_CYCLE_1)
	s_xor_b64 s[44:45], s[44:45], s[20:21]
	s_mul_i32 s46, s44, s4
	s_mul_hi_u32 s47, s44, s23
	s_mul_hi_u32 s21, s44, s4
	s_mul_hi_u32 s66, s45, s23
	s_mul_i32 s23, s45, s23
	s_add_u32 s46, s47, s46
	s_addc_u32 s21, 0, s21
	s_mul_hi_u32 s59, s45, s4
	s_add_u32 s23, s46, s23
	s_mul_i32 s4, s45, s4
	s_addc_u32 s21, s21, s66
	s_addc_u32 s23, s59, 0
	s_add_u32 s4, s21, s4
	s_addc_u32 s21, 0, s23
	s_mul_hi_u32 s23, s33, s4
	s_mul_i32 s4, s33, s4
	s_mul_i32 s21, s33, s21
	v_sub_co_u32 v2, s4, s44, s4
	s_add_i32 s23, s23, s21
	s_cmp_lg_u32 s4, 0
	s_delay_alu instid0(VALU_DEP_1) | instskip(SKIP_2) | instid1(VALU_DEP_1)
	v_sub_co_u32 v3, s4, v2, s33
	s_subb_u32 s21, s45, s23
	s_cmp_lg_u32 s4, 0
	v_cmp_le_u32_e32 vcc_lo, s33, v3
	v_sub_co_u32 v4, s4, v3, s33
	s_subb_u32 s23, s21, 0
	s_cmp_lg_u32 s4, 0
	v_cmp_le_u32_e64 s4, s33, v2
	s_subb_u32 s44, s23, 0
	v_cndmask_b32_e64 v5, 0, -1, vcc_lo
	s_cmp_eq_u32 s23, 0
	s_cselect_b32 vcc_lo, -1, 0
	v_cndmask_b32_e64 v6, 0, -1, s4
	s_delay_alu instid0(VALU_DEP_2) | instskip(SKIP_2) | instid1(VALU_DEP_1)
	v_cndmask_b32_e32 v5, -1, v5, vcc_lo
	s_cmp_eq_u32 s21, 0
	s_cselect_b32 vcc_lo, -1, 0
	v_cmp_ne_u32_e64 s4, 0, v5
	v_dual_cndmask_b32 v5, -1, v6 :: v_dual_mov_b32 v6, s44
	s_delay_alu instid0(VALU_DEP_2) | instskip(NEXT) | instid1(VALU_DEP_2)
	v_cndmask_b32_e64 v3, v3, v4, s4
	v_cmp_ne_u32_e32 vcc_lo, 0, v5
	s_delay_alu instid0(VALU_DEP_3) | instskip(NEXT) | instid1(VALU_DEP_3)
	v_cndmask_b32_e64 v4, s23, v6, s4
	v_cndmask_b32_e32 v2, v2, v3, vcc_lo
	s_delay_alu instid0(VALU_DEP_2) | instskip(NEXT) | instid1(VALU_DEP_2)
	v_cndmask_b32_e32 v3, s21, v4, vcc_lo
	v_xor_b32_e32 v2, s20, v2
	s_delay_alu instid0(VALU_DEP_2) | instskip(NEXT) | instid1(VALU_DEP_2)
	v_xor_b32_e32 v3, s20, v3
	v_sub_co_u32 v2, vcc_lo, v2, s20
	s_delay_alu instid0(VALU_DEP_2)
	v_subrev_co_ci_u32_e32 v3, vcc_lo, s20, v3, vcc_lo
	s_cbranch_execnz .LBB38_173
.LBB38_172:                             ;   in Loop: Header=BB38_33 Depth=1
	v_cvt_f32_u32_e32 v2, s33
	s_sub_i32 s4, 0, s33
	s_delay_alu instid0(VALU_DEP_1) | instskip(SKIP_2) | instid1(VALU_DEP_1)
	v_rcp_iflag_f32_e32 v2, v2
	s_waitcnt_depctr 0xfff
	v_mul_f32_e32 v2, 0x4f7ffffe, v2
	v_cvt_u32_f32_e32 v2, v2
	s_delay_alu instid0(VALU_DEP_1) | instskip(NEXT) | instid1(VALU_DEP_1)
	v_mul_lo_u32 v3, s4, v2
	v_mul_hi_u32 v3, v2, v3
	s_delay_alu instid0(VALU_DEP_1) | instskip(NEXT) | instid1(VALU_DEP_1)
	v_add_nc_u32_e32 v2, v2, v3
	v_mul_hi_u32 v2, s19, v2
	s_delay_alu instid0(VALU_DEP_1) | instskip(NEXT) | instid1(VALU_DEP_1)
	v_mul_lo_u32 v2, v2, s33
	v_sub_nc_u32_e32 v2, s19, v2
	s_delay_alu instid0(VALU_DEP_1) | instskip(SKIP_1) | instid1(VALU_DEP_2)
	v_subrev_nc_u32_e32 v3, s33, v2
	v_cmp_le_u32_e32 vcc_lo, s33, v2
	v_cndmask_b32_e32 v2, v2, v3, vcc_lo
	s_delay_alu instid0(VALU_DEP_1) | instskip(SKIP_1) | instid1(VALU_DEP_2)
	v_subrev_nc_u32_e32 v3, s33, v2
	v_cmp_le_u32_e32 vcc_lo, s33, v2
	v_cndmask_b32_e32 v12, v2, v3, vcc_lo
	s_delay_alu instid0(VALU_DEP_1)
	v_dual_mov_b32 v2, v12 :: v_dual_mov_b32 v3, v13
.LBB38_173:                             ;   in Loop: Header=BB38_33 Depth=1
	s_delay_alu instid0(VALU_DEP_1) | instskip(NEXT) | instid1(VALU_DEP_2)
	v_sub_co_u32 v2, vcc_lo, s19, v2
	v_sub_co_ci_u32_e32 v3, vcc_lo, s5, v3, vcc_lo
	s_mov_b32 s4, 0
	s_mov_b32 s5, exec_lo
                                        ; implicit-def: $vgpr44
	s_delay_alu instid0(VALU_DEP_1)
	v_cmpx_gt_i64_e64 v[2:3], v[0:1]
	s_cbranch_execz .LBB38_182
; %bb.174:                              ;   in Loop: Header=BB38_33 Depth=1
	v_dual_mov_b32 v6, v34 :: v_dual_mov_b32 v5, v1
	v_mov_b32_e32 v4, v0
	s_mov_b32 s19, 0
                                        ; implicit-def: $sgpr20
	s_set_inst_prefetch_distance 0x1
	s_branch .LBB38_176
	.p2align	6
.LBB38_175:                             ;   in Loop: Header=BB38_176 Depth=2
	s_or_b32 exec_lo, exec_lo, s4
	s_waitcnt lgkmcnt(0)
	s_barrier
	buffer_gl0_inv
	ds_load_b32 v7, v13 offset:3072
	v_add_co_u32 v4, vcc_lo, v4, s33
	v_add_co_ci_u32_e32 v5, vcc_lo, 0, v5, vcc_lo
	v_add_nc_u32_e32 v6, s101, v6
	s_waitcnt lgkmcnt(0)
	s_barrier
	s_delay_alu instid0(VALU_DEP_2) | instskip(SKIP_2) | instid1(VALU_DEP_1)
	v_cmp_ge_i64_e32 vcc_lo, v[4:5], v[2:3]
	buffer_gl0_inv
	v_cmp_ne_u16_e64 s4, 0, v7
	s_or_b32 s21, s4, vcc_lo
	s_delay_alu instid0(SALU_CYCLE_1) | instskip(NEXT) | instid1(SALU_CYCLE_1)
	s_and_b32 s21, exec_lo, s21
	s_or_b32 s19, s21, s19
	s_and_not1_b32 s20, s20, exec_lo
	s_and_b32 s4, s4, exec_lo
	s_delay_alu instid0(SALU_CYCLE_1)
	s_or_b32 s20, s20, s4
	s_and_not1_b32 exec_lo, exec_lo, s19
	s_cbranch_execz .LBB38_181
.LBB38_176:                             ;   Parent Loop BB38_33 Depth=1
                                        ; =>  This Inner Loop Header: Depth=2
	s_delay_alu instid0(VALU_DEP_1)
	v_cmp_gt_i64_e32 vcc_lo, s[12:13], v[4:5]
	v_mov_b32_e32 v7, 0
	s_and_saveexec_b32 s4, vcc_lo
	s_cbranch_execz .LBB38_178
; %bb.177:                              ;   in Loop: Header=BB38_176 Depth=2
	ds_load_u16 v7, v6
.LBB38_178:                             ;   in Loop: Header=BB38_176 Depth=2
	s_or_b32 exec_lo, exec_lo, s4
	s_and_saveexec_b32 s4, vcc_lo
	s_cbranch_execz .LBB38_175
; %bb.179:                              ;   in Loop: Header=BB38_176 Depth=2
	s_waitcnt lgkmcnt(0)
	v_bfe_i32 v8, v7, 0, 16
	s_delay_alu instid0(VALU_DEP_1) | instskip(NEXT) | instid1(VALU_DEP_1)
	v_add_nc_u32_e32 v8, 0x8000, v8
	v_and_b32_e32 v8, s57, v8
	s_delay_alu instid0(VALU_DEP_1)
	v_cmp_eq_u32_e32 vcc_lo, s58, v8
	s_and_b32 exec_lo, exec_lo, vcc_lo
	s_cbranch_execz .LBB38_175
; %bb.180:                              ;   in Loop: Header=BB38_176 Depth=2
	v_perm_b32 v7, v7, 1, 0x5040100
	ds_store_b32 v13, v7 offset:3072
	s_branch .LBB38_175
.LBB38_181:                             ;   in Loop: Header=BB38_33 Depth=1
	s_set_inst_prefetch_distance 0x2
	s_or_b32 exec_lo, exec_lo, s19
	v_lshrrev_b32_e32 v44, 16, v7
	s_and_b32 s4, s20, exec_lo
.LBB38_182:                             ;   in Loop: Header=BB38_33 Depth=1
	s_or_b32 exec_lo, exec_lo, s5
	s_mov_b32 s21, -1
	s_mov_b32 s20, 0
	s_mov_b32 s19, 0
.LBB38_183:                             ;   in Loop: Header=BB38_33 Depth=1
	s_mov_b32 s5, 0
                                        ; implicit-def: $sgpr66
	s_and_saveexec_b32 s12, s4
	s_cbranch_execz .LBB38_294
; %bb.184:                              ;   in Loop: Header=BB38_33 Depth=1
	s_xor_b32 s4, s22, -1
	s_mov_b32 s66, 1
	s_and_not1_b32 vcc_lo, exec_lo, s4
	s_cbranch_vccnz .LBB38_195
; %bb.185:                              ;   in Loop: Header=BB38_33 Depth=1
	v_cmp_gt_i64_e64 s4, s[26:27], s[10:11]
                                        ; implicit-def: $sgpr66
                                        ; implicit-def: $sgpr5
                                        ; implicit-def: $sgpr13
	s_delay_alu instid0(VALU_DEP_1)
	s_and_b32 vcc_lo, exec_lo, s4
	s_mov_b32 s4, -1
	s_cbranch_vccnz .LBB38_191
; %bb.186:                              ;   in Loop: Header=BB38_33 Depth=1
	ds_load_b64 v[2:3], v13 offset:5120
	s_waitcnt lgkmcnt(0)
	v_cmp_ne_u64_e32 vcc_lo, 0, v[2:3]
	s_cbranch_vccnz .LBB38_190
; %bb.187:                              ;   in Loop: Header=BB38_33 Depth=1
	s_and_saveexec_b32 s4, s0
	s_cbranch_execz .LBB38_189
; %bb.188:                              ;   in Loop: Header=BB38_33 Depth=1
	v_dual_mov_b32 v2, s10 :: v_dual_mov_b32 v3, s11
	ds_store_b64 v13, v[2:3] offset:5128
.LBB38_189:                             ;   in Loop: Header=BB38_33 Depth=1
	s_or_b32 exec_lo, exec_lo, s4
	s_waitcnt lgkmcnt(0)
	s_barrier
	buffer_gl0_inv
.LBB38_190:                             ;   in Loop: Header=BB38_33 Depth=1
	s_lshl_b32 s4, 1, s17
	s_and_b32 s5, s58, s18
	s_or_b32 s13, s57, s16
	s_or_b32 s5, s5, s4
	s_mov_b32 s4, 0
	s_mov_b32 s66, 8
.LBB38_191:                             ;   in Loop: Header=BB38_33 Depth=1
	s_and_not1_b32 vcc_lo, exec_lo, s4
	s_cbranch_vccnz .LBB38_193
; %bb.192:                              ;   in Loop: Header=BB38_33 Depth=1
	s_sub_u32 s26, s26, s10
	s_subb_u32 s27, s27, s11
	s_mov_b32 s4, -1
	s_mov_b32 s66, 0
	s_mov_b32 s5, s58
	;; [unrolled: 1-line block ×3, first 2 shown]
.LBB38_193:                             ;   in Loop: Header=BB38_33 Depth=1
	s_delay_alu instid0(SALU_CYCLE_1)
	s_mov_b32 s57, s13
	s_mov_b32 s58, s5
	s_and_not1_b32 vcc_lo, exec_lo, s4
	s_mov_b32 s5, -1
	s_cbranch_vccz .LBB38_196
.LBB38_194:                             ;   in Loop: Header=BB38_33 Depth=1
                                        ; implicit-def: $sgpr22
                                        ; implicit-def: $sgpr23
                                        ; implicit-def: $sgpr13
	s_branch .LBB38_293
.LBB38_195:                             ;   in Loop: Header=BB38_33 Depth=1
	s_mov_b64 s[26:27], 1
	s_mov_b32 s5, -1
	s_cbranch_execnz .LBB38_194
.LBB38_196:                             ;   in Loop: Header=BB38_33 Depth=1
	s_cmp_eq_u64 s[8:9], 1
	s_cselect_b32 s4, -1, 0
	s_cmp_eq_u64 s[26:27], 1
	s_cselect_b32 s5, -1, 0
	s_delay_alu instid0(SALU_CYCLE_1)
	s_and_b32 s59, s4, s5
	s_mov_b32 s4, -1
	s_and_b32 vcc_lo, exec_lo, s59
	s_cbranch_vccz .LBB38_211
; %bb.197:                              ;   in Loop: Header=BB38_33 Depth=1
	ds_load_b64 v[2:3], v13 offset:5120
	s_waitcnt lgkmcnt(0)
	s_barrier
	buffer_gl0_inv
	v_readfirstlane_b32 s10, v2
	v_readfirstlane_b32 s11, v3
	s_and_saveexec_b32 s4, s3
	s_cbranch_execz .LBB38_199
; %bb.198:                              ;   in Loop: Header=BB38_33 Depth=1
	ds_store_b16 v35, v13
.LBB38_199:                             ;   in Loop: Header=BB38_33 Depth=1
	s_or_b32 exec_lo, exec_lo, s4
	s_delay_alu instid0(VALU_DEP_1)
	v_cmp_gt_i64_e64 s13, s[10:11], 0
	s_lshl_b32 s4, 2, s17
	s_and_b32 s5, s58, s18
	s_or_b32 s57, s57, s16
	s_or_b32 s58, s5, s4
	s_waitcnt lgkmcnt(0)
	s_and_b32 vcc_lo, exec_lo, s13
	s_barrier
	buffer_gl0_inv
	s_cbranch_vccnz .LBB38_214
; %bb.200:                              ;   in Loop: Header=BB38_33 Depth=1
	s_mov_b32 s72, s67
	s_delay_alu instid0(SALU_CYCLE_1)
	s_cmp_lg_u64 s[72:73], 0
	s_cbranch_scc0 .LBB38_259
; %bb.201:                              ;   in Loop: Header=BB38_33 Depth=1
	v_cvt_f32_u32_e32 v2, s33
	s_sub_u32 s13, 0, s33
	s_subb_u32 s22, 0, 0
	s_delay_alu instid0(VALU_DEP_1) | instskip(NEXT) | instid1(VALU_DEP_1)
	v_fmac_f32_e32 v2, 0x4f800000, v43
	v_rcp_f32_e32 v2, v2
	s_waitcnt_depctr 0xfff
	v_mul_f32_e32 v2, 0x5f7ffffc, v2
	s_delay_alu instid0(VALU_DEP_1) | instskip(NEXT) | instid1(VALU_DEP_1)
	v_mul_f32_e32 v3, 0x2f800000, v2
	v_trunc_f32_e32 v3, v3
	s_delay_alu instid0(VALU_DEP_1) | instskip(SKIP_1) | instid1(VALU_DEP_2)
	v_fmac_f32_e32 v2, 0xcf800000, v3
	v_cvt_u32_f32_e32 v3, v3
	v_cvt_u32_f32_e32 v2, v2
	s_delay_alu instid0(VALU_DEP_2) | instskip(NEXT) | instid1(VALU_DEP_2)
	v_readfirstlane_b32 s4, v3
	v_readfirstlane_b32 s5, v2
	s_delay_alu instid0(VALU_DEP_2) | instskip(NEXT) | instid1(VALU_DEP_1)
	s_mul_i32 s23, s13, s4
	s_mul_hi_u32 s45, s13, s5
	s_mul_i32 s44, s22, s5
	s_add_i32 s23, s45, s23
	s_mul_i32 s46, s13, s5
	s_add_i32 s23, s23, s44
	s_mul_hi_u32 s45, s5, s46
	s_mul_hi_u32 s47, s4, s46
	s_mul_i32 s44, s4, s46
	s_mul_hi_u32 s46, s5, s23
	s_mul_i32 s5, s5, s23
	s_mul_hi_u32 s66, s4, s23
	s_add_u32 s5, s45, s5
	s_addc_u32 s45, 0, s46
	s_add_u32 s5, s5, s44
	s_mul_i32 s23, s4, s23
	s_addc_u32 s5, s45, s47
	s_addc_u32 s44, s66, 0
	s_add_u32 s5, s5, s23
	s_addc_u32 s23, 0, s44
	v_add_co_u32 v2, s5, v2, s5
	s_delay_alu instid0(VALU_DEP_1) | instskip(SKIP_1) | instid1(VALU_DEP_1)
	s_cmp_lg_u32 s5, 0
	s_addc_u32 s4, s4, s23
	v_readfirstlane_b32 s5, v2
	s_mul_i32 s23, s13, s4
	s_delay_alu instid0(VALU_DEP_1)
	s_mul_hi_u32 s44, s13, s5
	s_mul_i32 s22, s22, s5
	s_add_i32 s23, s44, s23
	s_mul_i32 s13, s13, s5
	s_add_i32 s23, s23, s22
	s_mul_hi_u32 s44, s4, s13
	s_mul_i32 s45, s4, s13
	s_mul_hi_u32 s13, s5, s13
	s_mul_hi_u32 s46, s5, s23
	s_mul_i32 s5, s5, s23
	s_mul_hi_u32 s22, s4, s23
	s_add_u32 s5, s13, s5
	s_addc_u32 s13, 0, s46
	s_add_u32 s5, s5, s45
	s_mul_i32 s23, s4, s23
	s_addc_u32 s5, s13, s44
	s_addc_u32 s13, s22, 0
	s_add_u32 s5, s5, s23
	s_addc_u32 s13, 0, s13
	v_add_co_u32 v2, s5, v2, s5
	s_delay_alu instid0(VALU_DEP_1) | instskip(SKIP_2) | instid1(VALU_DEP_1)
	s_cmp_lg_u32 s5, 0
	s_addc_u32 s13, s4, s13
	s_ashr_i32 s22, s73, 31
	v_readfirstlane_b32 s44, v2
	s_add_u32 s4, s95, s22
	s_mov_b32 s23, s22
	s_addc_u32 s5, s73, s22
	s_delay_alu instid0(SALU_CYCLE_1) | instskip(NEXT) | instid1(SALU_CYCLE_1)
	s_xor_b64 s[4:5], s[4:5], s[22:23]
	s_mul_i32 s45, s4, s13
	s_mul_hi_u32 s46, s4, s44
	s_mul_hi_u32 s23, s4, s13
	;; [unrolled: 1-line block ×3, first 2 shown]
	s_mul_i32 s44, s5, s44
	s_add_u32 s45, s46, s45
	s_addc_u32 s23, 0, s23
	s_mul_hi_u32 s47, s5, s13
	s_add_u32 s44, s45, s44
	s_mul_i32 s13, s5, s13
	s_addc_u32 s23, s23, s66
	s_addc_u32 s44, s47, 0
	s_add_u32 s13, s23, s13
	s_addc_u32 s23, 0, s44
	s_mul_hi_u32 s44, s33, s13
	s_mul_i32 s13, s33, s13
	s_mul_i32 s23, s33, s23
	v_sub_co_u32 v2, s4, s4, s13
	s_add_i32 s44, s44, s23
	s_cmp_lg_u32 s4, 0
	s_delay_alu instid0(VALU_DEP_1) | instskip(SKIP_2) | instid1(VALU_DEP_1)
	v_sub_co_u32 v3, s4, v2, s33
	s_subb_u32 s5, s5, s44
	s_cmp_lg_u32 s4, 0
	v_cmp_le_u32_e32 vcc_lo, s33, v3
	v_sub_co_u32 v4, s4, v3, s33
	s_subb_u32 s13, s5, 0
	s_cmp_lg_u32 s4, 0
	v_cmp_le_u32_e64 s4, s33, v2
	s_subb_u32 s23, s13, 0
	v_cndmask_b32_e64 v5, 0, -1, vcc_lo
	s_cmp_eq_u32 s13, 0
	s_cselect_b32 vcc_lo, -1, 0
	v_cndmask_b32_e64 v6, 0, -1, s4
	s_delay_alu instid0(VALU_DEP_2) | instskip(SKIP_2) | instid1(VALU_DEP_1)
	v_cndmask_b32_e32 v5, -1, v5, vcc_lo
	s_cmp_eq_u32 s5, 0
	s_cselect_b32 vcc_lo, -1, 0
	v_cmp_ne_u32_e64 s4, 0, v5
	v_dual_cndmask_b32 v5, -1, v6 :: v_dual_mov_b32 v6, s23
	s_delay_alu instid0(VALU_DEP_2) | instskip(NEXT) | instid1(VALU_DEP_2)
	v_cndmask_b32_e64 v3, v3, v4, s4
	v_cmp_ne_u32_e32 vcc_lo, 0, v5
	s_delay_alu instid0(VALU_DEP_3) | instskip(NEXT) | instid1(VALU_DEP_3)
	v_cndmask_b32_e64 v4, s13, v6, s4
	v_cndmask_b32_e32 v2, v2, v3, vcc_lo
	s_delay_alu instid0(VALU_DEP_2) | instskip(NEXT) | instid1(VALU_DEP_2)
	v_cndmask_b32_e32 v3, s5, v4, vcc_lo
	v_xor_b32_e32 v2, s22, v2
	s_delay_alu instid0(VALU_DEP_2) | instskip(NEXT) | instid1(VALU_DEP_2)
	v_xor_b32_e32 v3, s22, v3
	v_sub_co_u32 v2, vcc_lo, v2, s22
	s_delay_alu instid0(VALU_DEP_2)
	v_subrev_co_ci_u32_e32 v3, vcc_lo, s22, v3, vcc_lo
	s_cbranch_execnz .LBB38_203
.LBB38_202:                             ;   in Loop: Header=BB38_33 Depth=1
	v_cvt_f32_u32_e32 v2, s33
	s_sub_i32 s4, 0, s33
	s_delay_alu instid0(VALU_DEP_1) | instskip(SKIP_2) | instid1(VALU_DEP_1)
	v_rcp_iflag_f32_e32 v2, v2
	s_waitcnt_depctr 0xfff
	v_mul_f32_e32 v2, 0x4f7ffffe, v2
	v_cvt_u32_f32_e32 v2, v2
	s_delay_alu instid0(VALU_DEP_1) | instskip(NEXT) | instid1(VALU_DEP_1)
	v_mul_lo_u32 v3, s4, v2
	v_mul_hi_u32 v3, v2, v3
	s_delay_alu instid0(VALU_DEP_1) | instskip(NEXT) | instid1(VALU_DEP_1)
	v_add_nc_u32_e32 v2, v2, v3
	v_mul_hi_u32 v2, s95, v2
	s_delay_alu instid0(VALU_DEP_1) | instskip(NEXT) | instid1(VALU_DEP_1)
	v_mul_lo_u32 v2, v2, s33
	v_sub_nc_u32_e32 v2, s95, v2
	s_delay_alu instid0(VALU_DEP_1) | instskip(SKIP_1) | instid1(VALU_DEP_2)
	v_subrev_nc_u32_e32 v3, s33, v2
	v_cmp_le_u32_e32 vcc_lo, s33, v2
	v_cndmask_b32_e32 v2, v2, v3, vcc_lo
	s_delay_alu instid0(VALU_DEP_1) | instskip(SKIP_1) | instid1(VALU_DEP_2)
	v_subrev_nc_u32_e32 v3, s33, v2
	v_cmp_le_u32_e32 vcc_lo, s33, v2
	v_cndmask_b32_e32 v12, v2, v3, vcc_lo
	s_delay_alu instid0(VALU_DEP_1)
	v_dual_mov_b32 v2, v12 :: v_dual_mov_b32 v3, v13
.LBB38_203:                             ;   in Loop: Header=BB38_33 Depth=1
	s_delay_alu instid0(VALU_DEP_1) | instskip(NEXT) | instid1(VALU_DEP_2)
	v_sub_co_u32 v2, vcc_lo, s95, v2
	v_sub_co_ci_u32_e32 v3, vcc_lo, s73, v3, vcc_lo
	s_mov_b32 s4, 0
	s_mov_b32 s5, exec_lo
                                        ; implicit-def: $vgpr44
	s_delay_alu instid0(VALU_DEP_1)
	v_cmpx_gt_i64_e64 v[2:3], v[0:1]
	s_cbranch_execz .LBB38_216
; %bb.204:                              ;   in Loop: Header=BB38_33 Depth=1
	v_dual_mov_b32 v4, v10 :: v_dual_mov_b32 v5, v11
	v_dual_mov_b32 v7, v1 :: v_dual_mov_b32 v6, v0
	s_mov_b32 s13, 0
                                        ; implicit-def: $sgpr22
	s_set_inst_prefetch_distance 0x1
	s_branch .LBB38_206
	.p2align	6
.LBB38_205:                             ;   in Loop: Header=BB38_206 Depth=2
	s_or_b32 exec_lo, exec_lo, s4
	s_waitcnt vmcnt(0) lgkmcnt(0)
	s_barrier
	buffer_gl0_inv
	ds_load_b32 v8, v13 offset:3072
	v_add_co_u32 v6, vcc_lo, v6, s33
	v_add_co_ci_u32_e32 v7, vcc_lo, 0, v7, vcc_lo
	s_waitcnt lgkmcnt(0)
	s_barrier
	buffer_gl0_inv
	v_cmp_ge_i64_e32 vcc_lo, v[6:7], v[2:3]
	v_cmp_ne_u16_e64 s4, 0, v8
	s_delay_alu instid0(VALU_DEP_1)
	s_or_b32 s23, s4, vcc_lo
	v_add_co_u32 v4, vcc_lo, v4, s68
	s_and_b32 s23, exec_lo, s23
	v_add_co_ci_u32_e32 v5, vcc_lo, s69, v5, vcc_lo
	s_or_b32 s13, s23, s13
	s_and_not1_b32 s22, s22, exec_lo
	s_and_b32 s4, s4, exec_lo
	s_delay_alu instid0(SALU_CYCLE_1)
	s_or_b32 s22, s22, s4
	s_and_not1_b32 exec_lo, exec_lo, s13
	s_cbranch_execz .LBB38_215
.LBB38_206:                             ;   Parent Loop BB38_33 Depth=1
                                        ; =>  This Inner Loop Header: Depth=2
	s_delay_alu instid0(VALU_DEP_1)
	v_cmp_gt_i64_e32 vcc_lo, s[24:25], v[6:7]
	v_mov_b32_e32 v8, 0
	s_and_saveexec_b32 s4, vcc_lo
	s_cbranch_execz .LBB38_208
; %bb.207:                              ;   in Loop: Header=BB38_206 Depth=2
	global_load_u16 v8, v[4:5], off
.LBB38_208:                             ;   in Loop: Header=BB38_206 Depth=2
	s_or_b32 exec_lo, exec_lo, s4
	s_and_saveexec_b32 s4, vcc_lo
	s_cbranch_execz .LBB38_205
; %bb.209:                              ;   in Loop: Header=BB38_206 Depth=2
	s_waitcnt vmcnt(0)
	v_bfe_i32 v9, v8, 0, 16
	s_delay_alu instid0(VALU_DEP_1) | instskip(NEXT) | instid1(VALU_DEP_1)
	v_add_nc_u32_e32 v9, 0x8000, v9
	v_and_b32_e32 v9, s57, v9
	s_delay_alu instid0(VALU_DEP_1)
	v_cmp_eq_u32_e32 vcc_lo, s58, v9
	s_and_b32 exec_lo, exec_lo, vcc_lo
	s_cbranch_execz .LBB38_205
; %bb.210:                              ;   in Loop: Header=BB38_206 Depth=2
	v_perm_b32 v8, v8, 1, 0x5040100
	ds_store_b32 v13, v8 offset:3072
	s_branch .LBB38_205
.LBB38_211:                             ;   in Loop: Header=BB38_33 Depth=1
                                        ; implicit-def: $sgpr13
                                        ; implicit-def: $sgpr23
                                        ; implicit-def: $sgpr22
	s_branch .LBB38_230
.LBB38_212:                             ;   in Loop: Header=BB38_33 Depth=1
                                        ; implicit-def: $vgpr2_vgpr3
	s_branch .LBB38_155
.LBB38_213:                             ;   in Loop: Header=BB38_33 Depth=1
                                        ; implicit-def: $vgpr2_vgpr3
	s_branch .LBB38_172
.LBB38_214:                             ;   in Loop: Header=BB38_33 Depth=1
	s_mov_b32 s13, -1
	s_mov_b32 s4, 0
                                        ; implicit-def: $sgpr22
                                        ; implicit-def: $vgpr44
	s_mov_b32 s23, s13
	s_cbranch_execnz .LBB38_217
	s_branch .LBB38_230
.LBB38_215:                             ;   in Loop: Header=BB38_33 Depth=1
	s_set_inst_prefetch_distance 0x2
	s_or_b32 exec_lo, exec_lo, s13
	v_lshrrev_b32_e32 v44, 16, v8
	s_and_b32 s4, s22, exec_lo
.LBB38_216:                             ;   in Loop: Header=BB38_33 Depth=1
	s_or_b32 exec_lo, exec_lo, s5
	s_mov_b32 s22, -1
	s_mov_b32 s13, 0
	s_delay_alu instid0(SALU_CYCLE_1)
	s_mov_b32 s23, s13
	s_branch .LBB38_230
.LBB38_217:                             ;   in Loop: Header=BB38_33 Depth=1
	s_add_u32 s13, s93, s10
	s_addc_u32 s5, s94, s11
	s_mov_b32 s4, s67
	s_delay_alu instid0(SALU_CYCLE_1)
	s_cmp_lg_u64 s[4:5], 0
	s_cbranch_scc0 .LBB38_260
; %bb.218:                              ;   in Loop: Header=BB38_33 Depth=1
	v_cvt_f32_u32_e32 v2, s33
	s_sub_u32 s23, 0, s33
	s_subb_u32 s44, 0, 0
	s_delay_alu instid0(VALU_DEP_1) | instskip(NEXT) | instid1(VALU_DEP_1)
	v_fmac_f32_e32 v2, 0x4f800000, v43
	v_rcp_f32_e32 v2, v2
	s_waitcnt_depctr 0xfff
	v_mul_f32_e32 v2, 0x5f7ffffc, v2
	s_delay_alu instid0(VALU_DEP_1) | instskip(NEXT) | instid1(VALU_DEP_1)
	v_mul_f32_e32 v3, 0x2f800000, v2
	v_trunc_f32_e32 v3, v3
	s_delay_alu instid0(VALU_DEP_1) | instskip(SKIP_1) | instid1(VALU_DEP_2)
	v_fmac_f32_e32 v2, 0xcf800000, v3
	v_cvt_u32_f32_e32 v3, v3
	v_cvt_u32_f32_e32 v2, v2
	s_delay_alu instid0(VALU_DEP_2) | instskip(NEXT) | instid1(VALU_DEP_2)
	v_readfirstlane_b32 s4, v3
	v_readfirstlane_b32 s22, v2
	s_delay_alu instid0(VALU_DEP_2) | instskip(NEXT) | instid1(VALU_DEP_1)
	s_mul_i32 s45, s23, s4
	s_mul_hi_u32 s47, s23, s22
	s_mul_i32 s46, s44, s22
	s_add_i32 s45, s47, s45
	s_mul_i32 s66, s23, s22
	s_add_i32 s45, s45, s46
	s_mul_hi_u32 s47, s22, s66
	s_mul_hi_u32 s72, s4, s66
	s_mul_i32 s46, s4, s66
	s_mul_hi_u32 s66, s22, s45
	s_mul_i32 s22, s22, s45
	s_mul_hi_u32 s82, s4, s45
	s_add_u32 s22, s47, s22
	s_addc_u32 s47, 0, s66
	s_add_u32 s22, s22, s46
	s_mul_i32 s45, s4, s45
	s_addc_u32 s22, s47, s72
	s_addc_u32 s46, s82, 0
	s_add_u32 s22, s22, s45
	s_addc_u32 s45, 0, s46
	v_add_co_u32 v2, s22, v2, s22
	s_delay_alu instid0(VALU_DEP_1) | instskip(SKIP_1) | instid1(VALU_DEP_1)
	s_cmp_lg_u32 s22, 0
	s_addc_u32 s4, s4, s45
	v_readfirstlane_b32 s22, v2
	s_mul_i32 s45, s23, s4
	s_delay_alu instid0(VALU_DEP_1)
	s_mul_hi_u32 s46, s23, s22
	s_mul_i32 s44, s44, s22
	s_add_i32 s45, s46, s45
	s_mul_i32 s23, s23, s22
	s_add_i32 s45, s45, s44
	s_mul_hi_u32 s46, s4, s23
	s_mul_i32 s47, s4, s23
	s_mul_hi_u32 s23, s22, s23
	s_mul_hi_u32 s66, s22, s45
	s_mul_i32 s22, s22, s45
	s_mul_hi_u32 s44, s4, s45
	s_add_u32 s22, s23, s22
	s_addc_u32 s23, 0, s66
	s_add_u32 s22, s22, s47
	s_mul_i32 s45, s4, s45
	s_addc_u32 s22, s23, s46
	s_addc_u32 s23, s44, 0
	s_add_u32 s22, s22, s45
	s_addc_u32 s23, 0, s23
	v_add_co_u32 v2, s22, v2, s22
	s_delay_alu instid0(VALU_DEP_1) | instskip(SKIP_2) | instid1(VALU_DEP_1)
	s_cmp_lg_u32 s22, 0
	s_addc_u32 s4, s4, s23
	s_ashr_i32 s22, s5, 31
	v_readfirstlane_b32 s46, v2
	s_add_u32 s44, s13, s22
	s_mov_b32 s23, s22
	s_addc_u32 s45, s5, s22
	s_delay_alu instid0(SALU_CYCLE_1) | instskip(NEXT) | instid1(SALU_CYCLE_1)
	s_xor_b64 s[44:45], s[44:45], s[22:23]
	s_mul_i32 s47, s44, s4
	s_mul_hi_u32 s66, s44, s46
	s_mul_hi_u32 s23, s44, s4
	;; [unrolled: 1-line block ×3, first 2 shown]
	s_mul_i32 s46, s45, s46
	s_add_u32 s47, s66, s47
	s_addc_u32 s23, 0, s23
	s_mul_hi_u32 s72, s45, s4
	s_add_u32 s46, s47, s46
	s_mul_i32 s4, s45, s4
	s_addc_u32 s23, s23, s82
	s_addc_u32 s46, s72, 0
	s_add_u32 s4, s23, s4
	s_addc_u32 s23, 0, s46
	s_mul_hi_u32 s46, s33, s4
	s_mul_i32 s4, s33, s4
	s_mul_i32 s23, s33, s23
	v_sub_co_u32 v2, s4, s44, s4
	s_add_i32 s46, s46, s23
	s_cmp_lg_u32 s4, 0
	s_delay_alu instid0(VALU_DEP_1) | instskip(SKIP_2) | instid1(VALU_DEP_1)
	v_sub_co_u32 v3, s4, v2, s33
	s_subb_u32 s23, s45, s46
	s_cmp_lg_u32 s4, 0
	v_cmp_le_u32_e32 vcc_lo, s33, v3
	v_sub_co_u32 v4, s4, v3, s33
	s_subb_u32 s44, s23, 0
	s_cmp_lg_u32 s4, 0
	v_cmp_le_u32_e64 s4, s33, v2
	s_subb_u32 s45, s44, 0
	v_cndmask_b32_e64 v5, 0, -1, vcc_lo
	s_cmp_eq_u32 s44, 0
	s_cselect_b32 vcc_lo, -1, 0
	v_cndmask_b32_e64 v6, 0, -1, s4
	s_delay_alu instid0(VALU_DEP_2) | instskip(SKIP_2) | instid1(VALU_DEP_1)
	v_cndmask_b32_e32 v5, -1, v5, vcc_lo
	s_cmp_eq_u32 s23, 0
	s_cselect_b32 vcc_lo, -1, 0
	v_cmp_ne_u32_e64 s4, 0, v5
	v_dual_cndmask_b32 v5, -1, v6 :: v_dual_mov_b32 v6, s45
	s_delay_alu instid0(VALU_DEP_2) | instskip(NEXT) | instid1(VALU_DEP_2)
	v_cndmask_b32_e64 v3, v3, v4, s4
	v_cmp_ne_u32_e32 vcc_lo, 0, v5
	s_delay_alu instid0(VALU_DEP_3) | instskip(NEXT) | instid1(VALU_DEP_3)
	v_cndmask_b32_e64 v4, s44, v6, s4
	v_cndmask_b32_e32 v2, v2, v3, vcc_lo
	s_delay_alu instid0(VALU_DEP_2) | instskip(NEXT) | instid1(VALU_DEP_2)
	v_cndmask_b32_e32 v3, s23, v4, vcc_lo
	v_xor_b32_e32 v2, s22, v2
	s_delay_alu instid0(VALU_DEP_2) | instskip(NEXT) | instid1(VALU_DEP_2)
	v_xor_b32_e32 v3, s22, v3
	v_sub_co_u32 v2, vcc_lo, v2, s22
	s_delay_alu instid0(VALU_DEP_2)
	v_subrev_co_ci_u32_e32 v3, vcc_lo, s22, v3, vcc_lo
	s_cbranch_execnz .LBB38_220
.LBB38_219:                             ;   in Loop: Header=BB38_33 Depth=1
	v_cvt_f32_u32_e32 v2, s33
	s_sub_i32 s4, 0, s33
	s_delay_alu instid0(VALU_DEP_1) | instskip(SKIP_2) | instid1(VALU_DEP_1)
	v_rcp_iflag_f32_e32 v2, v2
	s_waitcnt_depctr 0xfff
	v_mul_f32_e32 v2, 0x4f7ffffe, v2
	v_cvt_u32_f32_e32 v2, v2
	s_delay_alu instid0(VALU_DEP_1) | instskip(NEXT) | instid1(VALU_DEP_1)
	v_mul_lo_u32 v3, s4, v2
	v_mul_hi_u32 v3, v2, v3
	s_delay_alu instid0(VALU_DEP_1) | instskip(NEXT) | instid1(VALU_DEP_1)
	v_add_nc_u32_e32 v2, v2, v3
	v_mul_hi_u32 v2, s13, v2
	s_delay_alu instid0(VALU_DEP_1) | instskip(NEXT) | instid1(VALU_DEP_1)
	v_mul_lo_u32 v2, v2, s33
	v_sub_nc_u32_e32 v2, s13, v2
	s_delay_alu instid0(VALU_DEP_1) | instskip(SKIP_1) | instid1(VALU_DEP_2)
	v_subrev_nc_u32_e32 v3, s33, v2
	v_cmp_le_u32_e32 vcc_lo, s33, v2
	v_cndmask_b32_e32 v2, v2, v3, vcc_lo
	s_delay_alu instid0(VALU_DEP_1) | instskip(SKIP_1) | instid1(VALU_DEP_2)
	v_subrev_nc_u32_e32 v3, s33, v2
	v_cmp_le_u32_e32 vcc_lo, s33, v2
	v_cndmask_b32_e32 v12, v2, v3, vcc_lo
	s_delay_alu instid0(VALU_DEP_1)
	v_dual_mov_b32 v2, v12 :: v_dual_mov_b32 v3, v13
.LBB38_220:                             ;   in Loop: Header=BB38_33 Depth=1
	s_delay_alu instid0(VALU_DEP_1) | instskip(NEXT) | instid1(VALU_DEP_2)
	v_sub_co_u32 v2, vcc_lo, s13, v2
	v_sub_co_ci_u32_e32 v3, vcc_lo, s5, v3, vcc_lo
	s_mov_b32 s4, 0
	s_mov_b32 s5, exec_lo
                                        ; implicit-def: $vgpr44
	s_delay_alu instid0(VALU_DEP_1)
	v_cmpx_gt_i64_e64 v[2:3], v[0:1]
	s_cbranch_execz .LBB38_229
; %bb.221:                              ;   in Loop: Header=BB38_33 Depth=1
	v_dual_mov_b32 v6, v34 :: v_dual_mov_b32 v5, v1
	v_mov_b32_e32 v4, v0
	s_mov_b32 s13, 0
                                        ; implicit-def: $sgpr22
	s_set_inst_prefetch_distance 0x1
	s_branch .LBB38_223
	.p2align	6
.LBB38_222:                             ;   in Loop: Header=BB38_223 Depth=2
	s_or_b32 exec_lo, exec_lo, s4
	s_waitcnt lgkmcnt(0)
	s_barrier
	buffer_gl0_inv
	ds_load_b32 v7, v13 offset:3072
	v_add_co_u32 v4, vcc_lo, v4, s33
	v_add_co_ci_u32_e32 v5, vcc_lo, 0, v5, vcc_lo
	v_add_nc_u32_e32 v6, s101, v6
	s_waitcnt lgkmcnt(0)
	s_barrier
	s_delay_alu instid0(VALU_DEP_2) | instskip(SKIP_2) | instid1(VALU_DEP_1)
	v_cmp_ge_i64_e32 vcc_lo, v[4:5], v[2:3]
	buffer_gl0_inv
	v_cmp_ne_u16_e64 s4, 0, v7
	s_or_b32 s23, s4, vcc_lo
	s_delay_alu instid0(SALU_CYCLE_1) | instskip(NEXT) | instid1(SALU_CYCLE_1)
	s_and_b32 s23, exec_lo, s23
	s_or_b32 s13, s23, s13
	s_and_not1_b32 s22, s22, exec_lo
	s_and_b32 s4, s4, exec_lo
	s_delay_alu instid0(SALU_CYCLE_1)
	s_or_b32 s22, s22, s4
	s_and_not1_b32 exec_lo, exec_lo, s13
	s_cbranch_execz .LBB38_228
.LBB38_223:                             ;   Parent Loop BB38_33 Depth=1
                                        ; =>  This Inner Loop Header: Depth=2
	s_delay_alu instid0(VALU_DEP_1)
	v_cmp_gt_i64_e32 vcc_lo, s[10:11], v[4:5]
	v_mov_b32_e32 v7, 0
	s_and_saveexec_b32 s4, vcc_lo
	s_cbranch_execz .LBB38_225
; %bb.224:                              ;   in Loop: Header=BB38_223 Depth=2
	ds_load_u16 v7, v6
.LBB38_225:                             ;   in Loop: Header=BB38_223 Depth=2
	s_or_b32 exec_lo, exec_lo, s4
	s_and_saveexec_b32 s4, vcc_lo
	s_cbranch_execz .LBB38_222
; %bb.226:                              ;   in Loop: Header=BB38_223 Depth=2
	s_waitcnt lgkmcnt(0)
	v_bfe_i32 v8, v7, 0, 16
	s_delay_alu instid0(VALU_DEP_1) | instskip(NEXT) | instid1(VALU_DEP_1)
	v_add_nc_u32_e32 v8, 0x8000, v8
	v_and_b32_e32 v8, s57, v8
	s_delay_alu instid0(VALU_DEP_1)
	v_cmp_eq_u32_e32 vcc_lo, s58, v8
	s_and_b32 exec_lo, exec_lo, vcc_lo
	s_cbranch_execz .LBB38_222
; %bb.227:                              ;   in Loop: Header=BB38_223 Depth=2
	v_perm_b32 v7, v7, 1, 0x5040100
	ds_store_b32 v13, v7 offset:3072
	s_branch .LBB38_222
.LBB38_228:                             ;   in Loop: Header=BB38_33 Depth=1
	s_set_inst_prefetch_distance 0x2
	s_or_b32 exec_lo, exec_lo, s13
	v_lshrrev_b32_e32 v44, 16, v7
	s_and_b32 s4, s22, exec_lo
.LBB38_229:                             ;   in Loop: Header=BB38_33 Depth=1
	s_or_b32 exec_lo, exec_lo, s5
	s_mov_b32 s23, -1
	s_mov_b32 s13, 0
	s_mov_b32 s22, 0
.LBB38_230:                             ;   in Loop: Header=BB38_33 Depth=1
	s_mov_b32 s5, 0
                                        ; implicit-def: $sgpr66
	s_and_saveexec_b32 s10, s4
	s_cbranch_execz .LBB38_292
; %bb.231:                              ;   in Loop: Header=BB38_33 Depth=1
	s_xor_b32 s4, s59, -1
	s_mov_b32 s66, 1
	s_and_not1_b32 vcc_lo, exec_lo, s4
	s_cbranch_vccnz .LBB38_242
; %bb.232:                              ;   in Loop: Header=BB38_33 Depth=1
	v_cmp_gt_i64_e64 s4, s[26:27], s[8:9]
                                        ; implicit-def: $sgpr66
                                        ; implicit-def: $sgpr5
                                        ; implicit-def: $sgpr11
	s_delay_alu instid0(VALU_DEP_1)
	s_and_b32 vcc_lo, exec_lo, s4
	s_mov_b32 s4, -1
	s_cbranch_vccnz .LBB38_238
; %bb.233:                              ;   in Loop: Header=BB38_33 Depth=1
	ds_load_b64 v[2:3], v13 offset:5120
	s_waitcnt lgkmcnt(0)
	v_cmp_ne_u64_e32 vcc_lo, 0, v[2:3]
	s_cbranch_vccnz .LBB38_237
; %bb.234:                              ;   in Loop: Header=BB38_33 Depth=1
	s_and_saveexec_b32 s4, s0
	s_cbranch_execz .LBB38_236
; %bb.235:                              ;   in Loop: Header=BB38_33 Depth=1
	v_dual_mov_b32 v2, s8 :: v_dual_mov_b32 v3, s9
	ds_store_b64 v13, v[2:3] offset:5128
.LBB38_236:                             ;   in Loop: Header=BB38_33 Depth=1
	s_or_b32 exec_lo, exec_lo, s4
	s_waitcnt lgkmcnt(0)
	s_barrier
	buffer_gl0_inv
.LBB38_237:                             ;   in Loop: Header=BB38_33 Depth=1
	s_lshl_b32 s4, 2, s17
	s_and_b32 s5, s58, s18
	s_or_b32 s11, s57, s16
	s_or_b32 s5, s5, s4
	s_mov_b32 s4, 0
	s_mov_b32 s66, 8
.LBB38_238:                             ;   in Loop: Header=BB38_33 Depth=1
	s_and_not1_b32 vcc_lo, exec_lo, s4
	s_cbranch_vccnz .LBB38_240
; %bb.239:                              ;   in Loop: Header=BB38_33 Depth=1
	s_sub_u32 s26, s26, s8
	s_subb_u32 s27, s27, s9
	s_mov_b32 s4, -1
	s_mov_b32 s66, 0
	s_mov_b32 s5, s58
	;; [unrolled: 1-line block ×3, first 2 shown]
.LBB38_240:                             ;   in Loop: Header=BB38_33 Depth=1
	s_delay_alu instid0(SALU_CYCLE_1)
	s_mov_b32 s57, s11
	s_mov_b32 s58, s5
	s_and_not1_b32 vcc_lo, exec_lo, s4
	s_mov_b32 s9, -1
	s_cbranch_vccz .LBB38_243
.LBB38_241:                             ;   in Loop: Header=BB38_33 Depth=1
                                        ; implicit-def: $sgpr17
                                        ; implicit-def: $sgpr44
                                        ; implicit-def: $sgpr18
	s_branch .LBB38_291
.LBB38_242:                             ;   in Loop: Header=BB38_33 Depth=1
	s_mov_b64 s[26:27], 1
	s_mov_b32 s9, -1
	s_cbranch_execnz .LBB38_241
.LBB38_243:                             ;   in Loop: Header=BB38_33 Depth=1
	s_cmp_eq_u64 s[6:7], 1
	s_mov_b32 s45, -1
	s_cselect_b32 s4, -1, 0
	s_cmp_eq_u64 s[26:27], 1
	s_cselect_b32 s5, -1, 0
	s_delay_alu instid0(SALU_CYCLE_1) | instskip(NEXT) | instid1(SALU_CYCLE_1)
	s_and_b32 s11, s4, s5
	s_and_b32 vcc_lo, exec_lo, s11
	s_cbranch_vccz .LBB38_258
; %bb.244:                              ;   in Loop: Header=BB38_33 Depth=1
	ds_load_b64 v[2:3], v13 offset:5120
	s_waitcnt lgkmcnt(0)
	s_barrier
	buffer_gl0_inv
	v_readfirstlane_b32 s8, v2
	v_readfirstlane_b32 s9, v3
	s_and_saveexec_b32 s4, s3
	s_cbranch_execz .LBB38_246
; %bb.245:                              ;   in Loop: Header=BB38_33 Depth=1
	ds_store_b16 v35, v13
.LBB38_246:                             ;   in Loop: Header=BB38_33 Depth=1
	s_or_b32 exec_lo, exec_lo, s4
	s_delay_alu instid0(VALU_DEP_1)
	v_cmp_gt_i64_e64 s4, s[8:9], 0
	s_or_b32 s58, s58, s16
	s_or_b32 s57, s57, s16
	s_waitcnt lgkmcnt(0)
	s_barrier
	buffer_gl0_inv
	s_and_b32 vcc_lo, exec_lo, s4
	s_cbranch_vccnz .LBB38_261
; %bb.247:                              ;   in Loop: Header=BB38_33 Depth=1
	s_mov_b32 s72, s67
	s_delay_alu instid0(SALU_CYCLE_1)
	s_cmp_lg_u64 s[72:73], 0
	s_cbranch_scc0 .LBB38_297
; %bb.248:                              ;   in Loop: Header=BB38_33 Depth=1
	v_cvt_f32_u32_e32 v2, s33
	s_sub_u32 s17, 0, s33
	s_subb_u32 s18, 0, 0
	s_delay_alu instid0(VALU_DEP_1) | instskip(NEXT) | instid1(VALU_DEP_1)
	v_fmac_f32_e32 v2, 0x4f800000, v43
	v_rcp_f32_e32 v2, v2
	s_waitcnt_depctr 0xfff
	v_mul_f32_e32 v2, 0x5f7ffffc, v2
	s_delay_alu instid0(VALU_DEP_1) | instskip(NEXT) | instid1(VALU_DEP_1)
	v_mul_f32_e32 v3, 0x2f800000, v2
	v_trunc_f32_e32 v3, v3
	s_delay_alu instid0(VALU_DEP_1) | instskip(SKIP_1) | instid1(VALU_DEP_2)
	v_fmac_f32_e32 v2, 0xcf800000, v3
	v_cvt_u32_f32_e32 v3, v3
	v_cvt_u32_f32_e32 v2, v2
	s_delay_alu instid0(VALU_DEP_2) | instskip(NEXT) | instid1(VALU_DEP_2)
	v_readfirstlane_b32 s4, v3
	v_readfirstlane_b32 s5, v2
	s_delay_alu instid0(VALU_DEP_2) | instskip(NEXT) | instid1(VALU_DEP_1)
	s_mul_i32 s44, s17, s4
	s_mul_hi_u32 s46, s17, s5
	s_mul_i32 s45, s18, s5
	s_add_i32 s44, s46, s44
	s_mul_i32 s47, s17, s5
	s_add_i32 s44, s44, s45
	s_mul_hi_u32 s46, s5, s47
	s_mul_hi_u32 s59, s4, s47
	s_mul_i32 s45, s4, s47
	s_mul_hi_u32 s47, s5, s44
	s_mul_i32 s5, s5, s44
	s_mul_hi_u32 s66, s4, s44
	s_add_u32 s5, s46, s5
	s_addc_u32 s46, 0, s47
	s_add_u32 s5, s5, s45
	s_mul_i32 s44, s4, s44
	s_addc_u32 s5, s46, s59
	s_addc_u32 s45, s66, 0
	s_add_u32 s5, s5, s44
	s_addc_u32 s44, 0, s45
	v_add_co_u32 v2, s5, v2, s5
	s_delay_alu instid0(VALU_DEP_1) | instskip(SKIP_1) | instid1(VALU_DEP_1)
	s_cmp_lg_u32 s5, 0
	s_addc_u32 s4, s4, s44
	v_readfirstlane_b32 s5, v2
	s_mul_i32 s44, s17, s4
	s_delay_alu instid0(VALU_DEP_1)
	s_mul_hi_u32 s45, s17, s5
	s_mul_i32 s18, s18, s5
	s_add_i32 s44, s45, s44
	s_mul_i32 s17, s17, s5
	s_add_i32 s44, s44, s18
	s_mul_hi_u32 s45, s4, s17
	s_mul_i32 s46, s4, s17
	s_mul_hi_u32 s17, s5, s17
	s_mul_hi_u32 s47, s5, s44
	s_mul_i32 s5, s5, s44
	s_mul_hi_u32 s18, s4, s44
	s_add_u32 s5, s17, s5
	s_addc_u32 s17, 0, s47
	s_add_u32 s5, s5, s46
	s_mul_i32 s44, s4, s44
	s_addc_u32 s5, s17, s45
	s_addc_u32 s17, s18, 0
	s_add_u32 s5, s5, s44
	s_addc_u32 s17, 0, s17
	v_add_co_u32 v2, s5, v2, s5
	s_delay_alu instid0(VALU_DEP_1) | instskip(SKIP_2) | instid1(VALU_DEP_1)
	s_cmp_lg_u32 s5, 0
	s_addc_u32 s17, s4, s17
	s_ashr_i32 s44, s73, 31
	v_readfirstlane_b32 s18, v2
	s_add_u32 s4, s95, s44
	s_mov_b32 s45, s44
	s_addc_u32 s5, s73, s44
	s_delay_alu instid0(SALU_CYCLE_1) | instskip(NEXT) | instid1(SALU_CYCLE_1)
	s_xor_b64 s[4:5], s[4:5], s[44:45]
	s_mul_i32 s46, s4, s17
	s_mul_hi_u32 s47, s4, s18
	s_mul_hi_u32 s45, s4, s17
	;; [unrolled: 1-line block ×3, first 2 shown]
	s_mul_i32 s18, s5, s18
	s_add_u32 s46, s47, s46
	s_addc_u32 s45, 0, s45
	s_mul_hi_u32 s59, s5, s17
	s_add_u32 s18, s46, s18
	s_mul_i32 s17, s5, s17
	s_addc_u32 s18, s45, s66
	s_addc_u32 s45, s59, 0
	s_add_u32 s17, s18, s17
	s_addc_u32 s18, 0, s45
	s_mul_hi_u32 s45, s33, s17
	s_mul_i32 s17, s33, s17
	s_mul_i32 s18, s33, s18
	v_sub_co_u32 v2, s4, s4, s17
	s_add_i32 s45, s45, s18
	s_cmp_lg_u32 s4, 0
	s_delay_alu instid0(VALU_DEP_1) | instskip(SKIP_2) | instid1(VALU_DEP_1)
	v_sub_co_u32 v3, s4, v2, s33
	s_subb_u32 s5, s5, s45
	s_cmp_lg_u32 s4, 0
	v_cmp_le_u32_e32 vcc_lo, s33, v3
	v_sub_co_u32 v4, s4, v3, s33
	s_subb_u32 s17, s5, 0
	s_cmp_lg_u32 s4, 0
	v_cmp_le_u32_e64 s4, s33, v2
	s_subb_u32 s18, s17, 0
	v_cndmask_b32_e64 v5, 0, -1, vcc_lo
	s_cmp_eq_u32 s17, 0
	s_cselect_b32 vcc_lo, -1, 0
	v_cndmask_b32_e64 v6, 0, -1, s4
	s_delay_alu instid0(VALU_DEP_2) | instskip(SKIP_2) | instid1(VALU_DEP_1)
	v_cndmask_b32_e32 v5, -1, v5, vcc_lo
	s_cmp_eq_u32 s5, 0
	s_cselect_b32 vcc_lo, -1, 0
	v_cmp_ne_u32_e64 s4, 0, v5
	v_dual_cndmask_b32 v5, -1, v6 :: v_dual_mov_b32 v6, s18
	s_delay_alu instid0(VALU_DEP_2) | instskip(NEXT) | instid1(VALU_DEP_2)
	v_cndmask_b32_e64 v3, v3, v4, s4
	v_cmp_ne_u32_e32 vcc_lo, 0, v5
	s_delay_alu instid0(VALU_DEP_3) | instskip(NEXT) | instid1(VALU_DEP_3)
	v_cndmask_b32_e64 v4, s17, v6, s4
	v_cndmask_b32_e32 v2, v2, v3, vcc_lo
	s_delay_alu instid0(VALU_DEP_2) | instskip(NEXT) | instid1(VALU_DEP_2)
	v_cndmask_b32_e32 v3, s5, v4, vcc_lo
	v_xor_b32_e32 v2, s44, v2
	s_delay_alu instid0(VALU_DEP_2) | instskip(NEXT) | instid1(VALU_DEP_2)
	v_xor_b32_e32 v3, s44, v3
	v_sub_co_u32 v2, vcc_lo, v2, s44
	s_delay_alu instid0(VALU_DEP_2)
	v_subrev_co_ci_u32_e32 v3, vcc_lo, s44, v3, vcc_lo
	s_cbranch_execnz .LBB38_250
.LBB38_249:                             ;   in Loop: Header=BB38_33 Depth=1
	v_cvt_f32_u32_e32 v2, s33
	s_sub_i32 s4, 0, s33
	s_delay_alu instid0(VALU_DEP_1) | instskip(SKIP_2) | instid1(VALU_DEP_1)
	v_rcp_iflag_f32_e32 v2, v2
	s_waitcnt_depctr 0xfff
	v_mul_f32_e32 v2, 0x4f7ffffe, v2
	v_cvt_u32_f32_e32 v2, v2
	s_delay_alu instid0(VALU_DEP_1) | instskip(NEXT) | instid1(VALU_DEP_1)
	v_mul_lo_u32 v3, s4, v2
	v_mul_hi_u32 v3, v2, v3
	s_delay_alu instid0(VALU_DEP_1) | instskip(NEXT) | instid1(VALU_DEP_1)
	v_add_nc_u32_e32 v2, v2, v3
	v_mul_hi_u32 v2, s95, v2
	s_delay_alu instid0(VALU_DEP_1) | instskip(NEXT) | instid1(VALU_DEP_1)
	v_mul_lo_u32 v2, v2, s33
	v_sub_nc_u32_e32 v2, s95, v2
	s_delay_alu instid0(VALU_DEP_1) | instskip(SKIP_1) | instid1(VALU_DEP_2)
	v_subrev_nc_u32_e32 v3, s33, v2
	v_cmp_le_u32_e32 vcc_lo, s33, v2
	v_cndmask_b32_e32 v2, v2, v3, vcc_lo
	s_delay_alu instid0(VALU_DEP_1) | instskip(SKIP_1) | instid1(VALU_DEP_2)
	v_subrev_nc_u32_e32 v3, s33, v2
	v_cmp_le_u32_e32 vcc_lo, s33, v2
	v_cndmask_b32_e32 v12, v2, v3, vcc_lo
	s_delay_alu instid0(VALU_DEP_1)
	v_dual_mov_b32 v2, v12 :: v_dual_mov_b32 v3, v13
.LBB38_250:                             ;   in Loop: Header=BB38_33 Depth=1
	s_delay_alu instid0(VALU_DEP_1) | instskip(NEXT) | instid1(VALU_DEP_2)
	v_sub_co_u32 v2, vcc_lo, s95, v2
	v_sub_co_ci_u32_e32 v3, vcc_lo, s73, v3, vcc_lo
	s_mov_b32 s45, 0
	s_mov_b32 s5, exec_lo
                                        ; implicit-def: $vgpr44
	s_delay_alu instid0(VALU_DEP_1)
	v_cmpx_gt_i64_e64 v[2:3], v[0:1]
	s_cbranch_execz .LBB38_263
; %bb.251:                              ;   in Loop: Header=BB38_33 Depth=1
	v_dual_mov_b32 v4, v10 :: v_dual_mov_b32 v5, v11
	v_dual_mov_b32 v7, v1 :: v_dual_mov_b32 v6, v0
	s_mov_b32 s17, 0
                                        ; implicit-def: $sgpr18
	s_set_inst_prefetch_distance 0x1
	s_branch .LBB38_253
	.p2align	6
.LBB38_252:                             ;   in Loop: Header=BB38_253 Depth=2
	s_or_b32 exec_lo, exec_lo, s4
	s_waitcnt vmcnt(0) lgkmcnt(0)
	s_barrier
	buffer_gl0_inv
	ds_load_b32 v8, v13 offset:3072
	v_add_co_u32 v6, vcc_lo, v6, s33
	v_add_co_ci_u32_e32 v7, vcc_lo, 0, v7, vcc_lo
	s_waitcnt lgkmcnt(0)
	s_barrier
	buffer_gl0_inv
	v_cmp_ge_i64_e32 vcc_lo, v[6:7], v[2:3]
	v_cmp_ne_u16_e64 s4, 0, v8
	s_delay_alu instid0(VALU_DEP_1)
	s_or_b32 s44, s4, vcc_lo
	v_add_co_u32 v4, vcc_lo, v4, s68
	s_and_b32 s44, exec_lo, s44
	v_add_co_ci_u32_e32 v5, vcc_lo, s69, v5, vcc_lo
	s_or_b32 s17, s44, s17
	s_and_not1_b32 s18, s18, exec_lo
	s_and_b32 s4, s4, exec_lo
	s_delay_alu instid0(SALU_CYCLE_1)
	s_or_b32 s18, s18, s4
	s_and_not1_b32 exec_lo, exec_lo, s17
	s_cbranch_execz .LBB38_262
.LBB38_253:                             ;   Parent Loop BB38_33 Depth=1
                                        ; =>  This Inner Loop Header: Depth=2
	s_delay_alu instid0(VALU_DEP_1)
	v_cmp_gt_i64_e32 vcc_lo, s[24:25], v[6:7]
	v_mov_b32_e32 v8, 0
	s_and_saveexec_b32 s4, vcc_lo
	s_cbranch_execz .LBB38_255
; %bb.254:                              ;   in Loop: Header=BB38_253 Depth=2
	global_load_u16 v8, v[4:5], off
.LBB38_255:                             ;   in Loop: Header=BB38_253 Depth=2
	s_or_b32 exec_lo, exec_lo, s4
	s_and_saveexec_b32 s4, vcc_lo
	s_cbranch_execz .LBB38_252
; %bb.256:                              ;   in Loop: Header=BB38_253 Depth=2
	s_waitcnt vmcnt(0)
	v_bfe_i32 v9, v8, 0, 16
	s_delay_alu instid0(VALU_DEP_1) | instskip(NEXT) | instid1(VALU_DEP_1)
	v_add_nc_u32_e32 v9, 0x8000, v9
	v_and_b32_e32 v9, s57, v9
	s_delay_alu instid0(VALU_DEP_1)
	v_cmp_eq_u32_e32 vcc_lo, s58, v9
	s_and_b32 exec_lo, exec_lo, vcc_lo
	s_cbranch_execz .LBB38_252
; %bb.257:                              ;   in Loop: Header=BB38_253 Depth=2
	v_perm_b32 v8, v8, 1, 0x5040100
	ds_store_b32 v13, v8 offset:3072
	s_branch .LBB38_252
.LBB38_258:                             ;   in Loop: Header=BB38_33 Depth=1
                                        ; implicit-def: $sgpr17
                                        ; implicit-def: $sgpr44
                                        ; implicit-def: $sgpr18
	s_branch .LBB38_277
.LBB38_259:                             ;   in Loop: Header=BB38_33 Depth=1
                                        ; implicit-def: $vgpr2_vgpr3
	s_branch .LBB38_202
.LBB38_260:                             ;   in Loop: Header=BB38_33 Depth=1
                                        ; implicit-def: $vgpr2_vgpr3
	s_branch .LBB38_219
.LBB38_261:                             ;   in Loop: Header=BB38_33 Depth=1
	s_mov_b32 s17, -1
	s_mov_b32 s45, 0
                                        ; implicit-def: $sgpr18
                                        ; implicit-def: $vgpr44
	s_mov_b32 s44, s17
	s_cbranch_execnz .LBB38_264
	s_branch .LBB38_277
.LBB38_262:                             ;   in Loop: Header=BB38_33 Depth=1
	s_set_inst_prefetch_distance 0x2
	s_or_b32 exec_lo, exec_lo, s17
	v_lshrrev_b32_e32 v44, 16, v8
	s_and_b32 s45, s18, exec_lo
.LBB38_263:                             ;   in Loop: Header=BB38_33 Depth=1
	s_or_b32 exec_lo, exec_lo, s5
	s_mov_b32 s18, -1
	s_mov_b32 s17, 0
	s_delay_alu instid0(SALU_CYCLE_1)
	s_mov_b32 s44, s17
	s_branch .LBB38_277
.LBB38_264:                             ;   in Loop: Header=BB38_33 Depth=1
	s_add_u32 s17, s93, s8
	s_addc_u32 s5, s94, s9
	s_mov_b32 s4, s67
	s_delay_alu instid0(SALU_CYCLE_1)
	s_cmp_lg_u64 s[4:5], 0
	s_cbranch_scc0 .LBB38_298
; %bb.265:                              ;   in Loop: Header=BB38_33 Depth=1
	v_cvt_f32_u32_e32 v2, s33
	s_sub_u32 s44, 0, s33
	s_subb_u32 s45, 0, 0
	s_delay_alu instid0(VALU_DEP_1) | instskip(NEXT) | instid1(VALU_DEP_1)
	v_fmac_f32_e32 v2, 0x4f800000, v43
	v_rcp_f32_e32 v2, v2
	s_waitcnt_depctr 0xfff
	v_mul_f32_e32 v2, 0x5f7ffffc, v2
	s_delay_alu instid0(VALU_DEP_1) | instskip(NEXT) | instid1(VALU_DEP_1)
	v_mul_f32_e32 v3, 0x2f800000, v2
	v_trunc_f32_e32 v3, v3
	s_delay_alu instid0(VALU_DEP_1) | instskip(SKIP_1) | instid1(VALU_DEP_2)
	v_fmac_f32_e32 v2, 0xcf800000, v3
	v_cvt_u32_f32_e32 v3, v3
	v_cvt_u32_f32_e32 v2, v2
	s_delay_alu instid0(VALU_DEP_2) | instskip(NEXT) | instid1(VALU_DEP_2)
	v_readfirstlane_b32 s4, v3
	v_readfirstlane_b32 s18, v2
	s_delay_alu instid0(VALU_DEP_2) | instskip(NEXT) | instid1(VALU_DEP_1)
	s_mul_i32 s46, s44, s4
	s_mul_hi_u32 s59, s44, s18
	s_mul_i32 s47, s45, s18
	s_add_i32 s46, s59, s46
	s_mul_i32 s66, s44, s18
	s_add_i32 s46, s46, s47
	s_mul_hi_u32 s59, s18, s66
	s_mul_hi_u32 s72, s4, s66
	s_mul_i32 s47, s4, s66
	s_mul_hi_u32 s66, s18, s46
	s_mul_i32 s18, s18, s46
	s_mul_hi_u32 s82, s4, s46
	s_add_u32 s18, s59, s18
	s_addc_u32 s59, 0, s66
	s_add_u32 s18, s18, s47
	s_mul_i32 s46, s4, s46
	s_addc_u32 s18, s59, s72
	s_addc_u32 s47, s82, 0
	s_add_u32 s18, s18, s46
	s_addc_u32 s46, 0, s47
	v_add_co_u32 v2, s18, v2, s18
	s_delay_alu instid0(VALU_DEP_1) | instskip(SKIP_1) | instid1(VALU_DEP_1)
	s_cmp_lg_u32 s18, 0
	s_addc_u32 s4, s4, s46
	v_readfirstlane_b32 s18, v2
	s_mul_i32 s46, s44, s4
	s_delay_alu instid0(VALU_DEP_1)
	s_mul_hi_u32 s47, s44, s18
	s_mul_i32 s45, s45, s18
	s_add_i32 s46, s47, s46
	s_mul_i32 s44, s44, s18
	s_add_i32 s46, s46, s45
	s_mul_hi_u32 s47, s4, s44
	s_mul_i32 s59, s4, s44
	s_mul_hi_u32 s44, s18, s44
	s_mul_hi_u32 s66, s18, s46
	s_mul_i32 s18, s18, s46
	s_mul_hi_u32 s45, s4, s46
	s_add_u32 s18, s44, s18
	s_addc_u32 s44, 0, s66
	s_add_u32 s18, s18, s59
	s_mul_i32 s46, s4, s46
	s_addc_u32 s18, s44, s47
	s_addc_u32 s44, s45, 0
	s_add_u32 s18, s18, s46
	s_addc_u32 s44, 0, s44
	v_add_co_u32 v2, s18, v2, s18
	s_delay_alu instid0(VALU_DEP_1) | instskip(SKIP_2) | instid1(VALU_DEP_1)
	s_cmp_lg_u32 s18, 0
	s_addc_u32 s4, s4, s44
	s_ashr_i32 s44, s5, 31
	v_readfirstlane_b32 s18, v2
	s_add_u32 s46, s17, s44
	s_mov_b32 s45, s44
	s_addc_u32 s47, s5, s44
	s_delay_alu instid0(SALU_CYCLE_1) | instskip(NEXT) | instid1(SALU_CYCLE_1)
	s_xor_b64 s[46:47], s[46:47], s[44:45]
	s_mul_i32 s59, s46, s4
	s_mul_hi_u32 s66, s46, s18
	s_mul_hi_u32 s45, s46, s4
	;; [unrolled: 1-line block ×3, first 2 shown]
	s_mul_i32 s18, s47, s18
	s_add_u32 s59, s66, s59
	s_addc_u32 s45, 0, s45
	s_mul_hi_u32 s72, s47, s4
	s_add_u32 s18, s59, s18
	s_mul_i32 s4, s47, s4
	s_addc_u32 s18, s45, s82
	s_addc_u32 s45, s72, 0
	s_add_u32 s4, s18, s4
	s_addc_u32 s18, 0, s45
	s_mul_hi_u32 s45, s33, s4
	s_mul_i32 s4, s33, s4
	s_mul_i32 s18, s33, s18
	v_sub_co_u32 v2, s4, s46, s4
	s_add_i32 s45, s45, s18
	s_cmp_lg_u32 s4, 0
	s_delay_alu instid0(VALU_DEP_1) | instskip(SKIP_2) | instid1(VALU_DEP_1)
	v_sub_co_u32 v3, s4, v2, s33
	s_subb_u32 s18, s47, s45
	s_cmp_lg_u32 s4, 0
	v_cmp_le_u32_e32 vcc_lo, s33, v3
	v_sub_co_u32 v4, s4, v3, s33
	s_subb_u32 s45, s18, 0
	s_cmp_lg_u32 s4, 0
	v_cmp_le_u32_e64 s4, s33, v2
	s_subb_u32 s46, s45, 0
	v_cndmask_b32_e64 v5, 0, -1, vcc_lo
	s_cmp_eq_u32 s45, 0
	s_cselect_b32 vcc_lo, -1, 0
	v_cndmask_b32_e64 v6, 0, -1, s4
	s_delay_alu instid0(VALU_DEP_2) | instskip(SKIP_2) | instid1(VALU_DEP_1)
	v_cndmask_b32_e32 v5, -1, v5, vcc_lo
	s_cmp_eq_u32 s18, 0
	s_cselect_b32 vcc_lo, -1, 0
	v_cmp_ne_u32_e64 s4, 0, v5
	v_dual_cndmask_b32 v5, -1, v6 :: v_dual_mov_b32 v6, s46
	s_delay_alu instid0(VALU_DEP_2) | instskip(NEXT) | instid1(VALU_DEP_2)
	v_cndmask_b32_e64 v3, v3, v4, s4
	v_cmp_ne_u32_e32 vcc_lo, 0, v5
	s_delay_alu instid0(VALU_DEP_3) | instskip(NEXT) | instid1(VALU_DEP_3)
	v_cndmask_b32_e64 v4, s45, v6, s4
	v_cndmask_b32_e32 v2, v2, v3, vcc_lo
	s_delay_alu instid0(VALU_DEP_2) | instskip(NEXT) | instid1(VALU_DEP_2)
	v_cndmask_b32_e32 v3, s18, v4, vcc_lo
	v_xor_b32_e32 v2, s44, v2
	s_delay_alu instid0(VALU_DEP_2) | instskip(NEXT) | instid1(VALU_DEP_2)
	v_xor_b32_e32 v3, s44, v3
	v_sub_co_u32 v2, vcc_lo, v2, s44
	s_delay_alu instid0(VALU_DEP_2)
	v_subrev_co_ci_u32_e32 v3, vcc_lo, s44, v3, vcc_lo
	s_cbranch_execnz .LBB38_267
.LBB38_266:                             ;   in Loop: Header=BB38_33 Depth=1
	v_cvt_f32_u32_e32 v2, s33
	s_sub_i32 s4, 0, s33
	s_delay_alu instid0(VALU_DEP_1) | instskip(SKIP_2) | instid1(VALU_DEP_1)
	v_rcp_iflag_f32_e32 v2, v2
	s_waitcnt_depctr 0xfff
	v_mul_f32_e32 v2, 0x4f7ffffe, v2
	v_cvt_u32_f32_e32 v2, v2
	s_delay_alu instid0(VALU_DEP_1) | instskip(NEXT) | instid1(VALU_DEP_1)
	v_mul_lo_u32 v3, s4, v2
	v_mul_hi_u32 v3, v2, v3
	s_delay_alu instid0(VALU_DEP_1) | instskip(NEXT) | instid1(VALU_DEP_1)
	v_add_nc_u32_e32 v2, v2, v3
	v_mul_hi_u32 v2, s17, v2
	s_delay_alu instid0(VALU_DEP_1) | instskip(NEXT) | instid1(VALU_DEP_1)
	v_mul_lo_u32 v2, v2, s33
	v_sub_nc_u32_e32 v2, s17, v2
	s_delay_alu instid0(VALU_DEP_1) | instskip(SKIP_1) | instid1(VALU_DEP_2)
	v_subrev_nc_u32_e32 v3, s33, v2
	v_cmp_le_u32_e32 vcc_lo, s33, v2
	v_cndmask_b32_e32 v2, v2, v3, vcc_lo
	s_delay_alu instid0(VALU_DEP_1) | instskip(SKIP_1) | instid1(VALU_DEP_2)
	v_subrev_nc_u32_e32 v3, s33, v2
	v_cmp_le_u32_e32 vcc_lo, s33, v2
	v_cndmask_b32_e32 v12, v2, v3, vcc_lo
	s_delay_alu instid0(VALU_DEP_1)
	v_dual_mov_b32 v2, v12 :: v_dual_mov_b32 v3, v13
.LBB38_267:                             ;   in Loop: Header=BB38_33 Depth=1
	s_delay_alu instid0(VALU_DEP_1) | instskip(NEXT) | instid1(VALU_DEP_2)
	v_sub_co_u32 v2, vcc_lo, s17, v2
	v_sub_co_ci_u32_e32 v3, vcc_lo, s5, v3, vcc_lo
	s_mov_b32 s45, 0
	s_mov_b32 s5, exec_lo
                                        ; implicit-def: $vgpr44
	s_delay_alu instid0(VALU_DEP_1)
	v_cmpx_gt_i64_e64 v[2:3], v[0:1]
	s_cbranch_execz .LBB38_276
; %bb.268:                              ;   in Loop: Header=BB38_33 Depth=1
	v_dual_mov_b32 v6, v34 :: v_dual_mov_b32 v5, v1
	v_mov_b32_e32 v4, v0
	s_mov_b32 s17, 0
                                        ; implicit-def: $sgpr18
	s_set_inst_prefetch_distance 0x1
	s_branch .LBB38_270
	.p2align	6
.LBB38_269:                             ;   in Loop: Header=BB38_270 Depth=2
	s_or_b32 exec_lo, exec_lo, s4
	s_waitcnt lgkmcnt(0)
	s_barrier
	buffer_gl0_inv
	ds_load_b32 v7, v13 offset:3072
	v_add_co_u32 v4, vcc_lo, v4, s33
	v_add_co_ci_u32_e32 v5, vcc_lo, 0, v5, vcc_lo
	v_add_nc_u32_e32 v6, s101, v6
	s_waitcnt lgkmcnt(0)
	s_barrier
	s_delay_alu instid0(VALU_DEP_2) | instskip(SKIP_2) | instid1(VALU_DEP_1)
	v_cmp_ge_i64_e32 vcc_lo, v[4:5], v[2:3]
	buffer_gl0_inv
	v_cmp_ne_u16_e64 s4, 0, v7
	s_or_b32 s44, s4, vcc_lo
	s_delay_alu instid0(SALU_CYCLE_1) | instskip(NEXT) | instid1(SALU_CYCLE_1)
	s_and_b32 s44, exec_lo, s44
	s_or_b32 s17, s44, s17
	s_and_not1_b32 s18, s18, exec_lo
	s_and_b32 s4, s4, exec_lo
	s_delay_alu instid0(SALU_CYCLE_1)
	s_or_b32 s18, s18, s4
	s_and_not1_b32 exec_lo, exec_lo, s17
	s_cbranch_execz .LBB38_275
.LBB38_270:                             ;   Parent Loop BB38_33 Depth=1
                                        ; =>  This Inner Loop Header: Depth=2
	s_delay_alu instid0(VALU_DEP_1)
	v_cmp_gt_i64_e32 vcc_lo, s[8:9], v[4:5]
	v_mov_b32_e32 v7, 0
	s_and_saveexec_b32 s4, vcc_lo
	s_cbranch_execz .LBB38_272
; %bb.271:                              ;   in Loop: Header=BB38_270 Depth=2
	ds_load_u16 v7, v6
.LBB38_272:                             ;   in Loop: Header=BB38_270 Depth=2
	s_or_b32 exec_lo, exec_lo, s4
	s_and_saveexec_b32 s4, vcc_lo
	s_cbranch_execz .LBB38_269
; %bb.273:                              ;   in Loop: Header=BB38_270 Depth=2
	s_waitcnt lgkmcnt(0)
	v_bfe_i32 v8, v7, 0, 16
	s_delay_alu instid0(VALU_DEP_1) | instskip(NEXT) | instid1(VALU_DEP_1)
	v_add_nc_u32_e32 v8, 0x8000, v8
	v_and_b32_e32 v8, s57, v8
	s_delay_alu instid0(VALU_DEP_1)
	v_cmp_eq_u32_e32 vcc_lo, s58, v8
	s_and_b32 exec_lo, exec_lo, vcc_lo
	s_cbranch_execz .LBB38_269
; %bb.274:                              ;   in Loop: Header=BB38_270 Depth=2
	v_perm_b32 v7, v7, 1, 0x5040100
	ds_store_b32 v13, v7 offset:3072
	s_branch .LBB38_269
.LBB38_275:                             ;   in Loop: Header=BB38_33 Depth=1
	s_set_inst_prefetch_distance 0x2
	s_or_b32 exec_lo, exec_lo, s17
	v_lshrrev_b32_e32 v44, 16, v7
	s_and_b32 s45, s18, exec_lo
.LBB38_276:                             ;   in Loop: Header=BB38_33 Depth=1
	s_or_b32 exec_lo, exec_lo, s5
	s_mov_b32 s44, -1
	s_mov_b32 s17, 0
	s_mov_b32 s18, 0
.LBB38_277:                             ;   in Loop: Header=BB38_33 Depth=1
	s_mov_b32 s9, 0
                                        ; implicit-def: $sgpr66
                                        ; implicit-def: $sgpr4_sgpr5
	s_and_saveexec_b32 s8, s45
	s_cbranch_execz .LBB38_290
; %bb.278:                              ;   in Loop: Header=BB38_33 Depth=1
	s_xor_b32 s9, s11, -1
	s_mov_b64 s[4:5], 1
	s_and_not1_b32 vcc_lo, exec_lo, s9
	s_mov_b32 s66, 1
	s_cbranch_vccnz .LBB38_289
; %bb.279:                              ;   in Loop: Header=BB38_33 Depth=1
	v_cmp_gt_i64_e64 s4, s[26:27], s[6:7]
	s_delay_alu instid0(VALU_DEP_1)
	s_and_b32 vcc_lo, exec_lo, s4
	s_cbranch_vccnz .LBB38_285
; %bb.280:                              ;   in Loop: Header=BB38_33 Depth=1
	ds_load_b64 v[2:3], v13 offset:5120
	s_waitcnt lgkmcnt(0)
	v_cmp_ne_u64_e32 vcc_lo, 0, v[2:3]
	s_cbranch_vccnz .LBB38_284
; %bb.281:                              ;   in Loop: Header=BB38_33 Depth=1
	s_and_saveexec_b32 s4, s0
	s_cbranch_execz .LBB38_283
; %bb.282:                              ;   in Loop: Header=BB38_33 Depth=1
	v_dual_mov_b32 v2, s6 :: v_dual_mov_b32 v3, s7
	ds_store_b64 v13, v[2:3] offset:5128
.LBB38_283:                             ;   in Loop: Header=BB38_33 Depth=1
	s_or_b32 exec_lo, exec_lo, s4
	s_waitcnt lgkmcnt(0)
	s_barrier
	buffer_gl0_inv
.LBB38_284:                             ;   in Loop: Header=BB38_33 Depth=1
	s_or_b32 s9, s58, s16
	s_or_b32 s11, s57, s16
	s_mov_b32 s4, 0
	s_mov_b32 s66, 8
	s_branch .LBB38_286
.LBB38_285:                             ;   in Loop: Header=BB38_33 Depth=1
	s_mov_b32 s4, -1
                                        ; implicit-def: $sgpr66
                                        ; implicit-def: $sgpr9
                                        ; implicit-def: $sgpr11
.LBB38_286:                             ;   in Loop: Header=BB38_33 Depth=1
	s_delay_alu instid0(SALU_CYCLE_1)
	s_and_not1_b32 vcc_lo, exec_lo, s4
	s_cbranch_vccnz .LBB38_288
; %bb.287:                              ;   in Loop: Header=BB38_33 Depth=1
	s_sub_u32 s26, s26, s6
	s_subb_u32 s27, s27, s7
	s_mov_b32 s66, 8
	s_mov_b32 s9, s58
	;; [unrolled: 1-line block ×3, first 2 shown]
.LBB38_288:                             ;   in Loop: Header=BB38_33 Depth=1
	s_mov_b64 s[4:5], s[26:27]
	s_mov_b32 s58, s9
	s_mov_b32 s57, s11
.LBB38_289:                             ;   in Loop: Header=BB38_33 Depth=1
	s_mov_b32 s9, exec_lo
.LBB38_290:                             ;   in Loop: Header=BB38_33 Depth=1
	s_or_b32 exec_lo, exec_lo, s8
	s_mov_b64 s[26:27], s[4:5]
.LBB38_291:                             ;   in Loop: Header=BB38_33 Depth=1
	s_and_not1_b32 s4, s13, exec_lo
	s_and_b32 s5, s17, exec_lo
	s_and_not1_b32 s6, s22, exec_lo
	s_or_b32 s13, s4, s5
	s_and_not1_b32 s4, s23, exec_lo
	s_and_b32 s5, s44, exec_lo
	s_and_b32 s7, s18, exec_lo
	s_or_b32 s23, s4, s5
	s_or_b32 s22, s6, s7
	s_and_b32 s5, s9, exec_lo
.LBB38_292:                             ;   in Loop: Header=BB38_33 Depth=1
	s_or_b32 exec_lo, exec_lo, s10
.LBB38_293:                             ;   in Loop: Header=BB38_33 Depth=1
	s_delay_alu instid0(SALU_CYCLE_1)
	s_and_not1_b32 s4, s20, exec_lo
	s_and_b32 s6, s13, exec_lo
	s_and_not1_b32 s7, s19, exec_lo
	s_or_b32 s20, s4, s6
	s_and_not1_b32 s4, s21, exec_lo
	s_and_b32 s6, s23, exec_lo
	s_and_b32 s8, s22, exec_lo
	s_or_b32 s21, s4, s6
	s_or_b32 s19, s7, s8
	s_and_b32 s5, s5, exec_lo
.LBB38_294:                             ;   in Loop: Header=BB38_33 Depth=1
	s_or_b32 exec_lo, exec_lo, s12
	s_and_saveexec_b32 s4, s5
	s_delay_alu instid0(SALU_CYCLE_1)
	s_xor_b32 s4, exec_lo, s4
	s_cbranch_execz .LBB38_31
.LBB38_295:                             ;   in Loop: Header=BB38_33 Depth=1
	s_and_b32 s5, s66, -9
	s_delay_alu instid0(SALU_CYCLE_1)
	s_cmp_eq_u32 s5, 0
	s_cbranch_scc1 .LBB38_29
; %bb.296:                              ;   in Loop: Header=BB38_33 Depth=1
	s_mov_b32 s5, -1
	s_mov_b32 s6, -1
                                        ; implicit-def: $sgpr57
                                        ; implicit-def: $sgpr62
                                        ; implicit-def: $sgpr63
	s_branch .LBB38_30
.LBB38_297:                             ;   in Loop: Header=BB38_33 Depth=1
                                        ; implicit-def: $vgpr2_vgpr3
	s_branch .LBB38_249
.LBB38_298:                             ;   in Loop: Header=BB38_33 Depth=1
                                        ; implicit-def: $vgpr2_vgpr3
	s_branch .LBB38_266
.LBB38_299:
	s_or_b32 exec_lo, exec_lo, s102
	s_xor_b32 s5, vcc_hi, -1
	s_xor_b32 s2, s103, -1
	s_xor_b32 s4, s104, -1
	s_mov_b32 s3, 0
	s_and_saveexec_b32 s6, s2
	s_delay_alu instid0(SALU_CYCLE_1)
	s_xor_b32 s2, exec_lo, s6
	s_cbranch_execz .LBB38_322
; %bb.300:
	s_and_saveexec_b32 s3, s5
	s_delay_alu instid0(SALU_CYCLE_1)
	s_xor_b32 s3, exec_lo, s3
	s_cbranch_execz .LBB38_320
; %bb.301:
	s_and_saveexec_b32 s5, s4
	s_delay_alu instid0(SALU_CYCLE_1)
	s_xor_b32 s4, exec_lo, s5
; %bb.302:
	v_xor_b32_e32 v44, 0xffff8000, v2
; %bb.303:
	s_or_b32 exec_lo, exec_lo, s4
	s_and_saveexec_b32 s4, s0
	s_cbranch_execz .LBB38_305
; %bb.304:
	v_dual_mov_b32 v2, 0 :: v_dual_mov_b32 v3, s24
	ds_store_b32 v2, v3 offset:5140
.LBB38_305:
	s_or_b32 exec_lo, exec_lo, s4
	s_waitcnt lgkmcnt(0)
	s_barrier
	buffer_gl0_inv
	s_and_saveexec_b32 s4, s1
	s_cbranch_execz .LBB38_317
; %bb.306:
	v_mov_b32_e32 v2, 0
	s_mov_b32 s5, 0
                                        ; implicit-def: $sgpr6
                                        ; implicit-def: $sgpr7
                                        ; implicit-def: $sgpr8
	ds_load_b32 v4, v2 offset:5140
	s_waitcnt lgkmcnt(0)
	v_ashrrev_i32_e32 v5, 31, v4
	s_set_inst_prefetch_distance 0x1
	s_branch .LBB38_309
	.p2align	6
.LBB38_307:                             ;   in Loop: Header=BB38_309 Depth=1
	s_or_b32 exec_lo, exec_lo, s11
	s_delay_alu instid0(SALU_CYCLE_1)
	s_and_not1_b32 s8, s8, exec_lo
	s_and_b32 s10, s10, exec_lo
	s_and_not1_b32 s7, s7, exec_lo
	s_and_b32 s1, s1, exec_lo
	s_or_b32 s8, s8, s10
	s_or_b32 s7, s7, s1
.LBB38_308:                             ;   in Loop: Header=BB38_309 Depth=1
	s_or_b32 exec_lo, exec_lo, s9
	s_delay_alu instid0(SALU_CYCLE_1) | instskip(NEXT) | instid1(SALU_CYCLE_1)
	s_and_b32 s1, exec_lo, s7
	s_or_b32 s5, s1, s5
	s_and_not1_b32 s1, s6, exec_lo
	s_and_b32 s6, s8, exec_lo
	s_delay_alu instid0(SALU_CYCLE_1)
	s_or_b32 s6, s1, s6
	s_and_not1_b32 exec_lo, exec_lo, s5
	s_cbranch_execz .LBB38_312
.LBB38_309:                             ; =>This Inner Loop Header: Depth=1
	v_dual_mov_b32 v3, v1 :: v_dual_mov_b32 v2, v0
	s_or_b32 s8, s8, exec_lo
	s_or_b32 s7, s7, exec_lo
	s_mov_b32 s9, exec_lo
                                        ; implicit-def: $vgpr0_vgpr1
	s_delay_alu instid0(VALU_DEP_1)
	v_cmpx_lt_i64_e64 v[2:3], v[4:5]
	s_cbranch_execz .LBB38_308
; %bb.310:                              ;   in Loop: Header=BB38_309 Depth=1
	global_load_u16 v0, v[10:11], off
	s_mov_b32 s1, -1
	s_mov_b32 s10, 0
	s_waitcnt vmcnt(0)
	v_cmp_ne_u16_e32 vcc_lo, v0, v44
                                        ; implicit-def: $vgpr0_vgpr1
	s_and_saveexec_b32 s11, vcc_lo
	s_cbranch_execz .LBB38_307
; %bb.311:                              ;   in Loop: Header=BB38_309 Depth=1
	v_add_co_u32 v0, vcc_lo, v2, s33
	v_add_co_ci_u32_e32 v1, vcc_lo, 0, v3, vcc_lo
	v_add_co_u32 v10, s1, v10, s68
	s_delay_alu instid0(VALU_DEP_1) | instskip(NEXT) | instid1(VALU_DEP_3)
	v_add_co_ci_u32_e64 v11, s1, s69, v11, s1
	v_cmp_le_i64_e32 vcc_lo, s[24:25], v[0:1]
	s_mov_b32 s10, exec_lo
	s_or_not1_b32 s1, vcc_lo, exec_lo
	s_branch .LBB38_307
.LBB38_312:
	s_set_inst_prefetch_distance 0x2
	s_or_b32 exec_lo, exec_lo, s5
	s_xor_b32 s1, s6, -1
	s_delay_alu instid0(SALU_CYCLE_1) | instskip(NEXT) | instid1(SALU_CYCLE_1)
	s_and_saveexec_b32 s5, s1
	s_xor_b32 s5, exec_lo, s5
	s_cbranch_execz .LBB38_317
; %bb.313:
	s_mov_b32 s5, exec_lo
	s_brev_b32 s1, -2
.LBB38_314:                             ; =>This Inner Loop Header: Depth=1
	s_ctz_i32_b32 s6, s5
	s_delay_alu instid0(SALU_CYCLE_1) | instskip(SKIP_1) | instid1(SALU_CYCLE_1)
	v_readlane_b32 s7, v2, s6
	s_lshl_b32 s6, 1, s6
	s_and_not1_b32 s5, s5, s6
	s_delay_alu instid0(VALU_DEP_1)
	s_min_i32 s1, s1, s7
	s_cmp_lg_u32 s5, 0
	s_cbranch_scc1 .LBB38_314
; %bb.315:
	v_mbcnt_lo_u32_b32 v0, exec_lo, 0
	s_mov_b32 s5, exec_lo
	s_delay_alu instid0(VALU_DEP_1)
	v_cmpx_eq_u32_e32 0, v0
	s_xor_b32 s5, exec_lo, s5
	s_cbranch_execz .LBB38_317
; %bb.316:
	v_dual_mov_b32 v0, 0 :: v_dual_mov_b32 v1, s1
	ds_min_i32 v0, v1 offset:5140
.LBB38_317:
	s_or_b32 exec_lo, exec_lo, s4
	s_waitcnt lgkmcnt(0)
	s_barrier
	buffer_gl0_inv
	s_and_saveexec_b32 s4, s0
	s_cbranch_execz .LBB38_319
; %bb.318:
	s_mul_i32 s0, s54, s43
	s_mul_hi_u32 s1, s54, s42
	v_readlane_b32 s16, v48, 0
	s_add_i32 s0, s1, s0
	s_mul_i32 s1, s55, s42
	v_readlane_b32 s17, v48, 1
	s_mul_i32 s5, s54, s42
	s_add_i32 s0, s0, s1
	s_sub_u32 s5, s34, s5
	s_subb_u32 s0, 0, s0
	s_mul_i32 s1, s5, s17
	s_mul_hi_u32 s6, s5, s16
	s_mul_i32 s0, s0, s16
	s_add_i32 s1, s6, s1
	s_mul_i32 s6, s52, s37
	s_mul_hi_u32 s7, s52, s36
	s_add_i32 s1, s1, s0
	s_add_i32 s0, s7, s6
	s_mul_i32 s6, s53, s36
	s_mul_i32 s7, s52, s36
	s_add_i32 s0, s0, s6
	s_sub_u32 s6, s28, s7
	s_subb_u32 s0, s29, s0
	s_mul_i32 s7, s6, s51
	s_mul_hi_u32 s8, s6, s50
	s_mul_i32 s0, s0, s50
	s_add_i32 s7, s8, s7
	s_mul_i32 s8, s52, s49
	s_mul_hi_u32 s9, s52, s48
	s_add_i32 s7, s7, s0
	s_add_i32 s0, s9, s8
	s_mul_i32 s8, s53, s48
	s_mul_i32 s10, s28, s39
	s_mul_hi_u32 s11, s28, s38
	v_readlane_b32 s18, v48, 6
	s_add_i32 s9, s0, s8
	s_add_i32 s0, s11, s10
	s_mul_i32 s8, s29, s38
	v_readlane_b32 s19, v48, 7
	s_mul_i32 s10, s28, s38
	s_add_i32 s0, s0, s8
	s_sub_u32 s10, s34, s10
	s_subb_u32 s0, 0, s0
	s_mul_i32 s8, s10, s19
	s_mul_hi_u32 s11, s10, s18
	s_mul_i32 s0, s0, s18
	s_add_i32 s8, s11, s8
	s_mul_i32 s12, s60, s41
	s_mul_hi_u32 s13, s60, s40
	v_readlane_b32 s20, v48, 2
	s_add_i32 s11, s8, s0
	s_add_i32 s0, s13, s12
	s_mul_i32 s8, s61, s40
	v_readlane_b32 s22, v48, 4
	v_readlane_b32 s23, v48, 5
	v_mov_b32_e32 v2, 0
	s_mul_i32 s12, s60, s40
	s_add_i32 s0, s0, s8
	v_readlane_b32 s21, v48, 3
	s_sub_u32 s12, s54, s12
	ds_load_b32 v0, v2 offset:5140
	s_mul_i32 s13, s12, s23
	s_mul_hi_u32 s14, s12, s22
	s_subb_u32 s0, s55, s0
	s_add_i32 s13, s14, s13
	s_mul_i32 s14, s60, s21
	s_mul_hi_u32 s15, s60, s20
	v_readlane_b32 s24, v48, 10
	s_mul_i32 s8, s52, s48
	v_readlane_b32 s25, v48, 11
	s_mul_i32 s0, s0, s22
	s_add_i32 s14, s15, s14
	s_mul_i32 s15, s61, s20
	s_lshl_b64 s[8:9], s[8:9], 1
	s_mul_i32 s6, s6, s50
	s_add_i32 s13, s13, s0
	s_add_i32 s15, s14, s15
	s_add_u32 s0, s24, s8
	s_addc_u32 s8, s25, s9
	s_lshl_b64 s[6:7], s[6:7], 1
	s_mul_i32 s10, s10, s18
	s_add_u32 s0, s0, s6
	s_addc_u32 s8, s8, s7
	s_lshl_b64 s[6:7], s[10:11], 1
	v_readlane_b32 s10, v48, 8
	s_mul_i32 s14, s60, s20
	v_readlane_b32 s11, v48, 9
	s_add_u32 s6, s0, s6
	s_addc_u32 s7, s8, s7
	s_lshl_b64 s[8:9], s[14:15], 3
	s_mul_i32 s12, s12, s22
	s_add_u32 s10, s10, s8
	s_addc_u32 s11, s11, s9
	s_lshl_b64 s[8:9], s[12:13], 3
	s_mul_i32 s0, s5, s16
	s_add_u32 s5, s10, s8
	s_addc_u32 s8, s11, s9
	s_lshl_b64 s[0:1], s[0:1], 3
	s_waitcnt lgkmcnt(0)
	v_ashrrev_i32_e32 v1, 31, v0
	s_add_u32 s0, s5, s0
	s_addc_u32 s1, s8, s1
	s_clause 0x1
	global_store_b64 v2, v[0:1], s[0:1]
	global_store_b16 v2, v44, s[6:7]
.LBB38_319:
	s_or_b32 exec_lo, exec_lo, s4
.LBB38_320:
	s_or_saveexec_b32 s0, s3
	s_mov_b32 s1, 0
	s_xor_b32 exec_lo, exec_lo, s0
	s_cbranch_execnz .LBB38_328
.LBB38_321:
	s_or_b32 exec_lo, exec_lo, s0
	s_delay_alu instid0(SALU_CYCLE_1)
	s_and_b32 s3, s1, exec_lo
.LBB38_322:
	s_and_not1_saveexec_b32 s0, s2
	s_cbranch_execnz .LBB38_326
; %bb.323:
	s_or_b32 exec_lo, exec_lo, s0
	s_and_saveexec_b32 s0, s3
.LBB38_324:
	; divergent unreachable
.LBB38_325:
	s_nop 0
	s_sendmsg sendmsg(MSG_DEALLOC_VGPRS)
	s_endpgm
.LBB38_326:
	s_cbranch_execnz .LBB38_330
; %bb.327:
	s_or_b32 s3, s3, exec_lo
	s_or_b32 exec_lo, exec_lo, s0
	s_and_saveexec_b32 s0, s3
	s_cbranch_execnz .LBB38_324
	s_branch .LBB38_325
.LBB38_328:
	s_cbranch_execnz .LBB38_332
; %bb.329:
	s_mov_b32 s1, exec_lo
	s_branch .LBB38_321
.LBB38_330:
	s_trap 2
	s_sendmsg_rtn_b32 s0, sendmsg(MSG_RTN_GET_DOORBELL)
	s_mov_b32 ttmp2, m0
	s_waitcnt lgkmcnt(0)
	s_and_b32 s0, s0, 0x3ff
	s_delay_alu instid0(SALU_CYCLE_1) | instskip(NEXT) | instid1(SALU_CYCLE_1)
	s_bitset1_b32 s0, 10
	s_mov_b32 m0, s0
	s_sendmsg sendmsg(MSG_INTERRUPT)
	s_mov_b32 m0, ttmp2
.LBB38_331:                             ; =>This Inner Loop Header: Depth=1
	s_sethalt 5
	s_branch .LBB38_331
.LBB38_332:
	s_trap 2
	s_sendmsg_rtn_b32 s0, sendmsg(MSG_RTN_GET_DOORBELL)
	s_mov_b32 ttmp2, m0
	s_waitcnt lgkmcnt(0)
	s_and_b32 s0, s0, 0x3ff
	s_delay_alu instid0(SALU_CYCLE_1) | instskip(NEXT) | instid1(SALU_CYCLE_1)
	s_bitset1_b32 s0, 10
	s_mov_b32 m0, s0
	s_sendmsg sendmsg(MSG_INTERRUPT)
	s_mov_b32 m0, ttmp2
.LBB38_333:                             ; =>This Inner Loop Header: Depth=1
	s_sethalt 5
	s_branch .LBB38_333
	.section	.rodata,"a",@progbits
	.p2align	6, 0x0
	.amdhsa_kernel _ZN2at6native12_GLOBAL__N_114gatherKthValueIslLi3EEEvNS_4cuda6detail10TensorInfoIKT_T0_EES8_S8_S8_S8_NS5_IS6_S8_EENS5_IlS8_EE
		.amdhsa_group_segment_fixed_size 5144
		.amdhsa_private_segment_fixed_size 0
		.amdhsa_kernarg_size 1536
		.amdhsa_user_sgpr_count 13
		.amdhsa_user_sgpr_dispatch_ptr 0
		.amdhsa_user_sgpr_queue_ptr 0
		.amdhsa_user_sgpr_kernarg_segment_ptr 1
		.amdhsa_user_sgpr_dispatch_id 0
		.amdhsa_user_sgpr_private_segment_size 0
		.amdhsa_wavefront_size32 1
		.amdhsa_uses_dynamic_stack 0
		.amdhsa_enable_private_segment 0
		.amdhsa_system_sgpr_workgroup_id_x 1
		.amdhsa_system_sgpr_workgroup_id_y 1
		.amdhsa_system_sgpr_workgroup_id_z 1
		.amdhsa_system_sgpr_workgroup_info 0
		.amdhsa_system_vgpr_workitem_id 0
		.amdhsa_next_free_vgpr 49
		.amdhsa_next_free_sgpr 105
		.amdhsa_reserve_vcc 1
		.amdhsa_float_round_mode_32 0
		.amdhsa_float_round_mode_16_64 0
		.amdhsa_float_denorm_mode_32 3
		.amdhsa_float_denorm_mode_16_64 3
		.amdhsa_dx10_clamp 1
		.amdhsa_ieee_mode 1
		.amdhsa_fp16_overflow 0
		.amdhsa_workgroup_processor_mode 1
		.amdhsa_memory_ordered 1
		.amdhsa_forward_progress 0
		.amdhsa_shared_vgpr_count 0
		.amdhsa_exception_fp_ieee_invalid_op 0
		.amdhsa_exception_fp_denorm_src 0
		.amdhsa_exception_fp_ieee_div_zero 0
		.amdhsa_exception_fp_ieee_overflow 0
		.amdhsa_exception_fp_ieee_underflow 0
		.amdhsa_exception_fp_ieee_inexact 0
		.amdhsa_exception_int_div_zero 0
	.end_amdhsa_kernel
	.section	.text._ZN2at6native12_GLOBAL__N_114gatherKthValueIslLi3EEEvNS_4cuda6detail10TensorInfoIKT_T0_EES8_S8_S8_S8_NS5_IS6_S8_EENS5_IlS8_EE,"axG",@progbits,_ZN2at6native12_GLOBAL__N_114gatherKthValueIslLi3EEEvNS_4cuda6detail10TensorInfoIKT_T0_EES8_S8_S8_S8_NS5_IS6_S8_EENS5_IlS8_EE,comdat
.Lfunc_end38:
	.size	_ZN2at6native12_GLOBAL__N_114gatherKthValueIslLi3EEEvNS_4cuda6detail10TensorInfoIKT_T0_EES8_S8_S8_S8_NS5_IS6_S8_EENS5_IlS8_EE, .Lfunc_end38-_ZN2at6native12_GLOBAL__N_114gatherKthValueIslLi3EEEvNS_4cuda6detail10TensorInfoIKT_T0_EES8_S8_S8_S8_NS5_IS6_S8_EENS5_IlS8_EE
                                        ; -- End function
	.section	.AMDGPU.csdata,"",@progbits
; Kernel info:
; codeLenInByte = 22576
; NumSgprs: 107
; NumVgprs: 49
; ScratchSize: 0
; MemoryBound: 0
; FloatMode: 240
; IeeeMode: 1
; LDSByteSize: 5144 bytes/workgroup (compile time only)
; SGPRBlocks: 13
; VGPRBlocks: 6
; NumSGPRsForWavesPerEU: 107
; NumVGPRsForWavesPerEU: 49
; Occupancy: 16
; WaveLimiterHint : 1
; COMPUTE_PGM_RSRC2:SCRATCH_EN: 0
; COMPUTE_PGM_RSRC2:USER_SGPR: 13
; COMPUTE_PGM_RSRC2:TRAP_HANDLER: 0
; COMPUTE_PGM_RSRC2:TGID_X_EN: 1
; COMPUTE_PGM_RSRC2:TGID_Y_EN: 1
; COMPUTE_PGM_RSRC2:TGID_Z_EN: 1
; COMPUTE_PGM_RSRC2:TIDIG_COMP_CNT: 0
	.section	.text._ZN2at6native12_GLOBAL__N_114gatherKthValueIslLin1EEEvNS_4cuda6detail10TensorInfoIKT_T0_EES8_S8_S8_S8_NS5_IS6_S8_EENS5_IlS8_EE,"axG",@progbits,_ZN2at6native12_GLOBAL__N_114gatherKthValueIslLin1EEEvNS_4cuda6detail10TensorInfoIKT_T0_EES8_S8_S8_S8_NS5_IS6_S8_EENS5_IlS8_EE,comdat
	.globl	_ZN2at6native12_GLOBAL__N_114gatherKthValueIslLin1EEEvNS_4cuda6detail10TensorInfoIKT_T0_EES8_S8_S8_S8_NS5_IS6_S8_EENS5_IlS8_EE ; -- Begin function _ZN2at6native12_GLOBAL__N_114gatherKthValueIslLin1EEEvNS_4cuda6detail10TensorInfoIKT_T0_EES8_S8_S8_S8_NS5_IS6_S8_EENS5_IlS8_EE
	.p2align	8
	.type	_ZN2at6native12_GLOBAL__N_114gatherKthValueIslLin1EEEvNS_4cuda6detail10TensorInfoIKT_T0_EES8_S8_S8_S8_NS5_IS6_S8_EENS5_IlS8_EE,@function
_ZN2at6native12_GLOBAL__N_114gatherKthValueIslLin1EEEvNS_4cuda6detail10TensorInfoIKT_T0_EES8_S8_S8_S8_NS5_IS6_S8_EENS5_IlS8_EE: ; @_ZN2at6native12_GLOBAL__N_114gatherKthValueIslLin1EEEvNS_4cuda6detail10TensorInfoIKT_T0_EES8_S8_S8_S8_NS5_IS6_S8_EENS5_IlS8_EE
; %bb.0:
	s_clause 0x1
	s_load_b64 s[6:7], s[0:1], 0x500
	s_load_b256 s[24:31], s[0:1], 0x1a0
	s_add_u32 s4, s0, 0x500
	s_addc_u32 s5, s1, 0
	s_mov_b32 s9, 0
	s_waitcnt lgkmcnt(0)
	s_mul_i32 s2, s7, s15
	s_delay_alu instid0(SALU_CYCLE_1) | instskip(NEXT) | instid1(SALU_CYCLE_1)
	s_add_i32 s2, s2, s14
	s_mul_i32 s2, s2, s6
	s_delay_alu instid0(SALU_CYCLE_1) | instskip(NEXT) | instid1(SALU_CYCLE_1)
	s_add_i32 s8, s2, s13
	v_cmp_ge_i64_e64 s2, s[8:9], s[28:29]
	s_delay_alu instid0(VALU_DEP_1)
	s_and_b32 vcc_lo, exec_lo, s2
	s_cbranch_vccnz .LBB39_325
; %bb.1:
	s_load_b32 s7, s[0:1], 0x198
	s_mov_b64 s[2:3], 0
	s_mov_b64 s[10:11], s[8:9]
	s_waitcnt lgkmcnt(0)
	s_cmp_lt_i32 s7, 2
	s_cbranch_scc1 .LBB39_9
; %bb.2:
	s_mov_b32 s14, 0
	s_add_i32 s2, s7, -1
	s_mov_b32 s3, s14
	s_add_i32 s7, s7, 1
	s_lshl_b64 s[10:11], s[2:3], 3
	s_mov_b64 s[2:3], 0
	s_add_u32 s10, s10, s0
	s_addc_u32 s11, s11, s1
	s_add_u32 s16, s10, 8
	s_addc_u32 s17, s11, 0
	s_mov_b64 s[18:19], s[8:9]
.LBB39_3:                               ; =>This Inner Loop Header: Depth=1
	s_load_b64 s[20:21], s[16:17], 0x0
	s_mov_b32 s12, -1
	s_waitcnt lgkmcnt(0)
	s_or_b64 s[10:11], s[18:19], s[20:21]
	s_delay_alu instid0(SALU_CYCLE_1) | instskip(NEXT) | instid1(SALU_CYCLE_1)
	s_mov_b32 s15, s11
                                        ; implicit-def: $sgpr10_sgpr11
	s_cmp_lg_u64 s[14:15], 0
	s_cbranch_scc0 .LBB39_5
; %bb.4:                                ;   in Loop: Header=BB39_3 Depth=1
	s_ashr_i32 s10, s21, 31
	s_delay_alu instid0(SALU_CYCLE_1) | instskip(SKIP_2) | instid1(SALU_CYCLE_1)
	s_add_u32 s22, s20, s10
	s_mov_b32 s11, s10
	s_addc_u32 s23, s21, s10
	s_xor_b64 s[22:23], s[22:23], s[10:11]
	s_delay_alu instid0(SALU_CYCLE_1)
	v_cvt_f32_u32_e32 v1, s22
	v_cvt_f32_u32_e32 v2, s23
	s_sub_u32 s28, 0, s22
	s_subb_u32 s29, 0, s23
	s_waitcnt_depctr 0xfff
	v_fmac_f32_e32 v1, 0x4f800000, v2
	s_delay_alu instid0(VALU_DEP_1) | instskip(SKIP_2) | instid1(VALU_DEP_1)
	v_rcp_f32_e32 v1, v1
	s_waitcnt_depctr 0xfff
	v_mul_f32_e32 v1, 0x5f7ffffc, v1
	v_mul_f32_e32 v2, 0x2f800000, v1
	s_delay_alu instid0(VALU_DEP_1) | instskip(NEXT) | instid1(VALU_DEP_1)
	v_trunc_f32_e32 v2, v2
	v_fmac_f32_e32 v1, 0xcf800000, v2
	v_cvt_u32_f32_e32 v2, v2
	s_delay_alu instid0(VALU_DEP_2) | instskip(NEXT) | instid1(VALU_DEP_2)
	v_cvt_u32_f32_e32 v1, v1
	v_readfirstlane_b32 s12, v2
	s_delay_alu instid0(VALU_DEP_2) | instskip(NEXT) | instid1(VALU_DEP_2)
	v_readfirstlane_b32 s15, v1
	s_mul_i32 s33, s28, s12
	s_delay_alu instid0(VALU_DEP_1)
	s_mul_hi_u32 s35, s28, s15
	s_mul_i32 s34, s29, s15
	s_add_i32 s33, s35, s33
	s_mul_i32 s36, s28, s15
	s_add_i32 s33, s33, s34
	s_mul_hi_u32 s35, s15, s36
	s_mul_hi_u32 s37, s12, s36
	s_mul_i32 s34, s12, s36
	s_mul_hi_u32 s36, s15, s33
	s_mul_i32 s15, s15, s33
	s_mul_hi_u32 s38, s12, s33
	s_add_u32 s15, s35, s15
	s_addc_u32 s35, 0, s36
	s_add_u32 s15, s15, s34
	s_mul_i32 s33, s12, s33
	s_addc_u32 s15, s35, s37
	s_addc_u32 s34, s38, 0
	s_add_u32 s15, s15, s33
	s_addc_u32 s33, 0, s34
	v_add_co_u32 v1, s15, v1, s15
	s_delay_alu instid0(VALU_DEP_1) | instskip(SKIP_1) | instid1(VALU_DEP_1)
	s_cmp_lg_u32 s15, 0
	s_addc_u32 s12, s12, s33
	v_readfirstlane_b32 s15, v1
	s_mul_i32 s33, s28, s12
	s_delay_alu instid0(VALU_DEP_1)
	s_mul_hi_u32 s34, s28, s15
	s_mul_i32 s29, s29, s15
	s_add_i32 s33, s34, s33
	s_mul_i32 s28, s28, s15
	s_add_i32 s33, s33, s29
	s_mul_hi_u32 s34, s12, s28
	s_mul_i32 s35, s12, s28
	s_mul_hi_u32 s28, s15, s28
	s_mul_hi_u32 s36, s15, s33
	s_mul_i32 s15, s15, s33
	s_mul_hi_u32 s29, s12, s33
	s_add_u32 s15, s28, s15
	s_addc_u32 s28, 0, s36
	s_add_u32 s15, s15, s35
	s_mul_i32 s33, s12, s33
	s_addc_u32 s15, s28, s34
	s_addc_u32 s28, s29, 0
	s_add_u32 s15, s15, s33
	s_addc_u32 s28, 0, s28
	v_add_co_u32 v1, s15, v1, s15
	s_delay_alu instid0(VALU_DEP_1) | instskip(SKIP_2) | instid1(VALU_DEP_1)
	s_cmp_lg_u32 s15, 0
	s_addc_u32 s12, s12, s28
	s_ashr_i32 s28, s19, 31
	v_readfirstlane_b32 s15, v1
	s_add_u32 s34, s18, s28
	s_mov_b32 s29, s28
	s_addc_u32 s35, s19, s28
	s_delay_alu instid0(SALU_CYCLE_1) | instskip(NEXT) | instid1(SALU_CYCLE_1)
	s_xor_b64 s[34:35], s[34:35], s[28:29]
	s_mul_i32 s36, s34, s12
	s_mul_hi_u32 s37, s34, s15
	s_mul_hi_u32 s33, s34, s12
	;; [unrolled: 1-line block ×3, first 2 shown]
	s_mul_i32 s15, s35, s15
	s_add_u32 s36, s37, s36
	s_addc_u32 s33, 0, s33
	s_mul_hi_u32 s38, s35, s12
	s_add_u32 s15, s36, s15
	s_mul_i32 s12, s35, s12
	s_addc_u32 s15, s33, s39
	s_addc_u32 s33, s38, 0
	s_add_u32 s12, s15, s12
	s_addc_u32 s15, 0, s33
	s_mul_i32 s38, s22, s12
	s_mul_hi_u32 s33, s22, s12
	s_mul_i32 s37, s22, s15
	v_sub_co_u32 v1, s34, s34, s38
	s_mul_i32 s36, s23, s12
	s_add_i32 s33, s33, s37
	s_delay_alu instid0(SALU_CYCLE_1) | instskip(NEXT) | instid1(VALU_DEP_1)
	s_add_i32 s33, s33, s36
	v_sub_co_u32 v2, s37, v1, s22
	s_sub_i32 s36, s35, s33
	s_cmp_lg_u32 s34, 0
	s_subb_u32 s36, s36, s23
	s_cmp_lg_u32 s37, 0
	v_readfirstlane_b32 s37, v2
	s_subb_u32 s36, s36, 0
	s_delay_alu instid0(SALU_CYCLE_1) | instskip(SKIP_1) | instid1(VALU_DEP_1)
	s_cmp_ge_u32 s36, s23
	s_cselect_b32 s38, -1, 0
	s_cmp_ge_u32 s37, s22
	s_cselect_b32 s37, -1, 0
	s_cmp_eq_u32 s36, s23
	s_cselect_b32 s36, s37, s38
	s_add_u32 s37, s12, 1
	s_addc_u32 s38, s15, 0
	s_add_u32 s39, s12, 2
	s_addc_u32 s40, s15, 0
	s_cmp_lg_u32 s36, 0
	s_cselect_b32 s36, s39, s37
	s_cselect_b32 s37, s40, s38
	s_cmp_lg_u32 s34, 0
	v_readfirstlane_b32 s34, v1
	s_subb_u32 s33, s35, s33
	s_delay_alu instid0(SALU_CYCLE_1) | instskip(SKIP_1) | instid1(VALU_DEP_1)
	s_cmp_ge_u32 s33, s23
	s_cselect_b32 s35, -1, 0
	s_cmp_ge_u32 s34, s22
	s_cselect_b32 s22, -1, 0
	s_cmp_eq_u32 s33, s23
	s_cselect_b32 s22, s22, s35
	s_delay_alu instid0(SALU_CYCLE_1)
	s_cmp_lg_u32 s22, 0
	s_cselect_b32 s23, s37, s15
	s_cselect_b32 s22, s36, s12
	s_xor_b64 s[10:11], s[28:29], s[10:11]
	s_mov_b32 s12, 0
	s_xor_b64 s[22:23], s[22:23], s[10:11]
	s_delay_alu instid0(SALU_CYCLE_1)
	s_sub_u32 s10, s22, s10
	s_subb_u32 s11, s23, s11
.LBB39_5:                               ;   in Loop: Header=BB39_3 Depth=1
	s_and_not1_b32 vcc_lo, exec_lo, s12
	s_cbranch_vccnz .LBB39_7
; %bb.6:                                ;   in Loop: Header=BB39_3 Depth=1
	v_cvt_f32_u32_e32 v1, s20
	s_sub_i32 s11, 0, s20
	s_waitcnt_depctr 0xfff
	v_rcp_iflag_f32_e32 v1, v1
	s_waitcnt_depctr 0xfff
	v_mul_f32_e32 v1, 0x4f7ffffe, v1
	s_delay_alu instid0(VALU_DEP_1) | instskip(NEXT) | instid1(VALU_DEP_1)
	v_cvt_u32_f32_e32 v1, v1
	v_readfirstlane_b32 s10, v1
	s_delay_alu instid0(VALU_DEP_1) | instskip(NEXT) | instid1(SALU_CYCLE_1)
	s_mul_i32 s11, s11, s10
	s_mul_hi_u32 s11, s10, s11
	s_delay_alu instid0(SALU_CYCLE_1) | instskip(NEXT) | instid1(SALU_CYCLE_1)
	s_add_i32 s10, s10, s11
	s_mul_hi_u32 s10, s18, s10
	s_delay_alu instid0(SALU_CYCLE_1) | instskip(SKIP_2) | instid1(SALU_CYCLE_1)
	s_mul_i32 s11, s10, s20
	s_add_i32 s12, s10, 1
	s_sub_i32 s11, s18, s11
	s_sub_i32 s15, s11, s20
	s_cmp_ge_u32 s11, s20
	s_cselect_b32 s10, s12, s10
	s_cselect_b32 s11, s15, s11
	s_add_i32 s12, s10, 1
	s_cmp_ge_u32 s11, s20
	s_mov_b32 s11, s14
	s_cselect_b32 s10, s12, s10
.LBB39_7:                               ;   in Loop: Header=BB39_3 Depth=1
	s_load_b64 s[22:23], s[16:17], 0xc8
	s_mul_i32 s12, s10, s21
	s_mul_hi_u32 s15, s10, s20
	s_mul_i32 s21, s11, s20
	s_add_i32 s12, s15, s12
	s_mul_i32 s15, s10, s20
	s_add_i32 s12, s12, s21
	s_sub_u32 s15, s18, s15
	s_subb_u32 s12, s19, s12
	s_waitcnt lgkmcnt(0)
	s_mul_i32 s12, s22, s12
	s_mul_hi_u32 s18, s22, s15
	s_mul_i32 s19, s23, s15
	s_add_i32 s12, s18, s12
	s_mul_i32 s15, s22, s15
	s_add_i32 s12, s12, s19
	s_add_u32 s2, s15, s2
	s_addc_u32 s3, s12, s3
	s_add_i32 s7, s7, -1
	s_add_u32 s16, s16, -8
	s_addc_u32 s17, s17, -1
	s_cmp_gt_u32 s7, 2
	s_cbranch_scc0 .LBB39_9
; %bb.8:                                ;   in Loop: Header=BB39_3 Depth=1
	s_mov_b64 s[18:19], s[10:11]
	s_branch .LBB39_3
.LBB39_9:
	s_clause 0x1
	s_load_b32 s7, s[0:1], 0x358
	s_load_b64 s[14:15], s[0:1], 0xd0
	s_add_u32 s16, s0, 0x1c0
	s_addc_u32 s17, s1, 0
	s_mov_b64 s[28:29], 0
	s_mov_b64 s[34:35], s[8:9]
	s_waitcnt lgkmcnt(0)
	s_cmp_lt_i32 s7, 2
	s_cbranch_scc1 .LBB39_17
; %bb.10:
	s_mov_b32 s18, 0
	s_add_i32 s20, s7, -1
	s_mov_b32 s21, s18
	s_add_i32 s7, s7, 1
	s_lshl_b64 s[20:21], s[20:21], 3
	s_mov_b64 s[22:23], s[8:9]
	s_add_u32 s12, s20, s16
	s_addc_u32 s19, s21, s17
	s_add_u32 s20, s12, 8
	s_addc_u32 s21, s19, 0
.LBB39_11:                              ; =>This Inner Loop Header: Depth=1
	s_load_b64 s[36:37], s[20:21], 0x0
	s_mov_b32 s12, -1
	s_waitcnt lgkmcnt(0)
	s_or_b64 s[34:35], s[22:23], s[36:37]
	s_delay_alu instid0(SALU_CYCLE_1) | instskip(NEXT) | instid1(SALU_CYCLE_1)
	s_mov_b32 s19, s35
                                        ; implicit-def: $sgpr34_sgpr35
	s_cmp_lg_u64 s[18:19], 0
	s_cbranch_scc0 .LBB39_13
; %bb.12:                               ;   in Loop: Header=BB39_11 Depth=1
	s_ashr_i32 s34, s37, 31
	s_delay_alu instid0(SALU_CYCLE_1) | instskip(SKIP_2) | instid1(SALU_CYCLE_1)
	s_add_u32 s38, s36, s34
	s_mov_b32 s35, s34
	s_addc_u32 s39, s37, s34
	s_xor_b64 s[38:39], s[38:39], s[34:35]
	s_delay_alu instid0(SALU_CYCLE_1)
	v_cvt_f32_u32_e32 v1, s38
	v_cvt_f32_u32_e32 v2, s39
	s_sub_u32 s33, 0, s38
	s_subb_u32 s40, 0, s39
	s_waitcnt_depctr 0xfff
	v_fmac_f32_e32 v1, 0x4f800000, v2
	s_delay_alu instid0(VALU_DEP_1) | instskip(SKIP_2) | instid1(VALU_DEP_1)
	v_rcp_f32_e32 v1, v1
	s_waitcnt_depctr 0xfff
	v_mul_f32_e32 v1, 0x5f7ffffc, v1
	v_mul_f32_e32 v2, 0x2f800000, v1
	s_delay_alu instid0(VALU_DEP_1) | instskip(NEXT) | instid1(VALU_DEP_1)
	v_trunc_f32_e32 v2, v2
	v_fmac_f32_e32 v1, 0xcf800000, v2
	v_cvt_u32_f32_e32 v2, v2
	s_delay_alu instid0(VALU_DEP_2) | instskip(NEXT) | instid1(VALU_DEP_2)
	v_cvt_u32_f32_e32 v1, v1
	v_readfirstlane_b32 s12, v2
	s_delay_alu instid0(VALU_DEP_2) | instskip(NEXT) | instid1(VALU_DEP_2)
	v_readfirstlane_b32 s19, v1
	s_mul_i32 s41, s33, s12
	s_delay_alu instid0(VALU_DEP_1)
	s_mul_hi_u32 s43, s33, s19
	s_mul_i32 s42, s40, s19
	s_add_i32 s41, s43, s41
	s_mul_i32 s44, s33, s19
	s_add_i32 s41, s41, s42
	s_mul_hi_u32 s43, s19, s44
	s_mul_hi_u32 s45, s12, s44
	s_mul_i32 s42, s12, s44
	s_mul_hi_u32 s44, s19, s41
	s_mul_i32 s19, s19, s41
	s_mul_hi_u32 s46, s12, s41
	s_add_u32 s19, s43, s19
	s_addc_u32 s43, 0, s44
	s_add_u32 s19, s19, s42
	s_mul_i32 s41, s12, s41
	s_addc_u32 s19, s43, s45
	s_addc_u32 s42, s46, 0
	s_add_u32 s19, s19, s41
	s_addc_u32 s41, 0, s42
	v_add_co_u32 v1, s19, v1, s19
	s_delay_alu instid0(VALU_DEP_1) | instskip(SKIP_1) | instid1(VALU_DEP_1)
	s_cmp_lg_u32 s19, 0
	s_addc_u32 s12, s12, s41
	v_readfirstlane_b32 s19, v1
	s_mul_i32 s41, s33, s12
	s_delay_alu instid0(VALU_DEP_1)
	s_mul_hi_u32 s42, s33, s19
	s_mul_i32 s40, s40, s19
	s_add_i32 s41, s42, s41
	s_mul_i32 s33, s33, s19
	s_add_i32 s41, s41, s40
	s_mul_hi_u32 s42, s12, s33
	s_mul_i32 s43, s12, s33
	s_mul_hi_u32 s33, s19, s33
	s_mul_hi_u32 s44, s19, s41
	s_mul_i32 s19, s19, s41
	s_mul_hi_u32 s40, s12, s41
	s_add_u32 s19, s33, s19
	s_addc_u32 s33, 0, s44
	s_add_u32 s19, s19, s43
	s_mul_i32 s41, s12, s41
	s_addc_u32 s19, s33, s42
	s_addc_u32 s33, s40, 0
	s_add_u32 s19, s19, s41
	s_addc_u32 s33, 0, s33
	v_add_co_u32 v1, s19, v1, s19
	s_delay_alu instid0(VALU_DEP_1) | instskip(SKIP_2) | instid1(VALU_DEP_1)
	s_cmp_lg_u32 s19, 0
	s_addc_u32 s12, s12, s33
	s_ashr_i32 s40, s23, 31
	v_readfirstlane_b32 s19, v1
	s_add_u32 s42, s22, s40
	s_mov_b32 s41, s40
	s_addc_u32 s43, s23, s40
	s_delay_alu instid0(SALU_CYCLE_1) | instskip(NEXT) | instid1(SALU_CYCLE_1)
	s_xor_b64 s[42:43], s[42:43], s[40:41]
	s_mul_i32 s44, s42, s12
	s_mul_hi_u32 s45, s42, s19
	s_mul_hi_u32 s33, s42, s12
	;; [unrolled: 1-line block ×3, first 2 shown]
	s_mul_i32 s19, s43, s19
	s_add_u32 s44, s45, s44
	s_addc_u32 s33, 0, s33
	s_mul_hi_u32 s46, s43, s12
	s_add_u32 s19, s44, s19
	s_mul_i32 s12, s43, s12
	s_addc_u32 s19, s33, s47
	s_addc_u32 s33, s46, 0
	s_add_u32 s12, s19, s12
	s_addc_u32 s19, 0, s33
	s_mul_i32 s46, s38, s12
	s_mul_hi_u32 s33, s38, s12
	s_mul_i32 s45, s38, s19
	v_sub_co_u32 v1, s42, s42, s46
	s_mul_i32 s44, s39, s12
	s_add_i32 s33, s33, s45
	s_delay_alu instid0(SALU_CYCLE_1) | instskip(NEXT) | instid1(VALU_DEP_1)
	s_add_i32 s33, s33, s44
	v_sub_co_u32 v2, s45, v1, s38
	s_sub_i32 s44, s43, s33
	s_cmp_lg_u32 s42, 0
	s_subb_u32 s44, s44, s39
	s_cmp_lg_u32 s45, 0
	v_readfirstlane_b32 s45, v2
	s_subb_u32 s44, s44, 0
	s_delay_alu instid0(SALU_CYCLE_1) | instskip(SKIP_1) | instid1(VALU_DEP_1)
	s_cmp_ge_u32 s44, s39
	s_cselect_b32 s46, -1, 0
	s_cmp_ge_u32 s45, s38
	s_cselect_b32 s45, -1, 0
	s_cmp_eq_u32 s44, s39
	s_cselect_b32 s44, s45, s46
	s_add_u32 s45, s12, 1
	s_addc_u32 s46, s19, 0
	s_add_u32 s47, s12, 2
	s_addc_u32 s48, s19, 0
	s_cmp_lg_u32 s44, 0
	s_cselect_b32 s44, s47, s45
	s_cselect_b32 s45, s48, s46
	s_cmp_lg_u32 s42, 0
	v_readfirstlane_b32 s42, v1
	s_subb_u32 s33, s43, s33
	s_delay_alu instid0(SALU_CYCLE_1) | instskip(SKIP_1) | instid1(VALU_DEP_1)
	s_cmp_ge_u32 s33, s39
	s_cselect_b32 s43, -1, 0
	s_cmp_ge_u32 s42, s38
	s_cselect_b32 s38, -1, 0
	s_cmp_eq_u32 s33, s39
	s_cselect_b32 s33, s38, s43
	s_delay_alu instid0(SALU_CYCLE_1)
	s_cmp_lg_u32 s33, 0
	s_cselect_b32 s39, s45, s19
	s_cselect_b32 s38, s44, s12
	s_xor_b64 s[34:35], s[40:41], s[34:35]
	s_mov_b32 s12, 0
	s_xor_b64 s[38:39], s[38:39], s[34:35]
	s_delay_alu instid0(SALU_CYCLE_1)
	s_sub_u32 s34, s38, s34
	s_subb_u32 s35, s39, s35
.LBB39_13:                              ;   in Loop: Header=BB39_11 Depth=1
	s_and_not1_b32 vcc_lo, exec_lo, s12
	s_cbranch_vccnz .LBB39_15
; %bb.14:                               ;   in Loop: Header=BB39_11 Depth=1
	v_cvt_f32_u32_e32 v1, s36
	s_sub_i32 s19, 0, s36
	s_mov_b32 s35, s18
	s_waitcnt_depctr 0xfff
	v_rcp_iflag_f32_e32 v1, v1
	s_waitcnt_depctr 0xfff
	v_mul_f32_e32 v1, 0x4f7ffffe, v1
	s_delay_alu instid0(VALU_DEP_1) | instskip(NEXT) | instid1(VALU_DEP_1)
	v_cvt_u32_f32_e32 v1, v1
	v_readfirstlane_b32 s12, v1
	s_delay_alu instid0(VALU_DEP_1) | instskip(NEXT) | instid1(SALU_CYCLE_1)
	s_mul_i32 s19, s19, s12
	s_mul_hi_u32 s19, s12, s19
	s_delay_alu instid0(SALU_CYCLE_1) | instskip(NEXT) | instid1(SALU_CYCLE_1)
	s_add_i32 s12, s12, s19
	s_mul_hi_u32 s12, s22, s12
	s_delay_alu instid0(SALU_CYCLE_1) | instskip(SKIP_2) | instid1(SALU_CYCLE_1)
	s_mul_i32 s19, s12, s36
	s_add_i32 s33, s12, 1
	s_sub_i32 s19, s22, s19
	s_sub_i32 s34, s19, s36
	s_cmp_ge_u32 s19, s36
	s_cselect_b32 s12, s33, s12
	s_cselect_b32 s19, s34, s19
	s_add_i32 s33, s12, 1
	s_cmp_ge_u32 s19, s36
	s_cselect_b32 s34, s33, s12
.LBB39_15:                              ;   in Loop: Header=BB39_11 Depth=1
	s_load_b64 s[38:39], s[20:21], 0xc8
	s_mul_i32 s12, s34, s37
	s_mul_hi_u32 s19, s34, s36
	s_mul_i32 s33, s35, s36
	s_add_i32 s12, s19, s12
	s_mul_i32 s19, s34, s36
	s_add_i32 s12, s12, s33
	s_sub_u32 s19, s22, s19
	s_subb_u32 s12, s23, s12
	s_waitcnt lgkmcnt(0)
	s_mul_i32 s12, s38, s12
	s_mul_hi_u32 s22, s38, s19
	s_mul_i32 s23, s39, s19
	s_add_i32 s12, s22, s12
	s_mul_i32 s19, s38, s19
	s_add_i32 s12, s12, s23
	s_add_u32 s28, s19, s28
	s_addc_u32 s29, s12, s29
	s_add_i32 s7, s7, -1
	s_add_u32 s20, s20, -8
	s_addc_u32 s21, s21, -1
	s_cmp_gt_u32 s7, 2
	s_cbranch_scc0 .LBB39_17
; %bb.16:                               ;   in Loop: Header=BB39_11 Depth=1
	s_mov_b64 s[22:23], s[34:35]
	s_branch .LBB39_11
.LBB39_17:
	s_clause 0x1
	s_load_b32 s7, s[0:1], 0x4f8
	s_load_b64 s[36:37], s[16:17], 0xd0
	s_add_u32 s12, s0, 0x360
	s_addc_u32 s17, s1, 0
	s_mov_b64 s[38:39], 0
	s_waitcnt lgkmcnt(0)
	s_cmp_lt_i32 s7, 2
	s_cbranch_scc1 .LBB39_25
; %bb.18:
	s_mov_b32 s16, 0
	s_add_i32 s18, s7, -1
	s_mov_b32 s19, s16
	s_add_i32 s7, s7, 1
	s_lshl_b64 s[18:19], s[18:19], 3
	s_delay_alu instid0(SALU_CYCLE_1)
	s_add_u32 s12, s18, s12
	s_addc_u32 s17, s19, s17
	s_add_u32 s18, s12, 8
	s_addc_u32 s19, s17, 0
.LBB39_19:                              ; =>This Inner Loop Header: Depth=1
	s_load_b64 s[20:21], s[18:19], 0x0
	s_mov_b32 s12, -1
                                        ; implicit-def: $sgpr40_sgpr41
	s_waitcnt lgkmcnt(0)
	s_or_b64 s[22:23], s[8:9], s[20:21]
	s_delay_alu instid0(SALU_CYCLE_1) | instskip(NEXT) | instid1(SALU_CYCLE_1)
	s_mov_b32 s17, s23
	s_cmp_lg_u64 s[16:17], 0
	s_cbranch_scc0 .LBB39_21
; %bb.20:                               ;   in Loop: Header=BB39_19 Depth=1
	s_ashr_i32 s22, s21, 31
	s_delay_alu instid0(SALU_CYCLE_1) | instskip(SKIP_2) | instid1(SALU_CYCLE_1)
	s_add_u32 s40, s20, s22
	s_mov_b32 s23, s22
	s_addc_u32 s41, s21, s22
	s_xor_b64 s[40:41], s[40:41], s[22:23]
	s_delay_alu instid0(SALU_CYCLE_1)
	v_cvt_f32_u32_e32 v1, s40
	v_cvt_f32_u32_e32 v2, s41
	s_sub_u32 s33, 0, s40
	s_subb_u32 s42, 0, s41
	s_waitcnt_depctr 0xfff
	v_fmac_f32_e32 v1, 0x4f800000, v2
	s_delay_alu instid0(VALU_DEP_1) | instskip(SKIP_2) | instid1(VALU_DEP_1)
	v_rcp_f32_e32 v1, v1
	s_waitcnt_depctr 0xfff
	v_mul_f32_e32 v1, 0x5f7ffffc, v1
	v_mul_f32_e32 v2, 0x2f800000, v1
	s_delay_alu instid0(VALU_DEP_1) | instskip(NEXT) | instid1(VALU_DEP_1)
	v_trunc_f32_e32 v2, v2
	v_fmac_f32_e32 v1, 0xcf800000, v2
	v_cvt_u32_f32_e32 v2, v2
	s_delay_alu instid0(VALU_DEP_2) | instskip(NEXT) | instid1(VALU_DEP_2)
	v_cvt_u32_f32_e32 v1, v1
	v_readfirstlane_b32 s12, v2
	s_delay_alu instid0(VALU_DEP_2) | instskip(NEXT) | instid1(VALU_DEP_2)
	v_readfirstlane_b32 s17, v1
	s_mul_i32 s43, s33, s12
	s_delay_alu instid0(VALU_DEP_1)
	s_mul_hi_u32 s45, s33, s17
	s_mul_i32 s44, s42, s17
	s_add_i32 s43, s45, s43
	s_mul_i32 s46, s33, s17
	s_add_i32 s43, s43, s44
	s_mul_hi_u32 s45, s17, s46
	s_mul_hi_u32 s47, s12, s46
	s_mul_i32 s44, s12, s46
	s_mul_hi_u32 s46, s17, s43
	s_mul_i32 s17, s17, s43
	s_mul_hi_u32 s48, s12, s43
	s_add_u32 s17, s45, s17
	s_addc_u32 s45, 0, s46
	s_add_u32 s17, s17, s44
	s_mul_i32 s43, s12, s43
	s_addc_u32 s17, s45, s47
	s_addc_u32 s44, s48, 0
	s_add_u32 s17, s17, s43
	s_addc_u32 s43, 0, s44
	v_add_co_u32 v1, s17, v1, s17
	s_delay_alu instid0(VALU_DEP_1) | instskip(SKIP_1) | instid1(VALU_DEP_1)
	s_cmp_lg_u32 s17, 0
	s_addc_u32 s12, s12, s43
	v_readfirstlane_b32 s17, v1
	s_mul_i32 s43, s33, s12
	s_delay_alu instid0(VALU_DEP_1)
	s_mul_hi_u32 s44, s33, s17
	s_mul_i32 s42, s42, s17
	s_add_i32 s43, s44, s43
	s_mul_i32 s33, s33, s17
	s_add_i32 s43, s43, s42
	s_mul_hi_u32 s44, s12, s33
	s_mul_i32 s45, s12, s33
	s_mul_hi_u32 s33, s17, s33
	s_mul_hi_u32 s46, s17, s43
	s_mul_i32 s17, s17, s43
	s_mul_hi_u32 s42, s12, s43
	s_add_u32 s17, s33, s17
	s_addc_u32 s33, 0, s46
	s_add_u32 s17, s17, s45
	s_mul_i32 s43, s12, s43
	s_addc_u32 s17, s33, s44
	s_addc_u32 s33, s42, 0
	s_add_u32 s17, s17, s43
	s_addc_u32 s33, 0, s33
	v_add_co_u32 v1, s17, v1, s17
	s_delay_alu instid0(VALU_DEP_1) | instskip(SKIP_2) | instid1(VALU_DEP_1)
	s_cmp_lg_u32 s17, 0
	s_addc_u32 s12, s12, s33
	s_ashr_i32 s42, s9, 31
	v_readfirstlane_b32 s17, v1
	s_add_u32 s44, s8, s42
	s_mov_b32 s43, s42
	s_addc_u32 s45, s9, s42
	s_delay_alu instid0(SALU_CYCLE_1) | instskip(NEXT) | instid1(SALU_CYCLE_1)
	s_xor_b64 s[44:45], s[44:45], s[42:43]
	s_mul_i32 s46, s44, s12
	s_mul_hi_u32 s47, s44, s17
	s_mul_hi_u32 s33, s44, s12
	;; [unrolled: 1-line block ×3, first 2 shown]
	s_mul_i32 s17, s45, s17
	s_add_u32 s46, s47, s46
	s_addc_u32 s33, 0, s33
	s_mul_hi_u32 s48, s45, s12
	s_add_u32 s17, s46, s17
	s_mul_i32 s12, s45, s12
	s_addc_u32 s17, s33, s49
	s_addc_u32 s33, s48, 0
	s_add_u32 s12, s17, s12
	s_addc_u32 s17, 0, s33
	s_mul_i32 s48, s40, s12
	s_mul_hi_u32 s33, s40, s12
	s_mul_i32 s47, s40, s17
	v_sub_co_u32 v1, s44, s44, s48
	s_mul_i32 s46, s41, s12
	s_add_i32 s33, s33, s47
	s_delay_alu instid0(SALU_CYCLE_1) | instskip(NEXT) | instid1(VALU_DEP_1)
	s_add_i32 s33, s33, s46
	v_sub_co_u32 v2, s47, v1, s40
	s_sub_i32 s46, s45, s33
	s_cmp_lg_u32 s44, 0
	s_subb_u32 s46, s46, s41
	s_cmp_lg_u32 s47, 0
	v_readfirstlane_b32 s47, v2
	s_subb_u32 s46, s46, 0
	s_delay_alu instid0(SALU_CYCLE_1) | instskip(SKIP_1) | instid1(VALU_DEP_1)
	s_cmp_ge_u32 s46, s41
	s_cselect_b32 s48, -1, 0
	s_cmp_ge_u32 s47, s40
	s_cselect_b32 s47, -1, 0
	s_cmp_eq_u32 s46, s41
	s_cselect_b32 s46, s47, s48
	s_add_u32 s47, s12, 1
	s_addc_u32 s48, s17, 0
	s_add_u32 s49, s12, 2
	s_addc_u32 s50, s17, 0
	s_cmp_lg_u32 s46, 0
	s_cselect_b32 s46, s49, s47
	s_cselect_b32 s47, s50, s48
	s_cmp_lg_u32 s44, 0
	v_readfirstlane_b32 s44, v1
	s_subb_u32 s33, s45, s33
	s_delay_alu instid0(SALU_CYCLE_1) | instskip(SKIP_1) | instid1(VALU_DEP_1)
	s_cmp_ge_u32 s33, s41
	s_cselect_b32 s45, -1, 0
	s_cmp_ge_u32 s44, s40
	s_cselect_b32 s40, -1, 0
	s_cmp_eq_u32 s33, s41
	s_cselect_b32 s33, s40, s45
	s_delay_alu instid0(SALU_CYCLE_1)
	s_cmp_lg_u32 s33, 0
	s_cselect_b32 s41, s47, s17
	s_cselect_b32 s40, s46, s12
	s_xor_b64 s[22:23], s[42:43], s[22:23]
	s_mov_b32 s12, 0
	s_xor_b64 s[40:41], s[40:41], s[22:23]
	s_delay_alu instid0(SALU_CYCLE_1)
	s_sub_u32 s40, s40, s22
	s_subb_u32 s41, s41, s23
.LBB39_21:                              ;   in Loop: Header=BB39_19 Depth=1
	s_and_not1_b32 vcc_lo, exec_lo, s12
	s_cbranch_vccnz .LBB39_23
; %bb.22:                               ;   in Loop: Header=BB39_19 Depth=1
	v_cvt_f32_u32_e32 v1, s20
	s_sub_i32 s17, 0, s20
	s_mov_b32 s41, s16
	s_waitcnt_depctr 0xfff
	v_rcp_iflag_f32_e32 v1, v1
	s_waitcnt_depctr 0xfff
	v_mul_f32_e32 v1, 0x4f7ffffe, v1
	s_delay_alu instid0(VALU_DEP_1) | instskip(NEXT) | instid1(VALU_DEP_1)
	v_cvt_u32_f32_e32 v1, v1
	v_readfirstlane_b32 s12, v1
	s_delay_alu instid0(VALU_DEP_1) | instskip(NEXT) | instid1(SALU_CYCLE_1)
	s_mul_i32 s17, s17, s12
	s_mul_hi_u32 s17, s12, s17
	s_delay_alu instid0(SALU_CYCLE_1) | instskip(NEXT) | instid1(SALU_CYCLE_1)
	s_add_i32 s12, s12, s17
	s_mul_hi_u32 s12, s8, s12
	s_delay_alu instid0(SALU_CYCLE_1) | instskip(SKIP_2) | instid1(SALU_CYCLE_1)
	s_mul_i32 s17, s12, s20
	s_add_i32 s22, s12, 1
	s_sub_i32 s17, s8, s17
	s_sub_i32 s23, s17, s20
	s_cmp_ge_u32 s17, s20
	s_cselect_b32 s12, s22, s12
	s_cselect_b32 s17, s23, s17
	s_add_i32 s22, s12, 1
	s_cmp_ge_u32 s17, s20
	s_cselect_b32 s40, s22, s12
.LBB39_23:                              ;   in Loop: Header=BB39_19 Depth=1
	s_load_b64 s[22:23], s[18:19], 0xc8
	s_mul_i32 s12, s40, s21
	s_mul_hi_u32 s17, s40, s20
	s_mul_i32 s21, s41, s20
	s_add_i32 s12, s17, s12
	s_mul_i32 s17, s40, s20
	s_add_i32 s12, s12, s21
	s_sub_u32 s8, s8, s17
	s_subb_u32 s9, s9, s12
	s_waitcnt lgkmcnt(0)
	s_mul_i32 s9, s22, s9
	s_mul_hi_u32 s12, s22, s8
	s_mul_i32 s17, s23, s8
	s_add_i32 s9, s12, s9
	s_mul_i32 s8, s22, s8
	s_add_i32 s9, s9, s17
	s_add_u32 s38, s8, s38
	s_addc_u32 s39, s9, s39
	s_add_i32 s7, s7, -1
	s_add_u32 s18, s18, -8
	s_addc_u32 s19, s19, -1
	s_cmp_gt_u32 s7, 2
	s_cbranch_scc0 .LBB39_26
; %bb.24:                               ;   in Loop: Header=BB39_19 Depth=1
	s_mov_b64 s[8:9], s[40:41]
	s_branch .LBB39_19
.LBB39_25:
	s_mov_b64 s[40:41], s[8:9]
.LBB39_26:
	s_clause 0x3
	s_load_b64 s[8:9], s[0:1], 0x0
	s_load_b64 s[46:47], s[0:1], 0x1c0
	;; [unrolled: 1-line block ×4, first 2 shown]
	v_cmp_eq_u32_e64 s0, 0, v0
	s_mov_b32 s49, 0
	s_delay_alu instid0(VALU_DEP_1)
	s_and_saveexec_b32 s1, s0
	s_cbranch_execz .LBB39_28
; %bb.27:
	v_dual_mov_b32 v1, 0 :: v_dual_mov_b32 v4, s25
	s_delay_alu instid0(VALU_DEP_1)
	v_dual_mov_b32 v3, s24 :: v_dual_mov_b32 v2, v1
	ds_store_b32 v1, v1 offset:5136
	ds_store_b128 v1, v[1:4] offset:5120
.LBB39_28:
	s_or_b32 exec_lo, exec_lo, s1
	s_mul_i32 s1, s14, s11
	s_mul_hi_u32 s7, s14, s10
	v_dual_mov_b32 v13, 0 :: v_dual_lshlrev_b32 v16, 2, v0
	s_add_i32 s1, s7, s1
	s_mul_i32 s7, s15, s10
	s_waitcnt lgkmcnt(0)
	s_add_i32 s11, s1, s7
	s_barrier
	buffer_gl0_inv
	s_load_b32 s7, s[4:5], 0xc
	v_dual_mov_b32 v17, v13 :: v_dual_lshlrev_b32 v44, 3, v0
	s_mul_i32 s10, s14, s10
	s_lshl_b64 s[52:53], s[2:3], 1
	s_lshl_b64 s[10:11], s[10:11], 1
	v_mbcnt_lo_u32_b32 v40, -1, 0
	v_or_b32_e32 v11, 6, v44
	s_add_u32 s14, s8, s10
	v_lshrrev_b32_e32 v6, 3, v0
	s_addc_u32 s15, s9, s11
	v_mad_u64_u32 v[2:3], null, v0, s30, 0
	v_mad_u64_u32 v[18:19], null, s30, v11, s[14:15]
	v_or_b32_e32 v12, 4, v44
	v_dual_mov_b32 v50, 0 :: v_dual_and_b32 v43, 0x7c, v6
	v_lshlrev_b64 v[6:7], v40, -1
	v_cmp_gt_u32_e32 vcc_lo, 32, v0
	v_cmp_gt_i32_e64 s1, 4, v40
	s_add_u32 s74, s14, s52
	v_mad_u64_u32 v[20:21], null, s30, v12, s[14:15]
	s_addc_u32 s75, s15, s53
	s_waitcnt lgkmcnt(0)
	s_and_b32 s33, s7, 0xffff
	v_or_b32_e32 v24, 2, v44
	v_lshlrev_b32_e32 v41, 1, v0
	s_and_b32 s76, vcc_lo, s1
	s_bfe_u32 s12, s7, 0xb0005
	v_not_b32_e32 v45, v6
	v_mov_b32_e32 v6, v19
	v_dual_mov_b32 v1, v3 :: v_dual_add_nc_u32 v42, 0xc00, v41
	s_add_u32 s78, s33, -1
	s_addc_u32 s79, 0, -1
	s_add_u32 s80, s78, s24
	s_addc_u32 s55, s79, s25
	v_mad_u64_u32 v[22:23], null, s30, v24, s[14:15]
	v_mad_u64_u32 v[3:4], null, v0, s31, v[1:2]
	s_cmp_lt_u32 s13, s6
	v_mov_b32_e32 v7, v21
	s_cselect_b32 s6, 12, 18
	s_delay_alu instid0(VALU_DEP_3)
	v_dual_mov_b32 v1, v13 :: v_dual_mov_b32 v8, v23
	s_add_u32 s56, s4, s6
	s_addc_u32 s57, s5, 0
	s_add_i32 s4, s12, -1
	s_bfe_u32 s81, s33, 0x30005
	v_mad_u64_u32 v[9:10], null, s31, v11, v[6:7]
	s_cmp_gt_u32 s4, 6
	v_lshlrev_b64 v[4:5], 1, v[2:3]
	s_cselect_b32 s82, -1, 0
	s_and_b32 s83, s12, 0x7f8
	s_cmp_lg_u32 s81, 0
	v_lshlrev_b64 v[2:3], 3, v[2:3]
	s_cselect_b32 s85, -1, 0
	s_add_u32 s4, s10, s52
	v_mad_u64_u32 v[10:11], null, s31, v12, v[7:8]
	s_addc_u32 s5, s11, s53
	v_add_co_u32 v14, vcc_lo, s74, v4
	v_mad_u64_u32 v[6:7], null, s31, v24, v[8:9]
	s_add_u32 s58, s8, s4
	v_add_co_u32 v46, s4, s24, v0
	s_addc_u32 s59, s9, s5
	s_lshl_b64 s[60:61], s[30:31], 1
	s_lshl_b64 s[62:63], s[30:31], 3
	v_add_co_ci_u32_e32 v15, vcc_lo, s75, v5, vcc_lo
	v_add_co_ci_u32_e64 v47, null, s25, 0, s4
	s_add_u32 s4, s8, s52
	v_add_co_u32 v24, vcc_lo, s14, v2
	s_addc_u32 s5, s9, s53
	s_add_u32 s6, s4, s10
	v_add_co_ci_u32_e32 v25, vcc_lo, s15, v3, vcc_lo
	v_mov_b32_e32 v21, v10
	s_addc_u32 s8, s5, s11
	v_add_co_u32 v10, vcc_lo, s6, v4
	v_cmp_lt_i64_e64 s77, 0x600, s[24:25]
	v_cmp_gt_i64_e64 s1, s[24:25], v[0:1]
	v_cmp_gt_u16_e64 s84, s7, 31
	s_mul_i32 s4, s31, s33
	s_mul_hi_u32 s7, s30, s33
	v_cmp_eq_u32_e64 s2, 0, v40
	v_cmp_gt_u32_e64 s3, 2, v0
	v_mov_b32_e32 v19, v9
	v_mov_b32_e32 v23, v6
	v_lshl_or_b32 v48, v40, 3, 0xc00
	v_add_co_ci_u32_e32 v11, vcc_lo, s8, v5, vcc_lo
	v_cvt_f32_ubyte0_e32 v49, 0
	s_add_i32 s5, s7, s4
	s_mul_i32 s4, s30, s33
	s_lshl_b32 s86, s33, 1
	s_lshl_b64 s[50:51], s[4:5], 1
	s_mov_b32 s91, 14
	s_mov_b32 s87, 0
	;; [unrolled: 1-line block ×5, first 2 shown]
                                        ; implicit-def: $sgpr88
                                        ; implicit-def: $sgpr90
                                        ; implicit-def: $sgpr89
                                        ; implicit-def: $sgpr94
                                        ; implicit-def: $sgpr95
                                        ; implicit-def: $sgpr93
	s_branch .LBB39_33
.LBB39_29:                              ;   in Loop: Header=BB39_33 Depth=1
	s_xor_b32 s92, s92, 1
	s_add_i32 s7, s91, -2
	s_cmp_eq_u32 s91, 0
	s_mov_b32 s5, 0
	s_cselect_b32 s6, -1, 0
	s_mov_b32 s91, s7
.LBB39_30:                              ;   in Loop: Header=BB39_33 Depth=1
	s_and_not1_b32 s7, s20, exec_lo
	s_and_b32 s5, s5, exec_lo
	s_and_not1_b32 s21, s21, exec_lo
	s_or_b32 s20, s7, s5
	s_and_not1_b32 s19, s19, exec_lo
	s_or_not1_b32 s15, s6, exec_lo
.LBB39_31:                              ;   in Loop: Header=BB39_33 Depth=1
	s_or_b32 exec_lo, exec_lo, s4
	s_delay_alu instid0(SALU_CYCLE_1)
	s_and_not1_b32 s4, s93, exec_lo
	s_and_b32 s5, s20, exec_lo
	s_and_not1_b32 s6, s94, exec_lo
	s_or_b32 s93, s4, s5
	s_and_not1_b32 s4, s95, exec_lo
	s_and_b32 s5, s21, exec_lo
	s_and_b32 s7, s19, exec_lo
	s_or_b32 s95, s4, s5
	s_or_b32 s94, s6, s7
	s_or_not1_b32 s19, s15, exec_lo
.LBB39_32:                              ;   in Loop: Header=BB39_33 Depth=1
	s_or_b32 exec_lo, exec_lo, s14
	s_delay_alu instid0(SALU_CYCLE_1)
	s_and_b32 s4, exec_lo, s19
	v_mov_b32_e32 v2, s97
	s_or_b32 s87, s4, s87
	s_and_not1_b32 s4, s89, exec_lo
	s_and_b32 s5, s93, exec_lo
	s_and_not1_b32 s6, s88, exec_lo
	s_or_b32 s89, s4, s5
	s_and_not1_b32 s4, s90, exec_lo
	s_and_b32 s5, s95, exec_lo
	s_and_b32 s7, s94, exec_lo
	s_or_b32 s90, s4, s5
	s_or_b32 s88, s6, s7
	s_and_not1_b32 exec_lo, exec_lo, s87
	s_cbranch_execz .LBB39_299
.LBB39_33:                              ; =>This Loop Header: Depth=1
                                        ;     Child Loop BB39_38 Depth 2
                                        ;     Child Loop BB39_57 Depth 2
	;; [unrolled: 1-line block ×16, first 2 shown]
	ds_load_b128 v[2:5], v13 offset:5120
	s_waitcnt lgkmcnt(0)
	v_readfirstlane_b32 s65, v3
	v_readfirstlane_b32 s64, v2
	s_delay_alu instid0(VALU_DEP_1) | instskip(NEXT) | instid1(VALU_DEP_1)
	v_cmp_gt_i64_e64 s4, s[64:65], 0
	s_and_b32 vcc_lo, exec_lo, s4
	s_cbranch_vccnz .LBB39_64
; %bb.34:                               ;   in Loop: Header=BB39_33 Depth=1
	s_and_b32 vcc_lo, exec_lo, s77
	s_cbranch_vccz .LBB39_46
; %bb.35:                               ;   in Loop: Header=BB39_33 Depth=1
	v_cmp_gt_i64_e32 vcc_lo, 0x601, v[4:5]
	s_mov_b32 s6, 0
	s_mov_b32 s4, 0
	s_cbranch_vccz .LBB39_51
; %bb.36:                               ;   in Loop: Header=BB39_33 Depth=1
	global_load_u16 v6, v13, s[56:57]
	global_load_u16 v7, v[14:15], off
	s_mov_b32 s8, 0
	s_waitcnt vmcnt(1)
	v_readfirstlane_b32 s4, v6
	v_and_b32_e32 v6, 0xffff, v6
	s_delay_alu instid0(VALU_DEP_2) | instskip(NEXT) | instid1(SALU_CYCLE_1)
	s_and_b32 s4, 0xffff, s4
	v_add_nc_u32_e32 v8, s4, v0
	s_mul_i32 s5, s61, s4
	s_mul_hi_u32 s7, s60, s4
	s_mul_i32 s9, s60, s4
	s_add_i32 s7, s7, s5
	v_mad_u64_u32 v[2:3], null, s60, v8, s[58:59]
	s_delay_alu instid0(VALU_DEP_1) | instskip(NEXT) | instid1(VALU_DEP_1)
	v_mad_u64_u32 v[4:5], null, s61, v8, v[3:4]
	v_mov_b32_e32 v3, v4
	v_dual_mov_b32 v5, v1 :: v_dual_mov_b32 v4, v0
	s_branch .LBB39_38
.LBB39_37:                              ;   in Loop: Header=BB39_38 Depth=2
	s_or_b32 exec_lo, exec_lo, s5
	v_add_co_u32 v2, vcc_lo, v2, s9
	v_add_co_ci_u32_e32 v3, vcc_lo, s7, v3, vcc_lo
	v_mov_b32_e32 v7, v8
	s_and_not1_b32 exec_lo, exec_lo, s8
	s_cbranch_execz .LBB39_47
.LBB39_38:                              ;   Parent Loop BB39_33 Depth=1
                                        ; =>  This Inner Loop Header: Depth=2
	s_delay_alu instid0(VALU_DEP_1) | instskip(NEXT) | instid1(VALU_DEP_2)
	v_add_co_u32 v4, vcc_lo, v4, v6
	v_add_co_ci_u32_e32 v5, vcc_lo, 0, v5, vcc_lo
	s_waitcnt lgkmcnt(0)
	v_dual_mov_b32 v9, 0 :: v_dual_mov_b32 v8, 0
	s_mov_b32 s5, exec_lo
	s_delay_alu instid0(VALU_DEP_2)
	v_cmp_le_i64_e32 vcc_lo, s[24:25], v[4:5]
	v_cmpx_gt_i64_e64 s[24:25], v[4:5]
	s_cbranch_execz .LBB39_40
; %bb.39:                               ;   in Loop: Header=BB39_38 Depth=2
	global_load_u16 v8, v[2:3], off
.LBB39_40:                              ;   in Loop: Header=BB39_38 Depth=2
	s_or_b32 exec_lo, exec_lo, s5
	s_waitcnt vmcnt(0)
	v_bfe_i32 v12, v7, 0, 16
	s_delay_alu instid0(VALU_DEP_1) | instskip(NEXT) | instid1(VALU_DEP_1)
	v_add_nc_u32_e32 v12, 0x8000, v12
	v_and_b32_e32 v12, s96, v12
	s_delay_alu instid0(VALU_DEP_1) | instskip(NEXT) | instid1(VALU_DEP_1)
	v_cmp_eq_u32_e64 s4, s97, v12
	s_cmp_lg_u32 s4, 0
	s_cselect_b32 s5, -1, 0
	s_delay_alu instid0(SALU_CYCLE_1) | instskip(NEXT) | instid1(SALU_CYCLE_1)
	s_and_b32 s5, s2, s5
	s_and_saveexec_b32 s10, s5
	s_cbranch_execz .LBB39_44
; %bb.41:                               ;   in Loop: Header=BB39_38 Depth=2
	s_mov_b32 s13, exec_lo
	s_bcnt1_i32_b32 s11, s4
	v_mbcnt_lo_u32_b32 v9, s13, 0
	s_mov_b32 s12, exec_lo
                                        ; implicit-def: $vgpr12
	s_delay_alu instid0(VALU_DEP_1)
	v_cmpx_eq_u32_e32 0, v9
	s_cbranch_execz .LBB39_43
; %bb.42:                               ;   in Loop: Header=BB39_38 Depth=2
	s_bcnt1_i32_b32 s5, s13
	s_delay_alu instid0(SALU_CYCLE_1) | instskip(NEXT) | instid1(SALU_CYCLE_1)
	s_mul_i32 s5, s11, s5
	v_mov_b32_e32 v12, s5
	ds_add_rtn_u32 v12, v13, v12 offset:5136
.LBB39_43:                              ;   in Loop: Header=BB39_38 Depth=2
	s_or_b32 exec_lo, exec_lo, s12
	s_waitcnt lgkmcnt(0)
	v_readfirstlane_b32 s5, v12
	s_delay_alu instid0(VALU_DEP_1)
	v_mad_u32_u24 v9, s11, v9, s5
.LBB39_44:                              ;   in Loop: Header=BB39_38 Depth=2
	s_or_b32 exec_lo, exec_lo, s10
	ds_bpermute_b32 v9, v13, v9
	s_and_b32 s5, exec_lo, vcc_lo
	s_delay_alu instid0(SALU_CYCLE_1)
	s_or_b32 s8, s5, s8
	s_and_saveexec_b32 s5, s4
	s_cbranch_execz .LBB39_37
; %bb.45:                               ;   in Loop: Header=BB39_38 Depth=2
	v_and_b32_e32 v12, s4, v45
	s_delay_alu instid0(VALU_DEP_1) | instskip(NEXT) | instid1(VALU_DEP_1)
	v_bcnt_u32_b32 v12, v12, 0
	v_lshlrev_b32_e32 v12, 1, v12
	s_waitcnt lgkmcnt(0)
	s_delay_alu instid0(VALU_DEP_1)
	v_lshl_add_u32 v9, v9, 1, v12
	ds_store_b16 v9, v7
	s_branch .LBB39_37
.LBB39_46:                              ;   in Loop: Header=BB39_33 Depth=1
	s_mov_b32 s6, -1
	s_mov_b32 s4, 0
	s_branch .LBB39_50
.LBB39_47:                              ;   in Loop: Header=BB39_33 Depth=1
	s_or_b32 exec_lo, exec_lo, s8
	s_waitcnt lgkmcnt(0)
	s_barrier
	buffer_gl0_inv
	s_and_saveexec_b32 s4, s0
	s_cbranch_execz .LBB39_49
; %bb.48:                               ;   in Loop: Header=BB39_33 Depth=1
	ds_load_b32 v2, v13 offset:5136
	s_waitcnt lgkmcnt(0)
	v_ashrrev_i32_e32 v3, 31, v2
	ds_store_b64 v13, v[2:3] offset:5120
.LBB39_49:                              ;   in Loop: Header=BB39_33 Depth=1
	s_or_b32 exec_lo, exec_lo, s4
	s_waitcnt lgkmcnt(0)
	s_mov_b32 s4, -1
	s_barrier
.LBB39_50:                              ;   in Loop: Header=BB39_33 Depth=1
                                        ; implicit-def: $sgpr64_sgpr65
.LBB39_51:                              ;   in Loop: Header=BB39_33 Depth=1
	s_and_b32 vcc_lo, exec_lo, s6
	s_cbranch_vccz .LBB39_62
; %bb.52:                               ;   in Loop: Header=BB39_33 Depth=1
	v_mov_b32_e32 v6, 0
	s_and_saveexec_b32 s4, s1
	s_cbranch_execz .LBB39_54
; %bb.53:                               ;   in Loop: Header=BB39_33 Depth=1
	global_load_u16 v6, v[14:15], off
.LBB39_54:                              ;   in Loop: Header=BB39_33 Depth=1
	s_or_b32 exec_lo, exec_lo, s4
	s_and_saveexec_b32 s5, s1
	s_cbranch_execz .LBB39_59
; %bb.55:                               ;   in Loop: Header=BB39_33 Depth=1
	global_load_u16 v8, v13, s[56:57]
	s_mov_b32 s9, 0
	s_waitcnt vmcnt(0)
	v_readfirstlane_b32 s4, v8
	v_and_b32_e32 v8, 0xffff, v8
	s_delay_alu instid0(VALU_DEP_2) | instskip(NEXT) | instid1(SALU_CYCLE_1)
	s_and_b32 s4, 0xffff, s4
	v_add_nc_u32_e32 v7, s4, v0
	s_mul_i32 s7, s61, s4
	s_mul_hi_u32 s8, s60, s4
	s_lshl_b32 s6, s4, 1
	s_add_i32 s7, s8, s7
	v_mad_u64_u32 v[2:3], null, s60, v7, s[58:59]
	s_mul_i32 s8, s60, s4
	s_delay_alu instid0(VALU_DEP_1) | instskip(SKIP_1) | instid1(VALU_DEP_2)
	v_mad_u64_u32 v[4:5], null, s61, v7, v[3:4]
	v_mov_b32_e32 v7, v41
	v_mov_b32_e32 v3, v4
	v_dual_mov_b32 v5, v1 :: v_dual_mov_b32 v4, v0
	s_branch .LBB39_57
	.p2align	6
.LBB39_56:                              ;   in Loop: Header=BB39_57 Depth=2
	s_or_b32 exec_lo, exec_lo, s10
	s_delay_alu instid0(SALU_CYCLE_1)
	s_and_b32 s4, exec_lo, vcc_lo
	v_add_co_u32 v2, vcc_lo, v2, s8
	ds_store_b16 v7, v6
	s_waitcnt vmcnt(0)
	v_dual_mov_b32 v6, v9 :: v_dual_add_nc_u32 v7, s6, v7
	v_add_co_ci_u32_e32 v3, vcc_lo, s7, v3, vcc_lo
	s_or_b32 s9, s4, s9
	s_delay_alu instid0(SALU_CYCLE_1)
	s_and_not1_b32 exec_lo, exec_lo, s9
	s_cbranch_execz .LBB39_59
.LBB39_57:                              ;   Parent Loop BB39_33 Depth=1
                                        ; =>  This Inner Loop Header: Depth=2
	s_delay_alu instid0(VALU_DEP_1) | instskip(NEXT) | instid1(VALU_DEP_2)
	v_add_co_u32 v4, vcc_lo, v4, v8
	v_add_co_ci_u32_e32 v5, vcc_lo, 0, v5, vcc_lo
	v_mov_b32_e32 v9, 0
	s_mov_b32 s10, exec_lo
	s_delay_alu instid0(VALU_DEP_2)
	v_cmp_le_i64_e32 vcc_lo, s[24:25], v[4:5]
	v_cmpx_gt_i64_e64 s[24:25], v[4:5]
	s_cbranch_execz .LBB39_56
; %bb.58:                               ;   in Loop: Header=BB39_57 Depth=2
	global_load_u16 v9, v[2:3], off
	s_branch .LBB39_56
.LBB39_59:                              ;   in Loop: Header=BB39_33 Depth=1
	s_or_b32 exec_lo, exec_lo, s5
	s_waitcnt vmcnt(0) lgkmcnt(0)
	s_barrier
	buffer_gl0_inv
	s_and_saveexec_b32 s4, s0
	s_cbranch_execz .LBB39_61
; %bb.60:                               ;   in Loop: Header=BB39_33 Depth=1
	v_dual_mov_b32 v2, s24 :: v_dual_mov_b32 v3, s25
	ds_store_b64 v13, v[2:3] offset:5120
.LBB39_61:                              ;   in Loop: Header=BB39_33 Depth=1
	s_or_b32 exec_lo, exec_lo, s4
	s_mov_b32 s4, -1
	s_waitcnt lgkmcnt(0)
	s_barrier
                                        ; implicit-def: $sgpr64_sgpr65
.LBB39_62:                              ;   in Loop: Header=BB39_33 Depth=1
	s_and_b32 vcc_lo, exec_lo, s4
	s_cbranch_vccz .LBB39_64
; %bb.63:                               ;   in Loop: Header=BB39_33 Depth=1
	buffer_gl0_inv
	ds_load_b64 v[2:3], v13 offset:5120
	s_waitcnt lgkmcnt(0)
	v_readfirstlane_b32 s64, v2
.LBB39_64:                              ;   in Loop: Header=BB39_33 Depth=1
	s_delay_alu instid0(VALU_DEP_1)
	s_cmp_lt_i32 s64, 1
	s_cbranch_scc0 .LBB39_79
; %bb.65:                               ;   in Loop: Header=BB39_33 Depth=1
	global_load_u16 v2, v13, s[56:57]
	s_mov_b32 s5, s25
	s_waitcnt vmcnt(0)
	v_readfirstlane_b32 s4, v2
	s_delay_alu instid0(VALU_DEP_1)
	s_and_b32 s48, s4, 0xffff
	s_mov_b32 s4, s49
	s_lshl_b32 s54, s48, 2
	s_cmp_lg_u64 s[4:5], 0
	s_cbranch_scc0 .LBB39_99
; %bb.66:                               ;   in Loop: Header=BB39_33 Depth=1
	v_cvt_f32_u32_e32 v2, s54
	s_sub_u32 s6, 0, s54
	s_subb_u32 s7, 0, 0
	s_delay_alu instid0(VALU_DEP_1) | instskip(NEXT) | instid1(VALU_DEP_1)
	v_fmac_f32_e32 v2, 0x4f800000, v49
	v_rcp_f32_e32 v2, v2
	s_waitcnt_depctr 0xfff
	v_mul_f32_e32 v2, 0x5f7ffffc, v2
	s_delay_alu instid0(VALU_DEP_1) | instskip(NEXT) | instid1(VALU_DEP_1)
	v_mul_f32_e32 v3, 0x2f800000, v2
	v_trunc_f32_e32 v3, v3
	s_delay_alu instid0(VALU_DEP_1) | instskip(SKIP_1) | instid1(VALU_DEP_2)
	v_fmac_f32_e32 v2, 0xcf800000, v3
	v_cvt_u32_f32_e32 v3, v3
	v_cvt_u32_f32_e32 v2, v2
	s_delay_alu instid0(VALU_DEP_2) | instskip(NEXT) | instid1(VALU_DEP_2)
	v_readfirstlane_b32 s4, v3
	v_readfirstlane_b32 s5, v2
	s_delay_alu instid0(VALU_DEP_2) | instskip(NEXT) | instid1(VALU_DEP_1)
	s_mul_i32 s8, s6, s4
	s_mul_hi_u32 s10, s6, s5
	s_mul_i32 s9, s7, s5
	s_add_i32 s8, s10, s8
	s_mul_i32 s11, s6, s5
	s_add_i32 s8, s8, s9
	s_mul_hi_u32 s10, s5, s11
	s_mul_hi_u32 s12, s4, s11
	s_mul_i32 s9, s4, s11
	s_mul_hi_u32 s11, s5, s8
	s_mul_i32 s5, s5, s8
	s_mul_hi_u32 s13, s4, s8
	s_add_u32 s5, s10, s5
	s_addc_u32 s10, 0, s11
	s_add_u32 s5, s5, s9
	s_mul_i32 s8, s4, s8
	s_addc_u32 s5, s10, s12
	s_addc_u32 s9, s13, 0
	s_add_u32 s5, s5, s8
	s_addc_u32 s8, 0, s9
	v_add_co_u32 v2, s5, v2, s5
	s_delay_alu instid0(VALU_DEP_1) | instskip(SKIP_1) | instid1(VALU_DEP_1)
	s_cmp_lg_u32 s5, 0
	s_addc_u32 s4, s4, s8
	v_readfirstlane_b32 s5, v2
	s_mul_i32 s8, s6, s4
	s_delay_alu instid0(VALU_DEP_1)
	s_mul_hi_u32 s9, s6, s5
	s_mul_i32 s7, s7, s5
	s_add_i32 s8, s9, s8
	s_mul_i32 s6, s6, s5
	s_add_i32 s8, s8, s7
	s_mul_hi_u32 s9, s4, s6
	s_mul_i32 s10, s4, s6
	s_mul_hi_u32 s6, s5, s6
	s_mul_hi_u32 s11, s5, s8
	s_mul_i32 s5, s5, s8
	s_mul_hi_u32 s7, s4, s8
	s_add_u32 s5, s6, s5
	s_addc_u32 s6, 0, s11
	s_add_u32 s5, s5, s10
	s_mul_i32 s8, s4, s8
	s_addc_u32 s5, s6, s9
	s_addc_u32 s6, s7, 0
	s_add_u32 s5, s5, s8
	s_addc_u32 s6, 0, s6
	v_add_co_u32 v2, s5, v2, s5
	s_delay_alu instid0(VALU_DEP_1) | instskip(SKIP_2) | instid1(VALU_DEP_1)
	s_cmp_lg_u32 s5, 0
	s_addc_u32 s8, s4, s6
	s_ashr_i32 s6, s25, 31
	v_readfirstlane_b32 s9, v2
	s_add_u32 s4, s24, s6
	s_mov_b32 s7, s6
	s_addc_u32 s5, s25, s6
	s_delay_alu instid0(SALU_CYCLE_1) | instskip(NEXT) | instid1(SALU_CYCLE_1)
	s_xor_b64 s[4:5], s[4:5], s[6:7]
	s_mul_i32 s10, s4, s8
	s_mul_hi_u32 s11, s4, s9
	s_mul_hi_u32 s7, s4, s8
	;; [unrolled: 1-line block ×3, first 2 shown]
	s_mul_i32 s9, s5, s9
	s_add_u32 s10, s11, s10
	s_addc_u32 s7, 0, s7
	s_mul_hi_u32 s12, s5, s8
	s_add_u32 s9, s10, s9
	s_mul_i32 s8, s5, s8
	s_addc_u32 s7, s7, s13
	s_addc_u32 s9, s12, 0
	s_add_u32 s7, s7, s8
	s_addc_u32 s8, 0, s9
	s_mul_hi_u32 s9, s54, s7
	s_mul_i32 s7, s54, s7
	s_mul_i32 s8, s54, s8
	v_sub_co_u32 v2, s4, s4, s7
	s_add_i32 s9, s9, s8
	s_cmp_lg_u32 s4, 0
	s_delay_alu instid0(VALU_DEP_1) | instskip(SKIP_2) | instid1(VALU_DEP_1)
	v_sub_co_u32 v3, s4, v2, s54
	s_subb_u32 s5, s5, s9
	s_cmp_lg_u32 s4, 0
	v_cmp_le_u32_e32 vcc_lo, s54, v3
	v_sub_co_u32 v4, s4, v3, s54
	s_subb_u32 s7, s5, 0
	s_cmp_lg_u32 s4, 0
	v_cndmask_b32_e64 v5, 0, -1, vcc_lo
	s_subb_u32 s4, s7, 0
	s_cmp_eq_u32 s7, 0
	v_mov_b32_e32 v7, s4
	s_cselect_b32 vcc_lo, -1, 0
	s_cmp_eq_u32 s5, 0
	v_cndmask_b32_e32 v5, -1, v5, vcc_lo
	v_cmp_le_u32_e32 vcc_lo, s54, v2
	s_cselect_b32 s4, -1, 0
	v_cndmask_b32_e64 v6, 0, -1, vcc_lo
	s_delay_alu instid0(VALU_DEP_3) | instskip(NEXT) | instid1(VALU_DEP_2)
	v_cmp_ne_u32_e32 vcc_lo, 0, v5
	v_cndmask_b32_e64 v5, -1, v6, s4
	v_cndmask_b32_e32 v3, v3, v4, vcc_lo
	v_cndmask_b32_e32 v6, s7, v7, vcc_lo
	s_delay_alu instid0(VALU_DEP_3) | instskip(NEXT) | instid1(VALU_DEP_3)
	v_cmp_ne_u32_e32 vcc_lo, 0, v5
	v_cndmask_b32_e32 v2, v2, v3, vcc_lo
	s_delay_alu instid0(VALU_DEP_3) | instskip(NEXT) | instid1(VALU_DEP_2)
	v_cndmask_b32_e32 v4, s5, v6, vcc_lo
	v_xor_b32_e32 v2, s6, v2
	s_delay_alu instid0(VALU_DEP_2) | instskip(NEXT) | instid1(VALU_DEP_2)
	v_xor_b32_e32 v3, s6, v4
	v_sub_co_u32 v26, vcc_lo, v2, s6
	s_delay_alu instid0(VALU_DEP_2)
	v_subrev_co_ci_u32_e32 v27, vcc_lo, s6, v3, vcc_lo
	s_cbranch_execnz .LBB39_68
.LBB39_67:                              ;   in Loop: Header=BB39_33 Depth=1
	v_cvt_f32_u32_e32 v2, s54
	s_sub_i32 s4, 0, s54
	s_delay_alu instid0(VALU_DEP_1) | instskip(SKIP_2) | instid1(VALU_DEP_1)
	v_rcp_iflag_f32_e32 v2, v2
	s_waitcnt_depctr 0xfff
	v_mul_f32_e32 v2, 0x4f7ffffe, v2
	v_cvt_u32_f32_e32 v2, v2
	s_delay_alu instid0(VALU_DEP_1) | instskip(NEXT) | instid1(VALU_DEP_1)
	v_mul_lo_u32 v3, s4, v2
	v_mul_hi_u32 v3, v2, v3
	s_delay_alu instid0(VALU_DEP_1) | instskip(NEXT) | instid1(VALU_DEP_1)
	v_add_nc_u32_e32 v2, v2, v3
	v_mul_hi_u32 v2, s24, v2
	s_delay_alu instid0(VALU_DEP_1) | instskip(NEXT) | instid1(VALU_DEP_1)
	v_mul_lo_u32 v2, v2, s54
	v_sub_nc_u32_e32 v2, s24, v2
	s_delay_alu instid0(VALU_DEP_1) | instskip(SKIP_1) | instid1(VALU_DEP_2)
	v_subrev_nc_u32_e32 v3, s54, v2
	v_cmp_le_u32_e32 vcc_lo, s54, v2
	v_cndmask_b32_e32 v2, v2, v3, vcc_lo
	s_delay_alu instid0(VALU_DEP_1) | instskip(SKIP_1) | instid1(VALU_DEP_2)
	v_subrev_nc_u32_e32 v3, s54, v2
	v_cmp_le_u32_e32 vcc_lo, s54, v2
	v_cndmask_b32_e32 v12, v2, v3, vcc_lo
	s_delay_alu instid0(VALU_DEP_1)
	v_dual_mov_b32 v27, v13 :: v_dual_mov_b32 v26, v12
.LBB39_68:                              ;   in Loop: Header=BB39_33 Depth=1
	v_mov_b32_e32 v2, 0
	v_mov_b32_e32 v3, 0
	s_delay_alu instid0(VALU_DEP_3) | instskip(NEXT) | instid1(VALU_DEP_4)
	v_sub_co_u32 v28, vcc_lo, s24, v26
	v_sub_co_ci_u32_e32 v29, vcc_lo, s25, v27, vcc_lo
	s_delay_alu instid0(VALU_DEP_3)
	v_dual_mov_b32 v5, v3 :: v_dual_mov_b32 v4, v2
	v_dual_mov_b32 v7, v3 :: v_dual_mov_b32 v6, v2
	;; [unrolled: 1-line block ×3, first 2 shown]
	s_mov_b64 s[66:67], 0
	s_mov_b32 s65, exec_lo
	v_cmpx_gt_i64_e64 v[28:29], v[16:17]
	s_cbranch_execz .LBB39_72
; %bb.69:                               ;   in Loop: Header=BB39_33 Depth=1
	v_dual_mov_b32 v31, v25 :: v_dual_mov_b32 v30, v24
	v_dual_mov_b32 v33, v23 :: v_dual_mov_b32 v32, v22
	;; [unrolled: 1-line block ×5, first 2 shown]
	s_mul_i32 s4, s63, s48
	s_mul_hi_u32 s5, s62, s48
	s_and_b32 s98, s91, 0xfe
	s_add_i32 s99, s5, s4
	s_mul_i32 s100, s62, s48
	s_mov_b32 s101, 0
	s_mov_b64 s[68:69], 0
	s_mov_b64 s[70:71], 0
	;; [unrolled: 1-line block ×3, first 2 shown]
.LBB39_70:                              ;   Parent Loop BB39_33 Depth=1
                                        ; =>  This Inner Loop Header: Depth=2
	v_add_co_u32 v2, vcc_lo, v30, s52
	v_add_co_ci_u32_e32 v3, vcc_lo, s53, v31, vcc_lo
	v_add_co_u32 v4, vcc_lo, v32, s52
	v_add_co_ci_u32_e32 v5, vcc_lo, s53, v33, vcc_lo
	;; [unrolled: 2-line block ×4, first 2 shown]
	global_load_i16 v2, v[2:3], off
	global_load_i16 v3, v[4:5], off
	;; [unrolled: 1-line block ×4, first 2 shown]
	v_add_co_u32 v38, vcc_lo, v38, s54
	v_add_co_ci_u32_e32 v39, vcc_lo, 0, v39, vcc_lo
	v_add_co_u32 v36, vcc_lo, v36, s100
	v_add_co_ci_u32_e32 v37, vcc_lo, s99, v37, vcc_lo
	;; [unrolled: 2-line block ×5, first 2 shown]
	v_cmp_ge_i64_e32 vcc_lo, v[38:39], v[28:29]
	s_waitcnt vmcnt(3)
	v_add_nc_u32_e32 v2, 0x8000, v2
	s_waitcnt vmcnt(2)
	v_add_nc_u32_e32 v3, 0x8000, v3
	;; [unrolled: 2-line block ×4, first 2 shown]
	v_and_b32_e32 v6, s96, v2
	v_bfe_u32 v2, v2, s98, 2
	v_and_b32_e32 v7, s96, v3
	v_bfe_u32 v3, v3, s98, 2
	;; [unrolled: 2-line block ×3, first 2 shown]
	v_cmp_eq_u32_e64 s4, s97, v6
	v_cmp_eq_u32_e64 s8, 0, v2
	v_and_b32_e32 v9, s96, v5
	v_bfe_u32 v5, v5, s98, 2
	v_cmp_eq_u32_e64 s5, s97, v7
	v_cmp_eq_u32_e64 s9, 0, v3
	;; [unrolled: 1-line block ×4, first 2 shown]
	s_and_b32 s8, s4, s8
	v_cmp_eq_u32_e64 s7, s97, v9
	v_cmp_eq_u32_e64 s11, 0, v5
	;; [unrolled: 1-line block ×5, first 2 shown]
	v_cndmask_b32_e64 v2, 0, 1, s8
	s_and_b32 s8, s5, s9
	v_cmp_eq_u32_e64 s13, 1, v3
	v_cmp_eq_u32_e64 s17, 2, v3
	v_cmp_eq_u32_e64 s21, 3, v3
	v_cndmask_b32_e64 v3, 0, 1, s8
	s_and_b32 s8, s6, s10
	v_cmp_eq_u32_e64 s14, 1, v4
	v_cmp_eq_u32_e64 s18, 2, v4
	v_cmp_eq_u32_e64 s22, 3, v4
	;; [unrolled: 5-line block ×3, first 2 shown]
	v_cndmask_b32_e64 v5, 0, 1, s8
	v_cmp_ne_u32_e64 s8, 0, v2
	v_cmp_ne_u32_e64 s9, 0, v3
	;; [unrolled: 1-line block ×3, first 2 shown]
	s_delay_alu instid0(VALU_DEP_4) | instskip(NEXT) | instid1(VALU_DEP_4)
	v_cmp_ne_u32_e64 s11, 0, v5
	s_bcnt1_i32_b32 s8, s8
	s_delay_alu instid0(VALU_DEP_3) | instskip(NEXT) | instid1(VALU_DEP_2)
	s_bcnt1_i32_b32 s9, s9
	s_bcnt1_i32_b32 s10, s10
	s_add_i32 s8, s9, s8
	s_bcnt1_i32_b32 s11, s11
	s_add_i32 s8, s8, s10
	s_delay_alu instid0(SALU_CYCLE_1) | instskip(NEXT) | instid1(SALU_CYCLE_1)
	s_add_i32 s8, s8, s11
	s_add_u32 s72, s72, s8
	s_addc_u32 s73, s73, 0
	s_and_b32 s8, s4, s12
	s_delay_alu instid0(SALU_CYCLE_1) | instskip(SKIP_1) | instid1(SALU_CYCLE_1)
	v_cndmask_b32_e64 v2, 0, 1, s8
	s_and_b32 s8, s5, s13
	v_cndmask_b32_e64 v3, 0, 1, s8
	s_and_b32 s8, s6, s14
	s_delay_alu instid0(SALU_CYCLE_1) | instskip(SKIP_1) | instid1(VALU_DEP_2)
	v_cndmask_b32_e64 v4, 0, 1, s8
	s_and_b32 s8, s7, s15
	v_cmp_ne_u32_e64 s9, 0, v3
	v_cndmask_b32_e64 v5, 0, 1, s8
	v_cmp_ne_u32_e64 s8, 0, v2
	v_cmp_ne_u32_e64 s10, 0, v4
	s_delay_alu instid0(VALU_DEP_4) | instskip(NEXT) | instid1(VALU_DEP_3)
	s_bcnt1_i32_b32 s9, s9
	v_cmp_ne_u32_e64 s11, 0, v5
	s_delay_alu instid0(VALU_DEP_3) | instskip(NEXT) | instid1(VALU_DEP_2)
	s_bcnt1_i32_b32 s8, s8
	s_bcnt1_i32_b32 s10, s10
	s_add_i32 s8, s9, s8
	s_delay_alu instid0(VALU_DEP_1) | instskip(SKIP_1) | instid1(SALU_CYCLE_1)
	s_bcnt1_i32_b32 s11, s11
	s_add_i32 s8, s8, s10
	s_add_i32 s8, s8, s11
	s_delay_alu instid0(SALU_CYCLE_1) | instskip(SKIP_2) | instid1(SALU_CYCLE_1)
	s_add_u32 s70, s70, s8
	s_addc_u32 s71, s71, 0
	s_and_b32 s8, s4, s16
	v_cndmask_b32_e64 v2, 0, 1, s8
	s_and_b32 s8, s5, s17
	s_delay_alu instid0(SALU_CYCLE_1) | instskip(SKIP_1) | instid1(SALU_CYCLE_1)
	v_cndmask_b32_e64 v3, 0, 1, s8
	s_and_b32 s8, s6, s18
	v_cndmask_b32_e64 v4, 0, 1, s8
	s_and_b32 s8, s7, s19
	s_delay_alu instid0(VALU_DEP_2) | instskip(SKIP_3) | instid1(VALU_DEP_4)
	v_cmp_ne_u32_e64 s9, 0, v3
	v_cndmask_b32_e64 v5, 0, 1, s8
	v_cmp_ne_u32_e64 s8, 0, v2
	v_cmp_ne_u32_e64 s10, 0, v4
	s_bcnt1_i32_b32 s9, s9
	s_delay_alu instid0(VALU_DEP_3) | instskip(NEXT) | instid1(VALU_DEP_3)
	v_cmp_ne_u32_e64 s11, 0, v5
	s_bcnt1_i32_b32 s8, s8
	s_delay_alu instid0(VALU_DEP_2) | instskip(SKIP_1) | instid1(VALU_DEP_1)
	s_bcnt1_i32_b32 s10, s10
	s_add_i32 s8, s9, s8
	s_bcnt1_i32_b32 s11, s11
	s_add_i32 s8, s8, s10
	s_delay_alu instid0(SALU_CYCLE_1) | instskip(NEXT) | instid1(SALU_CYCLE_1)
	s_add_i32 s8, s8, s11
	s_add_u32 s68, s68, s8
	s_addc_u32 s69, s69, 0
	v_mov_b32_e32 v6, s68
	s_and_b32 s4, s4, s20
	v_mov_b32_e32 v7, s69
	v_cndmask_b32_e64 v2, 0, 1, s4
	s_and_b32 s4, s5, s21
	s_delay_alu instid0(SALU_CYCLE_1) | instskip(SKIP_1) | instid1(SALU_CYCLE_1)
	v_cndmask_b32_e64 v3, 0, 1, s4
	s_and_b32 s4, s6, s22
	v_cndmask_b32_e64 v4, 0, 1, s4
	s_and_b32 s4, s7, s23
	s_delay_alu instid0(VALU_DEP_2)
	v_cmp_ne_u32_e64 s5, 0, v3
	v_cndmask_b32_e64 v5, 0, 1, s4
	v_cmp_ne_u32_e64 s4, 0, v2
	v_cmp_ne_u32_e64 s6, 0, v4
	v_mov_b32_e32 v2, s72
	s_bcnt1_i32_b32 s5, s5
	v_cmp_ne_u32_e64 s7, 0, v5
	s_bcnt1_i32_b32 s4, s4
	s_bcnt1_i32_b32 s6, s6
	s_add_i32 s4, s5, s4
	v_mov_b32_e32 v4, s70
	s_bcnt1_i32_b32 s5, s7
	s_add_i32 s4, s4, s6
	v_mov_b32_e32 v3, s73
	s_add_i32 s4, s4, s5
	v_mov_b32_e32 v5, s71
	s_add_u32 s66, s66, s4
	s_addc_u32 s67, s67, 0
	s_delay_alu instid0(SALU_CYCLE_1) | instskip(SKIP_1) | instid1(SALU_CYCLE_1)
	v_dual_mov_b32 v8, s66 :: v_dual_mov_b32 v9, s67
	s_or_b32 s101, vcc_lo, s101
	s_and_not1_b32 exec_lo, exec_lo, s101
	s_cbranch_execnz .LBB39_70
; %bb.71:                               ;   in Loop: Header=BB39_33 Depth=1
	s_or_b32 exec_lo, exec_lo, s101
.LBB39_72:                              ;   in Loop: Header=BB39_33 Depth=1
	s_delay_alu instid0(SALU_CYCLE_1) | instskip(SKIP_3) | instid1(VALU_DEP_2)
	s_or_b32 exec_lo, exec_lo, s65
	v_add_co_u32 v28, vcc_lo, v28, v0
	v_add_co_ci_u32_e32 v29, vcc_lo, 0, v29, vcc_lo
	v_mov_b32_e32 v12, 0
	v_cmp_gt_i64_e32 vcc_lo, s[24:25], v[28:29]
	s_and_saveexec_b32 s5, vcc_lo
	s_cbranch_execz .LBB39_74
; %bb.73:                               ;   in Loop: Header=BB39_33 Depth=1
	v_mul_lo_u32 v12, v29, s30
	v_mul_lo_u32 v32, v28, s31
	v_mad_u64_u32 v[30:31], null, v28, s30, 0
	s_delay_alu instid0(VALU_DEP_1) | instskip(NEXT) | instid1(VALU_DEP_1)
	v_add3_u32 v31, v31, v32, v12
	v_lshlrev_b64 v[30:31], 1, v[30:31]
	s_delay_alu instid0(VALU_DEP_1) | instskip(NEXT) | instid1(VALU_DEP_1)
	v_add_co_u32 v30, s4, s74, v30
	v_add_co_ci_u32_e64 v31, s4, s75, v31, s4
	global_load_u16 v12, v[30:31], off
.LBB39_74:                              ;   in Loop: Header=BB39_33 Depth=1
	s_or_b32 exec_lo, exec_lo, s5
	s_and_saveexec_b32 s8, vcc_lo
	s_cbranch_execz .LBB39_81
; %bb.75:                               ;   in Loop: Header=BB39_33 Depth=1
	v_add_co_u32 v30, vcc_lo, v46, s48
	v_add_co_ci_u32_e32 v31, vcc_lo, 0, v47, vcc_lo
	s_mul_i32 s4, s61, s48
	s_delay_alu instid0(VALU_DEP_2) | instskip(NEXT) | instid1(VALU_DEP_2)
	v_sub_co_u32 v30, vcc_lo, v30, v26
	v_sub_co_ci_u32_e32 v26, vcc_lo, v31, v27, vcc_lo
	s_mul_hi_u32 s5, s60, s48
	s_delay_alu instid0(VALU_DEP_2) | instskip(SKIP_1) | instid1(VALU_DEP_2)
	v_mul_lo_u32 v32, s61, v30
	s_and_b32 s9, s91, 0xfe
	v_mul_lo_u32 v31, s60, v26
	v_mad_u64_u32 v[26:27], null, s60, v30, s[58:59]
	s_add_i32 s10, s5, s4
	s_mul_i32 s11, s60, s48
	s_mov_b32 s12, 0
	s_delay_alu instid0(VALU_DEP_1)
	v_add3_u32 v27, v32, v27, v31
	s_branch .LBB39_77
.LBB39_76:                              ;   in Loop: Header=BB39_77 Depth=2
	s_or_b32 exec_lo, exec_lo, s5
	s_waitcnt vmcnt(0)
	v_bfe_i32 v12, v12, 0, 16
	s_and_b32 s6, exec_lo, vcc_lo
	s_delay_alu instid0(SALU_CYCLE_1) | instskip(NEXT) | instid1(VALU_DEP_1)
	s_or_b32 s12, s6, s12
	v_add_nc_u32_e32 v12, 0x8000, v12
	s_delay_alu instid0(VALU_DEP_1) | instskip(SKIP_1) | instid1(VALU_DEP_2)
	v_and_b32_e32 v31, s96, v12
	v_bfe_u32 v12, v12, s9, 2
	v_cmp_eq_u32_e64 s4, s97, v31
	s_delay_alu instid0(VALU_DEP_2) | instskip(SKIP_2) | instid1(VALU_DEP_3)
	v_cmp_eq_u32_e64 s5, 0, v12
	v_cmp_eq_u32_e32 vcc_lo, 1, v12
	v_cmp_eq_u32_e64 s6, 2, v12
	s_and_b32 s5, s4, s5
	s_delay_alu instid0(SALU_CYCLE_1) | instskip(SKIP_4) | instid1(SALU_CYCLE_1)
	v_cndmask_b32_e64 v31, 0, 1, s5
	s_and_b32 s5, s4, vcc_lo
	v_cmp_eq_u32_e32 vcc_lo, 3, v12
	v_cndmask_b32_e64 v32, 0, 1, s5
	s_and_b32 s5, s4, s6
	v_cndmask_b32_e64 v33, 0, 1, s5
	v_cmp_ne_u32_e64 s5, 0, v31
	s_delay_alu instid0(VALU_DEP_3) | instskip(SKIP_1) | instid1(SALU_CYCLE_1)
	v_cmp_ne_u32_e64 s6, 0, v32
	s_and_b32 s4, s4, vcc_lo
	v_cndmask_b32_e64 v12, 0, 1, s4
	s_delay_alu instid0(VALU_DEP_3)
	s_bcnt1_i32_b32 s4, s5
	v_cmp_ne_u32_e64 s7, 0, v33
	v_add_co_u32 v2, vcc_lo, v2, s4
	s_bcnt1_i32_b32 s5, s6
	v_add_co_ci_u32_e32 v3, vcc_lo, 0, v3, vcc_lo
	v_add_co_u32 v4, vcc_lo, v4, s5
	v_add_co_ci_u32_e32 v5, vcc_lo, 0, v5, vcc_lo
	s_bcnt1_i32_b32 s6, s7
	v_cmp_ne_u32_e32 vcc_lo, 0, v12
	v_mov_b32_e32 v12, v30
	v_add_co_u32 v6, s4, v6, s6
	s_delay_alu instid0(VALU_DEP_1) | instskip(SKIP_1) | instid1(SALU_CYCLE_1)
	v_add_co_ci_u32_e64 v7, s4, 0, v7, s4
	s_bcnt1_i32_b32 s4, vcc_lo
	v_add_co_u32 v8, vcc_lo, v8, s4
	v_add_co_ci_u32_e32 v9, vcc_lo, 0, v9, vcc_lo
	v_add_co_u32 v26, vcc_lo, v26, s11
	v_add_co_ci_u32_e32 v27, vcc_lo, s10, v27, vcc_lo
	s_and_not1_b32 exec_lo, exec_lo, s12
	s_cbranch_execz .LBB39_80
.LBB39_77:                              ;   Parent Loop BB39_33 Depth=1
                                        ; =>  This Inner Loop Header: Depth=2
	v_add_co_u32 v28, vcc_lo, v28, s48
	v_add_co_ci_u32_e32 v29, vcc_lo, 0, v29, vcc_lo
	v_mov_b32_e32 v30, 0
	s_mov_b32 s5, exec_lo
	s_delay_alu instid0(VALU_DEP_2)
	v_cmp_le_i64_e32 vcc_lo, s[24:25], v[28:29]
	v_cmpx_gt_i64_e64 s[24:25], v[28:29]
	s_cbranch_execz .LBB39_76
; %bb.78:                               ;   in Loop: Header=BB39_77 Depth=2
	global_load_u16 v30, v[26:27], off
	s_branch .LBB39_76
.LBB39_79:                              ;   in Loop: Header=BB39_33 Depth=1
                                        ; implicit-def: $vgpr8_vgpr9
                                        ; implicit-def: $vgpr4_vgpr5
	s_cbranch_execnz .LBB39_82
	s_branch .LBB39_91
.LBB39_80:                              ;   in Loop: Header=BB39_33 Depth=1
	s_or_b32 exec_lo, exec_lo, s12
.LBB39_81:                              ;   in Loop: Header=BB39_33 Depth=1
	s_delay_alu instid0(SALU_CYCLE_1)
	s_or_b32 exec_lo, exec_lo, s8
	s_branch .LBB39_91
.LBB39_82:                              ;   in Loop: Header=BB39_33 Depth=1
	global_load_u16 v8, v13, s[56:57]
	s_mov_b64 s[66:67], 0
	s_mov_b32 s65, exec_lo
	s_waitcnt vmcnt(0)
	v_readfirstlane_b32 s4, v8
	v_and_b32_e32 v28, 0xffff, v8
	s_delay_alu instid0(VALU_DEP_2) | instskip(NEXT) | instid1(SALU_CYCLE_1)
	s_and_b32 s4, 0xffff, s4
	s_lshl_b32 s54, s4, 2
	s_delay_alu instid0(SALU_CYCLE_1) | instskip(SKIP_1) | instid1(VALU_DEP_1)
	v_cvt_f32_u32_e32 v2, s54
	s_sub_i32 s5, 0, s54
	v_rcp_iflag_f32_e32 v2, v2
	s_waitcnt_depctr 0xfff
	v_mul_f32_e32 v2, 0x4f7ffffe, v2
	s_delay_alu instid0(VALU_DEP_1) | instskip(NEXT) | instid1(VALU_DEP_1)
	v_cvt_u32_f32_e32 v2, v2
	v_readfirstlane_b32 s4, v2
	v_mov_b32_e32 v2, 0
	v_mov_b32_e32 v3, 0
	s_delay_alu instid0(VALU_DEP_3) | instskip(NEXT) | instid1(VALU_DEP_1)
	s_mul_i32 s5, s5, s4
	v_dual_mov_b32 v5, v3 :: v_dual_mov_b32 v4, v2
	s_mul_hi_u32 s5, s4, s5
	v_dual_mov_b32 v7, v3 :: v_dual_mov_b32 v6, v2
	s_add_i32 s4, s4, s5
	v_dual_mov_b32 v9, v3 :: v_dual_mov_b32 v8, v2
	s_mul_hi_u32 s4, s64, s4
	s_delay_alu instid0(SALU_CYCLE_1) | instskip(NEXT) | instid1(SALU_CYCLE_1)
	s_mul_i32 s4, s4, s54
	s_sub_i32 s4, s64, s4
	s_delay_alu instid0(SALU_CYCLE_1) | instskip(SKIP_2) | instid1(SALU_CYCLE_1)
	s_sub_i32 s5, s4, s54
	s_cmp_ge_u32 s4, s54
	s_cselect_b32 s4, s5, s4
	s_sub_i32 s5, s4, s54
	s_cmp_ge_u32 s4, s54
	s_cselect_b32 s4, s5, s4
	s_delay_alu instid0(SALU_CYCLE_1) | instskip(NEXT) | instid1(SALU_CYCLE_1)
	s_sub_i32 s48, s64, s4
	v_cmpx_gt_u32_e64 s48, v16
	s_cbranch_execz .LBB39_86
; %bb.83:                               ;   in Loop: Header=BB39_33 Depth=1
	v_dual_mov_b32 v29, v44 :: v_dual_lshlrev_b32 v12, 3, v28
	v_dual_mov_b32 v27, v17 :: v_dual_mov_b32 v26, v16
	s_and_b32 s98, s91, 0xfe
	s_mov_b32 s99, 0
	s_mov_b64 s[68:69], 0
	s_mov_b64 s[70:71], 0
	s_mov_b64 s[72:73], 0
.LBB39_84:                              ;   Parent Loop BB39_33 Depth=1
                                        ; =>  This Inner Loop Header: Depth=2
	ds_load_b64 v[2:3], v29
	v_add_co_u32 v26, vcc_lo, v26, s54
	v_add_co_ci_u32_e32 v27, vcc_lo, 0, v27, vcc_lo
	s_delay_alu instid0(VALU_DEP_1)
	v_cmp_le_u64_e32 vcc_lo, s[48:49], v[26:27]
	s_waitcnt lgkmcnt(0)
	v_bfe_i32 v4, v2, 0, 16
	v_ashrrev_i32_e32 v2, 16, v2
	v_bfe_i32 v5, v3, 0, 16
	v_ashrrev_i32_e32 v3, 16, v3
	s_delay_alu instid0(VALU_DEP_4) | instskip(NEXT) | instid1(VALU_DEP_4)
	v_add_nc_u32_e32 v4, 0x8000, v4
	v_add_nc_u32_e32 v2, 0x8000, v2
	s_delay_alu instid0(VALU_DEP_4) | instskip(NEXT) | instid1(VALU_DEP_4)
	v_add_nc_u32_e32 v5, 0x8000, v5
	v_add_nc_u32_e32 v3, 0x8000, v3
	s_delay_alu instid0(VALU_DEP_4)
	v_and_b32_e32 v6, s96, v4
	v_bfe_u32 v4, v4, s98, 2
	v_and_b32_e32 v7, s96, v2
	v_bfe_u32 v2, v2, s98, 2
	;; [unrolled: 2-line block ×3, first 2 shown]
	v_cmp_eq_u32_e64 s4, s97, v6
	v_cmp_eq_u32_e64 s8, 0, v4
	v_and_b32_e32 v9, s96, v3
	v_bfe_u32 v3, v3, s98, 2
	v_cmp_eq_u32_e64 s5, s97, v7
	v_cmp_eq_u32_e64 s9, 0, v2
	;; [unrolled: 1-line block ×4, first 2 shown]
	s_and_b32 s8, s4, s8
	v_cmp_eq_u32_e64 s7, s97, v9
	v_cmp_eq_u32_e64 s11, 0, v3
	;; [unrolled: 1-line block ×5, first 2 shown]
	v_cndmask_b32_e64 v2, 0, 1, s8
	s_and_b32 s8, s5, s9
	v_cmp_eq_u32_e64 s15, 1, v3
	v_cmp_eq_u32_e64 s19, 2, v3
	v_cmp_eq_u32_e64 s23, 3, v3
	v_cndmask_b32_e64 v3, 0, 1, s8
	s_and_b32 s8, s6, s10
	v_cmp_eq_u32_e64 s12, 1, v4
	v_cmp_eq_u32_e64 s16, 2, v4
	v_cmp_eq_u32_e64 s20, 3, v4
	;; [unrolled: 5-line block ×3, first 2 shown]
	v_cndmask_b32_e64 v5, 0, 1, s8
	v_cmp_ne_u32_e64 s8, 0, v2
	v_cmp_ne_u32_e64 s9, 0, v3
	;; [unrolled: 1-line block ×3, first 2 shown]
	s_delay_alu instid0(VALU_DEP_4) | instskip(NEXT) | instid1(VALU_DEP_4)
	v_cmp_ne_u32_e64 s11, 0, v5
	s_bcnt1_i32_b32 s8, s8
	s_delay_alu instid0(VALU_DEP_3) | instskip(NEXT) | instid1(VALU_DEP_2)
	s_bcnt1_i32_b32 s9, s9
	s_bcnt1_i32_b32 s10, s10
	s_add_i32 s8, s9, s8
	s_bcnt1_i32_b32 s11, s11
	s_add_i32 s8, s8, s10
	s_delay_alu instid0(SALU_CYCLE_1) | instskip(NEXT) | instid1(SALU_CYCLE_1)
	s_add_i32 s8, s8, s11
	s_add_u32 s72, s72, s8
	s_addc_u32 s73, s73, 0
	s_and_b32 s8, s4, s12
	v_add_nc_u32_e32 v29, v29, v12
	v_cndmask_b32_e64 v2, 0, 1, s8
	s_and_b32 s8, s5, s13
	s_delay_alu instid0(SALU_CYCLE_1) | instskip(SKIP_1) | instid1(SALU_CYCLE_1)
	v_cndmask_b32_e64 v3, 0, 1, s8
	s_and_b32 s8, s6, s14
	v_cndmask_b32_e64 v4, 0, 1, s8
	s_and_b32 s8, s7, s15
	s_delay_alu instid0(VALU_DEP_2) | instskip(SKIP_3) | instid1(VALU_DEP_4)
	v_cmp_ne_u32_e64 s9, 0, v3
	v_cndmask_b32_e64 v5, 0, 1, s8
	v_cmp_ne_u32_e64 s8, 0, v2
	v_cmp_ne_u32_e64 s10, 0, v4
	s_bcnt1_i32_b32 s9, s9
	s_delay_alu instid0(VALU_DEP_3) | instskip(NEXT) | instid1(VALU_DEP_3)
	v_cmp_ne_u32_e64 s11, 0, v5
	s_bcnt1_i32_b32 s8, s8
	s_delay_alu instid0(VALU_DEP_2) | instskip(SKIP_1) | instid1(VALU_DEP_1)
	s_bcnt1_i32_b32 s10, s10
	s_add_i32 s8, s9, s8
	s_bcnt1_i32_b32 s11, s11
	s_add_i32 s8, s8, s10
	s_delay_alu instid0(SALU_CYCLE_1) | instskip(NEXT) | instid1(SALU_CYCLE_1)
	s_add_i32 s8, s8, s11
	s_add_u32 s70, s70, s8
	s_addc_u32 s71, s71, 0
	s_and_b32 s8, s4, s16
	s_delay_alu instid0(SALU_CYCLE_1) | instskip(SKIP_1) | instid1(SALU_CYCLE_1)
	v_cndmask_b32_e64 v2, 0, 1, s8
	s_and_b32 s8, s5, s17
	v_cndmask_b32_e64 v3, 0, 1, s8
	s_and_b32 s8, s6, s18
	s_delay_alu instid0(SALU_CYCLE_1) | instskip(SKIP_1) | instid1(VALU_DEP_2)
	v_cndmask_b32_e64 v4, 0, 1, s8
	s_and_b32 s8, s7, s19
	v_cmp_ne_u32_e64 s9, 0, v3
	v_cndmask_b32_e64 v5, 0, 1, s8
	v_cmp_ne_u32_e64 s8, 0, v2
	v_cmp_ne_u32_e64 s10, 0, v4
	s_delay_alu instid0(VALU_DEP_4) | instskip(NEXT) | instid1(VALU_DEP_3)
	s_bcnt1_i32_b32 s9, s9
	v_cmp_ne_u32_e64 s11, 0, v5
	s_delay_alu instid0(VALU_DEP_3) | instskip(NEXT) | instid1(VALU_DEP_2)
	s_bcnt1_i32_b32 s8, s8
	s_bcnt1_i32_b32 s10, s10
	s_add_i32 s8, s9, s8
	s_delay_alu instid0(VALU_DEP_1) | instskip(SKIP_1) | instid1(SALU_CYCLE_1)
	s_bcnt1_i32_b32 s11, s11
	s_add_i32 s8, s8, s10
	s_add_i32 s8, s8, s11
	s_delay_alu instid0(SALU_CYCLE_1)
	s_add_u32 s68, s68, s8
	s_addc_u32 s69, s69, 0
	s_and_b32 s4, s4, s20
	v_mov_b32_e32 v6, s68
	v_cndmask_b32_e64 v2, 0, 1, s4
	s_and_b32 s4, s5, s21
	v_mov_b32_e32 v7, s69
	v_cndmask_b32_e64 v3, 0, 1, s4
	s_and_b32 s4, s6, s22
	s_delay_alu instid0(SALU_CYCLE_1) | instskip(SKIP_1) | instid1(VALU_DEP_2)
	v_cndmask_b32_e64 v4, 0, 1, s4
	s_and_b32 s4, s7, s23
	v_cmp_ne_u32_e64 s5, 0, v3
	v_cndmask_b32_e64 v5, 0, 1, s4
	v_cmp_ne_u32_e64 s4, 0, v2
	v_mov_b32_e32 v2, s72
	v_cmp_ne_u32_e64 s6, 0, v4
	s_bcnt1_i32_b32 s5, s5
	v_cmp_ne_u32_e64 s7, 0, v5
	s_bcnt1_i32_b32 s4, s4
	v_mov_b32_e32 v4, s70
	s_bcnt1_i32_b32 s6, s6
	s_add_i32 s4, s5, s4
	s_bcnt1_i32_b32 s5, s7
	s_add_i32 s4, s4, s6
	v_mov_b32_e32 v3, s73
	s_add_i32 s4, s4, s5
	v_mov_b32_e32 v5, s71
	s_add_u32 s66, s66, s4
	s_addc_u32 s67, s67, 0
	s_delay_alu instid0(SALU_CYCLE_1) | instskip(SKIP_1) | instid1(SALU_CYCLE_1)
	v_dual_mov_b32 v8, s66 :: v_dual_mov_b32 v9, s67
	s_or_b32 s99, vcc_lo, s99
	s_and_not1_b32 exec_lo, exec_lo, s99
	s_cbranch_execnz .LBB39_84
; %bb.85:                               ;   in Loop: Header=BB39_33 Depth=1
	s_or_b32 exec_lo, exec_lo, s99
.LBB39_86:                              ;   in Loop: Header=BB39_33 Depth=1
	s_delay_alu instid0(SALU_CYCLE_1) | instskip(SKIP_2) | instid1(VALU_DEP_1)
	s_or_b32 exec_lo, exec_lo, s65
	v_add_nc_u32_e32 v12, s48, v0
	s_mov_b32 s9, exec_lo
	v_cmpx_gt_u32_e64 s64, v12
	s_cbranch_execz .LBB39_90
; %bb.87:                               ;   in Loop: Header=BB39_33 Depth=1
	v_dual_mov_b32 v27, v13 :: v_dual_lshlrev_b32 v30, 1, v28
	v_dual_mov_b32 v26, v12 :: v_dual_lshlrev_b32 v29, 1, v12
	s_mov_b32 s11, 0
	s_and_b32 s10, s64, 0x7fffffff
	s_and_b32 s13, s91, 0xfe
	s_mov_b32 s12, s11
.LBB39_88:                              ;   Parent Loop BB39_33 Depth=1
                                        ; =>  This Inner Loop Header: Depth=2
	ds_load_i16 v12, v29
	v_add_co_u32 v26, vcc_lo, v26, v28
	v_add_co_ci_u32_e32 v27, vcc_lo, 0, v27, vcc_lo
	v_add_nc_u32_e32 v29, v29, v30
	s_delay_alu instid0(VALU_DEP_2) | instskip(SKIP_2) | instid1(VALU_DEP_1)
	v_cmp_le_u64_e32 vcc_lo, s[10:11], v[26:27]
	s_waitcnt lgkmcnt(0)
	v_add_nc_u32_e32 v12, 0x8000, v12
	v_and_b32_e32 v31, s96, v12
	v_bfe_u32 v12, v12, s13, 2
	s_delay_alu instid0(VALU_DEP_2) | instskip(NEXT) | instid1(VALU_DEP_2)
	v_cmp_eq_u32_e64 s4, s97, v31
	v_cmp_eq_u32_e64 s5, 0, v12
	;; [unrolled: 1-line block ×5, first 2 shown]
	s_delay_alu instid0(VALU_DEP_4) | instskip(NEXT) | instid1(SALU_CYCLE_1)
	s_and_b32 s5, s4, s5
	v_cndmask_b32_e64 v12, 0, 1, s5
	s_and_b32 s5, s4, s6
	s_delay_alu instid0(SALU_CYCLE_1)
	v_cndmask_b32_e64 v31, 0, 1, s5
	s_and_b32 s5, s4, s7
	s_and_b32 s4, s4, s8
	v_cndmask_b32_e64 v32, 0, 1, s5
	v_cndmask_b32_e64 v33, 0, 1, s4
	v_cmp_ne_u32_e64 s4, 0, v12
	v_cmp_ne_u32_e64 s5, 0, v31
	s_delay_alu instid0(VALU_DEP_4) | instskip(NEXT) | instid1(VALU_DEP_4)
	v_cmp_ne_u32_e64 s6, 0, v32
	v_cmp_ne_u32_e64 s7, 0, v33
	s_delay_alu instid0(VALU_DEP_4) | instskip(NEXT) | instid1(VALU_DEP_3)
	s_bcnt1_i32_b32 s4, s4
	s_bcnt1_i32_b32 s5, s5
	v_add_co_u32 v2, s4, v2, s4
	s_delay_alu instid0(VALU_DEP_1)
	v_add_co_ci_u32_e64 v3, s4, 0, v3, s4
	v_add_co_u32 v4, s4, v4, s5
	s_bcnt1_i32_b32 s6, s6
	v_add_co_ci_u32_e64 v5, s4, 0, v5, s4
	v_add_co_u32 v6, s4, v6, s6
	s_bcnt1_i32_b32 s7, s7
	v_add_co_ci_u32_e64 v7, s4, 0, v7, s4
	v_add_co_u32 v8, s4, v8, s7
	s_delay_alu instid0(VALU_DEP_1) | instskip(SKIP_1) | instid1(SALU_CYCLE_1)
	v_add_co_ci_u32_e64 v9, s4, 0, v9, s4
	s_or_b32 s12, vcc_lo, s12
	s_and_not1_b32 exec_lo, exec_lo, s12
	s_cbranch_execnz .LBB39_88
; %bb.89:                               ;   in Loop: Header=BB39_33 Depth=1
	s_or_b32 exec_lo, exec_lo, s12
.LBB39_90:                              ;   in Loop: Header=BB39_33 Depth=1
	s_delay_alu instid0(SALU_CYCLE_1)
	s_or_b32 exec_lo, exec_lo, s9
.LBB39_91:                              ;   in Loop: Header=BB39_33 Depth=1
	s_lshl_b32 s4, s92, 7
	s_and_saveexec_b32 s5, s2
	s_cbranch_execz .LBB39_93
; %bb.92:                               ;   in Loop: Header=BB39_33 Depth=1
	s_waitcnt vmcnt(0)
	v_or_b32_e32 v12, s4, v43
	s_delay_alu instid0(VALU_DEP_1)
	v_lshlrev_b32_e32 v12, 3, v12
	ds_store_b128 v12, v[2:5] offset:3072
	ds_store_b128 v12, v[6:9] offset:3088
.LBB39_93:                              ;   in Loop: Header=BB39_33 Depth=1
	s_or_b32 exec_lo, exec_lo, s5
	s_waitcnt vmcnt(0) lgkmcnt(0)
	s_barrier
	buffer_gl0_inv
	s_and_saveexec_b32 s5, s76
	s_cbranch_execz .LBB39_104
; %bb.94:                               ;   in Loop: Header=BB39_33 Depth=1
	v_mov_b32_e32 v2, 0
	v_mov_b32_e32 v3, 0
	s_and_not1_b32 vcc_lo, exec_lo, s84
	s_cbranch_vccnz .LBB39_103
; %bb.95:                               ;   in Loop: Header=BB39_33 Depth=1
	v_mov_b32_e32 v2, 0
	v_mov_b32_e32 v3, 0
	s_and_not1_b32 vcc_lo, exec_lo, s82
	s_cbranch_vccnz .LBB39_100
; %bb.96:                               ;   in Loop: Header=BB39_33 Depth=1
	v_lshl_add_u32 v4, s92, 10, v48
	s_mov_b32 s6, 0
	s_set_inst_prefetch_distance 0x1
	.p2align	6
.LBB39_97:                              ;   Parent Loop BB39_33 Depth=1
                                        ; =>  This Inner Loop Header: Depth=2
	ds_load_2addr_b64 v[5:8], v4 offset1:4
	ds_load_2addr_b64 v[26:29], v4 offset0:8 offset1:12
	ds_load_2addr_b64 v[30:33], v4 offset0:16 offset1:20
	s_add_i32 s6, s6, 8
	s_delay_alu instid0(SALU_CYCLE_1) | instskip(SKIP_3) | instid1(VALU_DEP_2)
	s_cmp_eq_u32 s83, s6
	s_waitcnt lgkmcnt(2)
	v_add_co_u32 v2, vcc_lo, v5, v2
	v_add_co_ci_u32_e32 v3, vcc_lo, v6, v3, vcc_lo
	v_add_co_u32 v2, vcc_lo, v7, v2
	s_delay_alu instid0(VALU_DEP_2)
	v_add_co_ci_u32_e32 v3, vcc_lo, v8, v3, vcc_lo
	ds_load_2addr_b64 v[5:8], v4 offset0:24 offset1:28
	s_waitcnt lgkmcnt(2)
	v_add_co_u32 v2, vcc_lo, v26, v2
	v_add_co_ci_u32_e32 v3, vcc_lo, v27, v3, vcc_lo
	v_add_nc_u32_e32 v4, 0x100, v4
	s_delay_alu instid0(VALU_DEP_3) | instskip(NEXT) | instid1(VALU_DEP_3)
	v_add_co_u32 v2, vcc_lo, v28, v2
	v_add_co_ci_u32_e32 v3, vcc_lo, v29, v3, vcc_lo
	s_waitcnt lgkmcnt(1)
	s_delay_alu instid0(VALU_DEP_2) | instskip(NEXT) | instid1(VALU_DEP_2)
	v_add_co_u32 v2, vcc_lo, v30, v2
	v_add_co_ci_u32_e32 v3, vcc_lo, v31, v3, vcc_lo
	s_delay_alu instid0(VALU_DEP_2) | instskip(NEXT) | instid1(VALU_DEP_2)
	v_add_co_u32 v2, vcc_lo, v32, v2
	v_add_co_ci_u32_e32 v3, vcc_lo, v33, v3, vcc_lo
	s_waitcnt lgkmcnt(0)
	s_delay_alu instid0(VALU_DEP_2) | instskip(NEXT) | instid1(VALU_DEP_2)
	v_add_co_u32 v2, vcc_lo, v5, v2
	v_add_co_ci_u32_e32 v3, vcc_lo, v6, v3, vcc_lo
	s_delay_alu instid0(VALU_DEP_2) | instskip(NEXT) | instid1(VALU_DEP_2)
	v_add_co_u32 v2, vcc_lo, v7, v2
	v_add_co_ci_u32_e32 v3, vcc_lo, v8, v3, vcc_lo
	s_cbranch_scc0 .LBB39_97
; %bb.98:                               ;   in Loop: Header=BB39_33 Depth=1
	s_set_inst_prefetch_distance 0x2
	s_mov_b32 s6, s83
	s_and_not1_b32 vcc_lo, exec_lo, s85
	s_cbranch_vccz .LBB39_101
	s_branch .LBB39_103
.LBB39_99:                              ;   in Loop: Header=BB39_33 Depth=1
                                        ; implicit-def: $vgpr26_vgpr27
	s_branch .LBB39_67
.LBB39_100:                             ;   in Loop: Header=BB39_33 Depth=1
	s_mov_b32 s6, 0
	s_and_not1_b32 vcc_lo, exec_lo, s85
	s_cbranch_vccnz .LBB39_103
.LBB39_101:                             ;   in Loop: Header=BB39_33 Depth=1
	s_lshl_b32 s7, s92, 10
	s_lshl_b32 s6, s6, 5
	s_delay_alu instid0(SALU_CYCLE_1)
	v_add3_u32 v4, s7, s6, v48
	s_mov_b32 s6, s81
.LBB39_102:                             ;   Parent Loop BB39_33 Depth=1
                                        ; =>  This Inner Loop Header: Depth=2
	ds_load_b64 v[5:6], v4
	v_add_nc_u32_e32 v4, 32, v4
	s_add_i32 s6, s6, -1
	s_delay_alu instid0(SALU_CYCLE_1)
	s_cmp_lg_u32 s6, 0
	s_waitcnt lgkmcnt(0)
	v_add_co_u32 v2, vcc_lo, v5, v2
	v_add_co_ci_u32_e32 v3, vcc_lo, v6, v3, vcc_lo
	s_cbranch_scc1 .LBB39_102
.LBB39_103:                             ;   in Loop: Header=BB39_33 Depth=1
	v_add_lshl_u32 v4, s4, v40, 3
	ds_store_b64 v4, v[2:3] offset:3072
.LBB39_104:                             ;   in Loop: Header=BB39_33 Depth=1
	s_or_b32 exec_lo, exec_lo, s5
	s_lshl_b32 s4, s4, 3
	s_waitcnt lgkmcnt(0)
	v_mov_b32_e32 v6, s4
	s_barrier
	buffer_gl0_inv
	s_and_b32 s17, s91, 0xfe
	s_mov_b32 s19, -1
	ds_load_b128 v[2:5], v6 offset:3072
	ds_load_b128 v[6:9], v6 offset:3088
	s_lshl_b32 s16, 3, s17
	s_delay_alu instid0(SALU_CYCLE_1)
	s_not_b32 s18, s16
	s_waitcnt lgkmcnt(1)
	v_readfirstlane_b32 s13, v3
	v_readfirstlane_b32 s12, v2
	;; [unrolled: 1-line block ×4, first 2 shown]
	s_waitcnt lgkmcnt(0)
	v_readfirstlane_b32 s8, v6
	v_readfirstlane_b32 s9, v7
	s_cmp_eq_u64 s[12:13], 1
	v_readfirstlane_b32 s6, v8
	s_cselect_b32 s4, -1, 0
	s_cmp_eq_u64 s[26:27], 1
	v_readfirstlane_b32 s7, v9
	s_cselect_b32 s5, -1, 0
	s_delay_alu instid0(SALU_CYCLE_1) | instskip(NEXT) | instid1(SALU_CYCLE_1)
	s_and_b32 s20, s4, s5
	s_and_b32 vcc_lo, exec_lo, s20
	s_cbranch_vccz .LBB39_119
; %bb.105:                              ;   in Loop: Header=BB39_33 Depth=1
	ds_load_b64 v[2:3], v13 offset:5120
	s_waitcnt lgkmcnt(0)
	s_barrier
	buffer_gl0_inv
	v_readfirstlane_b32 s14, v2
	v_readfirstlane_b32 s15, v3
	s_and_saveexec_b32 s4, s3
	s_cbranch_execz .LBB39_107
; %bb.106:                              ;   in Loop: Header=BB39_33 Depth=1
	ds_store_b16 v42, v13
.LBB39_107:                             ;   in Loop: Header=BB39_33 Depth=1
	s_or_b32 exec_lo, exec_lo, s4
	s_delay_alu instid0(VALU_DEP_1)
	v_cmp_lt_i64_e64 s4, s[14:15], 1
	s_and_b32 s97, s97, s18
	s_or_b32 s96, s96, s16
	s_waitcnt lgkmcnt(0)
	s_barrier
	buffer_gl0_inv
	s_and_b32 vcc_lo, exec_lo, s4
	s_cbranch_vccz .LBB39_120
; %bb.108:                              ;   in Loop: Header=BB39_33 Depth=1
	s_mov_b32 s54, s49
	s_delay_alu instid0(SALU_CYCLE_1)
	s_cmp_lg_u64 s[54:55], 0
	s_cbranch_scc0 .LBB39_165
; %bb.109:                              ;   in Loop: Header=BB39_33 Depth=1
	v_cvt_f32_u32_e32 v2, s33
	s_sub_u32 s21, 0, s33
	s_subb_u32 s22, 0, 0
	s_delay_alu instid0(VALU_DEP_1) | instskip(NEXT) | instid1(VALU_DEP_1)
	v_fmac_f32_e32 v2, 0x4f800000, v49
	v_rcp_f32_e32 v2, v2
	s_waitcnt_depctr 0xfff
	v_mul_f32_e32 v2, 0x5f7ffffc, v2
	s_delay_alu instid0(VALU_DEP_1) | instskip(NEXT) | instid1(VALU_DEP_1)
	v_mul_f32_e32 v3, 0x2f800000, v2
	v_trunc_f32_e32 v3, v3
	s_delay_alu instid0(VALU_DEP_1) | instskip(SKIP_1) | instid1(VALU_DEP_2)
	v_fmac_f32_e32 v2, 0xcf800000, v3
	v_cvt_u32_f32_e32 v3, v3
	v_cvt_u32_f32_e32 v2, v2
	s_delay_alu instid0(VALU_DEP_2) | instskip(NEXT) | instid1(VALU_DEP_2)
	v_readfirstlane_b32 s4, v3
	v_readfirstlane_b32 s5, v2
	s_delay_alu instid0(VALU_DEP_2) | instskip(NEXT) | instid1(VALU_DEP_1)
	s_mul_i32 s23, s21, s4
	s_mul_hi_u32 s54, s21, s5
	s_mul_i32 s48, s22, s5
	s_add_i32 s23, s54, s23
	s_mul_i32 s64, s21, s5
	s_add_i32 s23, s23, s48
	s_mul_hi_u32 s54, s5, s64
	s_mul_hi_u32 s65, s4, s64
	s_mul_i32 s48, s4, s64
	s_mul_hi_u32 s64, s5, s23
	s_mul_i32 s5, s5, s23
	s_mul_hi_u32 s66, s4, s23
	s_add_u32 s5, s54, s5
	s_addc_u32 s54, 0, s64
	s_add_u32 s5, s5, s48
	s_mul_i32 s23, s4, s23
	s_addc_u32 s5, s54, s65
	s_addc_u32 s48, s66, 0
	s_add_u32 s5, s5, s23
	s_addc_u32 s23, 0, s48
	v_add_co_u32 v2, s5, v2, s5
	s_delay_alu instid0(VALU_DEP_1) | instskip(SKIP_1) | instid1(VALU_DEP_1)
	s_cmp_lg_u32 s5, 0
	s_addc_u32 s4, s4, s23
	v_readfirstlane_b32 s5, v2
	s_mul_i32 s23, s21, s4
	s_delay_alu instid0(VALU_DEP_1)
	s_mul_hi_u32 s48, s21, s5
	s_mul_i32 s22, s22, s5
	s_add_i32 s23, s48, s23
	s_mul_i32 s21, s21, s5
	s_add_i32 s23, s23, s22
	s_mul_hi_u32 s48, s4, s21
	s_mul_i32 s54, s4, s21
	s_mul_hi_u32 s21, s5, s21
	s_mul_hi_u32 s64, s5, s23
	s_mul_i32 s5, s5, s23
	s_mul_hi_u32 s22, s4, s23
	s_add_u32 s5, s21, s5
	s_addc_u32 s21, 0, s64
	s_add_u32 s5, s5, s54
	s_mul_i32 s23, s4, s23
	s_addc_u32 s5, s21, s48
	s_addc_u32 s21, s22, 0
	s_add_u32 s5, s5, s23
	s_addc_u32 s21, 0, s21
	v_add_co_u32 v2, s5, v2, s5
	s_delay_alu instid0(VALU_DEP_1) | instskip(SKIP_2) | instid1(VALU_DEP_1)
	s_cmp_lg_u32 s5, 0
	s_addc_u32 s21, s4, s21
	s_ashr_i32 s22, s55, 31
	v_readfirstlane_b32 s48, v2
	s_add_u32 s4, s80, s22
	s_mov_b32 s23, s22
	s_addc_u32 s5, s55, s22
	s_delay_alu instid0(SALU_CYCLE_1) | instskip(NEXT) | instid1(SALU_CYCLE_1)
	s_xor_b64 s[4:5], s[4:5], s[22:23]
	s_mul_i32 s54, s4, s21
	s_mul_hi_u32 s64, s4, s48
	s_mul_hi_u32 s23, s4, s21
	;; [unrolled: 1-line block ×3, first 2 shown]
	s_mul_i32 s48, s5, s48
	s_add_u32 s54, s64, s54
	s_addc_u32 s23, 0, s23
	s_mul_hi_u32 s65, s5, s21
	s_add_u32 s48, s54, s48
	s_mul_i32 s21, s5, s21
	s_addc_u32 s23, s23, s66
	s_addc_u32 s48, s65, 0
	s_add_u32 s21, s23, s21
	s_addc_u32 s23, 0, s48
	s_mul_hi_u32 s48, s33, s21
	s_mul_i32 s21, s33, s21
	s_mul_i32 s23, s33, s23
	v_sub_co_u32 v2, s4, s4, s21
	s_add_i32 s48, s48, s23
	s_cmp_lg_u32 s4, 0
	s_delay_alu instid0(VALU_DEP_1) | instskip(SKIP_2) | instid1(VALU_DEP_1)
	v_sub_co_u32 v3, s4, v2, s33
	s_subb_u32 s5, s5, s48
	s_cmp_lg_u32 s4, 0
	v_cmp_le_u32_e32 vcc_lo, s33, v3
	v_sub_co_u32 v4, s4, v3, s33
	s_subb_u32 s21, s5, 0
	s_cmp_lg_u32 s4, 0
	v_cndmask_b32_e64 v5, 0, -1, vcc_lo
	s_subb_u32 s4, s21, 0
	s_cmp_eq_u32 s21, 0
	v_mov_b32_e32 v7, s4
	s_cselect_b32 vcc_lo, -1, 0
	s_cmp_eq_u32 s5, 0
	v_cndmask_b32_e32 v5, -1, v5, vcc_lo
	v_cmp_le_u32_e32 vcc_lo, s33, v2
	s_cselect_b32 s4, -1, 0
	v_cndmask_b32_e64 v6, 0, -1, vcc_lo
	s_delay_alu instid0(VALU_DEP_3) | instskip(NEXT) | instid1(VALU_DEP_2)
	v_cmp_ne_u32_e32 vcc_lo, 0, v5
	v_cndmask_b32_e64 v5, -1, v6, s4
	v_cndmask_b32_e32 v3, v3, v4, vcc_lo
	v_cndmask_b32_e32 v6, s21, v7, vcc_lo
	s_delay_alu instid0(VALU_DEP_3) | instskip(NEXT) | instid1(VALU_DEP_3)
	v_cmp_ne_u32_e32 vcc_lo, 0, v5
	v_cndmask_b32_e32 v2, v2, v3, vcc_lo
	s_delay_alu instid0(VALU_DEP_3) | instskip(NEXT) | instid1(VALU_DEP_2)
	v_cndmask_b32_e32 v4, s5, v6, vcc_lo
	v_xor_b32_e32 v2, s22, v2
	s_delay_alu instid0(VALU_DEP_2) | instskip(NEXT) | instid1(VALU_DEP_2)
	v_xor_b32_e32 v3, s22, v4
	v_sub_co_u32 v2, vcc_lo, v2, s22
	s_delay_alu instid0(VALU_DEP_2)
	v_subrev_co_ci_u32_e32 v3, vcc_lo, s22, v3, vcc_lo
	s_cbranch_execnz .LBB39_111
.LBB39_110:                             ;   in Loop: Header=BB39_33 Depth=1
	v_cvt_f32_u32_e32 v2, s33
	s_sub_i32 s4, 0, s33
	s_delay_alu instid0(VALU_DEP_1) | instskip(SKIP_2) | instid1(VALU_DEP_1)
	v_rcp_iflag_f32_e32 v2, v2
	s_waitcnt_depctr 0xfff
	v_mul_f32_e32 v2, 0x4f7ffffe, v2
	v_cvt_u32_f32_e32 v2, v2
	s_delay_alu instid0(VALU_DEP_1) | instskip(NEXT) | instid1(VALU_DEP_1)
	v_mul_lo_u32 v3, s4, v2
	v_mul_hi_u32 v3, v2, v3
	s_delay_alu instid0(VALU_DEP_1) | instskip(NEXT) | instid1(VALU_DEP_1)
	v_add_nc_u32_e32 v2, v2, v3
	v_mul_hi_u32 v2, s80, v2
	s_delay_alu instid0(VALU_DEP_1) | instskip(NEXT) | instid1(VALU_DEP_1)
	v_mul_lo_u32 v2, v2, s33
	v_sub_nc_u32_e32 v2, s80, v2
	s_delay_alu instid0(VALU_DEP_1) | instskip(SKIP_1) | instid1(VALU_DEP_2)
	v_subrev_nc_u32_e32 v3, s33, v2
	v_cmp_le_u32_e32 vcc_lo, s33, v2
	v_cndmask_b32_e32 v2, v2, v3, vcc_lo
	s_delay_alu instid0(VALU_DEP_1) | instskip(SKIP_1) | instid1(VALU_DEP_2)
	v_subrev_nc_u32_e32 v3, s33, v2
	v_cmp_le_u32_e32 vcc_lo, s33, v2
	v_cndmask_b32_e32 v12, v2, v3, vcc_lo
	s_delay_alu instid0(VALU_DEP_1)
	v_dual_mov_b32 v2, v12 :: v_dual_mov_b32 v3, v13
.LBB39_111:                             ;   in Loop: Header=BB39_33 Depth=1
	s_delay_alu instid0(VALU_DEP_1) | instskip(NEXT) | instid1(VALU_DEP_2)
	v_sub_co_u32 v2, vcc_lo, s80, v2
	v_sub_co_ci_u32_e32 v3, vcc_lo, s55, v3, vcc_lo
	s_mov_b32 s4, 0
	s_mov_b32 s5, exec_lo
                                        ; implicit-def: $vgpr50
	s_delay_alu instid0(VALU_DEP_1)
	v_cmpx_gt_i64_e64 v[2:3], v[0:1]
	s_cbranch_execz .LBB39_122
; %bb.112:                              ;   in Loop: Header=BB39_33 Depth=1
	v_dual_mov_b32 v4, v10 :: v_dual_mov_b32 v5, v11
	v_dual_mov_b32 v7, v1 :: v_dual_mov_b32 v6, v0
	s_mov_b32 s21, 0
                                        ; implicit-def: $sgpr22
	s_set_inst_prefetch_distance 0x1
	s_branch .LBB39_114
	.p2align	6
.LBB39_113:                             ;   in Loop: Header=BB39_114 Depth=2
	s_or_b32 exec_lo, exec_lo, s4
	s_waitcnt vmcnt(0) lgkmcnt(0)
	s_barrier
	buffer_gl0_inv
	ds_load_b32 v8, v13 offset:3072
	v_add_co_u32 v6, vcc_lo, v6, s33
	v_add_co_ci_u32_e32 v7, vcc_lo, 0, v7, vcc_lo
	s_waitcnt lgkmcnt(0)
	s_barrier
	buffer_gl0_inv
	v_cmp_ge_i64_e32 vcc_lo, v[6:7], v[2:3]
	v_cmp_ne_u16_e64 s4, 0, v8
	s_delay_alu instid0(VALU_DEP_1)
	s_or_b32 s23, s4, vcc_lo
	v_add_co_u32 v4, vcc_lo, v4, s50
	s_and_b32 s23, exec_lo, s23
	v_add_co_ci_u32_e32 v5, vcc_lo, s51, v5, vcc_lo
	s_or_b32 s21, s23, s21
	s_and_not1_b32 s22, s22, exec_lo
	s_and_b32 s4, s4, exec_lo
	s_delay_alu instid0(SALU_CYCLE_1)
	s_or_b32 s22, s22, s4
	s_and_not1_b32 exec_lo, exec_lo, s21
	s_cbranch_execz .LBB39_121
.LBB39_114:                             ;   Parent Loop BB39_33 Depth=1
                                        ; =>  This Inner Loop Header: Depth=2
	s_delay_alu instid0(VALU_DEP_1)
	v_cmp_gt_i64_e32 vcc_lo, s[24:25], v[6:7]
	v_mov_b32_e32 v8, 0
	s_and_saveexec_b32 s4, vcc_lo
	s_cbranch_execz .LBB39_116
; %bb.115:                              ;   in Loop: Header=BB39_114 Depth=2
	global_load_u16 v8, v[4:5], off
.LBB39_116:                             ;   in Loop: Header=BB39_114 Depth=2
	s_or_b32 exec_lo, exec_lo, s4
	s_and_saveexec_b32 s4, vcc_lo
	s_cbranch_execz .LBB39_113
; %bb.117:                              ;   in Loop: Header=BB39_114 Depth=2
	s_waitcnt vmcnt(0)
	v_bfe_i32 v9, v8, 0, 16
	s_delay_alu instid0(VALU_DEP_1) | instskip(NEXT) | instid1(VALU_DEP_1)
	v_add_nc_u32_e32 v9, 0x8000, v9
	v_and_b32_e32 v9, s96, v9
	s_delay_alu instid0(VALU_DEP_1)
	v_cmp_eq_u32_e32 vcc_lo, s97, v9
	s_and_b32 exec_lo, exec_lo, vcc_lo
	s_cbranch_execz .LBB39_113
; %bb.118:                              ;   in Loop: Header=BB39_114 Depth=2
	v_perm_b32 v8, v8, 1, 0x5040100
	ds_store_b32 v13, v8 offset:3072
	s_branch .LBB39_113
.LBB39_119:                             ;   in Loop: Header=BB39_33 Depth=1
	s_mov_b32 s4, -1
                                        ; implicit-def: $sgpr5
                                        ; implicit-def: $sgpr22
                                        ; implicit-def: $sgpr21
	s_branch .LBB39_136
.LBB39_120:                             ;   in Loop: Header=BB39_33 Depth=1
	s_mov_b32 s5, -1
	s_mov_b32 s4, 0
                                        ; implicit-def: $sgpr21
                                        ; implicit-def: $vgpr50
	s_mov_b32 s22, s5
	s_cbranch_execnz .LBB39_123
	s_branch .LBB39_136
.LBB39_121:                             ;   in Loop: Header=BB39_33 Depth=1
	s_set_inst_prefetch_distance 0x2
	s_or_b32 exec_lo, exec_lo, s21
	v_lshrrev_b32_e32 v50, 16, v8
	s_and_b32 s4, s22, exec_lo
.LBB39_122:                             ;   in Loop: Header=BB39_33 Depth=1
	s_or_b32 exec_lo, exec_lo, s5
	s_mov_b32 s21, -1
	s_mov_b32 s5, 0
	s_delay_alu instid0(SALU_CYCLE_1)
	s_mov_b32 s22, s5
	s_branch .LBB39_136
.LBB39_123:                             ;   in Loop: Header=BB39_33 Depth=1
	s_add_u32 s21, s78, s14
	s_addc_u32 s5, s79, s15
	s_mov_b32 s4, s49
	s_delay_alu instid0(SALU_CYCLE_1)
	s_cmp_lg_u64 s[4:5], 0
	s_cbranch_scc0 .LBB39_166
; %bb.124:                              ;   in Loop: Header=BB39_33 Depth=1
	v_cvt_f32_u32_e32 v2, s33
	s_sub_u32 s23, 0, s33
	s_subb_u32 s48, 0, 0
	s_delay_alu instid0(VALU_DEP_1) | instskip(NEXT) | instid1(VALU_DEP_1)
	v_fmac_f32_e32 v2, 0x4f800000, v49
	v_rcp_f32_e32 v2, v2
	s_waitcnt_depctr 0xfff
	v_mul_f32_e32 v2, 0x5f7ffffc, v2
	s_delay_alu instid0(VALU_DEP_1) | instskip(NEXT) | instid1(VALU_DEP_1)
	v_mul_f32_e32 v3, 0x2f800000, v2
	v_trunc_f32_e32 v3, v3
	s_delay_alu instid0(VALU_DEP_1) | instskip(SKIP_1) | instid1(VALU_DEP_2)
	v_fmac_f32_e32 v2, 0xcf800000, v3
	v_cvt_u32_f32_e32 v3, v3
	v_cvt_u32_f32_e32 v2, v2
	s_delay_alu instid0(VALU_DEP_2) | instskip(NEXT) | instid1(VALU_DEP_2)
	v_readfirstlane_b32 s4, v3
	v_readfirstlane_b32 s22, v2
	s_delay_alu instid0(VALU_DEP_2) | instskip(NEXT) | instid1(VALU_DEP_1)
	s_mul_i32 s54, s23, s4
	s_mul_hi_u32 s65, s23, s22
	s_mul_i32 s64, s48, s22
	s_add_i32 s54, s65, s54
	s_mul_i32 s66, s23, s22
	s_add_i32 s54, s54, s64
	s_mul_hi_u32 s65, s22, s66
	s_mul_hi_u32 s67, s4, s66
	s_mul_i32 s64, s4, s66
	s_mul_hi_u32 s66, s22, s54
	s_mul_i32 s22, s22, s54
	s_mul_hi_u32 s68, s4, s54
	s_add_u32 s22, s65, s22
	s_addc_u32 s65, 0, s66
	s_add_u32 s22, s22, s64
	s_mul_i32 s54, s4, s54
	s_addc_u32 s22, s65, s67
	s_addc_u32 s64, s68, 0
	s_add_u32 s22, s22, s54
	s_addc_u32 s54, 0, s64
	v_add_co_u32 v2, s22, v2, s22
	s_delay_alu instid0(VALU_DEP_1) | instskip(SKIP_1) | instid1(VALU_DEP_1)
	s_cmp_lg_u32 s22, 0
	s_addc_u32 s4, s4, s54
	v_readfirstlane_b32 s22, v2
	s_mul_i32 s54, s23, s4
	s_delay_alu instid0(VALU_DEP_1)
	s_mul_hi_u32 s64, s23, s22
	s_mul_i32 s48, s48, s22
	s_add_i32 s54, s64, s54
	s_mul_i32 s23, s23, s22
	s_add_i32 s54, s54, s48
	s_mul_hi_u32 s64, s4, s23
	s_mul_i32 s65, s4, s23
	s_mul_hi_u32 s23, s22, s23
	s_mul_hi_u32 s66, s22, s54
	s_mul_i32 s22, s22, s54
	s_mul_hi_u32 s48, s4, s54
	s_add_u32 s22, s23, s22
	s_addc_u32 s23, 0, s66
	s_add_u32 s22, s22, s65
	s_mul_i32 s54, s4, s54
	s_addc_u32 s22, s23, s64
	s_addc_u32 s23, s48, 0
	s_add_u32 s22, s22, s54
	s_addc_u32 s23, 0, s23
	v_add_co_u32 v2, s22, v2, s22
	s_delay_alu instid0(VALU_DEP_1) | instskip(SKIP_2) | instid1(VALU_DEP_1)
	s_cmp_lg_u32 s22, 0
	s_addc_u32 s4, s4, s23
	s_ashr_i32 s22, s5, 31
	v_readfirstlane_b32 s48, v2
	s_add_u32 s64, s21, s22
	s_mov_b32 s23, s22
	s_addc_u32 s65, s5, s22
	s_delay_alu instid0(SALU_CYCLE_1) | instskip(NEXT) | instid1(SALU_CYCLE_1)
	s_xor_b64 s[64:65], s[64:65], s[22:23]
	s_mul_i32 s54, s64, s4
	s_mul_hi_u32 s66, s64, s48
	s_mul_hi_u32 s23, s64, s4
	;; [unrolled: 1-line block ×3, first 2 shown]
	s_mul_i32 s48, s65, s48
	s_add_u32 s54, s66, s54
	s_addc_u32 s23, 0, s23
	s_mul_hi_u32 s67, s65, s4
	s_add_u32 s48, s54, s48
	s_mul_i32 s4, s65, s4
	s_addc_u32 s23, s23, s68
	s_addc_u32 s48, s67, 0
	s_add_u32 s4, s23, s4
	s_addc_u32 s23, 0, s48
	s_mul_hi_u32 s48, s33, s4
	s_mul_i32 s4, s33, s4
	s_mul_i32 s23, s33, s23
	v_sub_co_u32 v2, s4, s64, s4
	s_add_i32 s48, s48, s23
	s_cmp_lg_u32 s4, 0
	s_delay_alu instid0(VALU_DEP_1) | instskip(SKIP_2) | instid1(VALU_DEP_1)
	v_sub_co_u32 v3, s4, v2, s33
	s_subb_u32 s23, s65, s48
	s_cmp_lg_u32 s4, 0
	v_cmp_le_u32_e32 vcc_lo, s33, v3
	v_sub_co_u32 v4, s4, v3, s33
	s_subb_u32 s48, s23, 0
	s_cmp_lg_u32 s4, 0
	v_cndmask_b32_e64 v5, 0, -1, vcc_lo
	s_subb_u32 s4, s48, 0
	s_cmp_eq_u32 s48, 0
	v_mov_b32_e32 v7, s4
	s_cselect_b32 vcc_lo, -1, 0
	s_cmp_eq_u32 s23, 0
	v_cndmask_b32_e32 v5, -1, v5, vcc_lo
	v_cmp_le_u32_e32 vcc_lo, s33, v2
	s_cselect_b32 s4, -1, 0
	v_cndmask_b32_e64 v6, 0, -1, vcc_lo
	s_delay_alu instid0(VALU_DEP_3) | instskip(NEXT) | instid1(VALU_DEP_2)
	v_cmp_ne_u32_e32 vcc_lo, 0, v5
	v_cndmask_b32_e64 v5, -1, v6, s4
	v_cndmask_b32_e32 v3, v3, v4, vcc_lo
	v_cndmask_b32_e32 v6, s48, v7, vcc_lo
	s_delay_alu instid0(VALU_DEP_3) | instskip(NEXT) | instid1(VALU_DEP_3)
	v_cmp_ne_u32_e32 vcc_lo, 0, v5
	v_cndmask_b32_e32 v2, v2, v3, vcc_lo
	s_delay_alu instid0(VALU_DEP_3) | instskip(NEXT) | instid1(VALU_DEP_2)
	v_cndmask_b32_e32 v4, s23, v6, vcc_lo
	v_xor_b32_e32 v2, s22, v2
	s_delay_alu instid0(VALU_DEP_2) | instskip(NEXT) | instid1(VALU_DEP_2)
	v_xor_b32_e32 v3, s22, v4
	v_sub_co_u32 v2, vcc_lo, v2, s22
	s_delay_alu instid0(VALU_DEP_2)
	v_subrev_co_ci_u32_e32 v3, vcc_lo, s22, v3, vcc_lo
	s_cbranch_execnz .LBB39_126
.LBB39_125:                             ;   in Loop: Header=BB39_33 Depth=1
	v_cvt_f32_u32_e32 v2, s33
	s_sub_i32 s4, 0, s33
	s_delay_alu instid0(VALU_DEP_1) | instskip(SKIP_2) | instid1(VALU_DEP_1)
	v_rcp_iflag_f32_e32 v2, v2
	s_waitcnt_depctr 0xfff
	v_mul_f32_e32 v2, 0x4f7ffffe, v2
	v_cvt_u32_f32_e32 v2, v2
	s_delay_alu instid0(VALU_DEP_1) | instskip(NEXT) | instid1(VALU_DEP_1)
	v_mul_lo_u32 v3, s4, v2
	v_mul_hi_u32 v3, v2, v3
	s_delay_alu instid0(VALU_DEP_1) | instskip(NEXT) | instid1(VALU_DEP_1)
	v_add_nc_u32_e32 v2, v2, v3
	v_mul_hi_u32 v2, s21, v2
	s_delay_alu instid0(VALU_DEP_1) | instskip(NEXT) | instid1(VALU_DEP_1)
	v_mul_lo_u32 v2, v2, s33
	v_sub_nc_u32_e32 v2, s21, v2
	s_delay_alu instid0(VALU_DEP_1) | instskip(SKIP_1) | instid1(VALU_DEP_2)
	v_subrev_nc_u32_e32 v3, s33, v2
	v_cmp_le_u32_e32 vcc_lo, s33, v2
	v_cndmask_b32_e32 v2, v2, v3, vcc_lo
	s_delay_alu instid0(VALU_DEP_1) | instskip(SKIP_1) | instid1(VALU_DEP_2)
	v_subrev_nc_u32_e32 v3, s33, v2
	v_cmp_le_u32_e32 vcc_lo, s33, v2
	v_cndmask_b32_e32 v12, v2, v3, vcc_lo
	s_delay_alu instid0(VALU_DEP_1)
	v_dual_mov_b32 v2, v12 :: v_dual_mov_b32 v3, v13
.LBB39_126:                             ;   in Loop: Header=BB39_33 Depth=1
	s_delay_alu instid0(VALU_DEP_1) | instskip(NEXT) | instid1(VALU_DEP_2)
	v_sub_co_u32 v2, vcc_lo, s21, v2
	v_sub_co_ci_u32_e32 v3, vcc_lo, s5, v3, vcc_lo
	s_mov_b32 s4, 0
	s_mov_b32 s5, exec_lo
                                        ; implicit-def: $vgpr50
	s_delay_alu instid0(VALU_DEP_1)
	v_cmpx_gt_i64_e64 v[2:3], v[0:1]
	s_cbranch_execz .LBB39_135
; %bb.127:                              ;   in Loop: Header=BB39_33 Depth=1
	v_mov_b32_e32 v6, v41
	v_dual_mov_b32 v5, v1 :: v_dual_mov_b32 v4, v0
	s_mov_b32 s21, 0
                                        ; implicit-def: $sgpr22
	s_set_inst_prefetch_distance 0x1
	s_branch .LBB39_129
	.p2align	6
.LBB39_128:                             ;   in Loop: Header=BB39_129 Depth=2
	s_or_b32 exec_lo, exec_lo, s4
	s_waitcnt lgkmcnt(0)
	s_barrier
	buffer_gl0_inv
	ds_load_b32 v7, v13 offset:3072
	v_add_co_u32 v4, vcc_lo, v4, s33
	v_add_co_ci_u32_e32 v5, vcc_lo, 0, v5, vcc_lo
	v_add_nc_u32_e32 v6, s86, v6
	s_waitcnt lgkmcnt(0)
	s_barrier
	s_delay_alu instid0(VALU_DEP_2) | instskip(SKIP_2) | instid1(VALU_DEP_1)
	v_cmp_ge_i64_e32 vcc_lo, v[4:5], v[2:3]
	buffer_gl0_inv
	v_cmp_ne_u16_e64 s4, 0, v7
	s_or_b32 s23, s4, vcc_lo
	s_delay_alu instid0(SALU_CYCLE_1) | instskip(NEXT) | instid1(SALU_CYCLE_1)
	s_and_b32 s23, exec_lo, s23
	s_or_b32 s21, s23, s21
	s_and_not1_b32 s22, s22, exec_lo
	s_and_b32 s4, s4, exec_lo
	s_delay_alu instid0(SALU_CYCLE_1)
	s_or_b32 s22, s22, s4
	s_and_not1_b32 exec_lo, exec_lo, s21
	s_cbranch_execz .LBB39_134
.LBB39_129:                             ;   Parent Loop BB39_33 Depth=1
                                        ; =>  This Inner Loop Header: Depth=2
	s_delay_alu instid0(VALU_DEP_1)
	v_cmp_gt_i64_e32 vcc_lo, s[14:15], v[4:5]
	v_mov_b32_e32 v7, 0
	s_and_saveexec_b32 s4, vcc_lo
	s_cbranch_execz .LBB39_131
; %bb.130:                              ;   in Loop: Header=BB39_129 Depth=2
	ds_load_u16 v7, v6
.LBB39_131:                             ;   in Loop: Header=BB39_129 Depth=2
	s_or_b32 exec_lo, exec_lo, s4
	s_and_saveexec_b32 s4, vcc_lo
	s_cbranch_execz .LBB39_128
; %bb.132:                              ;   in Loop: Header=BB39_129 Depth=2
	s_waitcnt lgkmcnt(0)
	v_bfe_i32 v8, v7, 0, 16
	s_delay_alu instid0(VALU_DEP_1) | instskip(NEXT) | instid1(VALU_DEP_1)
	v_add_nc_u32_e32 v8, 0x8000, v8
	v_and_b32_e32 v8, s96, v8
	s_delay_alu instid0(VALU_DEP_1)
	v_cmp_eq_u32_e32 vcc_lo, s97, v8
	s_and_b32 exec_lo, exec_lo, vcc_lo
	s_cbranch_execz .LBB39_128
; %bb.133:                              ;   in Loop: Header=BB39_129 Depth=2
	v_perm_b32 v7, v7, 1, 0x5040100
	ds_store_b32 v13, v7 offset:3072
	s_branch .LBB39_128
.LBB39_134:                             ;   in Loop: Header=BB39_33 Depth=1
	s_set_inst_prefetch_distance 0x2
	s_or_b32 exec_lo, exec_lo, s21
	v_lshrrev_b32_e32 v50, 16, v7
	s_and_b32 s4, s22, exec_lo
.LBB39_135:                             ;   in Loop: Header=BB39_33 Depth=1
	s_or_b32 exec_lo, exec_lo, s5
	s_mov_b32 s22, -1
	s_mov_b32 s5, 0
	s_mov_b32 s21, 0
.LBB39_136:                             ;   in Loop: Header=BB39_33 Depth=1
	s_and_not1_b32 s14, s93, exec_lo
	s_and_b32 s5, s5, exec_lo
	s_and_not1_b32 s15, s94, exec_lo
	s_or_b32 s93, s14, s5
	s_and_not1_b32 s5, s95, exec_lo
	s_and_b32 s14, s22, exec_lo
	s_and_b32 s21, s21, exec_lo
	s_or_b32 s95, s5, s14
	s_or_b32 s94, s15, s21
	s_and_saveexec_b32 s14, s4
	s_cbranch_execz .LBB39_32
; %bb.137:                              ;   in Loop: Header=BB39_33 Depth=1
	s_xor_b32 s4, s20, -1
	s_mov_b32 s54, 1
	s_and_not1_b32 vcc_lo, exec_lo, s4
	s_cbranch_vccnz .LBB39_148
; %bb.138:                              ;   in Loop: Header=BB39_33 Depth=1
	v_cmp_gt_i64_e64 s4, s[26:27], s[12:13]
                                        ; implicit-def: $sgpr54
                                        ; implicit-def: $sgpr5
                                        ; implicit-def: $sgpr15
	s_delay_alu instid0(VALU_DEP_1)
	s_and_b32 vcc_lo, exec_lo, s4
	s_mov_b32 s4, -1
	s_cbranch_vccnz .LBB39_144
; %bb.139:                              ;   in Loop: Header=BB39_33 Depth=1
	ds_load_b64 v[2:3], v13 offset:5120
	s_waitcnt lgkmcnt(0)
	v_cmp_ne_u64_e32 vcc_lo, 0, v[2:3]
	s_cbranch_vccnz .LBB39_143
; %bb.140:                              ;   in Loop: Header=BB39_33 Depth=1
	s_and_saveexec_b32 s4, s0
	s_cbranch_execz .LBB39_142
; %bb.141:                              ;   in Loop: Header=BB39_33 Depth=1
	v_dual_mov_b32 v2, s12 :: v_dual_mov_b32 v3, s13
	ds_store_b64 v13, v[2:3] offset:5128
.LBB39_142:                             ;   in Loop: Header=BB39_33 Depth=1
	s_or_b32 exec_lo, exec_lo, s4
	s_waitcnt lgkmcnt(0)
	s_barrier
	buffer_gl0_inv
.LBB39_143:                             ;   in Loop: Header=BB39_33 Depth=1
	s_and_b32 s5, s97, s18
	s_or_b32 s15, s96, s16
	s_mov_b32 s4, 0
	s_mov_b32 s54, 8
.LBB39_144:                             ;   in Loop: Header=BB39_33 Depth=1
	s_and_not1_b32 vcc_lo, exec_lo, s4
	s_cbranch_vccnz .LBB39_146
; %bb.145:                              ;   in Loop: Header=BB39_33 Depth=1
	s_sub_u32 s26, s26, s12
	s_subb_u32 s27, s27, s13
	s_mov_b32 s4, -1
	s_mov_b32 s54, 0
	s_mov_b32 s5, s97
	;; [unrolled: 1-line block ×3, first 2 shown]
.LBB39_146:                             ;   in Loop: Header=BB39_33 Depth=1
	s_delay_alu instid0(SALU_CYCLE_1)
	s_mov_b32 s96, s15
	s_mov_b32 s97, s5
	s_and_b32 vcc_lo, exec_lo, s4
	s_mov_b32 s15, -1
	s_cbranch_vccnz .LBB39_149
.LBB39_147:                             ;   in Loop: Header=BB39_33 Depth=1
	s_mov_b32 s5, -1
                                        ; implicit-def: $sgpr19
                                        ; implicit-def: $sgpr21
                                        ; implicit-def: $sgpr20
	s_delay_alu instid0(SALU_CYCLE_1) | instskip(NEXT) | instid1(SALU_CYCLE_1)
	s_and_saveexec_b32 s4, s5
	s_xor_b32 s4, exec_lo, s4
	s_cbranch_execz .LBB39_31
	s_branch .LBB39_295
.LBB39_148:                             ;   in Loop: Header=BB39_33 Depth=1
	s_mov_b64 s[26:27], 1
	s_mov_b32 s15, -1
	s_branch .LBB39_147
.LBB39_149:                             ;   in Loop: Header=BB39_33 Depth=1
	s_cmp_eq_u64 s[10:11], 1
	s_cselect_b32 s4, -1, 0
	s_cmp_eq_u64 s[26:27], 1
	s_cselect_b32 s5, -1, 0
	s_delay_alu instid0(SALU_CYCLE_1)
	s_and_b32 s22, s4, s5
	s_mov_b32 s4, -1
	s_and_b32 vcc_lo, exec_lo, s22
	s_cbranch_vccz .LBB39_164
; %bb.150:                              ;   in Loop: Header=BB39_33 Depth=1
	ds_load_b64 v[2:3], v13 offset:5120
	s_waitcnt lgkmcnt(0)
	s_barrier
	buffer_gl0_inv
	v_readfirstlane_b32 s12, v2
	v_readfirstlane_b32 s13, v3
	s_and_saveexec_b32 s4, s3
	s_cbranch_execz .LBB39_152
; %bb.151:                              ;   in Loop: Header=BB39_33 Depth=1
	ds_store_b16 v42, v13
.LBB39_152:                             ;   in Loop: Header=BB39_33 Depth=1
	s_or_b32 exec_lo, exec_lo, s4
	s_delay_alu instid0(VALU_DEP_1)
	v_cmp_gt_i64_e64 s19, s[12:13], 0
	s_lshl_b32 s4, 1, s17
	s_and_b32 s5, s97, s18
	s_or_b32 s96, s96, s16
	s_or_b32 s97, s5, s4
	s_waitcnt lgkmcnt(0)
	s_and_b32 vcc_lo, exec_lo, s19
	s_barrier
	buffer_gl0_inv
	s_cbranch_vccnz .LBB39_167
; %bb.153:                              ;   in Loop: Header=BB39_33 Depth=1
	s_mov_b32 s54, s49
	s_delay_alu instid0(SALU_CYCLE_1)
	s_cmp_lg_u64 s[54:55], 0
	s_cbranch_scc0 .LBB39_212
; %bb.154:                              ;   in Loop: Header=BB39_33 Depth=1
	v_cvt_f32_u32_e32 v2, s33
	s_sub_u32 s19, 0, s33
	s_subb_u32 s20, 0, 0
	s_delay_alu instid0(VALU_DEP_1) | instskip(NEXT) | instid1(VALU_DEP_1)
	v_fmac_f32_e32 v2, 0x4f800000, v49
	v_rcp_f32_e32 v2, v2
	s_waitcnt_depctr 0xfff
	v_mul_f32_e32 v2, 0x5f7ffffc, v2
	s_delay_alu instid0(VALU_DEP_1) | instskip(NEXT) | instid1(VALU_DEP_1)
	v_mul_f32_e32 v3, 0x2f800000, v2
	v_trunc_f32_e32 v3, v3
	s_delay_alu instid0(VALU_DEP_1) | instskip(SKIP_1) | instid1(VALU_DEP_2)
	v_fmac_f32_e32 v2, 0xcf800000, v3
	v_cvt_u32_f32_e32 v3, v3
	v_cvt_u32_f32_e32 v2, v2
	s_delay_alu instid0(VALU_DEP_2) | instskip(NEXT) | instid1(VALU_DEP_2)
	v_readfirstlane_b32 s4, v3
	v_readfirstlane_b32 s5, v2
	s_delay_alu instid0(VALU_DEP_2) | instskip(NEXT) | instid1(VALU_DEP_1)
	s_mul_i32 s21, s19, s4
	s_mul_hi_u32 s48, s19, s5
	s_mul_i32 s23, s20, s5
	s_add_i32 s21, s48, s21
	s_mul_i32 s54, s19, s5
	s_add_i32 s21, s21, s23
	s_mul_hi_u32 s48, s5, s54
	s_mul_hi_u32 s64, s4, s54
	s_mul_i32 s23, s4, s54
	s_mul_hi_u32 s54, s5, s21
	s_mul_i32 s5, s5, s21
	s_mul_hi_u32 s65, s4, s21
	s_add_u32 s5, s48, s5
	s_addc_u32 s48, 0, s54
	s_add_u32 s5, s5, s23
	s_mul_i32 s21, s4, s21
	s_addc_u32 s5, s48, s64
	s_addc_u32 s23, s65, 0
	s_add_u32 s5, s5, s21
	s_addc_u32 s21, 0, s23
	v_add_co_u32 v2, s5, v2, s5
	s_delay_alu instid0(VALU_DEP_1) | instskip(SKIP_1) | instid1(VALU_DEP_1)
	s_cmp_lg_u32 s5, 0
	s_addc_u32 s4, s4, s21
	v_readfirstlane_b32 s5, v2
	s_mul_i32 s21, s19, s4
	s_delay_alu instid0(VALU_DEP_1)
	s_mul_hi_u32 s23, s19, s5
	s_mul_i32 s20, s20, s5
	s_add_i32 s21, s23, s21
	s_mul_i32 s19, s19, s5
	s_add_i32 s21, s21, s20
	s_mul_hi_u32 s23, s4, s19
	s_mul_i32 s48, s4, s19
	s_mul_hi_u32 s19, s5, s19
	s_mul_hi_u32 s54, s5, s21
	s_mul_i32 s5, s5, s21
	s_mul_hi_u32 s20, s4, s21
	s_add_u32 s5, s19, s5
	s_addc_u32 s19, 0, s54
	s_add_u32 s5, s5, s48
	s_mul_i32 s21, s4, s21
	s_addc_u32 s5, s19, s23
	s_addc_u32 s19, s20, 0
	s_add_u32 s5, s5, s21
	s_addc_u32 s19, 0, s19
	v_add_co_u32 v2, s5, v2, s5
	s_delay_alu instid0(VALU_DEP_1) | instskip(SKIP_2) | instid1(VALU_DEP_1)
	s_cmp_lg_u32 s5, 0
	s_addc_u32 s19, s4, s19
	s_ashr_i32 s20, s55, 31
	v_readfirstlane_b32 s23, v2
	s_add_u32 s4, s80, s20
	s_mov_b32 s21, s20
	s_addc_u32 s5, s55, s20
	s_delay_alu instid0(SALU_CYCLE_1) | instskip(NEXT) | instid1(SALU_CYCLE_1)
	s_xor_b64 s[4:5], s[4:5], s[20:21]
	s_mul_i32 s48, s4, s19
	s_mul_hi_u32 s54, s4, s23
	s_mul_hi_u32 s21, s4, s19
	;; [unrolled: 1-line block ×3, first 2 shown]
	s_mul_i32 s23, s5, s23
	s_add_u32 s48, s54, s48
	s_addc_u32 s21, 0, s21
	s_mul_hi_u32 s64, s5, s19
	s_add_u32 s23, s48, s23
	s_mul_i32 s19, s5, s19
	s_addc_u32 s21, s21, s65
	s_addc_u32 s23, s64, 0
	s_add_u32 s19, s21, s19
	s_addc_u32 s21, 0, s23
	s_mul_hi_u32 s23, s33, s19
	s_mul_i32 s19, s33, s19
	s_mul_i32 s21, s33, s21
	v_sub_co_u32 v2, s4, s4, s19
	s_add_i32 s23, s23, s21
	s_cmp_lg_u32 s4, 0
	s_delay_alu instid0(VALU_DEP_1) | instskip(SKIP_2) | instid1(VALU_DEP_1)
	v_sub_co_u32 v3, s4, v2, s33
	s_subb_u32 s5, s5, s23
	s_cmp_lg_u32 s4, 0
	v_cmp_le_u32_e32 vcc_lo, s33, v3
	v_sub_co_u32 v4, s4, v3, s33
	s_subb_u32 s19, s5, 0
	s_cmp_lg_u32 s4, 0
	v_cndmask_b32_e64 v5, 0, -1, vcc_lo
	s_subb_u32 s4, s19, 0
	s_cmp_eq_u32 s19, 0
	v_mov_b32_e32 v7, s4
	s_cselect_b32 vcc_lo, -1, 0
	s_cmp_eq_u32 s5, 0
	v_cndmask_b32_e32 v5, -1, v5, vcc_lo
	v_cmp_le_u32_e32 vcc_lo, s33, v2
	s_cselect_b32 s4, -1, 0
	v_cndmask_b32_e64 v6, 0, -1, vcc_lo
	s_delay_alu instid0(VALU_DEP_3) | instskip(NEXT) | instid1(VALU_DEP_2)
	v_cmp_ne_u32_e32 vcc_lo, 0, v5
	v_cndmask_b32_e64 v5, -1, v6, s4
	v_cndmask_b32_e32 v3, v3, v4, vcc_lo
	v_cndmask_b32_e32 v6, s19, v7, vcc_lo
	s_delay_alu instid0(VALU_DEP_3) | instskip(NEXT) | instid1(VALU_DEP_3)
	v_cmp_ne_u32_e32 vcc_lo, 0, v5
	v_cndmask_b32_e32 v2, v2, v3, vcc_lo
	s_delay_alu instid0(VALU_DEP_3) | instskip(NEXT) | instid1(VALU_DEP_2)
	v_cndmask_b32_e32 v4, s5, v6, vcc_lo
	v_xor_b32_e32 v2, s20, v2
	s_delay_alu instid0(VALU_DEP_2) | instskip(NEXT) | instid1(VALU_DEP_2)
	v_xor_b32_e32 v3, s20, v4
	v_sub_co_u32 v2, vcc_lo, v2, s20
	s_delay_alu instid0(VALU_DEP_2)
	v_subrev_co_ci_u32_e32 v3, vcc_lo, s20, v3, vcc_lo
	s_cbranch_execnz .LBB39_156
.LBB39_155:                             ;   in Loop: Header=BB39_33 Depth=1
	v_cvt_f32_u32_e32 v2, s33
	s_sub_i32 s4, 0, s33
	s_delay_alu instid0(VALU_DEP_1) | instskip(SKIP_2) | instid1(VALU_DEP_1)
	v_rcp_iflag_f32_e32 v2, v2
	s_waitcnt_depctr 0xfff
	v_mul_f32_e32 v2, 0x4f7ffffe, v2
	v_cvt_u32_f32_e32 v2, v2
	s_delay_alu instid0(VALU_DEP_1) | instskip(NEXT) | instid1(VALU_DEP_1)
	v_mul_lo_u32 v3, s4, v2
	v_mul_hi_u32 v3, v2, v3
	s_delay_alu instid0(VALU_DEP_1) | instskip(NEXT) | instid1(VALU_DEP_1)
	v_add_nc_u32_e32 v2, v2, v3
	v_mul_hi_u32 v2, s80, v2
	s_delay_alu instid0(VALU_DEP_1) | instskip(NEXT) | instid1(VALU_DEP_1)
	v_mul_lo_u32 v2, v2, s33
	v_sub_nc_u32_e32 v2, s80, v2
	s_delay_alu instid0(VALU_DEP_1) | instskip(SKIP_1) | instid1(VALU_DEP_2)
	v_subrev_nc_u32_e32 v3, s33, v2
	v_cmp_le_u32_e32 vcc_lo, s33, v2
	v_cndmask_b32_e32 v2, v2, v3, vcc_lo
	s_delay_alu instid0(VALU_DEP_1) | instskip(SKIP_1) | instid1(VALU_DEP_2)
	v_subrev_nc_u32_e32 v3, s33, v2
	v_cmp_le_u32_e32 vcc_lo, s33, v2
	v_cndmask_b32_e32 v12, v2, v3, vcc_lo
	s_delay_alu instid0(VALU_DEP_1)
	v_dual_mov_b32 v2, v12 :: v_dual_mov_b32 v3, v13
.LBB39_156:                             ;   in Loop: Header=BB39_33 Depth=1
	s_delay_alu instid0(VALU_DEP_1) | instskip(NEXT) | instid1(VALU_DEP_2)
	v_sub_co_u32 v2, vcc_lo, s80, v2
	v_sub_co_ci_u32_e32 v3, vcc_lo, s55, v3, vcc_lo
	s_mov_b32 s4, 0
	s_mov_b32 s5, exec_lo
                                        ; implicit-def: $vgpr50
	s_delay_alu instid0(VALU_DEP_1)
	v_cmpx_gt_i64_e64 v[2:3], v[0:1]
	s_cbranch_execz .LBB39_169
; %bb.157:                              ;   in Loop: Header=BB39_33 Depth=1
	v_dual_mov_b32 v4, v10 :: v_dual_mov_b32 v5, v11
	v_dual_mov_b32 v7, v1 :: v_dual_mov_b32 v6, v0
	s_mov_b32 s19, 0
                                        ; implicit-def: $sgpr20
	s_set_inst_prefetch_distance 0x1
	s_branch .LBB39_159
	.p2align	6
.LBB39_158:                             ;   in Loop: Header=BB39_159 Depth=2
	s_or_b32 exec_lo, exec_lo, s4
	s_waitcnt vmcnt(0) lgkmcnt(0)
	s_barrier
	buffer_gl0_inv
	ds_load_b32 v8, v13 offset:3072
	v_add_co_u32 v6, vcc_lo, v6, s33
	v_add_co_ci_u32_e32 v7, vcc_lo, 0, v7, vcc_lo
	s_waitcnt lgkmcnt(0)
	s_barrier
	buffer_gl0_inv
	v_cmp_ge_i64_e32 vcc_lo, v[6:7], v[2:3]
	v_cmp_ne_u16_e64 s4, 0, v8
	s_delay_alu instid0(VALU_DEP_1)
	s_or_b32 s21, s4, vcc_lo
	v_add_co_u32 v4, vcc_lo, v4, s50
	s_and_b32 s21, exec_lo, s21
	v_add_co_ci_u32_e32 v5, vcc_lo, s51, v5, vcc_lo
	s_or_b32 s19, s21, s19
	s_and_not1_b32 s20, s20, exec_lo
	s_and_b32 s4, s4, exec_lo
	s_delay_alu instid0(SALU_CYCLE_1)
	s_or_b32 s20, s20, s4
	s_and_not1_b32 exec_lo, exec_lo, s19
	s_cbranch_execz .LBB39_168
.LBB39_159:                             ;   Parent Loop BB39_33 Depth=1
                                        ; =>  This Inner Loop Header: Depth=2
	s_delay_alu instid0(VALU_DEP_1)
	v_cmp_gt_i64_e32 vcc_lo, s[24:25], v[6:7]
	v_mov_b32_e32 v8, 0
	s_and_saveexec_b32 s4, vcc_lo
	s_cbranch_execz .LBB39_161
; %bb.160:                              ;   in Loop: Header=BB39_159 Depth=2
	global_load_u16 v8, v[4:5], off
.LBB39_161:                             ;   in Loop: Header=BB39_159 Depth=2
	s_or_b32 exec_lo, exec_lo, s4
	s_and_saveexec_b32 s4, vcc_lo
	s_cbranch_execz .LBB39_158
; %bb.162:                              ;   in Loop: Header=BB39_159 Depth=2
	s_waitcnt vmcnt(0)
	v_bfe_i32 v9, v8, 0, 16
	s_delay_alu instid0(VALU_DEP_1) | instskip(NEXT) | instid1(VALU_DEP_1)
	v_add_nc_u32_e32 v9, 0x8000, v9
	v_and_b32_e32 v9, s96, v9
	s_delay_alu instid0(VALU_DEP_1)
	v_cmp_eq_u32_e32 vcc_lo, s97, v9
	s_and_b32 exec_lo, exec_lo, vcc_lo
	s_cbranch_execz .LBB39_158
; %bb.163:                              ;   in Loop: Header=BB39_159 Depth=2
	v_perm_b32 v8, v8, 1, 0x5040100
	ds_store_b32 v13, v8 offset:3072
	s_branch .LBB39_158
.LBB39_164:                             ;   in Loop: Header=BB39_33 Depth=1
                                        ; implicit-def: $sgpr20
                                        ; implicit-def: $sgpr21
                                        ; implicit-def: $sgpr19
	s_branch .LBB39_183
.LBB39_165:                             ;   in Loop: Header=BB39_33 Depth=1
                                        ; implicit-def: $vgpr2_vgpr3
	s_branch .LBB39_110
.LBB39_166:                             ;   in Loop: Header=BB39_33 Depth=1
                                        ; implicit-def: $vgpr2_vgpr3
	s_branch .LBB39_125
.LBB39_167:                             ;   in Loop: Header=BB39_33 Depth=1
	s_mov_b32 s20, -1
	s_mov_b32 s4, 0
                                        ; implicit-def: $sgpr19
                                        ; implicit-def: $vgpr50
	s_mov_b32 s21, s20
	s_cbranch_execnz .LBB39_170
	s_branch .LBB39_183
.LBB39_168:                             ;   in Loop: Header=BB39_33 Depth=1
	s_set_inst_prefetch_distance 0x2
	s_or_b32 exec_lo, exec_lo, s19
	v_lshrrev_b32_e32 v50, 16, v8
	s_and_b32 s4, s20, exec_lo
.LBB39_169:                             ;   in Loop: Header=BB39_33 Depth=1
	s_or_b32 exec_lo, exec_lo, s5
	s_mov_b32 s19, -1
	s_mov_b32 s20, 0
	s_delay_alu instid0(SALU_CYCLE_1)
	s_mov_b32 s21, s20
	s_branch .LBB39_183
.LBB39_170:                             ;   in Loop: Header=BB39_33 Depth=1
	s_add_u32 s19, s78, s12
	s_addc_u32 s5, s79, s13
	s_mov_b32 s4, s49
	s_delay_alu instid0(SALU_CYCLE_1)
	s_cmp_lg_u64 s[4:5], 0
	s_cbranch_scc0 .LBB39_213
; %bb.171:                              ;   in Loop: Header=BB39_33 Depth=1
	v_cvt_f32_u32_e32 v2, s33
	s_sub_u32 s21, 0, s33
	s_subb_u32 s23, 0, 0
	s_delay_alu instid0(VALU_DEP_1) | instskip(NEXT) | instid1(VALU_DEP_1)
	v_fmac_f32_e32 v2, 0x4f800000, v49
	v_rcp_f32_e32 v2, v2
	s_waitcnt_depctr 0xfff
	v_mul_f32_e32 v2, 0x5f7ffffc, v2
	s_delay_alu instid0(VALU_DEP_1) | instskip(NEXT) | instid1(VALU_DEP_1)
	v_mul_f32_e32 v3, 0x2f800000, v2
	v_trunc_f32_e32 v3, v3
	s_delay_alu instid0(VALU_DEP_1) | instskip(SKIP_1) | instid1(VALU_DEP_2)
	v_fmac_f32_e32 v2, 0xcf800000, v3
	v_cvt_u32_f32_e32 v3, v3
	v_cvt_u32_f32_e32 v2, v2
	s_delay_alu instid0(VALU_DEP_2) | instskip(NEXT) | instid1(VALU_DEP_2)
	v_readfirstlane_b32 s4, v3
	v_readfirstlane_b32 s20, v2
	s_delay_alu instid0(VALU_DEP_2) | instskip(NEXT) | instid1(VALU_DEP_1)
	s_mul_i32 s48, s21, s4
	s_mul_hi_u32 s64, s21, s20
	s_mul_i32 s54, s23, s20
	s_add_i32 s48, s64, s48
	s_mul_i32 s65, s21, s20
	s_add_i32 s48, s48, s54
	s_mul_hi_u32 s64, s20, s65
	s_mul_hi_u32 s66, s4, s65
	s_mul_i32 s54, s4, s65
	s_mul_hi_u32 s65, s20, s48
	s_mul_i32 s20, s20, s48
	s_mul_hi_u32 s67, s4, s48
	s_add_u32 s20, s64, s20
	s_addc_u32 s64, 0, s65
	s_add_u32 s20, s20, s54
	s_mul_i32 s48, s4, s48
	s_addc_u32 s20, s64, s66
	s_addc_u32 s54, s67, 0
	s_add_u32 s20, s20, s48
	s_addc_u32 s48, 0, s54
	v_add_co_u32 v2, s20, v2, s20
	s_delay_alu instid0(VALU_DEP_1) | instskip(SKIP_1) | instid1(VALU_DEP_1)
	s_cmp_lg_u32 s20, 0
	s_addc_u32 s4, s4, s48
	v_readfirstlane_b32 s20, v2
	s_mul_i32 s48, s21, s4
	s_delay_alu instid0(VALU_DEP_1)
	s_mul_hi_u32 s54, s21, s20
	s_mul_i32 s23, s23, s20
	s_add_i32 s48, s54, s48
	s_mul_i32 s21, s21, s20
	s_add_i32 s48, s48, s23
	s_mul_hi_u32 s54, s4, s21
	s_mul_i32 s64, s4, s21
	s_mul_hi_u32 s21, s20, s21
	s_mul_hi_u32 s65, s20, s48
	s_mul_i32 s20, s20, s48
	s_mul_hi_u32 s23, s4, s48
	s_add_u32 s20, s21, s20
	s_addc_u32 s21, 0, s65
	s_add_u32 s20, s20, s64
	s_mul_i32 s48, s4, s48
	s_addc_u32 s20, s21, s54
	s_addc_u32 s21, s23, 0
	s_add_u32 s20, s20, s48
	s_addc_u32 s21, 0, s21
	v_add_co_u32 v2, s20, v2, s20
	s_delay_alu instid0(VALU_DEP_1) | instskip(SKIP_2) | instid1(VALU_DEP_1)
	s_cmp_lg_u32 s20, 0
	s_addc_u32 s4, s4, s21
	s_ashr_i32 s20, s5, 31
	v_readfirstlane_b32 s23, v2
	s_add_u32 s64, s19, s20
	s_mov_b32 s21, s20
	s_addc_u32 s65, s5, s20
	s_delay_alu instid0(SALU_CYCLE_1) | instskip(NEXT) | instid1(SALU_CYCLE_1)
	s_xor_b64 s[64:65], s[64:65], s[20:21]
	s_mul_i32 s48, s64, s4
	s_mul_hi_u32 s54, s64, s23
	s_mul_hi_u32 s21, s64, s4
	;; [unrolled: 1-line block ×3, first 2 shown]
	s_mul_i32 s23, s65, s23
	s_add_u32 s48, s54, s48
	s_addc_u32 s21, 0, s21
	s_mul_hi_u32 s66, s65, s4
	s_add_u32 s23, s48, s23
	s_mul_i32 s4, s65, s4
	s_addc_u32 s21, s21, s67
	s_addc_u32 s23, s66, 0
	s_add_u32 s4, s21, s4
	s_addc_u32 s21, 0, s23
	s_mul_hi_u32 s23, s33, s4
	s_mul_i32 s4, s33, s4
	s_mul_i32 s21, s33, s21
	v_sub_co_u32 v2, s4, s64, s4
	s_add_i32 s23, s23, s21
	s_cmp_lg_u32 s4, 0
	s_delay_alu instid0(VALU_DEP_1) | instskip(SKIP_2) | instid1(VALU_DEP_1)
	v_sub_co_u32 v3, s4, v2, s33
	s_subb_u32 s21, s65, s23
	s_cmp_lg_u32 s4, 0
	v_cmp_le_u32_e32 vcc_lo, s33, v3
	v_sub_co_u32 v4, s4, v3, s33
	s_subb_u32 s23, s21, 0
	s_cmp_lg_u32 s4, 0
	v_cndmask_b32_e64 v5, 0, -1, vcc_lo
	s_subb_u32 s4, s23, 0
	s_cmp_eq_u32 s23, 0
	v_mov_b32_e32 v7, s4
	s_cselect_b32 vcc_lo, -1, 0
	s_cmp_eq_u32 s21, 0
	v_cndmask_b32_e32 v5, -1, v5, vcc_lo
	v_cmp_le_u32_e32 vcc_lo, s33, v2
	s_cselect_b32 s4, -1, 0
	v_cndmask_b32_e64 v6, 0, -1, vcc_lo
	s_delay_alu instid0(VALU_DEP_3) | instskip(NEXT) | instid1(VALU_DEP_2)
	v_cmp_ne_u32_e32 vcc_lo, 0, v5
	v_cndmask_b32_e64 v5, -1, v6, s4
	v_cndmask_b32_e32 v3, v3, v4, vcc_lo
	v_cndmask_b32_e32 v6, s23, v7, vcc_lo
	s_delay_alu instid0(VALU_DEP_3) | instskip(NEXT) | instid1(VALU_DEP_3)
	v_cmp_ne_u32_e32 vcc_lo, 0, v5
	v_cndmask_b32_e32 v2, v2, v3, vcc_lo
	s_delay_alu instid0(VALU_DEP_3) | instskip(NEXT) | instid1(VALU_DEP_2)
	v_cndmask_b32_e32 v4, s21, v6, vcc_lo
	v_xor_b32_e32 v2, s20, v2
	s_delay_alu instid0(VALU_DEP_2) | instskip(NEXT) | instid1(VALU_DEP_2)
	v_xor_b32_e32 v3, s20, v4
	v_sub_co_u32 v2, vcc_lo, v2, s20
	s_delay_alu instid0(VALU_DEP_2)
	v_subrev_co_ci_u32_e32 v3, vcc_lo, s20, v3, vcc_lo
	s_cbranch_execnz .LBB39_173
.LBB39_172:                             ;   in Loop: Header=BB39_33 Depth=1
	v_cvt_f32_u32_e32 v2, s33
	s_sub_i32 s4, 0, s33
	s_delay_alu instid0(VALU_DEP_1) | instskip(SKIP_2) | instid1(VALU_DEP_1)
	v_rcp_iflag_f32_e32 v2, v2
	s_waitcnt_depctr 0xfff
	v_mul_f32_e32 v2, 0x4f7ffffe, v2
	v_cvt_u32_f32_e32 v2, v2
	s_delay_alu instid0(VALU_DEP_1) | instskip(NEXT) | instid1(VALU_DEP_1)
	v_mul_lo_u32 v3, s4, v2
	v_mul_hi_u32 v3, v2, v3
	s_delay_alu instid0(VALU_DEP_1) | instskip(NEXT) | instid1(VALU_DEP_1)
	v_add_nc_u32_e32 v2, v2, v3
	v_mul_hi_u32 v2, s19, v2
	s_delay_alu instid0(VALU_DEP_1) | instskip(NEXT) | instid1(VALU_DEP_1)
	v_mul_lo_u32 v2, v2, s33
	v_sub_nc_u32_e32 v2, s19, v2
	s_delay_alu instid0(VALU_DEP_1) | instskip(SKIP_1) | instid1(VALU_DEP_2)
	v_subrev_nc_u32_e32 v3, s33, v2
	v_cmp_le_u32_e32 vcc_lo, s33, v2
	v_cndmask_b32_e32 v2, v2, v3, vcc_lo
	s_delay_alu instid0(VALU_DEP_1) | instskip(SKIP_1) | instid1(VALU_DEP_2)
	v_subrev_nc_u32_e32 v3, s33, v2
	v_cmp_le_u32_e32 vcc_lo, s33, v2
	v_cndmask_b32_e32 v12, v2, v3, vcc_lo
	s_delay_alu instid0(VALU_DEP_1)
	v_dual_mov_b32 v2, v12 :: v_dual_mov_b32 v3, v13
.LBB39_173:                             ;   in Loop: Header=BB39_33 Depth=1
	s_delay_alu instid0(VALU_DEP_1) | instskip(NEXT) | instid1(VALU_DEP_2)
	v_sub_co_u32 v2, vcc_lo, s19, v2
	v_sub_co_ci_u32_e32 v3, vcc_lo, s5, v3, vcc_lo
	s_mov_b32 s4, 0
	s_mov_b32 s5, exec_lo
                                        ; implicit-def: $vgpr50
	s_delay_alu instid0(VALU_DEP_1)
	v_cmpx_gt_i64_e64 v[2:3], v[0:1]
	s_cbranch_execz .LBB39_182
; %bb.174:                              ;   in Loop: Header=BB39_33 Depth=1
	v_mov_b32_e32 v6, v41
	v_dual_mov_b32 v5, v1 :: v_dual_mov_b32 v4, v0
	s_mov_b32 s19, 0
                                        ; implicit-def: $sgpr20
	s_set_inst_prefetch_distance 0x1
	s_branch .LBB39_176
	.p2align	6
.LBB39_175:                             ;   in Loop: Header=BB39_176 Depth=2
	s_or_b32 exec_lo, exec_lo, s4
	s_waitcnt lgkmcnt(0)
	s_barrier
	buffer_gl0_inv
	ds_load_b32 v7, v13 offset:3072
	v_add_co_u32 v4, vcc_lo, v4, s33
	v_add_co_ci_u32_e32 v5, vcc_lo, 0, v5, vcc_lo
	v_add_nc_u32_e32 v6, s86, v6
	s_waitcnt lgkmcnt(0)
	s_barrier
	s_delay_alu instid0(VALU_DEP_2) | instskip(SKIP_2) | instid1(VALU_DEP_1)
	v_cmp_ge_i64_e32 vcc_lo, v[4:5], v[2:3]
	buffer_gl0_inv
	v_cmp_ne_u16_e64 s4, 0, v7
	s_or_b32 s21, s4, vcc_lo
	s_delay_alu instid0(SALU_CYCLE_1) | instskip(NEXT) | instid1(SALU_CYCLE_1)
	s_and_b32 s21, exec_lo, s21
	s_or_b32 s19, s21, s19
	s_and_not1_b32 s20, s20, exec_lo
	s_and_b32 s4, s4, exec_lo
	s_delay_alu instid0(SALU_CYCLE_1)
	s_or_b32 s20, s20, s4
	s_and_not1_b32 exec_lo, exec_lo, s19
	s_cbranch_execz .LBB39_181
.LBB39_176:                             ;   Parent Loop BB39_33 Depth=1
                                        ; =>  This Inner Loop Header: Depth=2
	s_delay_alu instid0(VALU_DEP_1)
	v_cmp_gt_i64_e32 vcc_lo, s[12:13], v[4:5]
	v_mov_b32_e32 v7, 0
	s_and_saveexec_b32 s4, vcc_lo
	s_cbranch_execz .LBB39_178
; %bb.177:                              ;   in Loop: Header=BB39_176 Depth=2
	ds_load_u16 v7, v6
.LBB39_178:                             ;   in Loop: Header=BB39_176 Depth=2
	s_or_b32 exec_lo, exec_lo, s4
	s_and_saveexec_b32 s4, vcc_lo
	s_cbranch_execz .LBB39_175
; %bb.179:                              ;   in Loop: Header=BB39_176 Depth=2
	s_waitcnt lgkmcnt(0)
	v_bfe_i32 v8, v7, 0, 16
	s_delay_alu instid0(VALU_DEP_1) | instskip(NEXT) | instid1(VALU_DEP_1)
	v_add_nc_u32_e32 v8, 0x8000, v8
	v_and_b32_e32 v8, s96, v8
	s_delay_alu instid0(VALU_DEP_1)
	v_cmp_eq_u32_e32 vcc_lo, s97, v8
	s_and_b32 exec_lo, exec_lo, vcc_lo
	s_cbranch_execz .LBB39_175
; %bb.180:                              ;   in Loop: Header=BB39_176 Depth=2
	v_perm_b32 v7, v7, 1, 0x5040100
	ds_store_b32 v13, v7 offset:3072
	s_branch .LBB39_175
.LBB39_181:                             ;   in Loop: Header=BB39_33 Depth=1
	s_set_inst_prefetch_distance 0x2
	s_or_b32 exec_lo, exec_lo, s19
	v_lshrrev_b32_e32 v50, 16, v7
	s_and_b32 s4, s20, exec_lo
.LBB39_182:                             ;   in Loop: Header=BB39_33 Depth=1
	s_or_b32 exec_lo, exec_lo, s5
	s_mov_b32 s21, -1
	s_mov_b32 s20, 0
	s_mov_b32 s19, 0
.LBB39_183:                             ;   in Loop: Header=BB39_33 Depth=1
	s_mov_b32 s5, 0
                                        ; implicit-def: $sgpr54
	s_and_saveexec_b32 s12, s4
	s_cbranch_execz .LBB39_294
; %bb.184:                              ;   in Loop: Header=BB39_33 Depth=1
	s_xor_b32 s4, s22, -1
	s_mov_b32 s54, 1
	s_and_not1_b32 vcc_lo, exec_lo, s4
	s_cbranch_vccnz .LBB39_195
; %bb.185:                              ;   in Loop: Header=BB39_33 Depth=1
	v_cmp_gt_i64_e64 s4, s[26:27], s[10:11]
                                        ; implicit-def: $sgpr54
                                        ; implicit-def: $sgpr5
                                        ; implicit-def: $sgpr13
	s_delay_alu instid0(VALU_DEP_1)
	s_and_b32 vcc_lo, exec_lo, s4
	s_mov_b32 s4, -1
	s_cbranch_vccnz .LBB39_191
; %bb.186:                              ;   in Loop: Header=BB39_33 Depth=1
	ds_load_b64 v[2:3], v13 offset:5120
	s_waitcnt lgkmcnt(0)
	v_cmp_ne_u64_e32 vcc_lo, 0, v[2:3]
	s_cbranch_vccnz .LBB39_190
; %bb.187:                              ;   in Loop: Header=BB39_33 Depth=1
	s_and_saveexec_b32 s4, s0
	s_cbranch_execz .LBB39_189
; %bb.188:                              ;   in Loop: Header=BB39_33 Depth=1
	v_dual_mov_b32 v2, s10 :: v_dual_mov_b32 v3, s11
	ds_store_b64 v13, v[2:3] offset:5128
.LBB39_189:                             ;   in Loop: Header=BB39_33 Depth=1
	s_or_b32 exec_lo, exec_lo, s4
	s_waitcnt lgkmcnt(0)
	s_barrier
	buffer_gl0_inv
.LBB39_190:                             ;   in Loop: Header=BB39_33 Depth=1
	s_lshl_b32 s4, 1, s17
	s_and_b32 s5, s97, s18
	s_or_b32 s13, s96, s16
	s_or_b32 s5, s5, s4
	s_mov_b32 s4, 0
	s_mov_b32 s54, 8
.LBB39_191:                             ;   in Loop: Header=BB39_33 Depth=1
	s_and_not1_b32 vcc_lo, exec_lo, s4
	s_cbranch_vccnz .LBB39_193
; %bb.192:                              ;   in Loop: Header=BB39_33 Depth=1
	s_sub_u32 s26, s26, s10
	s_subb_u32 s27, s27, s11
	s_mov_b32 s4, -1
	s_mov_b32 s54, 0
	s_mov_b32 s5, s97
	;; [unrolled: 1-line block ×3, first 2 shown]
.LBB39_193:                             ;   in Loop: Header=BB39_33 Depth=1
	s_delay_alu instid0(SALU_CYCLE_1)
	s_mov_b32 s96, s13
	s_mov_b32 s97, s5
	s_and_not1_b32 vcc_lo, exec_lo, s4
	s_mov_b32 s5, -1
	s_cbranch_vccz .LBB39_196
.LBB39_194:                             ;   in Loop: Header=BB39_33 Depth=1
                                        ; implicit-def: $sgpr22
                                        ; implicit-def: $sgpr23
                                        ; implicit-def: $sgpr13
	s_branch .LBB39_293
.LBB39_195:                             ;   in Loop: Header=BB39_33 Depth=1
	s_mov_b64 s[26:27], 1
	s_mov_b32 s5, -1
	s_cbranch_execnz .LBB39_194
.LBB39_196:                             ;   in Loop: Header=BB39_33 Depth=1
	s_cmp_eq_u64 s[8:9], 1
	s_cselect_b32 s4, -1, 0
	s_cmp_eq_u64 s[26:27], 1
	s_cselect_b32 s5, -1, 0
	s_delay_alu instid0(SALU_CYCLE_1)
	s_and_b32 s48, s4, s5
	s_mov_b32 s4, -1
	s_and_b32 vcc_lo, exec_lo, s48
	s_cbranch_vccz .LBB39_211
; %bb.197:                              ;   in Loop: Header=BB39_33 Depth=1
	ds_load_b64 v[2:3], v13 offset:5120
	s_waitcnt lgkmcnt(0)
	s_barrier
	buffer_gl0_inv
	v_readfirstlane_b32 s10, v2
	v_readfirstlane_b32 s11, v3
	s_and_saveexec_b32 s4, s3
	s_cbranch_execz .LBB39_199
; %bb.198:                              ;   in Loop: Header=BB39_33 Depth=1
	ds_store_b16 v42, v13
.LBB39_199:                             ;   in Loop: Header=BB39_33 Depth=1
	s_or_b32 exec_lo, exec_lo, s4
	s_delay_alu instid0(VALU_DEP_1)
	v_cmp_gt_i64_e64 s13, s[10:11], 0
	s_lshl_b32 s4, 2, s17
	s_and_b32 s5, s97, s18
	s_or_b32 s96, s96, s16
	s_or_b32 s97, s5, s4
	s_waitcnt lgkmcnt(0)
	s_and_b32 vcc_lo, exec_lo, s13
	s_barrier
	buffer_gl0_inv
	s_cbranch_vccnz .LBB39_214
; %bb.200:                              ;   in Loop: Header=BB39_33 Depth=1
	s_mov_b32 s54, s49
	s_delay_alu instid0(SALU_CYCLE_1)
	s_cmp_lg_u64 s[54:55], 0
	s_cbranch_scc0 .LBB39_259
; %bb.201:                              ;   in Loop: Header=BB39_33 Depth=1
	v_cvt_f32_u32_e32 v2, s33
	s_sub_u32 s13, 0, s33
	s_subb_u32 s22, 0, 0
	s_delay_alu instid0(VALU_DEP_1) | instskip(NEXT) | instid1(VALU_DEP_1)
	v_fmac_f32_e32 v2, 0x4f800000, v49
	v_rcp_f32_e32 v2, v2
	s_waitcnt_depctr 0xfff
	v_mul_f32_e32 v2, 0x5f7ffffc, v2
	s_delay_alu instid0(VALU_DEP_1) | instskip(NEXT) | instid1(VALU_DEP_1)
	v_mul_f32_e32 v3, 0x2f800000, v2
	v_trunc_f32_e32 v3, v3
	s_delay_alu instid0(VALU_DEP_1) | instskip(SKIP_1) | instid1(VALU_DEP_2)
	v_fmac_f32_e32 v2, 0xcf800000, v3
	v_cvt_u32_f32_e32 v3, v3
	v_cvt_u32_f32_e32 v2, v2
	s_delay_alu instid0(VALU_DEP_2) | instskip(NEXT) | instid1(VALU_DEP_2)
	v_readfirstlane_b32 s4, v3
	v_readfirstlane_b32 s5, v2
	s_delay_alu instid0(VALU_DEP_2) | instskip(NEXT) | instid1(VALU_DEP_1)
	s_mul_i32 s23, s13, s4
	s_mul_hi_u32 s64, s13, s5
	s_mul_i32 s54, s22, s5
	s_add_i32 s23, s64, s23
	s_mul_i32 s65, s13, s5
	s_add_i32 s23, s23, s54
	s_mul_hi_u32 s64, s5, s65
	s_mul_hi_u32 s66, s4, s65
	s_mul_i32 s54, s4, s65
	s_mul_hi_u32 s65, s5, s23
	s_mul_i32 s5, s5, s23
	s_mul_hi_u32 s67, s4, s23
	s_add_u32 s5, s64, s5
	s_addc_u32 s64, 0, s65
	s_add_u32 s5, s5, s54
	s_mul_i32 s23, s4, s23
	s_addc_u32 s5, s64, s66
	s_addc_u32 s54, s67, 0
	s_add_u32 s5, s5, s23
	s_addc_u32 s23, 0, s54
	v_add_co_u32 v2, s5, v2, s5
	s_delay_alu instid0(VALU_DEP_1) | instskip(SKIP_1) | instid1(VALU_DEP_1)
	s_cmp_lg_u32 s5, 0
	s_addc_u32 s4, s4, s23
	v_readfirstlane_b32 s5, v2
	s_mul_i32 s23, s13, s4
	s_delay_alu instid0(VALU_DEP_1)
	s_mul_hi_u32 s54, s13, s5
	s_mul_i32 s22, s22, s5
	s_add_i32 s23, s54, s23
	s_mul_i32 s13, s13, s5
	s_add_i32 s23, s23, s22
	s_mul_hi_u32 s54, s4, s13
	s_mul_i32 s64, s4, s13
	s_mul_hi_u32 s13, s5, s13
	s_mul_hi_u32 s65, s5, s23
	s_mul_i32 s5, s5, s23
	s_mul_hi_u32 s22, s4, s23
	s_add_u32 s5, s13, s5
	s_addc_u32 s13, 0, s65
	s_add_u32 s5, s5, s64
	s_mul_i32 s23, s4, s23
	s_addc_u32 s5, s13, s54
	s_addc_u32 s13, s22, 0
	s_add_u32 s5, s5, s23
	s_addc_u32 s13, 0, s13
	v_add_co_u32 v2, s5, v2, s5
	s_delay_alu instid0(VALU_DEP_1) | instskip(SKIP_2) | instid1(VALU_DEP_1)
	s_cmp_lg_u32 s5, 0
	s_addc_u32 s13, s4, s13
	s_ashr_i32 s22, s55, 31
	v_readfirstlane_b32 s54, v2
	s_add_u32 s4, s80, s22
	s_mov_b32 s23, s22
	s_addc_u32 s5, s55, s22
	s_delay_alu instid0(SALU_CYCLE_1) | instskip(NEXT) | instid1(SALU_CYCLE_1)
	s_xor_b64 s[4:5], s[4:5], s[22:23]
	s_mul_i32 s64, s4, s13
	s_mul_hi_u32 s65, s4, s54
	s_mul_hi_u32 s23, s4, s13
	;; [unrolled: 1-line block ×3, first 2 shown]
	s_mul_i32 s54, s5, s54
	s_add_u32 s64, s65, s64
	s_addc_u32 s23, 0, s23
	s_mul_hi_u32 s66, s5, s13
	s_add_u32 s54, s64, s54
	s_mul_i32 s13, s5, s13
	s_addc_u32 s23, s23, s67
	s_addc_u32 s54, s66, 0
	s_add_u32 s13, s23, s13
	s_addc_u32 s23, 0, s54
	s_mul_hi_u32 s54, s33, s13
	s_mul_i32 s13, s33, s13
	s_mul_i32 s23, s33, s23
	v_sub_co_u32 v2, s4, s4, s13
	s_add_i32 s54, s54, s23
	s_cmp_lg_u32 s4, 0
	s_delay_alu instid0(VALU_DEP_1) | instskip(SKIP_2) | instid1(VALU_DEP_1)
	v_sub_co_u32 v3, s4, v2, s33
	s_subb_u32 s5, s5, s54
	s_cmp_lg_u32 s4, 0
	v_cmp_le_u32_e32 vcc_lo, s33, v3
	v_sub_co_u32 v4, s4, v3, s33
	s_subb_u32 s13, s5, 0
	s_cmp_lg_u32 s4, 0
	v_cndmask_b32_e64 v5, 0, -1, vcc_lo
	s_subb_u32 s4, s13, 0
	s_cmp_eq_u32 s13, 0
	v_mov_b32_e32 v7, s4
	s_cselect_b32 vcc_lo, -1, 0
	s_cmp_eq_u32 s5, 0
	v_cndmask_b32_e32 v5, -1, v5, vcc_lo
	v_cmp_le_u32_e32 vcc_lo, s33, v2
	s_cselect_b32 s4, -1, 0
	v_cndmask_b32_e64 v6, 0, -1, vcc_lo
	s_delay_alu instid0(VALU_DEP_3) | instskip(NEXT) | instid1(VALU_DEP_2)
	v_cmp_ne_u32_e32 vcc_lo, 0, v5
	v_cndmask_b32_e64 v5, -1, v6, s4
	v_cndmask_b32_e32 v3, v3, v4, vcc_lo
	v_cndmask_b32_e32 v6, s13, v7, vcc_lo
	s_delay_alu instid0(VALU_DEP_3) | instskip(NEXT) | instid1(VALU_DEP_3)
	v_cmp_ne_u32_e32 vcc_lo, 0, v5
	v_cndmask_b32_e32 v2, v2, v3, vcc_lo
	s_delay_alu instid0(VALU_DEP_3) | instskip(NEXT) | instid1(VALU_DEP_2)
	v_cndmask_b32_e32 v4, s5, v6, vcc_lo
	v_xor_b32_e32 v2, s22, v2
	s_delay_alu instid0(VALU_DEP_2) | instskip(NEXT) | instid1(VALU_DEP_2)
	v_xor_b32_e32 v3, s22, v4
	v_sub_co_u32 v2, vcc_lo, v2, s22
	s_delay_alu instid0(VALU_DEP_2)
	v_subrev_co_ci_u32_e32 v3, vcc_lo, s22, v3, vcc_lo
	s_cbranch_execnz .LBB39_203
.LBB39_202:                             ;   in Loop: Header=BB39_33 Depth=1
	v_cvt_f32_u32_e32 v2, s33
	s_sub_i32 s4, 0, s33
	s_delay_alu instid0(VALU_DEP_1) | instskip(SKIP_2) | instid1(VALU_DEP_1)
	v_rcp_iflag_f32_e32 v2, v2
	s_waitcnt_depctr 0xfff
	v_mul_f32_e32 v2, 0x4f7ffffe, v2
	v_cvt_u32_f32_e32 v2, v2
	s_delay_alu instid0(VALU_DEP_1) | instskip(NEXT) | instid1(VALU_DEP_1)
	v_mul_lo_u32 v3, s4, v2
	v_mul_hi_u32 v3, v2, v3
	s_delay_alu instid0(VALU_DEP_1) | instskip(NEXT) | instid1(VALU_DEP_1)
	v_add_nc_u32_e32 v2, v2, v3
	v_mul_hi_u32 v2, s80, v2
	s_delay_alu instid0(VALU_DEP_1) | instskip(NEXT) | instid1(VALU_DEP_1)
	v_mul_lo_u32 v2, v2, s33
	v_sub_nc_u32_e32 v2, s80, v2
	s_delay_alu instid0(VALU_DEP_1) | instskip(SKIP_1) | instid1(VALU_DEP_2)
	v_subrev_nc_u32_e32 v3, s33, v2
	v_cmp_le_u32_e32 vcc_lo, s33, v2
	v_cndmask_b32_e32 v2, v2, v3, vcc_lo
	s_delay_alu instid0(VALU_DEP_1) | instskip(SKIP_1) | instid1(VALU_DEP_2)
	v_subrev_nc_u32_e32 v3, s33, v2
	v_cmp_le_u32_e32 vcc_lo, s33, v2
	v_cndmask_b32_e32 v12, v2, v3, vcc_lo
	s_delay_alu instid0(VALU_DEP_1)
	v_dual_mov_b32 v2, v12 :: v_dual_mov_b32 v3, v13
.LBB39_203:                             ;   in Loop: Header=BB39_33 Depth=1
	s_delay_alu instid0(VALU_DEP_1) | instskip(NEXT) | instid1(VALU_DEP_2)
	v_sub_co_u32 v2, vcc_lo, s80, v2
	v_sub_co_ci_u32_e32 v3, vcc_lo, s55, v3, vcc_lo
	s_mov_b32 s4, 0
	s_mov_b32 s5, exec_lo
                                        ; implicit-def: $vgpr50
	s_delay_alu instid0(VALU_DEP_1)
	v_cmpx_gt_i64_e64 v[2:3], v[0:1]
	s_cbranch_execz .LBB39_216
; %bb.204:                              ;   in Loop: Header=BB39_33 Depth=1
	v_dual_mov_b32 v4, v10 :: v_dual_mov_b32 v5, v11
	v_dual_mov_b32 v7, v1 :: v_dual_mov_b32 v6, v0
	s_mov_b32 s13, 0
                                        ; implicit-def: $sgpr22
	s_set_inst_prefetch_distance 0x1
	s_branch .LBB39_206
	.p2align	6
.LBB39_205:                             ;   in Loop: Header=BB39_206 Depth=2
	s_or_b32 exec_lo, exec_lo, s4
	s_waitcnt vmcnt(0) lgkmcnt(0)
	s_barrier
	buffer_gl0_inv
	ds_load_b32 v8, v13 offset:3072
	v_add_co_u32 v6, vcc_lo, v6, s33
	v_add_co_ci_u32_e32 v7, vcc_lo, 0, v7, vcc_lo
	s_waitcnt lgkmcnt(0)
	s_barrier
	buffer_gl0_inv
	v_cmp_ge_i64_e32 vcc_lo, v[6:7], v[2:3]
	v_cmp_ne_u16_e64 s4, 0, v8
	s_delay_alu instid0(VALU_DEP_1)
	s_or_b32 s23, s4, vcc_lo
	v_add_co_u32 v4, vcc_lo, v4, s50
	s_and_b32 s23, exec_lo, s23
	v_add_co_ci_u32_e32 v5, vcc_lo, s51, v5, vcc_lo
	s_or_b32 s13, s23, s13
	s_and_not1_b32 s22, s22, exec_lo
	s_and_b32 s4, s4, exec_lo
	s_delay_alu instid0(SALU_CYCLE_1)
	s_or_b32 s22, s22, s4
	s_and_not1_b32 exec_lo, exec_lo, s13
	s_cbranch_execz .LBB39_215
.LBB39_206:                             ;   Parent Loop BB39_33 Depth=1
                                        ; =>  This Inner Loop Header: Depth=2
	s_delay_alu instid0(VALU_DEP_1)
	v_cmp_gt_i64_e32 vcc_lo, s[24:25], v[6:7]
	v_mov_b32_e32 v8, 0
	s_and_saveexec_b32 s4, vcc_lo
	s_cbranch_execz .LBB39_208
; %bb.207:                              ;   in Loop: Header=BB39_206 Depth=2
	global_load_u16 v8, v[4:5], off
.LBB39_208:                             ;   in Loop: Header=BB39_206 Depth=2
	s_or_b32 exec_lo, exec_lo, s4
	s_and_saveexec_b32 s4, vcc_lo
	s_cbranch_execz .LBB39_205
; %bb.209:                              ;   in Loop: Header=BB39_206 Depth=2
	s_waitcnt vmcnt(0)
	v_bfe_i32 v9, v8, 0, 16
	s_delay_alu instid0(VALU_DEP_1) | instskip(NEXT) | instid1(VALU_DEP_1)
	v_add_nc_u32_e32 v9, 0x8000, v9
	v_and_b32_e32 v9, s96, v9
	s_delay_alu instid0(VALU_DEP_1)
	v_cmp_eq_u32_e32 vcc_lo, s97, v9
	s_and_b32 exec_lo, exec_lo, vcc_lo
	s_cbranch_execz .LBB39_205
; %bb.210:                              ;   in Loop: Header=BB39_206 Depth=2
	v_perm_b32 v8, v8, 1, 0x5040100
	ds_store_b32 v13, v8 offset:3072
	s_branch .LBB39_205
.LBB39_211:                             ;   in Loop: Header=BB39_33 Depth=1
                                        ; implicit-def: $sgpr13
                                        ; implicit-def: $sgpr23
                                        ; implicit-def: $sgpr22
	s_branch .LBB39_230
.LBB39_212:                             ;   in Loop: Header=BB39_33 Depth=1
                                        ; implicit-def: $vgpr2_vgpr3
	s_branch .LBB39_155
.LBB39_213:                             ;   in Loop: Header=BB39_33 Depth=1
                                        ; implicit-def: $vgpr2_vgpr3
	s_branch .LBB39_172
.LBB39_214:                             ;   in Loop: Header=BB39_33 Depth=1
	s_mov_b32 s13, -1
	s_mov_b32 s4, 0
                                        ; implicit-def: $sgpr22
                                        ; implicit-def: $vgpr50
	s_mov_b32 s23, s13
	s_cbranch_execnz .LBB39_217
	s_branch .LBB39_230
.LBB39_215:                             ;   in Loop: Header=BB39_33 Depth=1
	s_set_inst_prefetch_distance 0x2
	s_or_b32 exec_lo, exec_lo, s13
	v_lshrrev_b32_e32 v50, 16, v8
	s_and_b32 s4, s22, exec_lo
.LBB39_216:                             ;   in Loop: Header=BB39_33 Depth=1
	s_or_b32 exec_lo, exec_lo, s5
	s_mov_b32 s22, -1
	s_mov_b32 s13, 0
	s_delay_alu instid0(SALU_CYCLE_1)
	s_mov_b32 s23, s13
	s_branch .LBB39_230
.LBB39_217:                             ;   in Loop: Header=BB39_33 Depth=1
	s_add_u32 s13, s78, s10
	s_addc_u32 s5, s79, s11
	s_mov_b32 s4, s49
	s_delay_alu instid0(SALU_CYCLE_1)
	s_cmp_lg_u64 s[4:5], 0
	s_cbranch_scc0 .LBB39_260
; %bb.218:                              ;   in Loop: Header=BB39_33 Depth=1
	v_cvt_f32_u32_e32 v2, s33
	s_sub_u32 s23, 0, s33
	s_subb_u32 s54, 0, 0
	s_delay_alu instid0(VALU_DEP_1) | instskip(NEXT) | instid1(VALU_DEP_1)
	v_fmac_f32_e32 v2, 0x4f800000, v49
	v_rcp_f32_e32 v2, v2
	s_waitcnt_depctr 0xfff
	v_mul_f32_e32 v2, 0x5f7ffffc, v2
	s_delay_alu instid0(VALU_DEP_1) | instskip(NEXT) | instid1(VALU_DEP_1)
	v_mul_f32_e32 v3, 0x2f800000, v2
	v_trunc_f32_e32 v3, v3
	s_delay_alu instid0(VALU_DEP_1) | instskip(SKIP_1) | instid1(VALU_DEP_2)
	v_fmac_f32_e32 v2, 0xcf800000, v3
	v_cvt_u32_f32_e32 v3, v3
	v_cvt_u32_f32_e32 v2, v2
	s_delay_alu instid0(VALU_DEP_2) | instskip(NEXT) | instid1(VALU_DEP_2)
	v_readfirstlane_b32 s4, v3
	v_readfirstlane_b32 s22, v2
	s_delay_alu instid0(VALU_DEP_2) | instskip(NEXT) | instid1(VALU_DEP_1)
	s_mul_i32 s64, s23, s4
	s_mul_hi_u32 s66, s23, s22
	s_mul_i32 s65, s54, s22
	s_add_i32 s64, s66, s64
	s_mul_i32 s67, s23, s22
	s_add_i32 s64, s64, s65
	s_mul_hi_u32 s66, s22, s67
	s_mul_hi_u32 s68, s4, s67
	s_mul_i32 s65, s4, s67
	s_mul_hi_u32 s67, s22, s64
	s_mul_i32 s22, s22, s64
	s_mul_hi_u32 s69, s4, s64
	s_add_u32 s22, s66, s22
	s_addc_u32 s66, 0, s67
	s_add_u32 s22, s22, s65
	s_mul_i32 s64, s4, s64
	s_addc_u32 s22, s66, s68
	s_addc_u32 s65, s69, 0
	s_add_u32 s22, s22, s64
	s_addc_u32 s64, 0, s65
	v_add_co_u32 v2, s22, v2, s22
	s_delay_alu instid0(VALU_DEP_1) | instskip(SKIP_1) | instid1(VALU_DEP_1)
	s_cmp_lg_u32 s22, 0
	s_addc_u32 s4, s4, s64
	v_readfirstlane_b32 s22, v2
	s_mul_i32 s64, s23, s4
	s_delay_alu instid0(VALU_DEP_1)
	s_mul_hi_u32 s65, s23, s22
	s_mul_i32 s54, s54, s22
	s_add_i32 s64, s65, s64
	s_mul_i32 s23, s23, s22
	s_add_i32 s64, s64, s54
	s_mul_hi_u32 s65, s4, s23
	s_mul_i32 s66, s4, s23
	s_mul_hi_u32 s23, s22, s23
	s_mul_hi_u32 s67, s22, s64
	s_mul_i32 s22, s22, s64
	s_mul_hi_u32 s54, s4, s64
	s_add_u32 s22, s23, s22
	s_addc_u32 s23, 0, s67
	s_add_u32 s22, s22, s66
	s_mul_i32 s64, s4, s64
	s_addc_u32 s22, s23, s65
	s_addc_u32 s23, s54, 0
	s_add_u32 s22, s22, s64
	s_addc_u32 s23, 0, s23
	v_add_co_u32 v2, s22, v2, s22
	s_delay_alu instid0(VALU_DEP_1) | instskip(SKIP_2) | instid1(VALU_DEP_1)
	s_cmp_lg_u32 s22, 0
	s_addc_u32 s4, s4, s23
	s_ashr_i32 s22, s5, 31
	v_readfirstlane_b32 s54, v2
	s_add_u32 s64, s13, s22
	s_mov_b32 s23, s22
	s_addc_u32 s65, s5, s22
	s_delay_alu instid0(SALU_CYCLE_1) | instskip(NEXT) | instid1(SALU_CYCLE_1)
	s_xor_b64 s[64:65], s[64:65], s[22:23]
	s_mul_i32 s66, s64, s4
	s_mul_hi_u32 s67, s64, s54
	s_mul_hi_u32 s23, s64, s4
	;; [unrolled: 1-line block ×3, first 2 shown]
	s_mul_i32 s54, s65, s54
	s_add_u32 s66, s67, s66
	s_addc_u32 s23, 0, s23
	s_mul_hi_u32 s68, s65, s4
	s_add_u32 s54, s66, s54
	s_mul_i32 s4, s65, s4
	s_addc_u32 s23, s23, s69
	s_addc_u32 s54, s68, 0
	s_add_u32 s4, s23, s4
	s_addc_u32 s23, 0, s54
	s_mul_hi_u32 s54, s33, s4
	s_mul_i32 s4, s33, s4
	s_mul_i32 s23, s33, s23
	v_sub_co_u32 v2, s4, s64, s4
	s_add_i32 s54, s54, s23
	s_cmp_lg_u32 s4, 0
	s_delay_alu instid0(VALU_DEP_1) | instskip(SKIP_2) | instid1(VALU_DEP_1)
	v_sub_co_u32 v3, s4, v2, s33
	s_subb_u32 s23, s65, s54
	s_cmp_lg_u32 s4, 0
	v_cmp_le_u32_e32 vcc_lo, s33, v3
	v_sub_co_u32 v4, s4, v3, s33
	s_subb_u32 s54, s23, 0
	s_cmp_lg_u32 s4, 0
	v_cndmask_b32_e64 v5, 0, -1, vcc_lo
	s_subb_u32 s4, s54, 0
	s_cmp_eq_u32 s54, 0
	v_mov_b32_e32 v7, s4
	s_cselect_b32 vcc_lo, -1, 0
	s_cmp_eq_u32 s23, 0
	v_cndmask_b32_e32 v5, -1, v5, vcc_lo
	v_cmp_le_u32_e32 vcc_lo, s33, v2
	s_cselect_b32 s4, -1, 0
	v_cndmask_b32_e64 v6, 0, -1, vcc_lo
	s_delay_alu instid0(VALU_DEP_3) | instskip(NEXT) | instid1(VALU_DEP_2)
	v_cmp_ne_u32_e32 vcc_lo, 0, v5
	v_cndmask_b32_e64 v5, -1, v6, s4
	v_cndmask_b32_e32 v3, v3, v4, vcc_lo
	v_cndmask_b32_e32 v6, s54, v7, vcc_lo
	s_delay_alu instid0(VALU_DEP_3) | instskip(NEXT) | instid1(VALU_DEP_3)
	v_cmp_ne_u32_e32 vcc_lo, 0, v5
	v_cndmask_b32_e32 v2, v2, v3, vcc_lo
	s_delay_alu instid0(VALU_DEP_3) | instskip(NEXT) | instid1(VALU_DEP_2)
	v_cndmask_b32_e32 v4, s23, v6, vcc_lo
	v_xor_b32_e32 v2, s22, v2
	s_delay_alu instid0(VALU_DEP_2) | instskip(NEXT) | instid1(VALU_DEP_2)
	v_xor_b32_e32 v3, s22, v4
	v_sub_co_u32 v2, vcc_lo, v2, s22
	s_delay_alu instid0(VALU_DEP_2)
	v_subrev_co_ci_u32_e32 v3, vcc_lo, s22, v3, vcc_lo
	s_cbranch_execnz .LBB39_220
.LBB39_219:                             ;   in Loop: Header=BB39_33 Depth=1
	v_cvt_f32_u32_e32 v2, s33
	s_sub_i32 s4, 0, s33
	s_delay_alu instid0(VALU_DEP_1) | instskip(SKIP_2) | instid1(VALU_DEP_1)
	v_rcp_iflag_f32_e32 v2, v2
	s_waitcnt_depctr 0xfff
	v_mul_f32_e32 v2, 0x4f7ffffe, v2
	v_cvt_u32_f32_e32 v2, v2
	s_delay_alu instid0(VALU_DEP_1) | instskip(NEXT) | instid1(VALU_DEP_1)
	v_mul_lo_u32 v3, s4, v2
	v_mul_hi_u32 v3, v2, v3
	s_delay_alu instid0(VALU_DEP_1) | instskip(NEXT) | instid1(VALU_DEP_1)
	v_add_nc_u32_e32 v2, v2, v3
	v_mul_hi_u32 v2, s13, v2
	s_delay_alu instid0(VALU_DEP_1) | instskip(NEXT) | instid1(VALU_DEP_1)
	v_mul_lo_u32 v2, v2, s33
	v_sub_nc_u32_e32 v2, s13, v2
	s_delay_alu instid0(VALU_DEP_1) | instskip(SKIP_1) | instid1(VALU_DEP_2)
	v_subrev_nc_u32_e32 v3, s33, v2
	v_cmp_le_u32_e32 vcc_lo, s33, v2
	v_cndmask_b32_e32 v2, v2, v3, vcc_lo
	s_delay_alu instid0(VALU_DEP_1) | instskip(SKIP_1) | instid1(VALU_DEP_2)
	v_subrev_nc_u32_e32 v3, s33, v2
	v_cmp_le_u32_e32 vcc_lo, s33, v2
	v_cndmask_b32_e32 v12, v2, v3, vcc_lo
	s_delay_alu instid0(VALU_DEP_1)
	v_dual_mov_b32 v2, v12 :: v_dual_mov_b32 v3, v13
.LBB39_220:                             ;   in Loop: Header=BB39_33 Depth=1
	s_delay_alu instid0(VALU_DEP_1) | instskip(NEXT) | instid1(VALU_DEP_2)
	v_sub_co_u32 v2, vcc_lo, s13, v2
	v_sub_co_ci_u32_e32 v3, vcc_lo, s5, v3, vcc_lo
	s_mov_b32 s4, 0
	s_mov_b32 s5, exec_lo
                                        ; implicit-def: $vgpr50
	s_delay_alu instid0(VALU_DEP_1)
	v_cmpx_gt_i64_e64 v[2:3], v[0:1]
	s_cbranch_execz .LBB39_229
; %bb.221:                              ;   in Loop: Header=BB39_33 Depth=1
	v_mov_b32_e32 v6, v41
	v_dual_mov_b32 v5, v1 :: v_dual_mov_b32 v4, v0
	s_mov_b32 s13, 0
                                        ; implicit-def: $sgpr22
	s_set_inst_prefetch_distance 0x1
	s_branch .LBB39_223
	.p2align	6
.LBB39_222:                             ;   in Loop: Header=BB39_223 Depth=2
	s_or_b32 exec_lo, exec_lo, s4
	s_waitcnt lgkmcnt(0)
	s_barrier
	buffer_gl0_inv
	ds_load_b32 v7, v13 offset:3072
	v_add_co_u32 v4, vcc_lo, v4, s33
	v_add_co_ci_u32_e32 v5, vcc_lo, 0, v5, vcc_lo
	v_add_nc_u32_e32 v6, s86, v6
	s_waitcnt lgkmcnt(0)
	s_barrier
	s_delay_alu instid0(VALU_DEP_2) | instskip(SKIP_2) | instid1(VALU_DEP_1)
	v_cmp_ge_i64_e32 vcc_lo, v[4:5], v[2:3]
	buffer_gl0_inv
	v_cmp_ne_u16_e64 s4, 0, v7
	s_or_b32 s23, s4, vcc_lo
	s_delay_alu instid0(SALU_CYCLE_1) | instskip(NEXT) | instid1(SALU_CYCLE_1)
	s_and_b32 s23, exec_lo, s23
	s_or_b32 s13, s23, s13
	s_and_not1_b32 s22, s22, exec_lo
	s_and_b32 s4, s4, exec_lo
	s_delay_alu instid0(SALU_CYCLE_1)
	s_or_b32 s22, s22, s4
	s_and_not1_b32 exec_lo, exec_lo, s13
	s_cbranch_execz .LBB39_228
.LBB39_223:                             ;   Parent Loop BB39_33 Depth=1
                                        ; =>  This Inner Loop Header: Depth=2
	s_delay_alu instid0(VALU_DEP_1)
	v_cmp_gt_i64_e32 vcc_lo, s[10:11], v[4:5]
	v_mov_b32_e32 v7, 0
	s_and_saveexec_b32 s4, vcc_lo
	s_cbranch_execz .LBB39_225
; %bb.224:                              ;   in Loop: Header=BB39_223 Depth=2
	ds_load_u16 v7, v6
.LBB39_225:                             ;   in Loop: Header=BB39_223 Depth=2
	s_or_b32 exec_lo, exec_lo, s4
	s_and_saveexec_b32 s4, vcc_lo
	s_cbranch_execz .LBB39_222
; %bb.226:                              ;   in Loop: Header=BB39_223 Depth=2
	s_waitcnt lgkmcnt(0)
	v_bfe_i32 v8, v7, 0, 16
	s_delay_alu instid0(VALU_DEP_1) | instskip(NEXT) | instid1(VALU_DEP_1)
	v_add_nc_u32_e32 v8, 0x8000, v8
	v_and_b32_e32 v8, s96, v8
	s_delay_alu instid0(VALU_DEP_1)
	v_cmp_eq_u32_e32 vcc_lo, s97, v8
	s_and_b32 exec_lo, exec_lo, vcc_lo
	s_cbranch_execz .LBB39_222
; %bb.227:                              ;   in Loop: Header=BB39_223 Depth=2
	v_perm_b32 v7, v7, 1, 0x5040100
	ds_store_b32 v13, v7 offset:3072
	s_branch .LBB39_222
.LBB39_228:                             ;   in Loop: Header=BB39_33 Depth=1
	s_set_inst_prefetch_distance 0x2
	s_or_b32 exec_lo, exec_lo, s13
	v_lshrrev_b32_e32 v50, 16, v7
	s_and_b32 s4, s22, exec_lo
.LBB39_229:                             ;   in Loop: Header=BB39_33 Depth=1
	s_or_b32 exec_lo, exec_lo, s5
	s_mov_b32 s23, -1
	s_mov_b32 s13, 0
	s_mov_b32 s22, 0
.LBB39_230:                             ;   in Loop: Header=BB39_33 Depth=1
	s_mov_b32 s5, 0
                                        ; implicit-def: $sgpr54
	s_and_saveexec_b32 s10, s4
	s_cbranch_execz .LBB39_292
; %bb.231:                              ;   in Loop: Header=BB39_33 Depth=1
	s_xor_b32 s4, s48, -1
	s_mov_b32 s54, 1
	s_and_not1_b32 vcc_lo, exec_lo, s4
	s_cbranch_vccnz .LBB39_242
; %bb.232:                              ;   in Loop: Header=BB39_33 Depth=1
	v_cmp_gt_i64_e64 s4, s[26:27], s[8:9]
                                        ; implicit-def: $sgpr54
                                        ; implicit-def: $sgpr5
                                        ; implicit-def: $sgpr11
	s_delay_alu instid0(VALU_DEP_1)
	s_and_b32 vcc_lo, exec_lo, s4
	s_mov_b32 s4, -1
	s_cbranch_vccnz .LBB39_238
; %bb.233:                              ;   in Loop: Header=BB39_33 Depth=1
	ds_load_b64 v[2:3], v13 offset:5120
	s_waitcnt lgkmcnt(0)
	v_cmp_ne_u64_e32 vcc_lo, 0, v[2:3]
	s_cbranch_vccnz .LBB39_237
; %bb.234:                              ;   in Loop: Header=BB39_33 Depth=1
	s_and_saveexec_b32 s4, s0
	s_cbranch_execz .LBB39_236
; %bb.235:                              ;   in Loop: Header=BB39_33 Depth=1
	v_dual_mov_b32 v2, s8 :: v_dual_mov_b32 v3, s9
	ds_store_b64 v13, v[2:3] offset:5128
.LBB39_236:                             ;   in Loop: Header=BB39_33 Depth=1
	s_or_b32 exec_lo, exec_lo, s4
	s_waitcnt lgkmcnt(0)
	s_barrier
	buffer_gl0_inv
.LBB39_237:                             ;   in Loop: Header=BB39_33 Depth=1
	s_lshl_b32 s4, 2, s17
	s_and_b32 s5, s97, s18
	s_or_b32 s11, s96, s16
	s_or_b32 s5, s5, s4
	s_mov_b32 s4, 0
	s_mov_b32 s54, 8
.LBB39_238:                             ;   in Loop: Header=BB39_33 Depth=1
	s_and_not1_b32 vcc_lo, exec_lo, s4
	s_cbranch_vccnz .LBB39_240
; %bb.239:                              ;   in Loop: Header=BB39_33 Depth=1
	s_sub_u32 s26, s26, s8
	s_subb_u32 s27, s27, s9
	s_mov_b32 s4, -1
	s_mov_b32 s54, 0
	s_mov_b32 s5, s97
	;; [unrolled: 1-line block ×3, first 2 shown]
.LBB39_240:                             ;   in Loop: Header=BB39_33 Depth=1
	s_delay_alu instid0(SALU_CYCLE_1)
	s_mov_b32 s96, s11
	s_mov_b32 s97, s5
	s_and_not1_b32 vcc_lo, exec_lo, s4
	s_mov_b32 s9, -1
	s_cbranch_vccz .LBB39_243
.LBB39_241:                             ;   in Loop: Header=BB39_33 Depth=1
                                        ; implicit-def: $sgpr17
                                        ; implicit-def: $sgpr48
                                        ; implicit-def: $sgpr18
	s_branch .LBB39_291
.LBB39_242:                             ;   in Loop: Header=BB39_33 Depth=1
	s_mov_b64 s[26:27], 1
	s_mov_b32 s9, -1
	s_cbranch_execnz .LBB39_241
.LBB39_243:                             ;   in Loop: Header=BB39_33 Depth=1
	s_cmp_eq_u64 s[6:7], 1
	s_mov_b32 s64, -1
	s_cselect_b32 s4, -1, 0
	s_cmp_eq_u64 s[26:27], 1
	s_cselect_b32 s5, -1, 0
	s_delay_alu instid0(SALU_CYCLE_1) | instskip(NEXT) | instid1(SALU_CYCLE_1)
	s_and_b32 s11, s4, s5
	s_and_b32 vcc_lo, exec_lo, s11
	s_cbranch_vccz .LBB39_258
; %bb.244:                              ;   in Loop: Header=BB39_33 Depth=1
	ds_load_b64 v[2:3], v13 offset:5120
	s_waitcnt lgkmcnt(0)
	s_barrier
	buffer_gl0_inv
	v_readfirstlane_b32 s8, v2
	v_readfirstlane_b32 s9, v3
	s_and_saveexec_b32 s4, s3
	s_cbranch_execz .LBB39_246
; %bb.245:                              ;   in Loop: Header=BB39_33 Depth=1
	ds_store_b16 v42, v13
.LBB39_246:                             ;   in Loop: Header=BB39_33 Depth=1
	s_or_b32 exec_lo, exec_lo, s4
	s_delay_alu instid0(VALU_DEP_1)
	v_cmp_gt_i64_e64 s4, s[8:9], 0
	s_or_b32 s97, s97, s16
	s_or_b32 s96, s96, s16
	s_waitcnt lgkmcnt(0)
	s_barrier
	buffer_gl0_inv
	s_and_b32 vcc_lo, exec_lo, s4
	s_cbranch_vccnz .LBB39_261
; %bb.247:                              ;   in Loop: Header=BB39_33 Depth=1
	s_mov_b32 s54, s49
	s_delay_alu instid0(SALU_CYCLE_1)
	s_cmp_lg_u64 s[54:55], 0
	s_cbranch_scc0 .LBB39_297
; %bb.248:                              ;   in Loop: Header=BB39_33 Depth=1
	v_cvt_f32_u32_e32 v2, s33
	s_sub_u32 s17, 0, s33
	s_subb_u32 s18, 0, 0
	s_delay_alu instid0(VALU_DEP_1) | instskip(NEXT) | instid1(VALU_DEP_1)
	v_fmac_f32_e32 v2, 0x4f800000, v49
	v_rcp_f32_e32 v2, v2
	s_waitcnt_depctr 0xfff
	v_mul_f32_e32 v2, 0x5f7ffffc, v2
	s_delay_alu instid0(VALU_DEP_1) | instskip(NEXT) | instid1(VALU_DEP_1)
	v_mul_f32_e32 v3, 0x2f800000, v2
	v_trunc_f32_e32 v3, v3
	s_delay_alu instid0(VALU_DEP_1) | instskip(SKIP_1) | instid1(VALU_DEP_2)
	v_fmac_f32_e32 v2, 0xcf800000, v3
	v_cvt_u32_f32_e32 v3, v3
	v_cvt_u32_f32_e32 v2, v2
	s_delay_alu instid0(VALU_DEP_2) | instskip(NEXT) | instid1(VALU_DEP_2)
	v_readfirstlane_b32 s4, v3
	v_readfirstlane_b32 s5, v2
	s_delay_alu instid0(VALU_DEP_2) | instskip(NEXT) | instid1(VALU_DEP_1)
	s_mul_i32 s48, s17, s4
	s_mul_hi_u32 s64, s17, s5
	s_mul_i32 s54, s18, s5
	s_add_i32 s48, s64, s48
	s_mul_i32 s65, s17, s5
	s_add_i32 s48, s48, s54
	s_mul_hi_u32 s64, s5, s65
	s_mul_hi_u32 s66, s4, s65
	s_mul_i32 s54, s4, s65
	s_mul_hi_u32 s65, s5, s48
	s_mul_i32 s5, s5, s48
	s_mul_hi_u32 s67, s4, s48
	s_add_u32 s5, s64, s5
	s_addc_u32 s64, 0, s65
	s_add_u32 s5, s5, s54
	s_mul_i32 s48, s4, s48
	s_addc_u32 s5, s64, s66
	s_addc_u32 s54, s67, 0
	s_add_u32 s5, s5, s48
	s_addc_u32 s48, 0, s54
	v_add_co_u32 v2, s5, v2, s5
	s_delay_alu instid0(VALU_DEP_1) | instskip(SKIP_1) | instid1(VALU_DEP_1)
	s_cmp_lg_u32 s5, 0
	s_addc_u32 s4, s4, s48
	v_readfirstlane_b32 s5, v2
	s_mul_i32 s48, s17, s4
	s_delay_alu instid0(VALU_DEP_1)
	s_mul_hi_u32 s54, s17, s5
	s_mul_i32 s18, s18, s5
	s_add_i32 s48, s54, s48
	s_mul_i32 s17, s17, s5
	s_add_i32 s48, s48, s18
	s_mul_hi_u32 s54, s4, s17
	s_mul_i32 s64, s4, s17
	s_mul_hi_u32 s17, s5, s17
	s_mul_hi_u32 s65, s5, s48
	s_mul_i32 s5, s5, s48
	s_mul_hi_u32 s18, s4, s48
	s_add_u32 s5, s17, s5
	s_addc_u32 s17, 0, s65
	s_add_u32 s5, s5, s64
	s_mul_i32 s48, s4, s48
	s_addc_u32 s5, s17, s54
	s_addc_u32 s17, s18, 0
	s_add_u32 s5, s5, s48
	s_addc_u32 s17, 0, s17
	v_add_co_u32 v2, s5, v2, s5
	s_delay_alu instid0(VALU_DEP_1) | instskip(SKIP_2) | instid1(VALU_DEP_1)
	s_cmp_lg_u32 s5, 0
	s_addc_u32 s17, s4, s17
	s_ashr_i32 s64, s55, 31
	v_readfirstlane_b32 s18, v2
	s_add_u32 s4, s80, s64
	s_mov_b32 s65, s64
	s_addc_u32 s5, s55, s64
	s_delay_alu instid0(SALU_CYCLE_1) | instskip(NEXT) | instid1(SALU_CYCLE_1)
	s_xor_b64 s[4:5], s[4:5], s[64:65]
	s_mul_i32 s54, s4, s17
	s_mul_hi_u32 s65, s4, s18
	s_mul_hi_u32 s48, s4, s17
	;; [unrolled: 1-line block ×3, first 2 shown]
	s_mul_i32 s18, s5, s18
	s_add_u32 s54, s65, s54
	s_addc_u32 s48, 0, s48
	s_mul_hi_u32 s66, s5, s17
	s_add_u32 s18, s54, s18
	s_mul_i32 s17, s5, s17
	s_addc_u32 s18, s48, s67
	s_addc_u32 s48, s66, 0
	s_add_u32 s17, s18, s17
	s_addc_u32 s18, 0, s48
	s_mul_hi_u32 s48, s33, s17
	s_mul_i32 s17, s33, s17
	s_mul_i32 s18, s33, s18
	v_sub_co_u32 v2, s4, s4, s17
	s_add_i32 s48, s48, s18
	s_cmp_lg_u32 s4, 0
	s_delay_alu instid0(VALU_DEP_1) | instskip(SKIP_2) | instid1(VALU_DEP_1)
	v_sub_co_u32 v3, s4, v2, s33
	s_subb_u32 s5, s5, s48
	s_cmp_lg_u32 s4, 0
	v_cmp_le_u32_e32 vcc_lo, s33, v3
	v_sub_co_u32 v4, s4, v3, s33
	s_subb_u32 s17, s5, 0
	s_cmp_lg_u32 s4, 0
	v_cndmask_b32_e64 v5, 0, -1, vcc_lo
	s_subb_u32 s4, s17, 0
	s_cmp_eq_u32 s17, 0
	v_mov_b32_e32 v7, s4
	s_cselect_b32 vcc_lo, -1, 0
	s_cmp_eq_u32 s5, 0
	v_cndmask_b32_e32 v5, -1, v5, vcc_lo
	v_cmp_le_u32_e32 vcc_lo, s33, v2
	s_cselect_b32 s4, -1, 0
	v_cndmask_b32_e64 v6, 0, -1, vcc_lo
	s_delay_alu instid0(VALU_DEP_3) | instskip(NEXT) | instid1(VALU_DEP_2)
	v_cmp_ne_u32_e32 vcc_lo, 0, v5
	v_cndmask_b32_e64 v5, -1, v6, s4
	v_cndmask_b32_e32 v3, v3, v4, vcc_lo
	v_cndmask_b32_e32 v6, s17, v7, vcc_lo
	s_delay_alu instid0(VALU_DEP_3) | instskip(NEXT) | instid1(VALU_DEP_3)
	v_cmp_ne_u32_e32 vcc_lo, 0, v5
	v_cndmask_b32_e32 v2, v2, v3, vcc_lo
	s_delay_alu instid0(VALU_DEP_3) | instskip(NEXT) | instid1(VALU_DEP_2)
	v_cndmask_b32_e32 v4, s5, v6, vcc_lo
	v_xor_b32_e32 v2, s64, v2
	s_delay_alu instid0(VALU_DEP_2) | instskip(NEXT) | instid1(VALU_DEP_2)
	v_xor_b32_e32 v3, s64, v4
	v_sub_co_u32 v2, vcc_lo, v2, s64
	s_delay_alu instid0(VALU_DEP_2)
	v_subrev_co_ci_u32_e32 v3, vcc_lo, s64, v3, vcc_lo
	s_cbranch_execnz .LBB39_250
.LBB39_249:                             ;   in Loop: Header=BB39_33 Depth=1
	v_cvt_f32_u32_e32 v2, s33
	s_sub_i32 s4, 0, s33
	s_delay_alu instid0(VALU_DEP_1) | instskip(SKIP_2) | instid1(VALU_DEP_1)
	v_rcp_iflag_f32_e32 v2, v2
	s_waitcnt_depctr 0xfff
	v_mul_f32_e32 v2, 0x4f7ffffe, v2
	v_cvt_u32_f32_e32 v2, v2
	s_delay_alu instid0(VALU_DEP_1) | instskip(NEXT) | instid1(VALU_DEP_1)
	v_mul_lo_u32 v3, s4, v2
	v_mul_hi_u32 v3, v2, v3
	s_delay_alu instid0(VALU_DEP_1) | instskip(NEXT) | instid1(VALU_DEP_1)
	v_add_nc_u32_e32 v2, v2, v3
	v_mul_hi_u32 v2, s80, v2
	s_delay_alu instid0(VALU_DEP_1) | instskip(NEXT) | instid1(VALU_DEP_1)
	v_mul_lo_u32 v2, v2, s33
	v_sub_nc_u32_e32 v2, s80, v2
	s_delay_alu instid0(VALU_DEP_1) | instskip(SKIP_1) | instid1(VALU_DEP_2)
	v_subrev_nc_u32_e32 v3, s33, v2
	v_cmp_le_u32_e32 vcc_lo, s33, v2
	v_cndmask_b32_e32 v2, v2, v3, vcc_lo
	s_delay_alu instid0(VALU_DEP_1) | instskip(SKIP_1) | instid1(VALU_DEP_2)
	v_subrev_nc_u32_e32 v3, s33, v2
	v_cmp_le_u32_e32 vcc_lo, s33, v2
	v_cndmask_b32_e32 v12, v2, v3, vcc_lo
	s_delay_alu instid0(VALU_DEP_1)
	v_dual_mov_b32 v2, v12 :: v_dual_mov_b32 v3, v13
.LBB39_250:                             ;   in Loop: Header=BB39_33 Depth=1
	s_delay_alu instid0(VALU_DEP_1) | instskip(NEXT) | instid1(VALU_DEP_2)
	v_sub_co_u32 v2, vcc_lo, s80, v2
	v_sub_co_ci_u32_e32 v3, vcc_lo, s55, v3, vcc_lo
	s_mov_b32 s64, 0
	s_mov_b32 s5, exec_lo
                                        ; implicit-def: $vgpr50
	s_delay_alu instid0(VALU_DEP_1)
	v_cmpx_gt_i64_e64 v[2:3], v[0:1]
	s_cbranch_execz .LBB39_263
; %bb.251:                              ;   in Loop: Header=BB39_33 Depth=1
	v_dual_mov_b32 v4, v10 :: v_dual_mov_b32 v5, v11
	v_dual_mov_b32 v7, v1 :: v_dual_mov_b32 v6, v0
	s_mov_b32 s17, 0
                                        ; implicit-def: $sgpr18
	s_set_inst_prefetch_distance 0x1
	s_branch .LBB39_253
	.p2align	6
.LBB39_252:                             ;   in Loop: Header=BB39_253 Depth=2
	s_or_b32 exec_lo, exec_lo, s4
	s_waitcnt vmcnt(0) lgkmcnt(0)
	s_barrier
	buffer_gl0_inv
	ds_load_b32 v8, v13 offset:3072
	v_add_co_u32 v6, vcc_lo, v6, s33
	v_add_co_ci_u32_e32 v7, vcc_lo, 0, v7, vcc_lo
	s_waitcnt lgkmcnt(0)
	s_barrier
	buffer_gl0_inv
	v_cmp_ge_i64_e32 vcc_lo, v[6:7], v[2:3]
	v_cmp_ne_u16_e64 s4, 0, v8
	s_delay_alu instid0(VALU_DEP_1)
	s_or_b32 s48, s4, vcc_lo
	v_add_co_u32 v4, vcc_lo, v4, s50
	s_and_b32 s48, exec_lo, s48
	v_add_co_ci_u32_e32 v5, vcc_lo, s51, v5, vcc_lo
	s_or_b32 s17, s48, s17
	s_and_not1_b32 s18, s18, exec_lo
	s_and_b32 s4, s4, exec_lo
	s_delay_alu instid0(SALU_CYCLE_1)
	s_or_b32 s18, s18, s4
	s_and_not1_b32 exec_lo, exec_lo, s17
	s_cbranch_execz .LBB39_262
.LBB39_253:                             ;   Parent Loop BB39_33 Depth=1
                                        ; =>  This Inner Loop Header: Depth=2
	s_delay_alu instid0(VALU_DEP_1)
	v_cmp_gt_i64_e32 vcc_lo, s[24:25], v[6:7]
	v_mov_b32_e32 v8, 0
	s_and_saveexec_b32 s4, vcc_lo
	s_cbranch_execz .LBB39_255
; %bb.254:                              ;   in Loop: Header=BB39_253 Depth=2
	global_load_u16 v8, v[4:5], off
.LBB39_255:                             ;   in Loop: Header=BB39_253 Depth=2
	s_or_b32 exec_lo, exec_lo, s4
	s_and_saveexec_b32 s4, vcc_lo
	s_cbranch_execz .LBB39_252
; %bb.256:                              ;   in Loop: Header=BB39_253 Depth=2
	s_waitcnt vmcnt(0)
	v_bfe_i32 v9, v8, 0, 16
	s_delay_alu instid0(VALU_DEP_1) | instskip(NEXT) | instid1(VALU_DEP_1)
	v_add_nc_u32_e32 v9, 0x8000, v9
	v_and_b32_e32 v9, s96, v9
	s_delay_alu instid0(VALU_DEP_1)
	v_cmp_eq_u32_e32 vcc_lo, s97, v9
	s_and_b32 exec_lo, exec_lo, vcc_lo
	s_cbranch_execz .LBB39_252
; %bb.257:                              ;   in Loop: Header=BB39_253 Depth=2
	v_perm_b32 v8, v8, 1, 0x5040100
	ds_store_b32 v13, v8 offset:3072
	s_branch .LBB39_252
.LBB39_258:                             ;   in Loop: Header=BB39_33 Depth=1
                                        ; implicit-def: $sgpr17
                                        ; implicit-def: $sgpr48
                                        ; implicit-def: $sgpr18
	s_branch .LBB39_277
.LBB39_259:                             ;   in Loop: Header=BB39_33 Depth=1
                                        ; implicit-def: $vgpr2_vgpr3
	s_branch .LBB39_202
.LBB39_260:                             ;   in Loop: Header=BB39_33 Depth=1
                                        ; implicit-def: $vgpr2_vgpr3
	s_branch .LBB39_219
.LBB39_261:                             ;   in Loop: Header=BB39_33 Depth=1
	s_mov_b32 s17, -1
	s_mov_b32 s64, 0
                                        ; implicit-def: $sgpr18
                                        ; implicit-def: $vgpr50
	s_mov_b32 s48, s17
	s_cbranch_execnz .LBB39_264
	s_branch .LBB39_277
.LBB39_262:                             ;   in Loop: Header=BB39_33 Depth=1
	s_set_inst_prefetch_distance 0x2
	s_or_b32 exec_lo, exec_lo, s17
	v_lshrrev_b32_e32 v50, 16, v8
	s_and_b32 s64, s18, exec_lo
.LBB39_263:                             ;   in Loop: Header=BB39_33 Depth=1
	s_or_b32 exec_lo, exec_lo, s5
	s_mov_b32 s18, -1
	s_mov_b32 s17, 0
	s_delay_alu instid0(SALU_CYCLE_1)
	s_mov_b32 s48, s17
	s_branch .LBB39_277
.LBB39_264:                             ;   in Loop: Header=BB39_33 Depth=1
	s_add_u32 s17, s78, s8
	s_addc_u32 s5, s79, s9
	s_mov_b32 s4, s49
	s_delay_alu instid0(SALU_CYCLE_1)
	s_cmp_lg_u64 s[4:5], 0
	s_cbranch_scc0 .LBB39_298
; %bb.265:                              ;   in Loop: Header=BB39_33 Depth=1
	v_cvt_f32_u32_e32 v2, s33
	s_sub_u32 s48, 0, s33
	s_subb_u32 s54, 0, 0
	s_delay_alu instid0(VALU_DEP_1) | instskip(NEXT) | instid1(VALU_DEP_1)
	v_fmac_f32_e32 v2, 0x4f800000, v49
	v_rcp_f32_e32 v2, v2
	s_waitcnt_depctr 0xfff
	v_mul_f32_e32 v2, 0x5f7ffffc, v2
	s_delay_alu instid0(VALU_DEP_1) | instskip(NEXT) | instid1(VALU_DEP_1)
	v_mul_f32_e32 v3, 0x2f800000, v2
	v_trunc_f32_e32 v3, v3
	s_delay_alu instid0(VALU_DEP_1) | instskip(SKIP_1) | instid1(VALU_DEP_2)
	v_fmac_f32_e32 v2, 0xcf800000, v3
	v_cvt_u32_f32_e32 v3, v3
	v_cvt_u32_f32_e32 v2, v2
	s_delay_alu instid0(VALU_DEP_2) | instskip(NEXT) | instid1(VALU_DEP_2)
	v_readfirstlane_b32 s4, v3
	v_readfirstlane_b32 s18, v2
	s_delay_alu instid0(VALU_DEP_2) | instskip(NEXT) | instid1(VALU_DEP_1)
	s_mul_i32 s64, s48, s4
	s_mul_hi_u32 s66, s48, s18
	s_mul_i32 s65, s54, s18
	s_add_i32 s64, s66, s64
	s_mul_i32 s67, s48, s18
	s_add_i32 s64, s64, s65
	s_mul_hi_u32 s66, s18, s67
	s_mul_hi_u32 s68, s4, s67
	s_mul_i32 s65, s4, s67
	s_mul_hi_u32 s67, s18, s64
	s_mul_i32 s18, s18, s64
	s_mul_hi_u32 s69, s4, s64
	s_add_u32 s18, s66, s18
	s_addc_u32 s66, 0, s67
	s_add_u32 s18, s18, s65
	s_mul_i32 s64, s4, s64
	s_addc_u32 s18, s66, s68
	s_addc_u32 s65, s69, 0
	s_add_u32 s18, s18, s64
	s_addc_u32 s64, 0, s65
	v_add_co_u32 v2, s18, v2, s18
	s_delay_alu instid0(VALU_DEP_1) | instskip(SKIP_1) | instid1(VALU_DEP_1)
	s_cmp_lg_u32 s18, 0
	s_addc_u32 s4, s4, s64
	v_readfirstlane_b32 s18, v2
	s_mul_i32 s64, s48, s4
	s_delay_alu instid0(VALU_DEP_1)
	s_mul_hi_u32 s65, s48, s18
	s_mul_i32 s54, s54, s18
	s_add_i32 s64, s65, s64
	s_mul_i32 s48, s48, s18
	s_add_i32 s64, s64, s54
	s_mul_hi_u32 s65, s4, s48
	s_mul_i32 s66, s4, s48
	s_mul_hi_u32 s48, s18, s48
	s_mul_hi_u32 s67, s18, s64
	s_mul_i32 s18, s18, s64
	s_mul_hi_u32 s54, s4, s64
	s_add_u32 s18, s48, s18
	s_addc_u32 s48, 0, s67
	s_add_u32 s18, s18, s66
	s_mul_i32 s64, s4, s64
	s_addc_u32 s18, s48, s65
	s_addc_u32 s48, s54, 0
	s_add_u32 s18, s18, s64
	s_addc_u32 s48, 0, s48
	v_add_co_u32 v2, s18, v2, s18
	s_delay_alu instid0(VALU_DEP_1) | instskip(SKIP_2) | instid1(VALU_DEP_1)
	s_cmp_lg_u32 s18, 0
	s_addc_u32 s4, s4, s48
	s_ashr_i32 s64, s5, 31
	v_readfirstlane_b32 s18, v2
	s_add_u32 s66, s17, s64
	s_mov_b32 s65, s64
	s_addc_u32 s67, s5, s64
	s_delay_alu instid0(SALU_CYCLE_1) | instskip(NEXT) | instid1(SALU_CYCLE_1)
	s_xor_b64 s[66:67], s[66:67], s[64:65]
	s_mul_i32 s54, s66, s4
	s_mul_hi_u32 s65, s66, s18
	s_mul_hi_u32 s48, s66, s4
	;; [unrolled: 1-line block ×3, first 2 shown]
	s_mul_i32 s18, s67, s18
	s_add_u32 s54, s65, s54
	s_addc_u32 s48, 0, s48
	s_mul_hi_u32 s68, s67, s4
	s_add_u32 s18, s54, s18
	s_mul_i32 s4, s67, s4
	s_addc_u32 s18, s48, s69
	s_addc_u32 s48, s68, 0
	s_add_u32 s4, s18, s4
	s_addc_u32 s18, 0, s48
	s_mul_hi_u32 s48, s33, s4
	s_mul_i32 s4, s33, s4
	s_mul_i32 s18, s33, s18
	v_sub_co_u32 v2, s4, s66, s4
	s_add_i32 s48, s48, s18
	s_cmp_lg_u32 s4, 0
	s_delay_alu instid0(VALU_DEP_1) | instskip(SKIP_2) | instid1(VALU_DEP_1)
	v_sub_co_u32 v3, s4, v2, s33
	s_subb_u32 s18, s67, s48
	s_cmp_lg_u32 s4, 0
	v_cmp_le_u32_e32 vcc_lo, s33, v3
	v_sub_co_u32 v4, s4, v3, s33
	s_subb_u32 s48, s18, 0
	s_cmp_lg_u32 s4, 0
	v_cndmask_b32_e64 v5, 0, -1, vcc_lo
	s_subb_u32 s4, s48, 0
	s_cmp_eq_u32 s48, 0
	v_mov_b32_e32 v7, s4
	s_cselect_b32 vcc_lo, -1, 0
	s_cmp_eq_u32 s18, 0
	v_cndmask_b32_e32 v5, -1, v5, vcc_lo
	v_cmp_le_u32_e32 vcc_lo, s33, v2
	s_cselect_b32 s4, -1, 0
	v_cndmask_b32_e64 v6, 0, -1, vcc_lo
	s_delay_alu instid0(VALU_DEP_3) | instskip(NEXT) | instid1(VALU_DEP_2)
	v_cmp_ne_u32_e32 vcc_lo, 0, v5
	v_cndmask_b32_e64 v5, -1, v6, s4
	v_cndmask_b32_e32 v3, v3, v4, vcc_lo
	v_cndmask_b32_e32 v6, s48, v7, vcc_lo
	s_delay_alu instid0(VALU_DEP_3) | instskip(NEXT) | instid1(VALU_DEP_3)
	v_cmp_ne_u32_e32 vcc_lo, 0, v5
	v_cndmask_b32_e32 v2, v2, v3, vcc_lo
	s_delay_alu instid0(VALU_DEP_3) | instskip(NEXT) | instid1(VALU_DEP_2)
	v_cndmask_b32_e32 v4, s18, v6, vcc_lo
	v_xor_b32_e32 v2, s64, v2
	s_delay_alu instid0(VALU_DEP_2) | instskip(NEXT) | instid1(VALU_DEP_2)
	v_xor_b32_e32 v3, s64, v4
	v_sub_co_u32 v2, vcc_lo, v2, s64
	s_delay_alu instid0(VALU_DEP_2)
	v_subrev_co_ci_u32_e32 v3, vcc_lo, s64, v3, vcc_lo
	s_cbranch_execnz .LBB39_267
.LBB39_266:                             ;   in Loop: Header=BB39_33 Depth=1
	v_cvt_f32_u32_e32 v2, s33
	s_sub_i32 s4, 0, s33
	s_delay_alu instid0(VALU_DEP_1) | instskip(SKIP_2) | instid1(VALU_DEP_1)
	v_rcp_iflag_f32_e32 v2, v2
	s_waitcnt_depctr 0xfff
	v_mul_f32_e32 v2, 0x4f7ffffe, v2
	v_cvt_u32_f32_e32 v2, v2
	s_delay_alu instid0(VALU_DEP_1) | instskip(NEXT) | instid1(VALU_DEP_1)
	v_mul_lo_u32 v3, s4, v2
	v_mul_hi_u32 v3, v2, v3
	s_delay_alu instid0(VALU_DEP_1) | instskip(NEXT) | instid1(VALU_DEP_1)
	v_add_nc_u32_e32 v2, v2, v3
	v_mul_hi_u32 v2, s17, v2
	s_delay_alu instid0(VALU_DEP_1) | instskip(NEXT) | instid1(VALU_DEP_1)
	v_mul_lo_u32 v2, v2, s33
	v_sub_nc_u32_e32 v2, s17, v2
	s_delay_alu instid0(VALU_DEP_1) | instskip(SKIP_1) | instid1(VALU_DEP_2)
	v_subrev_nc_u32_e32 v3, s33, v2
	v_cmp_le_u32_e32 vcc_lo, s33, v2
	v_cndmask_b32_e32 v2, v2, v3, vcc_lo
	s_delay_alu instid0(VALU_DEP_1) | instskip(SKIP_1) | instid1(VALU_DEP_2)
	v_subrev_nc_u32_e32 v3, s33, v2
	v_cmp_le_u32_e32 vcc_lo, s33, v2
	v_cndmask_b32_e32 v12, v2, v3, vcc_lo
	s_delay_alu instid0(VALU_DEP_1)
	v_dual_mov_b32 v2, v12 :: v_dual_mov_b32 v3, v13
.LBB39_267:                             ;   in Loop: Header=BB39_33 Depth=1
	s_delay_alu instid0(VALU_DEP_1) | instskip(NEXT) | instid1(VALU_DEP_2)
	v_sub_co_u32 v2, vcc_lo, s17, v2
	v_sub_co_ci_u32_e32 v3, vcc_lo, s5, v3, vcc_lo
	s_mov_b32 s64, 0
	s_mov_b32 s5, exec_lo
                                        ; implicit-def: $vgpr50
	s_delay_alu instid0(VALU_DEP_1)
	v_cmpx_gt_i64_e64 v[2:3], v[0:1]
	s_cbranch_execz .LBB39_276
; %bb.268:                              ;   in Loop: Header=BB39_33 Depth=1
	v_mov_b32_e32 v6, v41
	v_dual_mov_b32 v5, v1 :: v_dual_mov_b32 v4, v0
	s_mov_b32 s17, 0
                                        ; implicit-def: $sgpr18
	s_set_inst_prefetch_distance 0x1
	s_branch .LBB39_270
	.p2align	6
.LBB39_269:                             ;   in Loop: Header=BB39_270 Depth=2
	s_or_b32 exec_lo, exec_lo, s4
	s_waitcnt lgkmcnt(0)
	s_barrier
	buffer_gl0_inv
	ds_load_b32 v7, v13 offset:3072
	v_add_co_u32 v4, vcc_lo, v4, s33
	v_add_co_ci_u32_e32 v5, vcc_lo, 0, v5, vcc_lo
	v_add_nc_u32_e32 v6, s86, v6
	s_waitcnt lgkmcnt(0)
	s_barrier
	s_delay_alu instid0(VALU_DEP_2) | instskip(SKIP_2) | instid1(VALU_DEP_1)
	v_cmp_ge_i64_e32 vcc_lo, v[4:5], v[2:3]
	buffer_gl0_inv
	v_cmp_ne_u16_e64 s4, 0, v7
	s_or_b32 s48, s4, vcc_lo
	s_delay_alu instid0(SALU_CYCLE_1) | instskip(NEXT) | instid1(SALU_CYCLE_1)
	s_and_b32 s48, exec_lo, s48
	s_or_b32 s17, s48, s17
	s_and_not1_b32 s18, s18, exec_lo
	s_and_b32 s4, s4, exec_lo
	s_delay_alu instid0(SALU_CYCLE_1)
	s_or_b32 s18, s18, s4
	s_and_not1_b32 exec_lo, exec_lo, s17
	s_cbranch_execz .LBB39_275
.LBB39_270:                             ;   Parent Loop BB39_33 Depth=1
                                        ; =>  This Inner Loop Header: Depth=2
	s_delay_alu instid0(VALU_DEP_1)
	v_cmp_gt_i64_e32 vcc_lo, s[8:9], v[4:5]
	v_mov_b32_e32 v7, 0
	s_and_saveexec_b32 s4, vcc_lo
	s_cbranch_execz .LBB39_272
; %bb.271:                              ;   in Loop: Header=BB39_270 Depth=2
	ds_load_u16 v7, v6
.LBB39_272:                             ;   in Loop: Header=BB39_270 Depth=2
	s_or_b32 exec_lo, exec_lo, s4
	s_and_saveexec_b32 s4, vcc_lo
	s_cbranch_execz .LBB39_269
; %bb.273:                              ;   in Loop: Header=BB39_270 Depth=2
	s_waitcnt lgkmcnt(0)
	v_bfe_i32 v8, v7, 0, 16
	s_delay_alu instid0(VALU_DEP_1) | instskip(NEXT) | instid1(VALU_DEP_1)
	v_add_nc_u32_e32 v8, 0x8000, v8
	v_and_b32_e32 v8, s96, v8
	s_delay_alu instid0(VALU_DEP_1)
	v_cmp_eq_u32_e32 vcc_lo, s97, v8
	s_and_b32 exec_lo, exec_lo, vcc_lo
	s_cbranch_execz .LBB39_269
; %bb.274:                              ;   in Loop: Header=BB39_270 Depth=2
	v_perm_b32 v7, v7, 1, 0x5040100
	ds_store_b32 v13, v7 offset:3072
	s_branch .LBB39_269
.LBB39_275:                             ;   in Loop: Header=BB39_33 Depth=1
	s_set_inst_prefetch_distance 0x2
	s_or_b32 exec_lo, exec_lo, s17
	v_lshrrev_b32_e32 v50, 16, v7
	s_and_b32 s64, s18, exec_lo
.LBB39_276:                             ;   in Loop: Header=BB39_33 Depth=1
	s_or_b32 exec_lo, exec_lo, s5
	s_mov_b32 s48, -1
	s_mov_b32 s17, 0
	s_mov_b32 s18, 0
.LBB39_277:                             ;   in Loop: Header=BB39_33 Depth=1
	s_mov_b32 s9, 0
                                        ; implicit-def: $sgpr54
                                        ; implicit-def: $sgpr4_sgpr5
	s_and_saveexec_b32 s8, s64
	s_cbranch_execz .LBB39_290
; %bb.278:                              ;   in Loop: Header=BB39_33 Depth=1
	s_xor_b32 s9, s11, -1
	s_mov_b64 s[4:5], 1
	s_and_not1_b32 vcc_lo, exec_lo, s9
	s_mov_b32 s54, 1
	s_cbranch_vccnz .LBB39_289
; %bb.279:                              ;   in Loop: Header=BB39_33 Depth=1
	v_cmp_gt_i64_e64 s4, s[26:27], s[6:7]
	s_delay_alu instid0(VALU_DEP_1)
	s_and_b32 vcc_lo, exec_lo, s4
	s_cbranch_vccnz .LBB39_285
; %bb.280:                              ;   in Loop: Header=BB39_33 Depth=1
	ds_load_b64 v[2:3], v13 offset:5120
	s_waitcnt lgkmcnt(0)
	v_cmp_ne_u64_e32 vcc_lo, 0, v[2:3]
	s_cbranch_vccnz .LBB39_284
; %bb.281:                              ;   in Loop: Header=BB39_33 Depth=1
	s_and_saveexec_b32 s4, s0
	s_cbranch_execz .LBB39_283
; %bb.282:                              ;   in Loop: Header=BB39_33 Depth=1
	v_dual_mov_b32 v2, s6 :: v_dual_mov_b32 v3, s7
	ds_store_b64 v13, v[2:3] offset:5128
.LBB39_283:                             ;   in Loop: Header=BB39_33 Depth=1
	s_or_b32 exec_lo, exec_lo, s4
	s_waitcnt lgkmcnt(0)
	s_barrier
	buffer_gl0_inv
.LBB39_284:                             ;   in Loop: Header=BB39_33 Depth=1
	s_or_b32 s9, s97, s16
	s_or_b32 s11, s96, s16
	s_mov_b32 s4, 0
	s_mov_b32 s54, 8
	s_branch .LBB39_286
.LBB39_285:                             ;   in Loop: Header=BB39_33 Depth=1
	s_mov_b32 s4, -1
                                        ; implicit-def: $sgpr54
                                        ; implicit-def: $sgpr9
                                        ; implicit-def: $sgpr11
.LBB39_286:                             ;   in Loop: Header=BB39_33 Depth=1
	s_delay_alu instid0(SALU_CYCLE_1)
	s_and_not1_b32 vcc_lo, exec_lo, s4
	s_cbranch_vccnz .LBB39_288
; %bb.287:                              ;   in Loop: Header=BB39_33 Depth=1
	s_sub_u32 s26, s26, s6
	s_subb_u32 s27, s27, s7
	s_mov_b32 s54, 8
	s_mov_b32 s9, s97
	;; [unrolled: 1-line block ×3, first 2 shown]
.LBB39_288:                             ;   in Loop: Header=BB39_33 Depth=1
	s_mov_b64 s[4:5], s[26:27]
	s_mov_b32 s97, s9
	s_mov_b32 s96, s11
.LBB39_289:                             ;   in Loop: Header=BB39_33 Depth=1
	s_mov_b32 s9, exec_lo
.LBB39_290:                             ;   in Loop: Header=BB39_33 Depth=1
	s_or_b32 exec_lo, exec_lo, s8
	s_mov_b64 s[26:27], s[4:5]
.LBB39_291:                             ;   in Loop: Header=BB39_33 Depth=1
	s_and_not1_b32 s4, s13, exec_lo
	s_and_b32 s5, s17, exec_lo
	s_and_not1_b32 s6, s22, exec_lo
	s_or_b32 s13, s4, s5
	s_and_not1_b32 s4, s23, exec_lo
	s_and_b32 s5, s48, exec_lo
	s_and_b32 s7, s18, exec_lo
	s_or_b32 s23, s4, s5
	s_or_b32 s22, s6, s7
	s_and_b32 s5, s9, exec_lo
.LBB39_292:                             ;   in Loop: Header=BB39_33 Depth=1
	s_or_b32 exec_lo, exec_lo, s10
.LBB39_293:                             ;   in Loop: Header=BB39_33 Depth=1
	s_delay_alu instid0(SALU_CYCLE_1)
	s_and_not1_b32 s4, s20, exec_lo
	s_and_b32 s6, s13, exec_lo
	s_and_not1_b32 s7, s19, exec_lo
	s_or_b32 s20, s4, s6
	s_and_not1_b32 s4, s21, exec_lo
	s_and_b32 s6, s23, exec_lo
	s_and_b32 s8, s22, exec_lo
	s_or_b32 s21, s4, s6
	s_or_b32 s19, s7, s8
	s_and_b32 s5, s5, exec_lo
.LBB39_294:                             ;   in Loop: Header=BB39_33 Depth=1
	s_or_b32 exec_lo, exec_lo, s12
	s_and_saveexec_b32 s4, s5
	s_delay_alu instid0(SALU_CYCLE_1)
	s_xor_b32 s4, exec_lo, s4
	s_cbranch_execz .LBB39_31
.LBB39_295:                             ;   in Loop: Header=BB39_33 Depth=1
	s_and_b32 s5, s54, -9
	s_delay_alu instid0(SALU_CYCLE_1)
	s_cmp_eq_u32 s5, 0
	s_cbranch_scc1 .LBB39_29
; %bb.296:                              ;   in Loop: Header=BB39_33 Depth=1
	s_mov_b32 s5, -1
	s_mov_b32 s6, -1
                                        ; implicit-def: $sgpr96
                                        ; implicit-def: $sgpr91
                                        ; implicit-def: $sgpr92
	s_branch .LBB39_30
.LBB39_297:                             ;   in Loop: Header=BB39_33 Depth=1
                                        ; implicit-def: $vgpr2_vgpr3
	s_branch .LBB39_249
.LBB39_298:                             ;   in Loop: Header=BB39_33 Depth=1
                                        ; implicit-def: $vgpr2_vgpr3
	s_branch .LBB39_266
.LBB39_299:
	s_or_b32 exec_lo, exec_lo, s87
	s_xor_b32 s5, s90, -1
	s_xor_b32 s2, s88, -1
	;; [unrolled: 1-line block ×3, first 2 shown]
	s_mov_b32 s3, 0
	s_and_saveexec_b32 s6, s2
	s_delay_alu instid0(SALU_CYCLE_1)
	s_xor_b32 s2, exec_lo, s6
	s_cbranch_execz .LBB39_322
; %bb.300:
	s_and_saveexec_b32 s3, s5
	s_delay_alu instid0(SALU_CYCLE_1)
	s_xor_b32 s3, exec_lo, s3
	s_cbranch_execz .LBB39_320
; %bb.301:
	s_and_saveexec_b32 s5, s4
	s_delay_alu instid0(SALU_CYCLE_1)
	s_xor_b32 s4, exec_lo, s5
; %bb.302:
	v_xor_b32_e32 v50, 0xffff8000, v2
; %bb.303:
	s_or_b32 exec_lo, exec_lo, s4
	s_and_saveexec_b32 s4, s0
	s_cbranch_execz .LBB39_305
; %bb.304:
	v_dual_mov_b32 v2, 0 :: v_dual_mov_b32 v3, s24
	ds_store_b32 v2, v3 offset:5140
.LBB39_305:
	s_or_b32 exec_lo, exec_lo, s4
	s_waitcnt lgkmcnt(0)
	s_barrier
	buffer_gl0_inv
	s_and_saveexec_b32 s4, s1
	s_cbranch_execz .LBB39_317
; %bb.306:
	v_mov_b32_e32 v2, 0
	s_mov_b32 s5, 0
                                        ; implicit-def: $sgpr6
                                        ; implicit-def: $sgpr7
                                        ; implicit-def: $sgpr8
	ds_load_b32 v4, v2 offset:5140
	s_waitcnt lgkmcnt(0)
	v_ashrrev_i32_e32 v5, 31, v4
	s_set_inst_prefetch_distance 0x1
	s_branch .LBB39_309
	.p2align	6
.LBB39_307:                             ;   in Loop: Header=BB39_309 Depth=1
	s_or_b32 exec_lo, exec_lo, s11
	s_delay_alu instid0(SALU_CYCLE_1)
	s_and_not1_b32 s8, s8, exec_lo
	s_and_b32 s10, s10, exec_lo
	s_and_not1_b32 s7, s7, exec_lo
	s_and_b32 s1, s1, exec_lo
	s_or_b32 s8, s8, s10
	s_or_b32 s7, s7, s1
.LBB39_308:                             ;   in Loop: Header=BB39_309 Depth=1
	s_or_b32 exec_lo, exec_lo, s9
	s_delay_alu instid0(SALU_CYCLE_1) | instskip(NEXT) | instid1(SALU_CYCLE_1)
	s_and_b32 s1, exec_lo, s7
	s_or_b32 s5, s1, s5
	s_and_not1_b32 s1, s6, exec_lo
	s_and_b32 s6, s8, exec_lo
	s_delay_alu instid0(SALU_CYCLE_1)
	s_or_b32 s6, s1, s6
	s_and_not1_b32 exec_lo, exec_lo, s5
	s_cbranch_execz .LBB39_312
.LBB39_309:                             ; =>This Inner Loop Header: Depth=1
	v_dual_mov_b32 v3, v1 :: v_dual_mov_b32 v2, v0
	s_or_b32 s8, s8, exec_lo
	s_or_b32 s7, s7, exec_lo
	s_mov_b32 s9, exec_lo
                                        ; implicit-def: $vgpr0_vgpr1
	s_delay_alu instid0(VALU_DEP_1)
	v_cmpx_lt_i64_e64 v[2:3], v[4:5]
	s_cbranch_execz .LBB39_308
; %bb.310:                              ;   in Loop: Header=BB39_309 Depth=1
	global_load_u16 v0, v[10:11], off
	s_mov_b32 s1, -1
	s_mov_b32 s10, 0
	s_waitcnt vmcnt(0)
	v_cmp_ne_u16_e32 vcc_lo, v0, v50
                                        ; implicit-def: $vgpr0_vgpr1
	s_and_saveexec_b32 s11, vcc_lo
	s_cbranch_execz .LBB39_307
; %bb.311:                              ;   in Loop: Header=BB39_309 Depth=1
	v_add_co_u32 v0, vcc_lo, v2, s33
	v_add_co_ci_u32_e32 v1, vcc_lo, 0, v3, vcc_lo
	v_add_co_u32 v10, s1, v10, s50
	s_delay_alu instid0(VALU_DEP_1) | instskip(NEXT) | instid1(VALU_DEP_3)
	v_add_co_ci_u32_e64 v11, s1, s51, v11, s1
	v_cmp_le_i64_e32 vcc_lo, s[24:25], v[0:1]
	s_mov_b32 s10, exec_lo
	s_or_not1_b32 s1, vcc_lo, exec_lo
	s_branch .LBB39_307
.LBB39_312:
	s_set_inst_prefetch_distance 0x2
	s_or_b32 exec_lo, exec_lo, s5
	s_xor_b32 s1, s6, -1
	s_delay_alu instid0(SALU_CYCLE_1) | instskip(NEXT) | instid1(SALU_CYCLE_1)
	s_and_saveexec_b32 s5, s1
	s_xor_b32 s5, exec_lo, s5
	s_cbranch_execz .LBB39_317
; %bb.313:
	s_mov_b32 s5, exec_lo
	s_brev_b32 s1, -2
.LBB39_314:                             ; =>This Inner Loop Header: Depth=1
	s_ctz_i32_b32 s6, s5
	s_delay_alu instid0(SALU_CYCLE_1) | instskip(SKIP_1) | instid1(SALU_CYCLE_1)
	v_readlane_b32 s7, v2, s6
	s_lshl_b32 s6, 1, s6
	s_and_not1_b32 s5, s5, s6
	s_delay_alu instid0(VALU_DEP_1)
	s_min_i32 s1, s1, s7
	s_cmp_lg_u32 s5, 0
	s_cbranch_scc1 .LBB39_314
; %bb.315:
	v_mbcnt_lo_u32_b32 v0, exec_lo, 0
	s_mov_b32 s5, exec_lo
	s_delay_alu instid0(VALU_DEP_1)
	v_cmpx_eq_u32_e32 0, v0
	s_xor_b32 s5, exec_lo, s5
	s_cbranch_execz .LBB39_317
; %bb.316:
	v_dual_mov_b32 v0, 0 :: v_dual_mov_b32 v1, s1
	ds_min_i32 v0, v1 offset:5140
.LBB39_317:
	s_or_b32 exec_lo, exec_lo, s4
	s_waitcnt lgkmcnt(0)
	s_barrier
	buffer_gl0_inv
	s_and_saveexec_b32 s1, s0
	s_cbranch_execz .LBB39_319
; %bb.318:
	v_mov_b32_e32 v2, 0
	s_mul_i32 s0, s36, s35
	s_mul_hi_u32 s5, s36, s34
	s_mul_i32 s6, s37, s34
	s_add_i32 s0, s5, s0
	ds_load_b32 v0, v2 offset:5140
	s_mul_i32 s7, s44, s41
	s_mul_hi_u32 s8, s44, s40
	s_mul_i32 s4, s36, s34
	s_add_i32 s5, s0, s6
	s_mul_i32 s9, s45, s40
	s_add_i32 s0, s8, s7
	s_lshl_b64 s[4:5], s[4:5], 1
	s_add_i32 s7, s0, s9
	s_add_u32 s0, s46, s4
	s_addc_u32 s8, s47, s5
	s_lshl_b64 s[4:5], s[28:29], 1
	s_mul_i32 s6, s44, s40
	s_add_u32 s4, s0, s4
	s_addc_u32 s5, s8, s5
	s_lshl_b64 s[6:7], s[6:7], 3
	s_delay_alu instid0(SALU_CYCLE_1)
	s_add_u32 s0, s42, s6
	s_addc_u32 s8, s43, s7
	s_lshl_b64 s[6:7], s[38:39], 3
	s_waitcnt lgkmcnt(0)
	v_ashrrev_i32_e32 v1, 31, v0
	s_add_u32 s6, s0, s6
	s_addc_u32 s7, s8, s7
	s_clause 0x1
	global_store_b64 v2, v[0:1], s[6:7]
	global_store_b16 v2, v50, s[4:5]
.LBB39_319:
	s_or_b32 exec_lo, exec_lo, s1
.LBB39_320:
	s_or_saveexec_b32 s0, s3
	s_mov_b32 s1, 0
	s_xor_b32 exec_lo, exec_lo, s0
	s_cbranch_execnz .LBB39_328
.LBB39_321:
	s_or_b32 exec_lo, exec_lo, s0
	s_delay_alu instid0(SALU_CYCLE_1)
	s_and_b32 s3, s1, exec_lo
.LBB39_322:
	s_and_not1_saveexec_b32 s0, s2
	s_cbranch_execnz .LBB39_326
; %bb.323:
	s_or_b32 exec_lo, exec_lo, s0
	s_and_saveexec_b32 s0, s3
.LBB39_324:
	; divergent unreachable
.LBB39_325:
	s_nop 0
	s_sendmsg sendmsg(MSG_DEALLOC_VGPRS)
	s_endpgm
.LBB39_326:
	s_cbranch_execnz .LBB39_330
; %bb.327:
	s_or_b32 s3, s3, exec_lo
	s_or_b32 exec_lo, exec_lo, s0
	s_and_saveexec_b32 s0, s3
	s_cbranch_execnz .LBB39_324
	s_branch .LBB39_325
.LBB39_328:
	s_cbranch_execnz .LBB39_332
; %bb.329:
	s_mov_b32 s1, exec_lo
	s_branch .LBB39_321
.LBB39_330:
	s_trap 2
	s_sendmsg_rtn_b32 s0, sendmsg(MSG_RTN_GET_DOORBELL)
	s_mov_b32 ttmp2, m0
	s_waitcnt lgkmcnt(0)
	s_and_b32 s0, s0, 0x3ff
	s_delay_alu instid0(SALU_CYCLE_1) | instskip(NEXT) | instid1(SALU_CYCLE_1)
	s_bitset1_b32 s0, 10
	s_mov_b32 m0, s0
	s_sendmsg sendmsg(MSG_INTERRUPT)
	s_mov_b32 m0, ttmp2
.LBB39_331:                             ; =>This Inner Loop Header: Depth=1
	s_sethalt 5
	s_branch .LBB39_331
.LBB39_332:
	s_trap 2
	s_sendmsg_rtn_b32 s0, sendmsg(MSG_RTN_GET_DOORBELL)
	s_mov_b32 ttmp2, m0
	s_waitcnt lgkmcnt(0)
	s_and_b32 s0, s0, 0x3ff
	s_delay_alu instid0(SALU_CYCLE_1) | instskip(NEXT) | instid1(SALU_CYCLE_1)
	s_bitset1_b32 s0, 10
	s_mov_b32 m0, s0
	s_sendmsg sendmsg(MSG_INTERRUPT)
	s_mov_b32 m0, ttmp2
.LBB39_333:                             ; =>This Inner Loop Header: Depth=1
	s_sethalt 5
	s_branch .LBB39_333
	.section	.rodata,"a",@progbits
	.p2align	6, 0x0
	.amdhsa_kernel _ZN2at6native12_GLOBAL__N_114gatherKthValueIslLin1EEEvNS_4cuda6detail10TensorInfoIKT_T0_EES8_S8_S8_S8_NS5_IS6_S8_EENS5_IlS8_EE
		.amdhsa_group_segment_fixed_size 5144
		.amdhsa_private_segment_fixed_size 0
		.amdhsa_kernarg_size 1536
		.amdhsa_user_sgpr_count 13
		.amdhsa_user_sgpr_dispatch_ptr 0
		.amdhsa_user_sgpr_queue_ptr 0
		.amdhsa_user_sgpr_kernarg_segment_ptr 1
		.amdhsa_user_sgpr_dispatch_id 0
		.amdhsa_user_sgpr_private_segment_size 0
		.amdhsa_wavefront_size32 1
		.amdhsa_uses_dynamic_stack 0
		.amdhsa_enable_private_segment 0
		.amdhsa_system_sgpr_workgroup_id_x 1
		.amdhsa_system_sgpr_workgroup_id_y 1
		.amdhsa_system_sgpr_workgroup_id_z 1
		.amdhsa_system_sgpr_workgroup_info 0
		.amdhsa_system_vgpr_workitem_id 0
		.amdhsa_next_free_vgpr 51
		.amdhsa_next_free_sgpr 102
		.amdhsa_reserve_vcc 1
		.amdhsa_float_round_mode_32 0
		.amdhsa_float_round_mode_16_64 0
		.amdhsa_float_denorm_mode_32 3
		.amdhsa_float_denorm_mode_16_64 3
		.amdhsa_dx10_clamp 1
		.amdhsa_ieee_mode 1
		.amdhsa_fp16_overflow 0
		.amdhsa_workgroup_processor_mode 1
		.amdhsa_memory_ordered 1
		.amdhsa_forward_progress 0
		.amdhsa_shared_vgpr_count 0
		.amdhsa_exception_fp_ieee_invalid_op 0
		.amdhsa_exception_fp_denorm_src 0
		.amdhsa_exception_fp_ieee_div_zero 0
		.amdhsa_exception_fp_ieee_overflow 0
		.amdhsa_exception_fp_ieee_underflow 0
		.amdhsa_exception_fp_ieee_inexact 0
		.amdhsa_exception_int_div_zero 0
	.end_amdhsa_kernel
	.section	.text._ZN2at6native12_GLOBAL__N_114gatherKthValueIslLin1EEEvNS_4cuda6detail10TensorInfoIKT_T0_EES8_S8_S8_S8_NS5_IS6_S8_EENS5_IlS8_EE,"axG",@progbits,_ZN2at6native12_GLOBAL__N_114gatherKthValueIslLin1EEEvNS_4cuda6detail10TensorInfoIKT_T0_EES8_S8_S8_S8_NS5_IS6_S8_EENS5_IlS8_EE,comdat
.Lfunc_end39:
	.size	_ZN2at6native12_GLOBAL__N_114gatherKthValueIslLin1EEEvNS_4cuda6detail10TensorInfoIKT_T0_EES8_S8_S8_S8_NS5_IS6_S8_EENS5_IlS8_EE, .Lfunc_end39-_ZN2at6native12_GLOBAL__N_114gatherKthValueIslLin1EEEvNS_4cuda6detail10TensorInfoIKT_T0_EES8_S8_S8_S8_NS5_IS6_S8_EENS5_IlS8_EE
                                        ; -- End function
	.section	.AMDGPU.csdata,"",@progbits
; Kernel info:
; codeLenInByte = 20184
; NumSgprs: 104
; NumVgprs: 51
; ScratchSize: 0
; MemoryBound: 0
; FloatMode: 240
; IeeeMode: 1
; LDSByteSize: 5144 bytes/workgroup (compile time only)
; SGPRBlocks: 12
; VGPRBlocks: 6
; NumSGPRsForWavesPerEU: 104
; NumVGPRsForWavesPerEU: 51
; Occupancy: 16
; WaveLimiterHint : 1
; COMPUTE_PGM_RSRC2:SCRATCH_EN: 0
; COMPUTE_PGM_RSRC2:USER_SGPR: 13
; COMPUTE_PGM_RSRC2:TRAP_HANDLER: 0
; COMPUTE_PGM_RSRC2:TGID_X_EN: 1
; COMPUTE_PGM_RSRC2:TGID_Y_EN: 1
; COMPUTE_PGM_RSRC2:TGID_Z_EN: 1
; COMPUTE_PGM_RSRC2:TIDIG_COMP_CNT: 0
	.section	.text._ZN2at6native12_GLOBAL__N_114gatherKthValueIdiLi1EEEvNS_4cuda6detail10TensorInfoIKT_T0_EES8_S8_S8_S8_NS5_IS6_S8_EENS5_IlS8_EE,"axG",@progbits,_ZN2at6native12_GLOBAL__N_114gatherKthValueIdiLi1EEEvNS_4cuda6detail10TensorInfoIKT_T0_EES8_S8_S8_S8_NS5_IS6_S8_EENS5_IlS8_EE,comdat
	.globl	_ZN2at6native12_GLOBAL__N_114gatherKthValueIdiLi1EEEvNS_4cuda6detail10TensorInfoIKT_T0_EES8_S8_S8_S8_NS5_IS6_S8_EENS5_IlS8_EE ; -- Begin function _ZN2at6native12_GLOBAL__N_114gatherKthValueIdiLi1EEEvNS_4cuda6detail10TensorInfoIKT_T0_EES8_S8_S8_S8_NS5_IS6_S8_EENS5_IlS8_EE
	.p2align	8
	.type	_ZN2at6native12_GLOBAL__N_114gatherKthValueIdiLi1EEEvNS_4cuda6detail10TensorInfoIKT_T0_EES8_S8_S8_S8_NS5_IS6_S8_EENS5_IlS8_EE,@function
_ZN2at6native12_GLOBAL__N_114gatherKthValueIdiLi1EEEvNS_4cuda6detail10TensorInfoIKT_T0_EES8_S8_S8_S8_NS5_IS6_S8_EENS5_IlS8_EE: ; @_ZN2at6native12_GLOBAL__N_114gatherKthValueIdiLi1EEEvNS_4cuda6detail10TensorInfoIKT_T0_EES8_S8_S8_S8_NS5_IS6_S8_EENS5_IlS8_EE
; %bb.0:
	s_clause 0x1
	s_load_b64 s[6:7], s[0:1], 0x298
	s_load_b128 s[36:39], s[0:1], 0xd8
	s_add_u32 s4, s0, 0x298
	s_addc_u32 s5, s1, 0
	s_waitcnt lgkmcnt(0)
	s_mul_i32 s2, s7, s15
	s_delay_alu instid0(SALU_CYCLE_1) | instskip(NEXT) | instid1(SALU_CYCLE_1)
	s_add_i32 s2, s2, s14
	s_mul_i32 s29, s2, s6
	s_delay_alu instid0(SALU_CYCLE_1) | instskip(NEXT) | instid1(SALU_CYCLE_1)
	s_add_i32 s29, s29, s13
	s_cmp_ge_i32 s29, s38
	s_cbranch_scc1 .LBB40_266
; %bb.1:
	s_clause 0x3
	s_load_b64 s[30:31], s[0:1], 0x1c0
	s_load_b64 s[34:35], s[0:1], 0xe8
	s_load_b32 s3, s[0:1], 0x6c
	s_load_b64 s[8:9], s[0:1], 0x0
	v_cmp_eq_u32_e64 s2, 0, v0
	s_mov_b32 s49, 0
	s_delay_alu instid0(VALU_DEP_1)
	s_and_saveexec_b32 s7, s2
	s_cbranch_execz .LBB40_3
; %bb.2:
	v_dual_mov_b32 v1, 0 :: v_dual_mov_b32 v2, s36
	s_delay_alu instid0(VALU_DEP_1)
	v_mov_b32_e32 v3, v1
	ds_store_b96 v1, v[1:3] offset:4096
.LBB40_3:
	s_or_b32 exec_lo, exec_lo, s7
	s_waitcnt lgkmcnt(0)
	s_barrier
	buffer_gl0_inv
	s_load_b32 s7, s[4:5], 0xc
	s_clause 0x1
	s_load_b32 s33, s[0:1], 0x22c
	s_load_b32 s38, s[0:1], 0x154
	s_mul_i32 s0, s3, s29
	v_mbcnt_lo_u32_b32 v23, -1, 0
	s_ashr_i32 s1, s0, 31
	v_cmp_gt_u32_e32 vcc_lo, 32, v0
	s_lshl_b64 s[10:11], s[0:1], 3
	v_mov_b32_e32 v13, 0
	s_add_u32 s46, s8, s10
	s_addc_u32 s47, s9, s11
	v_cmp_gt_i32_e64 s1, 4, v23
	v_mul_lo_u32 v11, v0, s39
	v_dual_mov_b32 v12, v13 :: v_dual_lshlrev_b32 v25, 3, v0
	v_lshrrev_b32_e32 v3, 3, v0
	s_delay_alu instid0(VALU_DEP_4)
	s_and_b32 s51, vcc_lo, s1
	s_mov_b32 s10, s39
	v_cmp_gt_u32_e64 s0, 2, v0
	v_cmp_gt_u32_e64 s1, s36, v0
	s_waitcnt lgkmcnt(0)
	s_and_b32 s48, s7, 0xffff
	s_bfe_u32 s3, s7, 0xb0005
	s_lshl_b32 s50, s48, 2
	s_add_i32 s53, s48, -1
	v_cvt_f32_u32_e32 v1, s50
	s_add_i32 s63, s53, s36
	s_cmpk_gt_i32 s36, 0x180
	v_cvt_f32_u32_e32 v2, s48
	s_cselect_b32 s54, -1, 0
	v_rcp_iflag_f32_e32 v1, v1
	s_cmp_gt_u32 s48, 31
	v_lshlrev_b32_e32 v24, 2, v0
	s_cselect_b32 s55, -1, 0
	s_cmp_lt_u32 s13, s6
	v_rcp_iflag_f32_e32 v2, v2
	s_cselect_b32 s6, 12, 18
	v_lshlrev_b64 v[4:5], 3, v[11:12]
	s_add_u32 s40, s4, s6
	s_addc_u32 s41, s5, 0
	s_waitcnt_depctr 0xfff
	v_mul_f32_e32 v1, 0x4f7ffffe, v1
	s_add_i32 s4, s3, -1
	s_bfe_u32 s56, s48, 0x30005
	s_cmp_gt_u32 s4, 6
	v_add_co_u32 v14, vcc_lo, s46, v4
	v_cvt_u32_f32_e32 v1, v1
	s_cselect_b32 s57, -1, 0
	s_and_b32 s58, s3, 0x7f8
	s_cmp_lg_u32 s56, 0
	v_lshlrev_b32_e32 v32, 2, v11
	v_readfirstlane_b32 s4, v1
	s_cselect_b32 s59, -1, 0
	s_sub_i32 s3, 0, s50
	v_mul_f32_e32 v1, 0x4f7ffffe, v2
	v_and_b32_e32 v28, 0x7c, v3
	s_mul_i32 s5, s3, s4
	v_add_co_ci_u32_e32 v15, vcc_lo, s47, v5, vcc_lo
	v_mov_b32_e32 v5, 0
	s_mul_hi_u32 s5, s4, s5
	v_cvt_u32_f32_e32 v1, v1
	s_add_i32 s60, s4, s5
	v_mad_u64_u32 v[18:19], null, s39, v24, s[10:11]
	s_mul_hi_u32 s5, s36, s60
	v_cmp_gt_i32_e64 s3, s36, v0
	s_mul_i32 s5, s5, s50
	v_cmp_eq_u32_e64 s4, 0, v23
	s_sub_i32 s5, s36, s5
	v_add_nc_u32_e32 v26, 0xc00, v25
	s_sub_i32 s6, s5, s50
	s_cmp_ge_u32 s5, s50
	v_lshlrev_b32_e32 v34, 5, v0
	s_cselect_b32 s5, s6, s5
	v_readfirstlane_b32 s6, v1
	s_sub_i32 s7, s5, s50
	s_cmp_ge_u32 s5, s50
	v_lshlrev_b64 v[1:2], v23, -1
	s_cselect_b32 s9, s7, s5
	v_mov_b32_e32 v6, 0
	s_sub_i32 s61, s36, s9
	s_sub_i32 s5, 0, s48
	v_add_nc_u32_e32 v27, s61, v0
	s_mul_i32 s5, s5, s6
	s_abs_i32 s7, s63
	s_mul_hi_u32 s5, s6, s5
	v_not_b32_e32 v29, v1
	v_mul_lo_u32 v2, v27, s39
	s_add_i32 s62, s6, s5
	v_lshl_or_b32 v35, v23, 2, 0xc00
	s_mul_hi_u32 s5, s7, s62
	s_mul_i32 s52, s39, s48
	s_mul_i32 s5, s5, s48
	s_mov_b64 s[42:43], 0
	s_sub_i32 s5, s7, s5
	v_ashrrev_i32_e32 v3, 31, v2
	s_ashr_i32 s7, s63, 31
	s_sub_i32 s6, s5, s48
	s_cmp_ge_u32 s5, s48
	s_mov_b32 s70, 62
	v_lshlrev_b64 v[1:2], 3, v[2:3]
	s_cselect_b32 s5, s6, s5
	v_or_b32_e32 v3, 3, v24
	s_sub_i32 s6, s5, s48
	s_cmp_ge_u32 s5, s48
	s_mov_b32 s73, 0
	v_add_co_u32 v16, vcc_lo, s46, v1
	v_add3_u32 v1, s48, s36, v0
	s_cselect_b32 s6, s6, s5
	v_add_co_ci_u32_e32 v17, vcc_lo, s47, v2, vcc_lo
	v_or_b32_e32 v2, 2, v24
	s_delay_alu instid0(VALU_DEP_3)
	v_subrev_nc_u32_e32 v1, s9, v1
	s_xor_b32 s8, s6, s7
	v_mul_lo_u32 v31, s39, v3
	s_sub_i32 s7, s7, s8
	v_mul_lo_u32 v30, s39, v2
	v_mul_lo_u32 v33, s39, v1
	s_add_i32 s63, s63, s7
	v_cmp_gt_i32_e64 s5, s61, v24
	v_cmp_gt_u32_e64 s6, s36, v27
	v_cmp_gt_i32_e64 s7, s36, v27
	v_cmp_gt_i32_e64 s8, s63, v0
	v_mov_b32_e32 v2, 0x3ff00000
	s_lshl_b32 s64, s52, 2
	s_lshl_b32 s65, s48, 5
	s_lshl_b32 s66, s48, 3
	s_mov_b64 s[44:45], 0
                                        ; implicit-def: $sgpr67
                                        ; implicit-def: $sgpr69
                                        ; implicit-def: $sgpr68
                                        ; implicit-def: $sgpr72
                                        ; implicit-def: $sgpr74
                                        ; implicit-def: $sgpr71
	s_branch .LBB40_8
.LBB40_4:                               ;   in Loop: Header=BB40_8 Depth=1
	s_xor_b32 s73, s73, 1
	s_add_i32 s12, s70, -2
	s_cmp_eq_u32 s70, 0
	s_mov_b32 s9, 0
	s_cselect_b32 s11, -1, 0
	s_mov_b32 s70, s12
.LBB40_5:                               ;   in Loop: Header=BB40_8 Depth=1
	s_and_not1_b32 s12, s24, exec_lo
	s_and_b32 s9, s9, exec_lo
	s_and_not1_b32 s25, s25, exec_lo
	s_or_b32 s24, s12, s9
	s_and_not1_b32 s23, s23, exec_lo
	s_or_not1_b32 s20, s11, exec_lo
	s_mov_b32 s37, s28
.LBB40_6:                               ;   in Loop: Header=BB40_8 Depth=1
	s_or_b32 exec_lo, exec_lo, s10
	s_delay_alu instid0(SALU_CYCLE_1)
	s_and_not1_b32 s9, s71, exec_lo
	s_and_b32 s10, s24, exec_lo
	s_and_not1_b32 s11, s72, exec_lo
	s_or_b32 s71, s9, s10
	s_and_not1_b32 s9, s74, exec_lo
	s_and_b32 s10, s25, exec_lo
	s_and_b32 s12, s23, exec_lo
	s_or_b32 s74, s9, s10
	s_or_b32 s72, s11, s12
	s_or_not1_b32 s14, s20, exec_lo
.LBB40_7:                               ;   in Loop: Header=BB40_8 Depth=1
	s_or_b32 exec_lo, exec_lo, s19
	s_delay_alu instid0(SALU_CYCLE_1)
	s_and_b32 s9, exec_lo, s14
	v_dual_mov_b32 v3, s42 :: v_dual_mov_b32 v4, s43
	s_or_b32 s49, s9, s49
	s_and_not1_b32 s9, s68, exec_lo
	s_and_b32 s10, s71, exec_lo
	s_and_not1_b32 s11, s67, exec_lo
	s_or_b32 s68, s9, s10
	s_and_not1_b32 s9, s69, exec_lo
	s_and_b32 s10, s74, exec_lo
	s_and_b32 s12, s72, exec_lo
	s_or_b32 s69, s9, s10
	s_or_b32 s67, s11, s12
	s_and_not1_b32 exec_lo, exec_lo, s49
	s_cbranch_execz .LBB40_242
.LBB40_8:                               ; =>This Loop Header: Depth=1
                                        ;     Child Loop BB40_16 Depth 2
                                        ;     Child Loop BB40_35 Depth 2
                                        ;     Child Loop BB40_59 Depth 2
                                        ;     Child Loop BB40_63 Depth 2
                                        ;     Child Loop BB40_45 Depth 2
                                        ;     Child Loop BB40_52 Depth 2
                                        ;     Child Loop BB40_72 Depth 2
                                        ;     Child Loop BB40_76 Depth 2
                                        ;     Child Loop BB40_97 Depth 2
                                        ;     Child Loop BB40_85 Depth 2
                                        ;     Child Loop BB40_136 Depth 2
                                        ;     Child Loop BB40_124 Depth 2
                                        ;     Child Loop BB40_175 Depth 2
                                        ;     Child Loop BB40_163 Depth 2
                                        ;     Child Loop BB40_214 Depth 2
                                        ;     Child Loop BB40_202 Depth 2
	ds_load_b64 v[3:4], v13 offset:4096
	s_waitcnt lgkmcnt(0)
	v_readfirstlane_b32 s75, v3
	s_delay_alu instid0(VALU_DEP_1)
	s_cmp_gt_i32 s75, 0
	s_cbranch_scc1 .LBB40_42
; %bb.9:                                ;   in Loop: Header=BB40_8 Depth=1
	s_and_b32 vcc_lo, exec_lo, s54
	s_cbranch_vccz .LBB40_24
; %bb.10:                               ;   in Loop: Header=BB40_8 Depth=1
	v_cmp_gt_i32_e32 vcc_lo, 0x181, v4
	s_mov_b32 s10, 0
	s_mov_b32 s9, 0
	s_cbranch_vccz .LBB40_29
; %bb.11:                               ;   in Loop: Header=BB40_8 Depth=1
	v_mov_b32_e32 v3, 0
	v_mov_b32_e32 v4, 0
	s_and_saveexec_b32 s9, s1
	s_cbranch_execz .LBB40_13
; %bb.12:                               ;   in Loop: Header=BB40_8 Depth=1
	global_load_b64 v[3:4], v[14:15], off
.LBB40_13:                              ;   in Loop: Header=BB40_8 Depth=1
	s_or_b32 exec_lo, exec_lo, s9
	s_and_saveexec_b32 s11, s1
	s_cbranch_execz .LBB40_25
; %bb.14:                               ;   in Loop: Header=BB40_8 Depth=1
	global_load_u16 v1, v13, s[40:41]
	v_mov_b32_e32 v10, v0
	s_mov_b32 s12, 0
	s_waitcnt vmcnt(0)
	v_add_nc_u32_e32 v7, v0, v1
	v_mul_lo_u32 v9, s39, v1
	s_delay_alu instid0(VALU_DEP_2)
	v_mul_lo_u32 v12, s39, v7
	s_branch .LBB40_16
.LBB40_15:                              ;   in Loop: Header=BB40_16 Depth=2
	s_or_b32 exec_lo, exec_lo, s9
	v_cmp_le_i32_e32 vcc_lo, s36, v10
	s_waitcnt vmcnt(0)
	v_dual_mov_b32 v3, v7 :: v_dual_add_nc_u32 v12, v12, v9
	v_mov_b32_e32 v4, v8
	s_or_b32 s12, vcc_lo, s12
	s_delay_alu instid0(SALU_CYCLE_1)
	s_and_not1_b32 exec_lo, exec_lo, s12
	s_cbranch_execz .LBB40_25
.LBB40_16:                              ;   Parent Loop BB40_8 Depth=1
                                        ; =>  This Inner Loop Header: Depth=2
	v_dual_mov_b32 v7, 0 :: v_dual_add_nc_u32 v10, v10, v1
	v_mov_b32_e32 v8, 0
	s_mov_b32 s9, exec_lo
	s_delay_alu instid0(VALU_DEP_2)
	v_cmpx_gt_u32_e64 s36, v10
	s_cbranch_execz .LBB40_18
; %bb.17:                               ;   in Loop: Header=BB40_16 Depth=2
	s_delay_alu instid0(VALU_DEP_4) | instskip(NEXT) | instid1(VALU_DEP_1)
	v_lshlrev_b64 v[7:8], 3, v[12:13]
	v_add_co_u32 v7, vcc_lo, s46, v7
	s_delay_alu instid0(VALU_DEP_2)
	v_add_co_ci_u32_e32 v8, vcc_lo, s47, v8, vcc_lo
	global_load_b64 v[7:8], v[7:8], off
.LBB40_18:                              ;   in Loop: Header=BB40_16 Depth=2
	s_or_b32 exec_lo, exec_lo, s9
	v_cmp_o_f64_e32 vcc_lo, v[3:4], v[3:4]
	s_waitcnt lgkmcnt(0)
	v_ashrrev_i32_e32 v19, 31, v4
	s_delay_alu instid0(VALU_DEP_1) | instskip(SKIP_1) | instid1(VALU_DEP_2)
	v_or_b32_e32 v20, 0x80000000, v19
	v_xor_b32_e32 v19, v19, v3
	v_xor_b32_e32 v20, v20, v4
	s_delay_alu instid0(VALU_DEP_1) | instskip(NEXT) | instid1(VALU_DEP_1)
	v_dual_cndmask_b32 v20, -1, v20 :: v_dual_cndmask_b32 v19, -1, v19
	v_and_b32_e32 v20, s45, v20
	s_delay_alu instid0(VALU_DEP_2) | instskip(NEXT) | instid1(VALU_DEP_1)
	v_and_b32_e32 v19, s44, v19
	v_cmp_eq_u64_e32 vcc_lo, s[42:43], v[19:20]
	v_mov_b32_e32 v19, 0
	s_cmp_lg_u32 vcc_lo, 0
	s_cselect_b32 s9, -1, 0
	s_delay_alu instid0(SALU_CYCLE_1) | instskip(NEXT) | instid1(SALU_CYCLE_1)
	s_and_b32 s9, s4, s9
	s_and_saveexec_b32 s13, s9
	s_cbranch_execz .LBB40_22
; %bb.19:                               ;   in Loop: Header=BB40_16 Depth=2
	s_mov_b32 s16, exec_lo
	s_bcnt1_i32_b32 s14, vcc_lo
	v_mbcnt_lo_u32_b32 v19, s16, 0
	s_mov_b32 s15, exec_lo
                                        ; implicit-def: $vgpr20
	s_delay_alu instid0(VALU_DEP_1)
	v_cmpx_eq_u32_e32 0, v19
	s_cbranch_execz .LBB40_21
; %bb.20:                               ;   in Loop: Header=BB40_16 Depth=2
	s_bcnt1_i32_b32 s9, s16
	s_delay_alu instid0(SALU_CYCLE_1) | instskip(NEXT) | instid1(SALU_CYCLE_1)
	s_mul_i32 s9, s14, s9
	v_mov_b32_e32 v20, s9
	ds_add_rtn_u32 v20, v13, v20 offset:4104
.LBB40_21:                              ;   in Loop: Header=BB40_16 Depth=2
	s_or_b32 exec_lo, exec_lo, s15
	s_waitcnt lgkmcnt(0)
	v_readfirstlane_b32 s9, v20
	s_delay_alu instid0(VALU_DEP_1)
	v_mad_u32_u24 v19, s14, v19, s9
.LBB40_22:                              ;   in Loop: Header=BB40_16 Depth=2
	s_or_b32 exec_lo, exec_lo, s13
	ds_bpermute_b32 v19, v13, v19
	s_and_saveexec_b32 s9, vcc_lo
	s_cbranch_execz .LBB40_15
; %bb.23:                               ;   in Loop: Header=BB40_16 Depth=2
	v_and_b32_e32 v20, vcc_lo, v29
	s_delay_alu instid0(VALU_DEP_1) | instskip(NEXT) | instid1(VALU_DEP_1)
	v_bcnt_u32_b32 v20, v20, 0
	v_lshlrev_b32_e32 v20, 3, v20
	s_waitcnt lgkmcnt(0)
	s_delay_alu instid0(VALU_DEP_1)
	v_lshl_add_u32 v19, v19, 3, v20
	ds_store_b64 v19, v[3:4]
	s_branch .LBB40_15
.LBB40_24:                              ;   in Loop: Header=BB40_8 Depth=1
	s_mov_b32 s10, -1
	s_mov_b32 s9, 0
	s_branch .LBB40_28
.LBB40_25:                              ;   in Loop: Header=BB40_8 Depth=1
	s_or_b32 exec_lo, exec_lo, s11
	s_waitcnt vmcnt(0) lgkmcnt(0)
	s_barrier
	buffer_gl0_inv
	s_and_saveexec_b32 s9, s2
	s_cbranch_execz .LBB40_27
; %bb.26:                               ;   in Loop: Header=BB40_8 Depth=1
	ds_load_b32 v1, v13 offset:4104
	s_waitcnt lgkmcnt(0)
	ds_store_b32 v13, v1 offset:4096
.LBB40_27:                              ;   in Loop: Header=BB40_8 Depth=1
	s_or_b32 exec_lo, exec_lo, s9
	s_waitcnt lgkmcnt(0)
	s_mov_b32 s9, -1
	s_barrier
.LBB40_28:                              ;   in Loop: Header=BB40_8 Depth=1
                                        ; implicit-def: $sgpr75
.LBB40_29:                              ;   in Loop: Header=BB40_8 Depth=1
	s_and_b32 vcc_lo, exec_lo, s10
	s_cbranch_vccz .LBB40_40
; %bb.30:                               ;   in Loop: Header=BB40_8 Depth=1
	v_mov_b32_e32 v3, 0
	v_mov_b32_e32 v4, 0
	s_and_saveexec_b32 s9, s1
	s_cbranch_execz .LBB40_32
; %bb.31:                               ;   in Loop: Header=BB40_8 Depth=1
	global_load_b64 v[3:4], v[14:15], off
.LBB40_32:                              ;   in Loop: Header=BB40_8 Depth=1
	s_or_b32 exec_lo, exec_lo, s9
	s_and_saveexec_b32 s9, s3
	s_cbranch_execz .LBB40_37
; %bb.33:                               ;   in Loop: Header=BB40_8 Depth=1
	global_load_u16 v1, v13, s[40:41]
	v_mov_b32_e32 v20, v0
	s_mov_b32 s10, 0
	v_mov_b32_e32 v19, v25
	s_waitcnt vmcnt(0)
	v_add_nc_u32_e32 v7, v0, v1
	v_mul_lo_u32 v9, s39, v1
	v_lshlrev_b32_e32 v10, 3, v1
	s_delay_alu instid0(VALU_DEP_3)
	v_mul_lo_u32 v12, s39, v7
	s_set_inst_prefetch_distance 0x1
	s_branch .LBB40_35
	.p2align	6
.LBB40_34:                              ;   in Loop: Header=BB40_35 Depth=2
	s_or_b32 exec_lo, exec_lo, s11
	v_cmp_le_i32_e32 vcc_lo, s36, v20
	ds_store_b64 v19, v[3:4]
	s_waitcnt vmcnt(0)
	v_dual_mov_b32 v3, v7 :: v_dual_add_nc_u32 v12, v12, v9
	v_dual_mov_b32 v4, v8 :: v_dual_add_nc_u32 v19, v19, v10
	s_or_b32 s10, vcc_lo, s10
	s_delay_alu instid0(SALU_CYCLE_1)
	s_and_not1_b32 exec_lo, exec_lo, s10
	s_cbranch_execz .LBB40_37
.LBB40_35:                              ;   Parent Loop BB40_8 Depth=1
                                        ; =>  This Inner Loop Header: Depth=2
	v_dual_mov_b32 v7, 0 :: v_dual_add_nc_u32 v20, v20, v1
	v_mov_b32_e32 v8, 0
	s_mov_b32 s11, exec_lo
	s_delay_alu instid0(VALU_DEP_2)
	v_cmpx_gt_u32_e64 s36, v20
	s_cbranch_execz .LBB40_34
; %bb.36:                               ;   in Loop: Header=BB40_35 Depth=2
	v_lshlrev_b64 v[7:8], 3, v[12:13]
	s_delay_alu instid0(VALU_DEP_1) | instskip(NEXT) | instid1(VALU_DEP_2)
	v_add_co_u32 v7, vcc_lo, s46, v7
	v_add_co_ci_u32_e32 v8, vcc_lo, s47, v8, vcc_lo
	global_load_b64 v[7:8], v[7:8], off
	s_branch .LBB40_34
.LBB40_37:                              ;   in Loop: Header=BB40_8 Depth=1
	s_set_inst_prefetch_distance 0x2
	s_or_b32 exec_lo, exec_lo, s9
	s_waitcnt vmcnt(0) lgkmcnt(0)
	s_barrier
	buffer_gl0_inv
	s_and_saveexec_b32 s9, s2
	s_cbranch_execz .LBB40_39
; %bb.38:                               ;   in Loop: Header=BB40_8 Depth=1
	v_mov_b32_e32 v1, s36
	ds_store_b32 v13, v1 offset:4096
.LBB40_39:                              ;   in Loop: Header=BB40_8 Depth=1
	s_or_b32 exec_lo, exec_lo, s9
	s_mov_b32 s9, -1
	s_waitcnt lgkmcnt(0)
	s_barrier
                                        ; implicit-def: $sgpr75
.LBB40_40:                              ;   in Loop: Header=BB40_8 Depth=1
	s_and_b32 vcc_lo, exec_lo, s9
	s_cbranch_vccz .LBB40_42
; %bb.41:                               ;   in Loop: Header=BB40_8 Depth=1
	buffer_gl0_inv
	ds_load_b32 v1, v13 offset:4096
	s_waitcnt lgkmcnt(0)
	v_readfirstlane_b32 s75, v1
.LBB40_42:                              ;   in Loop: Header=BB40_8 Depth=1
	s_delay_alu instid0(VALU_DEP_1)
	s_cmp_lt_i32 s75, 1
	s_cbranch_scc0 .LBB40_54
; %bb.43:                               ;   in Loop: Header=BB40_8 Depth=1
	v_dual_mov_b32 v7, 0 :: v_dual_mov_b32 v8, 0
	v_dual_mov_b32 v9, 0 :: v_dual_mov_b32 v10, 0
	s_mov_b32 s77, 0
	s_and_saveexec_b32 s76, s5
	s_cbranch_execz .LBB40_47
; %bb.44:                               ;   in Loop: Header=BB40_8 Depth=1
	v_mov_b32_e32 v1, v24
	s_and_b32 s78, s70, 0xfe
	s_mov_b32 s79, 0
	s_mov_b32 s80, 0
	;; [unrolled: 1-line block ×5, first 2 shown]
.LBB40_45:                              ;   Parent Loop BB40_8 Depth=1
                                        ; =>  This Inner Loop Header: Depth=2
	v_add_nc_u32_e32 v3, s79, v32
	v_add_nc_u32_e32 v7, s79, v18
	;; [unrolled: 1-line block ×5, first 2 shown]
	v_ashrrev_i32_e32 v4, 31, v3
	v_ashrrev_i32_e32 v8, 31, v7
	;; [unrolled: 1-line block ×4, first 2 shown]
	s_add_i32 s79, s79, s64
	v_lshlrev_b64 v[3:4], 3, v[3:4]
	v_lshlrev_b64 v[7:8], 3, v[7:8]
	;; [unrolled: 1-line block ×4, first 2 shown]
	s_delay_alu instid0(VALU_DEP_4)
	v_add_co_u32 v3, vcc_lo, s46, v3
	v_add_co_ci_u32_e32 v4, vcc_lo, s47, v4, vcc_lo
	v_add_co_u32 v7, vcc_lo, s46, v7
	v_add_co_ci_u32_e32 v8, vcc_lo, s47, v8, vcc_lo
	;; [unrolled: 2-line block ×4, first 2 shown]
	s_clause 0x3
	global_load_b64 v[3:4], v[3:4], off
	global_load_b64 v[7:8], v[7:8], off
	;; [unrolled: 1-line block ×4, first 2 shown]
	v_cmp_le_i32_e32 vcc_lo, s61, v1
	s_waitcnt vmcnt(3)
	v_cmp_o_f64_e64 s10, v[3:4], v[3:4]
	s_waitcnt vmcnt(2)
	v_cmp_o_f64_e64 s9, v[7:8], v[7:8]
	;; [unrolled: 2-line block ×4, first 2 shown]
	v_ashrrev_i32_e32 v12, 31, v4
	v_ashrrev_i32_e32 v38, 31, v20
	;; [unrolled: 1-line block ×4, first 2 shown]
	s_delay_alu instid0(VALU_DEP_4) | instskip(NEXT) | instid1(VALU_DEP_4)
	v_or_b32_e32 v40, 0x80000000, v12
	v_or_b32_e32 v43, 0x80000000, v38
	s_delay_alu instid0(VALU_DEP_4) | instskip(NEXT) | instid1(VALU_DEP_4)
	v_or_b32_e32 v41, 0x80000000, v22
	v_or_b32_e32 v42, 0x80000000, v36
	v_xor_b32_e32 v12, v12, v3
	v_xor_b32_e32 v40, v40, v4
	;; [unrolled: 1-line block ×8, first 2 shown]
	v_cndmask_b32_e64 v4, -1, v40, s10
	v_cndmask_b32_e64 v8, -1, v41, s9
	;; [unrolled: 1-line block ×7, first 2 shown]
	v_mov_b32_e32 v21, v13
	v_and_b32_e32 v41, s45, v4
	v_and_b32_e32 v40, s44, v3
	v_lshrrev_b64 v[3:4], s78, v[3:4]
	v_cndmask_b32_e64 v19, -1, v38, s12
	v_dual_mov_b32 v37, v13 :: v_dual_and_b32 v42, s44, v7
	v_and_b32_e32 v43, s45, v8
	v_lshrrev_b64 v[7:8], s78, v[7:8]
	v_dual_mov_b32 v39, v13 :: v_dual_and_b32 v44, s44, v9
	v_lshrrev_b64 v[8:9], s78, v[9:10]
	v_and_b32_e32 v45, s45, v10
	v_lshrrev_b64 v[9:10], s78, v[19:20]
	v_and_b32_e32 v12, 3, v3
	v_and_b32_e32 v47, s45, v20
	;; [unrolled: 1-line block ×4, first 2 shown]
	v_cmp_eq_u64_e64 s9, s[42:43], v[40:41]
	v_cmp_eq_u64_e64 s13, 0, v[12:13]
	v_and_b32_e32 v46, s44, v19
	v_and_b32_e32 v38, 3, v9
	v_cmp_eq_u64_e64 s10, s[42:43], v[42:43]
	v_cmp_eq_u64_e64 s14, 0, v[20:21]
	;; [unrolled: 1-line block ×6, first 2 shown]
	s_and_b32 s13, s9, s13
	v_cmp_eq_u64_e64 s17, 1, v[12:13]
	v_cndmask_b32_e64 v3, 0, 1, s13
	s_and_b32 s13, s10, s14
	v_cmp_eq_u64_e64 s18, 1, v[20:21]
	v_cndmask_b32_e64 v4, 0, 1, s13
	;; [unrolled: 3-line block ×4, first 2 shown]
	s_and_b32 s13, s9, s17
	v_cmp_eq_u64_e64 s21, 2, v[12:13]
	v_cmp_eq_u64_e64 s25, 3, v[12:13]
	v_cndmask_b32_e64 v9, 0, 1, s13
	s_and_b32 s13, s10, s18
	v_cmp_eq_u64_e64 s22, 2, v[20:21]
	v_cmp_eq_u64_e64 s26, 3, v[20:21]
	v_cndmask_b32_e64 v10, 0, 1, s13
	;; [unrolled: 4-line block ×4, first 2 shown]
	s_and_b32 s13, s9, s21
	s_and_b32 s9, s9, s25
	v_cndmask_b32_e64 v20, 0, 1, s13
	s_and_b32 s13, s10, s22
	v_cndmask_b32_e64 v37, 0, 1, s9
	s_and_b32 s9, s10, s26
	v_cndmask_b32_e64 v21, 0, 1, s13
	s_and_b32 s13, s11, s23
	v_cndmask_b32_e64 v38, 0, 1, s9
	s_and_b32 s9, s11, s27
	v_cndmask_b32_e64 v22, 0, 1, s13
	s_and_b32 s13, s12, s24
	v_cndmask_b32_e64 v39, 0, 1, s9
	s_and_b32 s9, s12, s28
	v_cndmask_b32_e64 v36, 0, 1, s13
	v_cndmask_b32_e64 v40, 0, 1, s9
	v_cmp_ne_u32_e64 s9, 0, v3
	v_cmp_ne_u32_e64 s13, 0, v9
	;; [unrolled: 1-line block ×12, first 2 shown]
	s_bcnt1_i32_b32 s9, s9
	s_bcnt1_i32_b32 s13, s13
	;; [unrolled: 1-line block ×4, first 2 shown]
	v_cmp_ne_u32_e64 s12, 0, v8
	v_cmp_ne_u32_e64 s16, 0, v19
	;; [unrolled: 1-line block ×4, first 2 shown]
	s_bcnt1_i32_b32 s10, s10
	s_bcnt1_i32_b32 s14, s14
	s_bcnt1_i32_b32 s18, s18
	s_bcnt1_i32_b32 s22, s22
	s_add_i32 s9, s9, s83
	s_add_i32 s13, s13, s82
	s_add_i32 s17, s17, s81
	s_add_i32 s21, s21, s80
	s_bcnt1_i32_b32 s11, s11
	s_bcnt1_i32_b32 s15, s15
	s_bcnt1_i32_b32 s19, s19
	s_bcnt1_i32_b32 s23, s23
	s_add_i32 s9, s9, s10
	s_add_i32 s10, s13, s14
	s_add_i32 s13, s17, s18
	s_add_i32 s14, s21, s22
	;; [unrolled: 8-line block ×3, first 2 shown]
	s_add_i32 s83, s9, s12
	s_add_i32 s82, s10, s16
	v_mov_b32_e32 v7, s83
	s_add_i32 s81, s11, s20
	s_add_i32 s80, s13, s24
	v_dual_mov_b32 v8, s82 :: v_dual_mov_b32 v9, s81
	v_mov_b32_e32 v10, s80
	s_or_b32 s77, vcc_lo, s77
	s_delay_alu instid0(SALU_CYCLE_1)
	s_and_not1_b32 exec_lo, exec_lo, s77
	s_cbranch_execnz .LBB40_45
; %bb.46:                               ;   in Loop: Header=BB40_8 Depth=1
	s_or_b32 exec_lo, exec_lo, s77
.LBB40_47:                              ;   in Loop: Header=BB40_8 Depth=1
	s_delay_alu instid0(SALU_CYCLE_1)
	s_or_b32 exec_lo, exec_lo, s76
	v_mov_b32_e32 v21, 0
	v_mov_b32_e32 v22, 0
	s_and_saveexec_b32 s9, s6
	s_cbranch_execz .LBB40_49
; %bb.48:                               ;   in Loop: Header=BB40_8 Depth=1
	global_load_b64 v[21:22], v[16:17], off
.LBB40_49:                              ;   in Loop: Header=BB40_8 Depth=1
	s_or_b32 exec_lo, exec_lo, s9
	s_and_saveexec_b32 s13, s7
	s_cbranch_execz .LBB40_56
; %bb.50:                               ;   in Loop: Header=BB40_8 Depth=1
	v_mov_b32_e32 v3, v33
	v_mov_b32_e32 v1, v27
	s_and_b32 s15, s70, 0xfe
	s_mov_b32 s14, 0
	s_branch .LBB40_52
.LBB40_51:                              ;   in Loop: Header=BB40_52 Depth=2
	s_or_b32 exec_lo, exec_lo, s9
	s_waitcnt vmcnt(0)
	v_cmp_o_f64_e32 vcc_lo, v[21:22], v[21:22]
	v_ashrrev_i32_e32 v4, 31, v22
	v_add_nc_u32_e32 v3, s52, v3
	s_delay_alu instid0(VALU_DEP_2) | instskip(SKIP_1) | instid1(VALU_DEP_2)
	v_or_b32_e32 v12, 0x80000000, v4
	v_xor_b32_e32 v4, v4, v21
	v_xor_b32_e32 v12, v12, v22
	s_delay_alu instid0(VALU_DEP_2) | instskip(NEXT) | instid1(VALU_DEP_2)
	v_cndmask_b32_e32 v21, -1, v4, vcc_lo
	v_cndmask_b32_e32 v22, -1, v12, vcc_lo
	s_delay_alu instid0(VALU_DEP_1) | instskip(SKIP_2) | instid1(VALU_DEP_3)
	v_lshrrev_b64 v[36:37], s15, v[21:22]
	v_and_b32_e32 v21, s44, v21
	v_and_b32_e32 v22, s45, v22
	;; [unrolled: 1-line block ×3, first 2 shown]
	s_delay_alu instid0(VALU_DEP_2) | instskip(NEXT) | instid1(VALU_DEP_2)
	v_cmp_eq_u64_e32 vcc_lo, s[42:43], v[21:22]
	v_cmp_eq_u64_e64 s9, 0, v[12:13]
	v_cmp_eq_u64_e64 s10, 1, v[12:13]
	;; [unrolled: 1-line block ×4, first 2 shown]
	s_delay_alu instid0(VALU_DEP_4) | instskip(NEXT) | instid1(SALU_CYCLE_1)
	s_and_b32 s9, vcc_lo, s9
	v_cndmask_b32_e64 v4, 0, 1, s9
	s_delay_alu instid0(VALU_DEP_4) | instskip(NEXT) | instid1(SALU_CYCLE_1)
	s_and_b32 s9, vcc_lo, s10
	v_cndmask_b32_e64 v12, 0, 1, s9
	s_and_b32 s9, vcc_lo, s11
	s_delay_alu instid0(SALU_CYCLE_1)
	v_cndmask_b32_e64 v21, 0, 1, s9
	s_and_b32 s9, vcc_lo, s12
	v_cmp_ne_u32_e32 vcc_lo, 0, v4
	v_cndmask_b32_e64 v22, 0, 1, s9
	v_cmp_ne_u32_e64 s9, 0, v12
	v_cmp_ne_u32_e64 s10, 0, v21
	v_cmp_le_i32_e64 s12, s36, v1
	s_bcnt1_i32_b32 s16, vcc_lo
	v_cmp_ne_u32_e64 s11, 0, v22
	s_bcnt1_i32_b32 s9, s9
	s_bcnt1_i32_b32 s10, s10
	v_dual_mov_b32 v22, v20 :: v_dual_mov_b32 v21, v19
	s_delay_alu instid0(VALU_DEP_2)
	s_bcnt1_i32_b32 s11, s11
	v_add_nc_u32_e32 v7, s16, v7
	v_add_nc_u32_e32 v8, s9, v8
	;; [unrolled: 1-line block ×4, first 2 shown]
	s_or_b32 s14, s12, s14
	s_delay_alu instid0(SALU_CYCLE_1)
	s_and_not1_b32 exec_lo, exec_lo, s14
	s_cbranch_execz .LBB40_55
.LBB40_52:                              ;   Parent Loop BB40_8 Depth=1
                                        ; =>  This Inner Loop Header: Depth=2
	v_mov_b32_e32 v19, 0
	v_dual_mov_b32 v20, 0 :: v_dual_add_nc_u32 v1, s48, v1
	s_mov_b32 s9, exec_lo
	s_delay_alu instid0(VALU_DEP_1)
	v_cmpx_gt_u32_e64 s36, v1
	s_cbranch_execz .LBB40_51
; %bb.53:                               ;   in Loop: Header=BB40_52 Depth=2
	v_ashrrev_i32_e32 v4, 31, v3
	s_delay_alu instid0(VALU_DEP_1) | instskip(NEXT) | instid1(VALU_DEP_1)
	v_lshlrev_b64 v[19:20], 3, v[3:4]
	v_add_co_u32 v19, vcc_lo, s46, v19
	s_delay_alu instid0(VALU_DEP_2)
	v_add_co_ci_u32_e32 v20, vcc_lo, s47, v20, vcc_lo
	global_load_b64 v[19:20], v[19:20], off
	s_branch .LBB40_51
.LBB40_54:                              ;   in Loop: Header=BB40_8 Depth=1
                                        ; implicit-def: $vgpr10
	s_cbranch_execnz .LBB40_57
	s_branch .LBB40_66
.LBB40_55:                              ;   in Loop: Header=BB40_8 Depth=1
	s_or_b32 exec_lo, exec_lo, s14
.LBB40_56:                              ;   in Loop: Header=BB40_8 Depth=1
	s_delay_alu instid0(SALU_CYCLE_1)
	s_or_b32 exec_lo, exec_lo, s13
	s_branch .LBB40_66
.LBB40_57:                              ;   in Loop: Header=BB40_8 Depth=1
	s_mul_hi_u32 s9, s75, s60
	v_dual_mov_b32 v7, 0 :: v_dual_mov_b32 v8, 0
	s_mul_i32 s9, s9, s50
	v_dual_mov_b32 v9, 0 :: v_dual_mov_b32 v10, 0
	s_sub_i32 s9, s75, s9
	s_mov_b32 s78, 0
	s_sub_i32 s10, s9, s50
	s_cmp_ge_u32 s9, s50
	s_mov_b32 s77, exec_lo
	s_cselect_b32 s9, s10, s9
	s_delay_alu instid0(SALU_CYCLE_1) | instskip(SKIP_2) | instid1(SALU_CYCLE_1)
	s_sub_i32 s10, s9, s50
	s_cmp_ge_u32 s9, s50
	s_cselect_b32 s9, s10, s9
	s_sub_i32 s76, s75, s9
	s_delay_alu instid0(SALU_CYCLE_1)
	v_cmpx_gt_u32_e64 s76, v24
	s_cbranch_execz .LBB40_61
; %bb.58:                               ;   in Loop: Header=BB40_8 Depth=1
	v_mov_b32_e32 v1, v34
	v_mov_b32_e32 v3, v24
	s_and_b32 s79, s70, 0xfe
	s_mov_b32 s80, 0
	s_mov_b32 s81, 0
	;; [unrolled: 1-line block ×4, first 2 shown]
.LBB40_59:                              ;   Parent Loop BB40_8 Depth=1
                                        ; =>  This Inner Loop Header: Depth=2
	ds_load_b128 v[7:10], v1
	s_waitcnt vmcnt(0)
	ds_load_b128 v[19:22], v1 offset:16
	s_waitcnt lgkmcnt(1)
	v_cmp_o_f64_e64 s10, v[7:8], v[7:8]
	s_waitcnt lgkmcnt(0)
	v_cmp_o_f64_e64 s12, v[21:22], v[21:22]
	v_cmp_o_f64_e64 s9, v[9:10], v[9:10]
	;; [unrolled: 1-line block ×3, first 2 shown]
	v_ashrrev_i32_e32 v4, 31, v8
	v_ashrrev_i32_e32 v38, 31, v22
	;; [unrolled: 1-line block ×4, first 2 shown]
	s_delay_alu instid0(VALU_DEP_4) | instskip(NEXT) | instid1(VALU_DEP_4)
	v_or_b32_e32 v40, 0x80000000, v4
	v_or_b32_e32 v44, 0x80000000, v38
	s_delay_alu instid0(VALU_DEP_4) | instskip(NEXT) | instid1(VALU_DEP_4)
	v_or_b32_e32 v42, 0x80000000, v12
	v_or_b32_e32 v43, 0x80000000, v36
	v_xor_b32_e32 v4, v4, v7
	v_xor_b32_e32 v40, v40, v8
	;; [unrolled: 1-line block ×8, first 2 shown]
	v_cndmask_b32_e64 v8, -1, v40, s10
	v_cndmask_b32_e64 v22, -1, v7, s12
	;; [unrolled: 1-line block ×7, first 2 shown]
	v_dual_mov_b32 v37, v13 :: v_dual_and_b32 v42, s44, v7
	v_and_b32_e32 v43, s45, v8
	v_lshrrev_b64 v[7:8], s79, v[7:8]
	v_cndmask_b32_e64 v21, -1, v38, s12
	v_dual_mov_b32 v39, v13 :: v_dual_and_b32 v44, s44, v9
	v_lshrrev_b64 v[8:9], s79, v[9:10]
	v_and_b32_e32 v45, s45, v10
	v_lshrrev_b64 v[9:10], s79, v[19:20]
	v_dual_mov_b32 v41, v13 :: v_dual_and_b32 v46, s44, v19
	v_and_b32_e32 v47, s45, v20
	v_lshrrev_b64 v[19:20], s79, v[21:22]
	v_and_b32_e32 v12, 3, v7
	v_and_b32_e32 v36, 3, v8
	v_and_b32_e32 v38, 3, v9
	v_cmp_eq_u64_e64 s9, s[42:43], v[42:43]
	v_and_b32_e32 v49, s45, v22
	v_cmp_eq_u64_e64 s13, 0, v[12:13]
	v_and_b32_e32 v48, s44, v21
	v_and_b32_e32 v40, 3, v19
	v_cmp_eq_u64_e64 s10, s[42:43], v[44:45]
	v_cmp_eq_u64_e64 s14, 0, v[36:37]
	;; [unrolled: 1-line block ×6, first 2 shown]
	s_and_b32 s13, s9, s13
	v_cmp_eq_u64_e64 s17, 1, v[12:13]
	v_cndmask_b32_e64 v4, 0, 1, s13
	s_and_b32 s13, s10, s14
	v_cmp_eq_u64_e64 s18, 1, v[36:37]
	v_cndmask_b32_e64 v7, 0, 1, s13
	;; [unrolled: 3-line block ×4, first 2 shown]
	s_and_b32 s13, s9, s17
	v_cmp_eq_u64_e64 s21, 2, v[12:13]
	v_cmp_eq_u64_e64 s25, 3, v[12:13]
	v_cndmask_b32_e64 v10, 0, 1, s13
	s_and_b32 s13, s10, s18
	v_cmp_eq_u64_e64 s22, 2, v[36:37]
	v_cmp_eq_u64_e64 s26, 3, v[36:37]
	v_cndmask_b32_e64 v12, 0, 1, s13
	;; [unrolled: 4-line block ×4, first 2 shown]
	s_and_b32 s13, s9, s21
	s_and_b32 s9, s9, s25
	v_cndmask_b32_e64 v21, 0, 1, s13
	s_and_b32 s13, s10, s22
	v_cndmask_b32_e64 v38, 0, 1, s9
	;; [unrolled: 2-line block ×7, first 2 shown]
	v_cndmask_b32_e64 v41, 0, 1, s9
	v_cmp_ne_u32_e64 s9, 0, v4
	v_cmp_ne_u32_e64 s13, 0, v10
	;; [unrolled: 1-line block ×7, first 2 shown]
	s_bcnt1_i32_b32 s9, s9
	s_bcnt1_i32_b32 s13, s13
	v_cmp_ne_u32_e64 s16, 0, v20
	v_cmp_ne_u32_e64 s18, 0, v22
	;; [unrolled: 1-line block ×3, first 2 shown]
	s_bcnt1_i32_b32 s10, s10
	s_bcnt1_i32_b32 s14, s14
	s_add_i32 s9, s9, s83
	s_add_i32 s13, s13, s82
	v_cmp_ne_u32_e64 s11, 0, v8
	v_cmp_ne_u32_e64 s19, 0, v36
	;; [unrolled: 1-line block ×3, first 2 shown]
	s_bcnt1_i32_b32 s15, s15
	s_add_i32 s9, s9, s10
	s_add_i32 s10, s13, s14
	s_bcnt1_i32_b32 s17, s17
	s_bcnt1_i32_b32 s21, s21
	v_cmp_ne_u32_e64 s12, 0, v9
	v_cmp_ne_u32_e64 s20, 0, v37
	v_cmp_ne_u32_e64 s24, 0, v41
	s_bcnt1_i32_b32 s16, s16
	s_add_i32 s10, s10, s15
	s_bcnt1_i32_b32 s18, s18
	s_bcnt1_i32_b32 s22, s22
	s_add_i32 s17, s17, s81
	s_add_i32 s21, s21, s80
	;; [unrolled: 1-line block ×3, first 2 shown]
	s_delay_alu instid0(SALU_CYCLE_1)
	v_dual_mov_b32 v8, s82 :: v_dual_add_nc_u32 v3, s50, v3
	s_bcnt1_i32_b32 s11, s11
	s_bcnt1_i32_b32 s19, s19
	s_bcnt1_i32_b32 s23, s23
	s_add_i32 s13, s17, s18
	s_add_i32 s14, s21, s22
	s_bcnt1_i32_b32 s12, s12
	s_bcnt1_i32_b32 s20, s20
	;; [unrolled: 1-line block ×3, first 2 shown]
	s_add_i32 s9, s9, s11
	s_add_i32 s11, s13, s19
	;; [unrolled: 1-line block ×3, first 2 shown]
	v_cmp_le_i32_e32 vcc_lo, s76, v3
	s_add_i32 s83, s9, s12
	s_add_i32 s81, s11, s20
	;; [unrolled: 1-line block ×3, first 2 shown]
	s_delay_alu instid0(SALU_CYCLE_1) | instskip(SKIP_3) | instid1(SALU_CYCLE_1)
	v_dual_mov_b32 v10, s80 :: v_dual_add_nc_u32 v1, s65, v1
	v_mov_b32_e32 v7, s83
	v_mov_b32_e32 v9, s81
	s_or_b32 s78, vcc_lo, s78
	s_and_not1_b32 exec_lo, exec_lo, s78
	s_cbranch_execnz .LBB40_59
; %bb.60:                               ;   in Loop: Header=BB40_8 Depth=1
	s_or_b32 exec_lo, exec_lo, s78
.LBB40_61:                              ;   in Loop: Header=BB40_8 Depth=1
	s_delay_alu instid0(SALU_CYCLE_1) | instskip(SKIP_2) | instid1(VALU_DEP_1)
	s_or_b32 exec_lo, exec_lo, s77
	v_add_nc_u32_e32 v1, s76, v0
	s_mov_b32 s14, exec_lo
	v_cmpx_gt_i32_e64 s75, v1
	s_cbranch_execz .LBB40_65
; %bb.62:                               ;   in Loop: Header=BB40_8 Depth=1
	v_lshlrev_b32_e32 v3, 3, v1
	s_and_b32 s16, s70, 0xfe
	s_mov_b32 s15, 0
.LBB40_63:                              ;   Parent Loop BB40_8 Depth=1
                                        ; =>  This Inner Loop Header: Depth=2
	ds_load_b64 v[19:20], v3
	v_add_nc_u32_e32 v3, s66, v3
	s_waitcnt lgkmcnt(0)
	v_cmp_o_f64_e32 vcc_lo, v[19:20], v[19:20]
	v_ashrrev_i32_e32 v4, 31, v20
	s_delay_alu instid0(VALU_DEP_1) | instskip(SKIP_1) | instid1(VALU_DEP_2)
	v_or_b32_e32 v12, 0x80000000, v4
	v_xor_b32_e32 v4, v4, v19
	v_xor_b32_e32 v12, v12, v20
	s_delay_alu instid0(VALU_DEP_1) | instskip(NEXT) | instid1(VALU_DEP_3)
	v_dual_cndmask_b32 v20, -1, v12 :: v_dual_add_nc_u32 v1, s48, v1
	v_cndmask_b32_e32 v19, -1, v4, vcc_lo
	s_delay_alu instid0(VALU_DEP_2) | instskip(SKIP_1) | instid1(VALU_DEP_3)
	v_cmp_le_i32_e64 s9, s75, v1
	s_waitcnt vmcnt(0)
	v_and_b32_e32 v22, s45, v20
	s_delay_alu instid0(VALU_DEP_3) | instskip(SKIP_1) | instid1(VALU_DEP_2)
	v_and_b32_e32 v21, s44, v19
	v_lshrrev_b64 v[19:20], s16, v[19:20]
	v_cmp_eq_u64_e32 vcc_lo, s[42:43], v[21:22]
	s_delay_alu instid0(VALU_DEP_2) | instskip(NEXT) | instid1(VALU_DEP_1)
	v_and_b32_e32 v12, 3, v19
	v_cmp_eq_u64_e64 s10, 0, v[12:13]
	v_cmp_eq_u64_e64 s11, 1, v[12:13]
	;; [unrolled: 1-line block ×4, first 2 shown]
	s_delay_alu instid0(VALU_DEP_4) | instskip(NEXT) | instid1(SALU_CYCLE_1)
	s_and_b32 s10, vcc_lo, s10
	v_cndmask_b32_e64 v4, 0, 1, s10
	s_delay_alu instid0(VALU_DEP_4) | instskip(NEXT) | instid1(SALU_CYCLE_1)
	s_and_b32 s10, vcc_lo, s11
	v_cndmask_b32_e64 v12, 0, 1, s10
	s_and_b32 s10, vcc_lo, s12
	s_delay_alu instid0(SALU_CYCLE_1)
	v_cndmask_b32_e64 v19, 0, 1, s10
	s_and_b32 s10, vcc_lo, s13
	v_cmp_ne_u32_e32 vcc_lo, 0, v4
	v_cndmask_b32_e64 v20, 0, 1, s10
	v_cmp_ne_u32_e64 s10, 0, v12
	v_cmp_ne_u32_e64 s11, 0, v19
	s_bcnt1_i32_b32 s13, vcc_lo
	s_delay_alu instid0(VALU_DEP_3) | instskip(NEXT) | instid1(VALU_DEP_3)
	v_cmp_ne_u32_e64 s12, 0, v20
	s_bcnt1_i32_b32 s10, s10
	s_delay_alu instid0(VALU_DEP_2)
	s_bcnt1_i32_b32 s11, s11
	v_add_nc_u32_e32 v7, s13, v7
	v_add_nc_u32_e32 v8, s10, v8
	s_bcnt1_i32_b32 s12, s12
	v_add_nc_u32_e32 v9, s11, v9
	v_add_nc_u32_e32 v10, s12, v10
	s_or_b32 s15, s9, s15
	s_delay_alu instid0(SALU_CYCLE_1)
	s_and_not1_b32 exec_lo, exec_lo, s15
	s_cbranch_execnz .LBB40_63
; %bb.64:                               ;   in Loop: Header=BB40_8 Depth=1
	s_or_b32 exec_lo, exec_lo, s15
.LBB40_65:                              ;   in Loop: Header=BB40_8 Depth=1
	s_delay_alu instid0(SALU_CYCLE_1)
	s_or_b32 exec_lo, exec_lo, s14
.LBB40_66:                              ;   in Loop: Header=BB40_8 Depth=1
	s_lshl_b32 s9, s73, 7
	s_and_saveexec_b32 s10, s4
	s_cbranch_execz .LBB40_68
; %bb.67:                               ;   in Loop: Header=BB40_8 Depth=1
	v_or_b32_e32 v1, s9, v28
	s_delay_alu instid0(VALU_DEP_1)
	v_lshlrev_b32_e32 v1, 2, v1
	ds_store_b128 v1, v[7:10] offset:3072
.LBB40_68:                              ;   in Loop: Header=BB40_8 Depth=1
	s_or_b32 exec_lo, exec_lo, s10
	s_waitcnt vmcnt(0) lgkmcnt(0)
	s_barrier
	buffer_gl0_inv
	s_and_saveexec_b32 s10, s51
	s_cbranch_execz .LBB40_78
; %bb.69:                               ;   in Loop: Header=BB40_8 Depth=1
	v_mov_b32_e32 v1, 0
	s_and_not1_b32 vcc_lo, exec_lo, s55
	s_cbranch_vccnz .LBB40_77
; %bb.70:                               ;   in Loop: Header=BB40_8 Depth=1
	v_mov_b32_e32 v1, 0
	s_and_not1_b32 vcc_lo, exec_lo, s57
	s_mov_b32 s11, 0
	s_cbranch_vccnz .LBB40_74
; %bb.71:                               ;   in Loop: Header=BB40_8 Depth=1
	v_lshl_add_u32 v3, s73, 9, v35
	v_mov_b32_e32 v1, 0
	.p2align	6
.LBB40_72:                              ;   Parent Loop BB40_8 Depth=1
                                        ; =>  This Inner Loop Header: Depth=2
	ds_load_2addr_b32 v[7:8], v3 offset1:4
	ds_load_2addr_b32 v[9:10], v3 offset0:8 offset1:12
	ds_load_2addr_b32 v[19:20], v3 offset0:16 offset1:20
	;; [unrolled: 1-line block ×3, first 2 shown]
	v_add_nc_u32_e32 v3, 0x80, v3
	s_add_i32 s11, s11, 8
	s_delay_alu instid0(SALU_CYCLE_1) | instskip(SKIP_3) | instid1(VALU_DEP_1)
	s_cmp_eq_u32 s58, s11
	s_waitcnt lgkmcnt(3)
	v_add3_u32 v1, v7, v1, v8
	s_waitcnt lgkmcnt(2)
	v_add3_u32 v1, v9, v1, v10
	s_waitcnt lgkmcnt(1)
	s_delay_alu instid0(VALU_DEP_1) | instskip(SKIP_1) | instid1(VALU_DEP_1)
	v_add3_u32 v1, v19, v1, v20
	s_waitcnt lgkmcnt(0)
	v_add3_u32 v1, v21, v1, v22
	s_cbranch_scc0 .LBB40_72
; %bb.73:                               ;   in Loop: Header=BB40_8 Depth=1
	s_mov_b32 s11, s58
.LBB40_74:                              ;   in Loop: Header=BB40_8 Depth=1
	s_and_not1_b32 vcc_lo, exec_lo, s59
	s_cbranch_vccnz .LBB40_77
; %bb.75:                               ;   in Loop: Header=BB40_8 Depth=1
	s_lshl_b32 s12, s73, 9
	s_lshl_b32 s11, s11, 4
	s_delay_alu instid0(SALU_CYCLE_1)
	v_add3_u32 v3, s12, s11, v35
	s_mov_b32 s11, s56
.LBB40_76:                              ;   Parent Loop BB40_8 Depth=1
                                        ; =>  This Inner Loop Header: Depth=2
	ds_load_b32 v4, v3
	v_add_nc_u32_e32 v3, 16, v3
	s_add_i32 s11, s11, -1
	s_delay_alu instid0(SALU_CYCLE_1)
	s_cmp_lg_u32 s11, 0
	s_waitcnt lgkmcnt(0)
	v_add_nc_u32_e32 v1, v4, v1
	s_cbranch_scc1 .LBB40_76
.LBB40_77:                              ;   in Loop: Header=BB40_8 Depth=1
	v_add_lshl_u32 v3, s9, v23, 2
	ds_store_b32 v3, v1 offset:3072
.LBB40_78:                              ;   in Loop: Header=BB40_8 Depth=1
	s_or_b32 exec_lo, exec_lo, s10
	s_lshl_b32 s9, s9, 2
	s_waitcnt lgkmcnt(0)
	v_mov_b32_e32 v1, s9
	s_barrier
	buffer_gl0_inv
	s_and_b32 s22, s70, 0xfe
	s_delay_alu instid0(SALU_CYCLE_1)
	s_lshl_b64 s[10:11], 3, s22
	ds_load_b128 v[7:10], v1 offset:3072
	s_not_b64 s[12:13], s[10:11]
	s_waitcnt lgkmcnt(0)
	v_readfirstlane_b32 s20, v7
	v_readfirstlane_b32 s27, v8
	;; [unrolled: 1-line block ×4, first 2 shown]
	s_delay_alu instid0(VALU_DEP_4) | instskip(SKIP_3) | instid1(SALU_CYCLE_1)
	s_cmp_eq_u32 s20, 1
	s_cselect_b32 s9, -1, 0
	s_cmp_eq_u32 s37, 1
	s_cselect_b32 s14, -1, 0
	s_and_b32 s15, s9, s14
	s_mov_b32 s14, -1
	s_and_b32 vcc_lo, exec_lo, s15
	s_cbranch_vccz .LBB40_90
; %bb.79:                               ;   in Loop: Header=BB40_8 Depth=1
	ds_load_b32 v1, v13 offset:4096
	s_waitcnt lgkmcnt(0)
	s_barrier
	buffer_gl0_inv
	v_readfirstlane_b32 s16, v1
	s_and_saveexec_b32 s9, s0
	s_cbranch_execz .LBB40_81
; %bb.80:                               ;   in Loop: Header=BB40_8 Depth=1
	v_mov_b32_e32 v12, v13
	ds_store_b64 v26, v[12:13]
.LBB40_81:                              ;   in Loop: Header=BB40_8 Depth=1
	s_or_b32 exec_lo, exec_lo, s9
	s_and_b64 s[42:43], s[42:43], s[12:13]
	s_or_b64 s[44:45], s[44:45], s[10:11]
	s_cmp_lt_i32 s16, 1
	s_waitcnt lgkmcnt(0)
	s_barrier
	buffer_gl0_inv
	s_cbranch_scc0 .LBB40_91
; %bb.82:                               ;   in Loop: Header=BB40_8 Depth=1
	s_mov_b32 s9, 0
                                        ; implicit-def: $vgpr5_vgpr6
	s_and_saveexec_b32 s17, s8
	s_cbranch_execz .LBB40_93
; %bb.83:                               ;   in Loop: Header=BB40_8 Depth=1
	v_mov_b32_e32 v7, v11
	v_mov_b32_e32 v9, v0
	s_mov_b32 s23, 0
                                        ; implicit-def: $sgpr19
	s_branch .LBB40_85
.LBB40_84:                              ;   in Loop: Header=BB40_85 Depth=2
	s_or_b32 exec_lo, exec_lo, s9
	s_waitcnt vmcnt(0) lgkmcnt(0)
	s_barrier
	buffer_gl0_inv
	ds_load_b128 v[3:6], v13 offset:3072
	v_add_nc_u32_e32 v9, s48, v9
	v_add_nc_u32_e32 v7, s52, v7
	s_waitcnt lgkmcnt(0)
	s_barrier
	buffer_gl0_inv
	v_cmp_le_i32_e64 s9, s63, v9
	v_cmp_neq_f64_e32 vcc_lo, 0, v[3:4]
	s_delay_alu instid0(VALU_DEP_2) | instskip(NEXT) | instid1(SALU_CYCLE_1)
	s_or_b32 s9, s9, vcc_lo
	s_and_b32 s9, exec_lo, s9
	s_delay_alu instid0(SALU_CYCLE_1) | instskip(SKIP_2) | instid1(SALU_CYCLE_1)
	s_or_b32 s23, s9, s23
	s_and_not1_b32 s9, s19, exec_lo
	s_and_b32 s19, vcc_lo, exec_lo
	s_or_b32 s19, s9, s19
	s_and_not1_b32 exec_lo, exec_lo, s23
	s_cbranch_execz .LBB40_92
.LBB40_85:                              ;   Parent Loop BB40_8 Depth=1
                                        ; =>  This Inner Loop Header: Depth=2
	v_mov_b32_e32 v3, 0
	v_mov_b32_e32 v4, 0
	v_cmp_gt_i32_e32 vcc_lo, s36, v9
	s_and_saveexec_b32 s24, vcc_lo
	s_cbranch_execz .LBB40_87
; %bb.86:                               ;   in Loop: Header=BB40_85 Depth=2
	v_ashrrev_i32_e32 v8, 31, v7
	s_delay_alu instid0(VALU_DEP_1) | instskip(NEXT) | instid1(VALU_DEP_1)
	v_lshlrev_b64 v[3:4], 3, v[7:8]
	v_add_co_u32 v3, s9, s46, v3
	s_delay_alu instid0(VALU_DEP_1)
	v_add_co_ci_u32_e64 v4, s9, s47, v4, s9
	global_load_b64 v[3:4], v[3:4], off
.LBB40_87:                              ;   in Loop: Header=BB40_85 Depth=2
	s_or_b32 exec_lo, exec_lo, s24
	s_and_saveexec_b32 s9, vcc_lo
	s_cbranch_execz .LBB40_84
; %bb.88:                               ;   in Loop: Header=BB40_85 Depth=2
	s_waitcnt vmcnt(0)
	v_cmp_o_f64_e32 vcc_lo, v[3:4], v[3:4]
	v_ashrrev_i32_e32 v1, 31, v4
	s_delay_alu instid0(VALU_DEP_1) | instskip(SKIP_1) | instid1(VALU_DEP_2)
	v_or_b32_e32 v5, 0x80000000, v1
	v_xor_b32_e32 v1, v1, v3
	v_xor_b32_e32 v5, v5, v4
	s_delay_alu instid0(VALU_DEP_1) | instskip(NEXT) | instid1(VALU_DEP_3)
	v_cndmask_b32_e32 v5, -1, v5, vcc_lo
	v_cndmask_b32_e32 v1, -1, v1, vcc_lo
	s_delay_alu instid0(VALU_DEP_2) | instskip(NEXT) | instid1(VALU_DEP_2)
	v_and_b32_e32 v6, s45, v5
	v_and_b32_e32 v5, s44, v1
	s_delay_alu instid0(VALU_DEP_1)
	v_cmp_eq_u64_e32 vcc_lo, s[42:43], v[5:6]
	s_and_b32 exec_lo, exec_lo, vcc_lo
	s_cbranch_execz .LBB40_84
; %bb.89:                               ;   in Loop: Header=BB40_85 Depth=2
	v_mov_b32_e32 v1, v13
	ds_store_b128 v13, v[1:4] offset:3072
	s_branch .LBB40_84
.LBB40_90:                              ;   in Loop: Header=BB40_8 Depth=1
	s_mov_b32 s9, -1
                                        ; implicit-def: $sgpr17
                                        ; implicit-def: $sgpr23
                                        ; implicit-def: $sgpr19
	s_branch .LBB40_104
.LBB40_91:                              ;   in Loop: Header=BB40_8 Depth=1
	s_mov_b32 s17, -1
	s_mov_b32 s9, 0
                                        ; implicit-def: $sgpr19
                                        ; implicit-def: $vgpr5_vgpr6
	s_mov_b32 s23, s17
	s_cbranch_execnz .LBB40_94
	s_branch .LBB40_104
.LBB40_92:                              ;   in Loop: Header=BB40_8 Depth=1
	s_or_b32 exec_lo, exec_lo, s23
	s_delay_alu instid0(SALU_CYCLE_1)
	s_and_b32 s9, s19, exec_lo
.LBB40_93:                              ;   in Loop: Header=BB40_8 Depth=1
	s_or_b32 exec_lo, exec_lo, s17
	s_mov_b32 s19, -1
	s_mov_b32 s17, 0
	s_delay_alu instid0(SALU_CYCLE_1)
	s_mov_b32 s23, s17
	s_branch .LBB40_104
.LBB40_94:                              ;   in Loop: Header=BB40_8 Depth=1
	s_add_i32 s19, s16, s53
                                        ; implicit-def: $vgpr5_vgpr6
	s_delay_alu instid0(SALU_CYCLE_1) | instskip(NEXT) | instid1(SALU_CYCLE_1)
	s_abs_i32 s9, s19
	s_mul_hi_u32 s17, s9, s62
	s_delay_alu instid0(SALU_CYCLE_1) | instskip(NEXT) | instid1(SALU_CYCLE_1)
	s_mul_i32 s17, s17, s48
	s_sub_i32 s9, s9, s17
	s_ashr_i32 s17, s19, 31
	s_sub_i32 s23, s9, s48
	s_cmp_ge_u32 s9, s48
	s_cselect_b32 s9, s23, s9
	s_delay_alu instid0(SALU_CYCLE_1) | instskip(SKIP_2) | instid1(SALU_CYCLE_1)
	s_sub_i32 s23, s9, s48
	s_cmp_ge_u32 s9, s48
	s_cselect_b32 s9, s23, s9
	s_xor_b32 s9, s9, s17
	s_delay_alu instid0(SALU_CYCLE_1)
	s_sub_i32 s9, s17, s9
	s_mov_b32 s17, exec_lo
	s_add_i32 s19, s19, s9
	s_mov_b32 s9, 0
	v_cmpx_gt_i32_e64 s19, v0
	s_cbranch_execz .LBB40_103
; %bb.95:                               ;   in Loop: Header=BB40_8 Depth=1
	v_dual_mov_b32 v7, v25 :: v_dual_mov_b32 v8, v0
	s_mov_b32 s24, 0
                                        ; implicit-def: $sgpr23
	s_set_inst_prefetch_distance 0x1
	s_branch .LBB40_97
	.p2align	6
.LBB40_96:                              ;   in Loop: Header=BB40_97 Depth=2
	s_or_b32 exec_lo, exec_lo, s9
	s_waitcnt lgkmcnt(0)
	s_barrier
	buffer_gl0_inv
	ds_load_b128 v[3:6], v13 offset:3072
	v_add_nc_u32_e32 v8, s48, v8
	v_add_nc_u32_e32 v7, s66, v7
	s_waitcnt lgkmcnt(0)
	s_barrier
	buffer_gl0_inv
	v_cmp_le_i32_e64 s9, s19, v8
	v_cmp_neq_f64_e32 vcc_lo, 0, v[3:4]
	s_delay_alu instid0(VALU_DEP_2) | instskip(NEXT) | instid1(SALU_CYCLE_1)
	s_or_b32 s9, s9, vcc_lo
	s_and_b32 s9, exec_lo, s9
	s_delay_alu instid0(SALU_CYCLE_1) | instskip(SKIP_2) | instid1(SALU_CYCLE_1)
	s_or_b32 s24, s9, s24
	s_and_not1_b32 s9, s23, exec_lo
	s_and_b32 s23, vcc_lo, exec_lo
	s_or_b32 s23, s9, s23
	s_and_not1_b32 exec_lo, exec_lo, s24
	s_cbranch_execz .LBB40_102
.LBB40_97:                              ;   Parent Loop BB40_8 Depth=1
                                        ; =>  This Inner Loop Header: Depth=2
	v_mov_b32_e32 v3, 0
	v_mov_b32_e32 v4, 0
	v_cmp_gt_i32_e32 vcc_lo, s16, v8
	s_and_saveexec_b32 s9, vcc_lo
	s_cbranch_execz .LBB40_99
; %bb.98:                               ;   in Loop: Header=BB40_97 Depth=2
	ds_load_b64 v[3:4], v7
.LBB40_99:                              ;   in Loop: Header=BB40_97 Depth=2
	s_or_b32 exec_lo, exec_lo, s9
	s_and_saveexec_b32 s9, vcc_lo
	s_cbranch_execz .LBB40_96
; %bb.100:                              ;   in Loop: Header=BB40_97 Depth=2
	s_waitcnt lgkmcnt(0)
	v_cmp_o_f64_e32 vcc_lo, v[3:4], v[3:4]
	v_ashrrev_i32_e32 v1, 31, v4
	s_delay_alu instid0(VALU_DEP_1) | instskip(SKIP_1) | instid1(VALU_DEP_2)
	v_or_b32_e32 v5, 0x80000000, v1
	v_xor_b32_e32 v1, v1, v3
	v_xor_b32_e32 v5, v5, v4
	s_delay_alu instid0(VALU_DEP_1) | instskip(NEXT) | instid1(VALU_DEP_3)
	v_cndmask_b32_e32 v5, -1, v5, vcc_lo
	v_cndmask_b32_e32 v1, -1, v1, vcc_lo
	s_delay_alu instid0(VALU_DEP_2) | instskip(NEXT) | instid1(VALU_DEP_2)
	v_and_b32_e32 v6, s45, v5
	v_and_b32_e32 v5, s44, v1
	s_delay_alu instid0(VALU_DEP_1)
	v_cmp_eq_u64_e32 vcc_lo, s[42:43], v[5:6]
	s_and_b32 exec_lo, exec_lo, vcc_lo
	s_cbranch_execz .LBB40_96
; %bb.101:                              ;   in Loop: Header=BB40_97 Depth=2
	v_mov_b32_e32 v1, v13
	ds_store_b128 v13, v[1:4] offset:3072
	s_branch .LBB40_96
.LBB40_102:                             ;   in Loop: Header=BB40_8 Depth=1
	s_set_inst_prefetch_distance 0x2
	s_or_b32 exec_lo, exec_lo, s24
	s_delay_alu instid0(SALU_CYCLE_1)
	s_and_b32 s9, s23, exec_lo
.LBB40_103:                             ;   in Loop: Header=BB40_8 Depth=1
	s_or_b32 exec_lo, exec_lo, s17
	s_mov_b32 s23, -1
	s_mov_b32 s17, 0
	s_mov_b32 s19, 0
.LBB40_104:                             ;   in Loop: Header=BB40_8 Depth=1
	s_and_not1_b32 s16, s71, exec_lo
	s_and_b32 s17, s17, exec_lo
	s_and_b32 s19, s19, exec_lo
	s_or_b32 s71, s16, s17
	s_and_not1_b32 s16, s74, exec_lo
	s_and_b32 s17, s23, exec_lo
	s_and_not1_b32 s23, s72, exec_lo
	s_or_b32 s74, s16, s17
	s_or_b32 s72, s23, s19
	s_and_saveexec_b32 s19, s9
	s_cbranch_execz .LBB40_7
; %bb.105:                              ;   in Loop: Header=BB40_8 Depth=1
	s_xor_b32 s9, s15, -1
	s_mov_b32 s23, 0
	s_and_not1_b32 vcc_lo, exec_lo, s9
	s_mov_b32 s28, 1
	s_cbranch_vccnz .LBB40_116
; %bb.106:                              ;   in Loop: Header=BB40_8 Depth=1
	s_cmp_gt_i32 s37, s20
	s_mov_b32 s23, -1
                                        ; implicit-def: $sgpr9
                                        ; implicit-def: $sgpr14_sgpr15
                                        ; implicit-def: $sgpr16_sgpr17
	s_cbranch_scc1 .LBB40_112
; %bb.107:                              ;   in Loop: Header=BB40_8 Depth=1
	ds_load_b32 v1, v13 offset:4096
	s_waitcnt lgkmcnt(0)
	v_cmp_ne_u32_e32 vcc_lo, 0, v1
	s_cbranch_vccnz .LBB40_111
; %bb.108:                              ;   in Loop: Header=BB40_8 Depth=1
	s_and_saveexec_b32 s9, s2
	s_cbranch_execz .LBB40_110
; %bb.109:                              ;   in Loop: Header=BB40_8 Depth=1
	v_mov_b32_e32 v1, s20
	ds_store_b32 v13, v1 offset:4100
.LBB40_110:                             ;   in Loop: Header=BB40_8 Depth=1
	s_or_b32 exec_lo, exec_lo, s9
	s_waitcnt lgkmcnt(0)
	s_barrier
	buffer_gl0_inv
.LBB40_111:                             ;   in Loop: Header=BB40_8 Depth=1
	s_and_b64 s[14:15], s[42:43], s[12:13]
	s_or_b64 s[16:17], s[44:45], s[10:11]
	s_mov_b32 s23, 0
	s_mov_b32 s9, 8
.LBB40_112:                             ;   in Loop: Header=BB40_8 Depth=1
	s_and_not1_b32 vcc_lo, exec_lo, s23
	s_cbranch_vccnz .LBB40_114
; %bb.113:                              ;   in Loop: Header=BB40_8 Depth=1
	s_sub_i32 s37, s37, s20
	s_mov_b32 s23, -1
	s_mov_b32 s9, 0
	s_mov_b64 s[14:15], s[42:43]
	s_mov_b64 s[16:17], s[44:45]
.LBB40_114:                             ;   in Loop: Header=BB40_8 Depth=1
	s_delay_alu instid0(SALU_CYCLE_1)
	s_mov_b64 s[44:45], s[16:17]
	s_mov_b64 s[42:43], s[14:15]
	s_mov_b32 s28, s37
	s_and_b32 vcc_lo, exec_lo, s23
	s_mov_b32 s20, -1
	s_cbranch_vccnz .LBB40_117
.LBB40_115:                             ;   in Loop: Header=BB40_8 Depth=1
	s_mov_b32 s15, -1
                                        ; implicit-def: $sgpr23
                                        ; implicit-def: $sgpr25
                                        ; implicit-def: $sgpr24
	s_delay_alu instid0(SALU_CYCLE_1) | instskip(NEXT) | instid1(SALU_CYCLE_1)
	s_and_saveexec_b32 s10, s15
	s_xor_b32 s10, exec_lo, s10
	s_cbranch_execz .LBB40_6
	s_branch .LBB40_240
.LBB40_116:                             ;   in Loop: Header=BB40_8 Depth=1
	s_mov_b32 s9, 1
	s_and_b32 vcc_lo, exec_lo, s23
	s_mov_b32 s20, -1
	s_cbranch_vccz .LBB40_115
.LBB40_117:                             ;   in Loop: Header=BB40_8 Depth=1
	s_cmp_eq_u32 s27, 1
	s_mov_b32 s16, -1
	s_cselect_b32 s9, -1, 0
	s_cmp_eq_u32 s28, 1
	s_cselect_b32 s14, -1, 0
	s_delay_alu instid0(SALU_CYCLE_1) | instskip(NEXT) | instid1(SALU_CYCLE_1)
	s_and_b32 s14, s9, s14
	s_and_b32 vcc_lo, exec_lo, s14
	s_cbranch_vccz .LBB40_129
; %bb.118:                              ;   in Loop: Header=BB40_8 Depth=1
	ds_load_b32 v1, v13 offset:4096
	s_waitcnt lgkmcnt(0)
	s_barrier
	buffer_gl0_inv
	v_readfirstlane_b32 s15, v1
	s_and_saveexec_b32 s9, s0
	s_cbranch_execz .LBB40_120
; %bb.119:                              ;   in Loop: Header=BB40_8 Depth=1
	v_mov_b32_e32 v12, v13
	ds_store_b64 v26, v[12:13]
.LBB40_120:                             ;   in Loop: Header=BB40_8 Depth=1
	s_or_b32 exec_lo, exec_lo, s9
	s_lshl_b64 s[16:17], 1, s22
	s_and_b64 s[24:25], s[42:43], s[12:13]
	s_or_b64 s[44:45], s[44:45], s[10:11]
	s_or_b64 s[42:43], s[24:25], s[16:17]
	s_cmp_gt_i32 s15, 0
	s_waitcnt lgkmcnt(0)
	s_barrier
	buffer_gl0_inv
	s_cbranch_scc1 .LBB40_130
; %bb.121:                              ;   in Loop: Header=BB40_8 Depth=1
	s_mov_b32 s16, 0
                                        ; implicit-def: $vgpr5_vgpr6
	s_and_saveexec_b32 s17, s8
	s_cbranch_execz .LBB40_132
; %bb.122:                              ;   in Loop: Header=BB40_8 Depth=1
	v_mov_b32_e32 v7, v11
	v_mov_b32_e32 v9, v0
	s_mov_b32 s23, 0
                                        ; implicit-def: $sgpr16
	s_branch .LBB40_124
.LBB40_123:                             ;   in Loop: Header=BB40_124 Depth=2
	s_or_b32 exec_lo, exec_lo, s9
	s_waitcnt vmcnt(0) lgkmcnt(0)
	s_barrier
	buffer_gl0_inv
	ds_load_b128 v[3:6], v13 offset:3072
	v_add_nc_u32_e32 v9, s48, v9
	v_add_nc_u32_e32 v7, s52, v7
	s_waitcnt lgkmcnt(0)
	s_barrier
	buffer_gl0_inv
	v_cmp_le_i32_e64 s9, s63, v9
	v_cmp_neq_f64_e32 vcc_lo, 0, v[3:4]
	s_delay_alu instid0(VALU_DEP_2) | instskip(NEXT) | instid1(SALU_CYCLE_1)
	s_or_b32 s9, s9, vcc_lo
	s_and_b32 s9, exec_lo, s9
	s_delay_alu instid0(SALU_CYCLE_1) | instskip(SKIP_2) | instid1(SALU_CYCLE_1)
	s_or_b32 s23, s9, s23
	s_and_not1_b32 s9, s16, exec_lo
	s_and_b32 s16, vcc_lo, exec_lo
	s_or_b32 s16, s9, s16
	s_and_not1_b32 exec_lo, exec_lo, s23
	s_cbranch_execz .LBB40_131
.LBB40_124:                             ;   Parent Loop BB40_8 Depth=1
                                        ; =>  This Inner Loop Header: Depth=2
	v_mov_b32_e32 v3, 0
	v_mov_b32_e32 v4, 0
	v_cmp_gt_i32_e32 vcc_lo, s36, v9
	s_and_saveexec_b32 s24, vcc_lo
	s_cbranch_execz .LBB40_126
; %bb.125:                              ;   in Loop: Header=BB40_124 Depth=2
	v_ashrrev_i32_e32 v8, 31, v7
	s_delay_alu instid0(VALU_DEP_1) | instskip(NEXT) | instid1(VALU_DEP_1)
	v_lshlrev_b64 v[3:4], 3, v[7:8]
	v_add_co_u32 v3, s9, s46, v3
	s_delay_alu instid0(VALU_DEP_1)
	v_add_co_ci_u32_e64 v4, s9, s47, v4, s9
	global_load_b64 v[3:4], v[3:4], off
.LBB40_126:                             ;   in Loop: Header=BB40_124 Depth=2
	s_or_b32 exec_lo, exec_lo, s24
	s_and_saveexec_b32 s9, vcc_lo
	s_cbranch_execz .LBB40_123
; %bb.127:                              ;   in Loop: Header=BB40_124 Depth=2
	s_waitcnt vmcnt(0)
	v_cmp_o_f64_e32 vcc_lo, v[3:4], v[3:4]
	v_ashrrev_i32_e32 v1, 31, v4
	s_delay_alu instid0(VALU_DEP_1) | instskip(SKIP_1) | instid1(VALU_DEP_2)
	v_or_b32_e32 v5, 0x80000000, v1
	v_xor_b32_e32 v1, v1, v3
	v_xor_b32_e32 v5, v5, v4
	s_delay_alu instid0(VALU_DEP_1) | instskip(NEXT) | instid1(VALU_DEP_3)
	v_cndmask_b32_e32 v5, -1, v5, vcc_lo
	v_cndmask_b32_e32 v1, -1, v1, vcc_lo
	s_delay_alu instid0(VALU_DEP_2) | instskip(NEXT) | instid1(VALU_DEP_2)
	v_and_b32_e32 v6, s45, v5
	v_and_b32_e32 v5, s44, v1
	s_delay_alu instid0(VALU_DEP_1)
	v_cmp_eq_u64_e32 vcc_lo, s[42:43], v[5:6]
	s_and_b32 exec_lo, exec_lo, vcc_lo
	s_cbranch_execz .LBB40_123
; %bb.128:                              ;   in Loop: Header=BB40_124 Depth=2
	v_mov_b32_e32 v1, v13
	ds_store_b128 v13, v[1:4] offset:3072
	s_branch .LBB40_123
.LBB40_129:                             ;   in Loop: Header=BB40_8 Depth=1
                                        ; implicit-def: $sgpr24
                                        ; implicit-def: $sgpr25
                                        ; implicit-def: $sgpr23
	s_branch .LBB40_143
.LBB40_130:                             ;   in Loop: Header=BB40_8 Depth=1
	s_mov_b32 s24, -1
	s_mov_b32 s16, 0
                                        ; implicit-def: $sgpr23
                                        ; implicit-def: $vgpr5_vgpr6
	s_mov_b32 s25, s24
	s_cbranch_execnz .LBB40_133
	s_branch .LBB40_143
.LBB40_131:                             ;   in Loop: Header=BB40_8 Depth=1
	s_or_b32 exec_lo, exec_lo, s23
	s_delay_alu instid0(SALU_CYCLE_1)
	s_and_b32 s16, s16, exec_lo
.LBB40_132:                             ;   in Loop: Header=BB40_8 Depth=1
	s_or_b32 exec_lo, exec_lo, s17
	s_mov_b32 s23, -1
	s_mov_b32 s24, 0
	s_delay_alu instid0(SALU_CYCLE_1)
	s_mov_b32 s25, s24
	s_branch .LBB40_143
.LBB40_133:                             ;   in Loop: Header=BB40_8 Depth=1
	s_add_i32 s23, s15, s53
                                        ; implicit-def: $vgpr5_vgpr6
	s_delay_alu instid0(SALU_CYCLE_1) | instskip(NEXT) | instid1(SALU_CYCLE_1)
	s_abs_i32 s9, s23
	s_mul_hi_u32 s16, s9, s62
	s_delay_alu instid0(SALU_CYCLE_1) | instskip(NEXT) | instid1(SALU_CYCLE_1)
	s_mul_i32 s16, s16, s48
	s_sub_i32 s9, s9, s16
	s_ashr_i32 s16, s23, 31
	s_sub_i32 s17, s9, s48
	s_cmp_ge_u32 s9, s48
	s_cselect_b32 s9, s17, s9
	s_delay_alu instid0(SALU_CYCLE_1) | instskip(SKIP_4) | instid1(SALU_CYCLE_1)
	s_sub_i32 s17, s9, s48
	s_cmp_ge_u32 s9, s48
	s_cselect_b32 s9, s17, s9
	s_mov_b32 s17, exec_lo
	s_xor_b32 s9, s9, s16
	s_sub_i32 s9, s16, s9
	s_mov_b32 s16, 0
	s_add_i32 s23, s23, s9
	s_delay_alu instid0(SALU_CYCLE_1)
	v_cmpx_gt_i32_e64 s23, v0
	s_cbranch_execz .LBB40_142
; %bb.134:                              ;   in Loop: Header=BB40_8 Depth=1
	v_dual_mov_b32 v7, v25 :: v_dual_mov_b32 v8, v0
	s_mov_b32 s24, 0
                                        ; implicit-def: $sgpr16
	s_set_inst_prefetch_distance 0x1
	s_branch .LBB40_136
	.p2align	6
.LBB40_135:                             ;   in Loop: Header=BB40_136 Depth=2
	s_or_b32 exec_lo, exec_lo, s9
	s_waitcnt lgkmcnt(0)
	s_barrier
	buffer_gl0_inv
	ds_load_b128 v[3:6], v13 offset:3072
	v_add_nc_u32_e32 v8, s48, v8
	v_add_nc_u32_e32 v7, s66, v7
	s_waitcnt lgkmcnt(0)
	s_barrier
	buffer_gl0_inv
	v_cmp_le_i32_e64 s9, s23, v8
	v_cmp_neq_f64_e32 vcc_lo, 0, v[3:4]
	s_delay_alu instid0(VALU_DEP_2) | instskip(NEXT) | instid1(SALU_CYCLE_1)
	s_or_b32 s9, s9, vcc_lo
	s_and_b32 s9, exec_lo, s9
	s_delay_alu instid0(SALU_CYCLE_1) | instskip(SKIP_2) | instid1(SALU_CYCLE_1)
	s_or_b32 s24, s9, s24
	s_and_not1_b32 s9, s16, exec_lo
	s_and_b32 s16, vcc_lo, exec_lo
	s_or_b32 s16, s9, s16
	s_and_not1_b32 exec_lo, exec_lo, s24
	s_cbranch_execz .LBB40_141
.LBB40_136:                             ;   Parent Loop BB40_8 Depth=1
                                        ; =>  This Inner Loop Header: Depth=2
	v_mov_b32_e32 v3, 0
	v_mov_b32_e32 v4, 0
	v_cmp_gt_i32_e32 vcc_lo, s15, v8
	s_and_saveexec_b32 s9, vcc_lo
	s_cbranch_execz .LBB40_138
; %bb.137:                              ;   in Loop: Header=BB40_136 Depth=2
	ds_load_b64 v[3:4], v7
.LBB40_138:                             ;   in Loop: Header=BB40_136 Depth=2
	s_or_b32 exec_lo, exec_lo, s9
	s_and_saveexec_b32 s9, vcc_lo
	s_cbranch_execz .LBB40_135
; %bb.139:                              ;   in Loop: Header=BB40_136 Depth=2
	s_waitcnt lgkmcnt(0)
	v_cmp_o_f64_e32 vcc_lo, v[3:4], v[3:4]
	v_ashrrev_i32_e32 v1, 31, v4
	s_delay_alu instid0(VALU_DEP_1) | instskip(SKIP_1) | instid1(VALU_DEP_2)
	v_or_b32_e32 v5, 0x80000000, v1
	v_xor_b32_e32 v1, v1, v3
	v_xor_b32_e32 v5, v5, v4
	s_delay_alu instid0(VALU_DEP_1) | instskip(NEXT) | instid1(VALU_DEP_3)
	v_cndmask_b32_e32 v5, -1, v5, vcc_lo
	v_cndmask_b32_e32 v1, -1, v1, vcc_lo
	s_delay_alu instid0(VALU_DEP_2) | instskip(NEXT) | instid1(VALU_DEP_2)
	v_and_b32_e32 v6, s45, v5
	v_and_b32_e32 v5, s44, v1
	s_delay_alu instid0(VALU_DEP_1)
	v_cmp_eq_u64_e32 vcc_lo, s[42:43], v[5:6]
	s_and_b32 exec_lo, exec_lo, vcc_lo
	s_cbranch_execz .LBB40_135
; %bb.140:                              ;   in Loop: Header=BB40_136 Depth=2
	v_mov_b32_e32 v1, v13
	ds_store_b128 v13, v[1:4] offset:3072
	s_branch .LBB40_135
.LBB40_141:                             ;   in Loop: Header=BB40_8 Depth=1
	s_set_inst_prefetch_distance 0x2
	s_or_b32 exec_lo, exec_lo, s24
	s_delay_alu instid0(SALU_CYCLE_1)
	s_and_b32 s16, s16, exec_lo
.LBB40_142:                             ;   in Loop: Header=BB40_8 Depth=1
	s_or_b32 exec_lo, exec_lo, s17
	s_mov_b32 s25, -1
	s_mov_b32 s24, 0
	s_mov_b32 s23, 0
.LBB40_143:                             ;   in Loop: Header=BB40_8 Depth=1
	s_mov_b32 s15, 0
                                        ; implicit-def: $sgpr9
	s_and_saveexec_b32 s26, s16
	s_cbranch_execz .LBB40_239
; %bb.144:                              ;   in Loop: Header=BB40_8 Depth=1
	s_xor_b32 s9, s14, -1
	s_mov_b32 s37, 0
	s_and_not1_b32 vcc_lo, exec_lo, s9
	s_mov_b32 s76, 1
	s_cbranch_vccnz .LBB40_155
; %bb.145:                              ;   in Loop: Header=BB40_8 Depth=1
	s_cmp_gt_i32 s28, s27
	s_mov_b32 s37, -1
                                        ; implicit-def: $sgpr9
                                        ; implicit-def: $sgpr14_sgpr15
                                        ; implicit-def: $sgpr16_sgpr17
	s_cbranch_scc1 .LBB40_151
; %bb.146:                              ;   in Loop: Header=BB40_8 Depth=1
	ds_load_b32 v1, v13 offset:4096
	s_waitcnt lgkmcnt(0)
	v_cmp_ne_u32_e32 vcc_lo, 0, v1
	s_cbranch_vccnz .LBB40_150
; %bb.147:                              ;   in Loop: Header=BB40_8 Depth=1
	s_and_saveexec_b32 s9, s2
	s_cbranch_execz .LBB40_149
; %bb.148:                              ;   in Loop: Header=BB40_8 Depth=1
	v_mov_b32_e32 v1, s27
	ds_store_b32 v13, v1 offset:4100
.LBB40_149:                             ;   in Loop: Header=BB40_8 Depth=1
	s_or_b32 exec_lo, exec_lo, s9
	s_waitcnt lgkmcnt(0)
	s_barrier
	buffer_gl0_inv
.LBB40_150:                             ;   in Loop: Header=BB40_8 Depth=1
	s_lshl_b64 s[14:15], 1, s22
	s_and_b64 s[16:17], s[42:43], s[12:13]
	s_mov_b32 s37, 0
	s_or_b64 s[14:15], s[16:17], s[14:15]
	s_or_b64 s[16:17], s[44:45], s[10:11]
	s_mov_b32 s9, 8
.LBB40_151:                             ;   in Loop: Header=BB40_8 Depth=1
	s_and_not1_b32 vcc_lo, exec_lo, s37
	s_cbranch_vccnz .LBB40_153
; %bb.152:                              ;   in Loop: Header=BB40_8 Depth=1
	s_sub_i32 s28, s28, s27
	s_mov_b32 s37, -1
	s_mov_b32 s9, 0
	s_mov_b64 s[14:15], s[42:43]
	s_mov_b64 s[16:17], s[44:45]
.LBB40_153:                             ;   in Loop: Header=BB40_8 Depth=1
	s_delay_alu instid0(SALU_CYCLE_1)
	s_mov_b64 s[44:45], s[16:17]
	s_mov_b64 s[42:43], s[14:15]
	s_mov_b32 s76, s28
	s_and_not1_b32 vcc_lo, exec_lo, s37
	s_mov_b32 s15, -1
	s_cbranch_vccz .LBB40_156
.LBB40_154:                             ;   in Loop: Header=BB40_8 Depth=1
                                        ; implicit-def: $sgpr28
                                        ; implicit-def: $sgpr37
                                        ; implicit-def: $sgpr27
	s_branch .LBB40_238
.LBB40_155:                             ;   in Loop: Header=BB40_8 Depth=1
	s_mov_b32 s9, 1
	s_and_not1_b32 vcc_lo, exec_lo, s37
	s_mov_b32 s15, -1
	s_cbranch_vccnz .LBB40_154
.LBB40_156:                             ;   in Loop: Header=BB40_8 Depth=1
	s_cmp_eq_u32 s21, 1
	s_mov_b32 s16, -1
	s_cselect_b32 s9, -1, 0
	s_cmp_eq_u32 s76, 1
	s_cselect_b32 s14, -1, 0
	s_delay_alu instid0(SALU_CYCLE_1) | instskip(NEXT) | instid1(SALU_CYCLE_1)
	s_and_b32 s14, s9, s14
	s_and_b32 vcc_lo, exec_lo, s14
	s_cbranch_vccz .LBB40_168
; %bb.157:                              ;   in Loop: Header=BB40_8 Depth=1
	ds_load_b32 v1, v13 offset:4096
	s_waitcnt lgkmcnt(0)
	s_barrier
	buffer_gl0_inv
	v_readfirstlane_b32 s15, v1
	s_and_saveexec_b32 s9, s0
	s_cbranch_execz .LBB40_159
; %bb.158:                              ;   in Loop: Header=BB40_8 Depth=1
	v_mov_b32_e32 v12, v13
	ds_store_b64 v26, v[12:13]
.LBB40_159:                             ;   in Loop: Header=BB40_8 Depth=1
	s_or_b32 exec_lo, exec_lo, s9
	s_lshl_b64 s[16:17], 2, s22
	s_and_b64 s[42:43], s[42:43], s[12:13]
	s_or_b64 s[44:45], s[44:45], s[10:11]
	s_or_b64 s[42:43], s[42:43], s[16:17]
	s_cmp_gt_i32 s15, 0
	s_waitcnt lgkmcnt(0)
	s_barrier
	buffer_gl0_inv
	s_cbranch_scc1 .LBB40_169
; %bb.160:                              ;   in Loop: Header=BB40_8 Depth=1
	s_mov_b32 s16, 0
                                        ; implicit-def: $vgpr5_vgpr6
	s_and_saveexec_b32 s17, s8
	s_cbranch_execz .LBB40_171
; %bb.161:                              ;   in Loop: Header=BB40_8 Depth=1
	v_mov_b32_e32 v7, v11
	v_mov_b32_e32 v9, v0
	s_mov_b32 s27, 0
                                        ; implicit-def: $sgpr16
	s_branch .LBB40_163
.LBB40_162:                             ;   in Loop: Header=BB40_163 Depth=2
	s_or_b32 exec_lo, exec_lo, s9
	s_waitcnt vmcnt(0) lgkmcnt(0)
	s_barrier
	buffer_gl0_inv
	ds_load_b128 v[3:6], v13 offset:3072
	v_add_nc_u32_e32 v9, s48, v9
	v_add_nc_u32_e32 v7, s52, v7
	s_waitcnt lgkmcnt(0)
	s_barrier
	buffer_gl0_inv
	v_cmp_le_i32_e64 s9, s63, v9
	v_cmp_neq_f64_e32 vcc_lo, 0, v[3:4]
	s_delay_alu instid0(VALU_DEP_2) | instskip(NEXT) | instid1(SALU_CYCLE_1)
	s_or_b32 s9, s9, vcc_lo
	s_and_b32 s9, exec_lo, s9
	s_delay_alu instid0(SALU_CYCLE_1) | instskip(SKIP_2) | instid1(SALU_CYCLE_1)
	s_or_b32 s27, s9, s27
	s_and_not1_b32 s9, s16, exec_lo
	s_and_b32 s16, vcc_lo, exec_lo
	s_or_b32 s16, s9, s16
	s_and_not1_b32 exec_lo, exec_lo, s27
	s_cbranch_execz .LBB40_170
.LBB40_163:                             ;   Parent Loop BB40_8 Depth=1
                                        ; =>  This Inner Loop Header: Depth=2
	v_mov_b32_e32 v3, 0
	v_mov_b32_e32 v4, 0
	v_cmp_gt_i32_e32 vcc_lo, s36, v9
	s_and_saveexec_b32 s28, vcc_lo
	s_cbranch_execz .LBB40_165
; %bb.164:                              ;   in Loop: Header=BB40_163 Depth=2
	v_ashrrev_i32_e32 v8, 31, v7
	s_delay_alu instid0(VALU_DEP_1) | instskip(NEXT) | instid1(VALU_DEP_1)
	v_lshlrev_b64 v[3:4], 3, v[7:8]
	v_add_co_u32 v3, s9, s46, v3
	s_delay_alu instid0(VALU_DEP_1)
	v_add_co_ci_u32_e64 v4, s9, s47, v4, s9
	global_load_b64 v[3:4], v[3:4], off
.LBB40_165:                             ;   in Loop: Header=BB40_163 Depth=2
	s_or_b32 exec_lo, exec_lo, s28
	s_and_saveexec_b32 s9, vcc_lo
	s_cbranch_execz .LBB40_162
; %bb.166:                              ;   in Loop: Header=BB40_163 Depth=2
	s_waitcnt vmcnt(0)
	v_cmp_o_f64_e32 vcc_lo, v[3:4], v[3:4]
	v_ashrrev_i32_e32 v1, 31, v4
	s_delay_alu instid0(VALU_DEP_1) | instskip(SKIP_1) | instid1(VALU_DEP_2)
	v_or_b32_e32 v5, 0x80000000, v1
	v_xor_b32_e32 v1, v1, v3
	v_xor_b32_e32 v5, v5, v4
	s_delay_alu instid0(VALU_DEP_1) | instskip(NEXT) | instid1(VALU_DEP_3)
	v_cndmask_b32_e32 v5, -1, v5, vcc_lo
	v_cndmask_b32_e32 v1, -1, v1, vcc_lo
	s_delay_alu instid0(VALU_DEP_2) | instskip(NEXT) | instid1(VALU_DEP_2)
	v_and_b32_e32 v6, s45, v5
	v_and_b32_e32 v5, s44, v1
	s_delay_alu instid0(VALU_DEP_1)
	v_cmp_eq_u64_e32 vcc_lo, s[42:43], v[5:6]
	s_and_b32 exec_lo, exec_lo, vcc_lo
	s_cbranch_execz .LBB40_162
; %bb.167:                              ;   in Loop: Header=BB40_163 Depth=2
	v_mov_b32_e32 v1, v13
	ds_store_b128 v13, v[1:4] offset:3072
	s_branch .LBB40_162
.LBB40_168:                             ;   in Loop: Header=BB40_8 Depth=1
                                        ; implicit-def: $sgpr27
                                        ; implicit-def: $sgpr37
                                        ; implicit-def: $sgpr28
	s_branch .LBB40_182
.LBB40_169:                             ;   in Loop: Header=BB40_8 Depth=1
	s_mov_b32 s27, -1
	s_mov_b32 s16, 0
                                        ; implicit-def: $sgpr28
                                        ; implicit-def: $vgpr5_vgpr6
	s_mov_b32 s37, s27
	s_cbranch_execnz .LBB40_172
	s_branch .LBB40_182
.LBB40_170:                             ;   in Loop: Header=BB40_8 Depth=1
	s_or_b32 exec_lo, exec_lo, s27
	s_delay_alu instid0(SALU_CYCLE_1)
	s_and_b32 s16, s16, exec_lo
.LBB40_171:                             ;   in Loop: Header=BB40_8 Depth=1
	s_or_b32 exec_lo, exec_lo, s17
	s_mov_b32 s28, -1
	s_mov_b32 s27, 0
	s_delay_alu instid0(SALU_CYCLE_1)
	s_mov_b32 s37, s27
	s_branch .LBB40_182
.LBB40_172:                             ;   in Loop: Header=BB40_8 Depth=1
	s_add_i32 s27, s15, s53
                                        ; implicit-def: $vgpr5_vgpr6
	s_delay_alu instid0(SALU_CYCLE_1) | instskip(NEXT) | instid1(SALU_CYCLE_1)
	s_abs_i32 s9, s27
	s_mul_hi_u32 s16, s9, s62
	s_delay_alu instid0(SALU_CYCLE_1) | instskip(NEXT) | instid1(SALU_CYCLE_1)
	s_mul_i32 s16, s16, s48
	s_sub_i32 s9, s9, s16
	s_ashr_i32 s16, s27, 31
	s_sub_i32 s17, s9, s48
	s_cmp_ge_u32 s9, s48
	s_cselect_b32 s9, s17, s9
	s_delay_alu instid0(SALU_CYCLE_1) | instskip(SKIP_4) | instid1(SALU_CYCLE_1)
	s_sub_i32 s17, s9, s48
	s_cmp_ge_u32 s9, s48
	s_cselect_b32 s9, s17, s9
	s_mov_b32 s17, exec_lo
	s_xor_b32 s9, s9, s16
	s_sub_i32 s9, s16, s9
	s_mov_b32 s16, 0
	s_add_i32 s27, s27, s9
	s_delay_alu instid0(SALU_CYCLE_1)
	v_cmpx_gt_i32_e64 s27, v0
	s_cbranch_execz .LBB40_181
; %bb.173:                              ;   in Loop: Header=BB40_8 Depth=1
	v_dual_mov_b32 v7, v25 :: v_dual_mov_b32 v8, v0
	s_mov_b32 s28, 0
                                        ; implicit-def: $sgpr16
	s_set_inst_prefetch_distance 0x1
	s_branch .LBB40_175
	.p2align	6
.LBB40_174:                             ;   in Loop: Header=BB40_175 Depth=2
	s_or_b32 exec_lo, exec_lo, s9
	s_waitcnt lgkmcnt(0)
	s_barrier
	buffer_gl0_inv
	ds_load_b128 v[3:6], v13 offset:3072
	v_add_nc_u32_e32 v8, s48, v8
	v_add_nc_u32_e32 v7, s66, v7
	s_waitcnt lgkmcnt(0)
	s_barrier
	buffer_gl0_inv
	v_cmp_le_i32_e64 s9, s27, v8
	v_cmp_neq_f64_e32 vcc_lo, 0, v[3:4]
	s_delay_alu instid0(VALU_DEP_2) | instskip(NEXT) | instid1(SALU_CYCLE_1)
	s_or_b32 s9, s9, vcc_lo
	s_and_b32 s9, exec_lo, s9
	s_delay_alu instid0(SALU_CYCLE_1) | instskip(SKIP_2) | instid1(SALU_CYCLE_1)
	s_or_b32 s28, s9, s28
	s_and_not1_b32 s9, s16, exec_lo
	s_and_b32 s16, vcc_lo, exec_lo
	s_or_b32 s16, s9, s16
	s_and_not1_b32 exec_lo, exec_lo, s28
	s_cbranch_execz .LBB40_180
.LBB40_175:                             ;   Parent Loop BB40_8 Depth=1
                                        ; =>  This Inner Loop Header: Depth=2
	v_mov_b32_e32 v3, 0
	v_mov_b32_e32 v4, 0
	v_cmp_gt_i32_e32 vcc_lo, s15, v8
	s_and_saveexec_b32 s9, vcc_lo
	s_cbranch_execz .LBB40_177
; %bb.176:                              ;   in Loop: Header=BB40_175 Depth=2
	ds_load_b64 v[3:4], v7
.LBB40_177:                             ;   in Loop: Header=BB40_175 Depth=2
	s_or_b32 exec_lo, exec_lo, s9
	s_and_saveexec_b32 s9, vcc_lo
	s_cbranch_execz .LBB40_174
; %bb.178:                              ;   in Loop: Header=BB40_175 Depth=2
	s_waitcnt lgkmcnt(0)
	v_cmp_o_f64_e32 vcc_lo, v[3:4], v[3:4]
	v_ashrrev_i32_e32 v1, 31, v4
	s_delay_alu instid0(VALU_DEP_1) | instskip(SKIP_1) | instid1(VALU_DEP_2)
	v_or_b32_e32 v5, 0x80000000, v1
	v_xor_b32_e32 v1, v1, v3
	v_xor_b32_e32 v5, v5, v4
	s_delay_alu instid0(VALU_DEP_1) | instskip(NEXT) | instid1(VALU_DEP_3)
	v_cndmask_b32_e32 v5, -1, v5, vcc_lo
	v_cndmask_b32_e32 v1, -1, v1, vcc_lo
	s_delay_alu instid0(VALU_DEP_2) | instskip(NEXT) | instid1(VALU_DEP_2)
	v_and_b32_e32 v6, s45, v5
	v_and_b32_e32 v5, s44, v1
	s_delay_alu instid0(VALU_DEP_1)
	v_cmp_eq_u64_e32 vcc_lo, s[42:43], v[5:6]
	s_and_b32 exec_lo, exec_lo, vcc_lo
	s_cbranch_execz .LBB40_174
; %bb.179:                              ;   in Loop: Header=BB40_175 Depth=2
	v_mov_b32_e32 v1, v13
	ds_store_b128 v13, v[1:4] offset:3072
	s_branch .LBB40_174
.LBB40_180:                             ;   in Loop: Header=BB40_8 Depth=1
	s_set_inst_prefetch_distance 0x2
	s_or_b32 exec_lo, exec_lo, s28
	s_delay_alu instid0(SALU_CYCLE_1)
	s_and_b32 s16, s16, exec_lo
.LBB40_181:                             ;   in Loop: Header=BB40_8 Depth=1
	s_or_b32 exec_lo, exec_lo, s17
	s_mov_b32 s37, -1
	s_mov_b32 s27, 0
	s_mov_b32 s28, 0
.LBB40_182:                             ;   in Loop: Header=BB40_8 Depth=1
	s_mov_b32 s15, 0
                                        ; implicit-def: $sgpr9
	s_and_saveexec_b32 s75, s16
	s_cbranch_execz .LBB40_237
; %bb.183:                              ;   in Loop: Header=BB40_8 Depth=1
	s_xor_b32 s9, s14, -1
	s_mov_b32 s77, 0
	s_and_not1_b32 vcc_lo, exec_lo, s9
	s_mov_b32 s14, 1
	s_cbranch_vccnz .LBB40_194
; %bb.184:                              ;   in Loop: Header=BB40_8 Depth=1
	s_cmp_gt_i32 s76, s21
	s_mov_b32 s77, -1
                                        ; implicit-def: $sgpr9
                                        ; implicit-def: $sgpr14_sgpr15
                                        ; implicit-def: $sgpr16_sgpr17
	s_cbranch_scc1 .LBB40_190
; %bb.185:                              ;   in Loop: Header=BB40_8 Depth=1
	ds_load_b32 v1, v13 offset:4096
	s_waitcnt lgkmcnt(0)
	v_cmp_ne_u32_e32 vcc_lo, 0, v1
	s_cbranch_vccnz .LBB40_189
; %bb.186:                              ;   in Loop: Header=BB40_8 Depth=1
	s_and_saveexec_b32 s9, s2
	s_cbranch_execz .LBB40_188
; %bb.187:                              ;   in Loop: Header=BB40_8 Depth=1
	v_mov_b32_e32 v1, s21
	ds_store_b32 v13, v1 offset:4100
.LBB40_188:                             ;   in Loop: Header=BB40_8 Depth=1
	s_or_b32 exec_lo, exec_lo, s9
	s_waitcnt lgkmcnt(0)
	s_barrier
	buffer_gl0_inv
.LBB40_189:                             ;   in Loop: Header=BB40_8 Depth=1
	s_lshl_b64 s[14:15], 2, s22
	s_and_b64 s[12:13], s[42:43], s[12:13]
	s_or_b64 s[16:17], s[44:45], s[10:11]
	s_or_b64 s[14:15], s[12:13], s[14:15]
	s_mov_b32 s77, 0
	s_mov_b32 s9, 8
.LBB40_190:                             ;   in Loop: Header=BB40_8 Depth=1
	s_and_not1_b32 vcc_lo, exec_lo, s77
	s_cbranch_vccnz .LBB40_192
; %bb.191:                              ;   in Loop: Header=BB40_8 Depth=1
	s_sub_i32 s76, s76, s21
	s_mov_b32 s77, -1
	s_mov_b32 s9, 0
	s_mov_b64 s[14:15], s[42:43]
	s_mov_b64 s[16:17], s[44:45]
.LBB40_192:                             ;   in Loop: Header=BB40_8 Depth=1
	s_delay_alu instid0(SALU_CYCLE_1)
	s_mov_b64 s[44:45], s[16:17]
	s_mov_b64 s[42:43], s[14:15]
	s_mov_b32 s14, s76
	s_and_not1_b32 vcc_lo, exec_lo, s77
	s_mov_b32 s13, -1
	s_cbranch_vccz .LBB40_195
.LBB40_193:                             ;   in Loop: Header=BB40_8 Depth=1
                                        ; implicit-def: $sgpr15
                                        ; implicit-def: $sgpr17
                                        ; implicit-def: $sgpr16
	s_branch .LBB40_236
.LBB40_194:                             ;   in Loop: Header=BB40_8 Depth=1
	s_mov_b32 s9, 1
	s_and_not1_b32 vcc_lo, exec_lo, s77
	s_mov_b32 s13, -1
	s_cbranch_vccnz .LBB40_193
.LBB40_195:                             ;   in Loop: Header=BB40_8 Depth=1
	s_cmp_eq_u32 s18, 1
	s_mov_b32 s21, -1
	s_cselect_b32 s9, -1, 0
	s_cmp_eq_u32 s14, 1
	s_cselect_b32 s12, -1, 0
	s_delay_alu instid0(SALU_CYCLE_1) | instskip(NEXT) | instid1(SALU_CYCLE_1)
	s_and_b32 s12, s9, s12
	s_and_b32 vcc_lo, exec_lo, s12
	s_cbranch_vccz .LBB40_207
; %bb.196:                              ;   in Loop: Header=BB40_8 Depth=1
	ds_load_b32 v1, v13 offset:4096
	s_waitcnt lgkmcnt(0)
	s_barrier
	buffer_gl0_inv
	v_readfirstlane_b32 s13, v1
	s_and_saveexec_b32 s9, s0
	s_cbranch_execz .LBB40_198
; %bb.197:                              ;   in Loop: Header=BB40_8 Depth=1
	v_mov_b32_e32 v12, v13
	ds_store_b64 v26, v[12:13]
.LBB40_198:                             ;   in Loop: Header=BB40_8 Depth=1
	s_or_b32 exec_lo, exec_lo, s9
	s_or_b64 s[42:43], s[42:43], s[10:11]
	s_or_b64 s[44:45], s[44:45], s[10:11]
	s_cmp_gt_i32 s13, 0
	s_waitcnt lgkmcnt(0)
	s_barrier
	buffer_gl0_inv
	s_cbranch_scc1 .LBB40_208
; %bb.199:                              ;   in Loop: Header=BB40_8 Depth=1
	s_mov_b32 s21, 0
                                        ; implicit-def: $vgpr5_vgpr6
	s_and_saveexec_b32 s15, s8
	s_cbranch_execz .LBB40_210
; %bb.200:                              ;   in Loop: Header=BB40_8 Depth=1
	v_mov_b32_e32 v7, v11
	v_mov_b32_e32 v9, v0
	s_mov_b32 s17, 0
                                        ; implicit-def: $sgpr16
	s_branch .LBB40_202
.LBB40_201:                             ;   in Loop: Header=BB40_202 Depth=2
	s_or_b32 exec_lo, exec_lo, s9
	s_waitcnt vmcnt(0) lgkmcnt(0)
	s_barrier
	buffer_gl0_inv
	ds_load_b128 v[3:6], v13 offset:3072
	v_add_nc_u32_e32 v9, s48, v9
	v_add_nc_u32_e32 v7, s52, v7
	s_waitcnt lgkmcnt(0)
	s_barrier
	buffer_gl0_inv
	v_cmp_le_i32_e64 s9, s63, v9
	v_cmp_neq_f64_e32 vcc_lo, 0, v[3:4]
	s_delay_alu instid0(VALU_DEP_2) | instskip(NEXT) | instid1(SALU_CYCLE_1)
	s_or_b32 s9, s9, vcc_lo
	s_and_b32 s9, exec_lo, s9
	s_delay_alu instid0(SALU_CYCLE_1) | instskip(SKIP_2) | instid1(SALU_CYCLE_1)
	s_or_b32 s17, s9, s17
	s_and_not1_b32 s9, s16, exec_lo
	s_and_b32 s16, vcc_lo, exec_lo
	s_or_b32 s16, s9, s16
	s_and_not1_b32 exec_lo, exec_lo, s17
	s_cbranch_execz .LBB40_209
.LBB40_202:                             ;   Parent Loop BB40_8 Depth=1
                                        ; =>  This Inner Loop Header: Depth=2
	v_mov_b32_e32 v3, 0
	v_mov_b32_e32 v4, 0
	v_cmp_gt_i32_e32 vcc_lo, s36, v9
	s_and_saveexec_b32 s21, vcc_lo
	s_cbranch_execz .LBB40_204
; %bb.203:                              ;   in Loop: Header=BB40_202 Depth=2
	v_ashrrev_i32_e32 v8, 31, v7
	s_delay_alu instid0(VALU_DEP_1) | instskip(NEXT) | instid1(VALU_DEP_1)
	v_lshlrev_b64 v[3:4], 3, v[7:8]
	v_add_co_u32 v3, s9, s46, v3
	s_delay_alu instid0(VALU_DEP_1)
	v_add_co_ci_u32_e64 v4, s9, s47, v4, s9
	global_load_b64 v[3:4], v[3:4], off
.LBB40_204:                             ;   in Loop: Header=BB40_202 Depth=2
	s_or_b32 exec_lo, exec_lo, s21
	s_and_saveexec_b32 s9, vcc_lo
	s_cbranch_execz .LBB40_201
; %bb.205:                              ;   in Loop: Header=BB40_202 Depth=2
	s_waitcnt vmcnt(0)
	v_cmp_o_f64_e32 vcc_lo, v[3:4], v[3:4]
	v_ashrrev_i32_e32 v1, 31, v4
	s_delay_alu instid0(VALU_DEP_1) | instskip(SKIP_1) | instid1(VALU_DEP_2)
	v_or_b32_e32 v5, 0x80000000, v1
	v_xor_b32_e32 v1, v1, v3
	v_xor_b32_e32 v5, v5, v4
	s_delay_alu instid0(VALU_DEP_1) | instskip(NEXT) | instid1(VALU_DEP_3)
	v_cndmask_b32_e32 v5, -1, v5, vcc_lo
	v_cndmask_b32_e32 v1, -1, v1, vcc_lo
	s_delay_alu instid0(VALU_DEP_2) | instskip(NEXT) | instid1(VALU_DEP_2)
	v_and_b32_e32 v6, s45, v5
	v_and_b32_e32 v5, s44, v1
	s_delay_alu instid0(VALU_DEP_1)
	v_cmp_eq_u64_e32 vcc_lo, s[42:43], v[5:6]
	s_and_b32 exec_lo, exec_lo, vcc_lo
	s_cbranch_execz .LBB40_201
; %bb.206:                              ;   in Loop: Header=BB40_202 Depth=2
	v_mov_b32_e32 v1, v13
	ds_store_b128 v13, v[1:4] offset:3072
	s_branch .LBB40_201
.LBB40_207:                             ;   in Loop: Header=BB40_8 Depth=1
                                        ; implicit-def: $sgpr15
                                        ; implicit-def: $sgpr17
                                        ; implicit-def: $sgpr16
	s_branch .LBB40_221
.LBB40_208:                             ;   in Loop: Header=BB40_8 Depth=1
	s_mov_b32 s15, -1
	s_mov_b32 s21, 0
                                        ; implicit-def: $sgpr16
                                        ; implicit-def: $vgpr5_vgpr6
	s_mov_b32 s17, s15
	s_cbranch_execnz .LBB40_211
	s_branch .LBB40_221
.LBB40_209:                             ;   in Loop: Header=BB40_8 Depth=1
	s_or_b32 exec_lo, exec_lo, s17
	s_delay_alu instid0(SALU_CYCLE_1)
	s_and_b32 s21, s16, exec_lo
.LBB40_210:                             ;   in Loop: Header=BB40_8 Depth=1
	s_or_b32 exec_lo, exec_lo, s15
	s_mov_b32 s16, -1
	s_mov_b32 s15, 0
	s_delay_alu instid0(SALU_CYCLE_1)
	s_mov_b32 s17, s15
	s_branch .LBB40_221
.LBB40_211:                             ;   in Loop: Header=BB40_8 Depth=1
	s_add_i32 s16, s13, s53
	s_mov_b32 s21, 0
	s_abs_i32 s9, s16
                                        ; implicit-def: $vgpr5_vgpr6
	s_delay_alu instid0(SALU_CYCLE_1) | instskip(NEXT) | instid1(SALU_CYCLE_1)
	s_mul_hi_u32 s15, s9, s62
	s_mul_i32 s15, s15, s48
	s_delay_alu instid0(SALU_CYCLE_1) | instskip(SKIP_4) | instid1(SALU_CYCLE_1)
	s_sub_i32 s9, s9, s15
	s_ashr_i32 s15, s16, 31
	s_sub_i32 s17, s9, s48
	s_cmp_ge_u32 s9, s48
	s_cselect_b32 s9, s17, s9
	s_sub_i32 s17, s9, s48
	s_cmp_ge_u32 s9, s48
	s_cselect_b32 s9, s17, s9
	s_delay_alu instid0(SALU_CYCLE_1) | instskip(NEXT) | instid1(SALU_CYCLE_1)
	s_xor_b32 s9, s9, s15
	s_sub_i32 s9, s15, s9
	s_mov_b32 s15, exec_lo
	s_add_i32 s16, s16, s9
	s_delay_alu instid0(SALU_CYCLE_1)
	v_cmpx_gt_i32_e64 s16, v0
	s_cbranch_execz .LBB40_220
; %bb.212:                              ;   in Loop: Header=BB40_8 Depth=1
	v_dual_mov_b32 v7, v25 :: v_dual_mov_b32 v8, v0
                                        ; implicit-def: $sgpr17
	s_set_inst_prefetch_distance 0x1
	s_branch .LBB40_214
	.p2align	6
.LBB40_213:                             ;   in Loop: Header=BB40_214 Depth=2
	s_or_b32 exec_lo, exec_lo, s9
	s_waitcnt lgkmcnt(0)
	s_barrier
	buffer_gl0_inv
	ds_load_b128 v[3:6], v13 offset:3072
	v_add_nc_u32_e32 v8, s48, v8
	v_add_nc_u32_e32 v7, s66, v7
	s_waitcnt lgkmcnt(0)
	s_barrier
	buffer_gl0_inv
	v_cmp_le_i32_e64 s9, s16, v8
	v_cmp_neq_f64_e32 vcc_lo, 0, v[3:4]
	s_delay_alu instid0(VALU_DEP_2) | instskip(NEXT) | instid1(SALU_CYCLE_1)
	s_or_b32 s9, s9, vcc_lo
	s_and_b32 s9, exec_lo, s9
	s_delay_alu instid0(SALU_CYCLE_1) | instskip(SKIP_2) | instid1(SALU_CYCLE_1)
	s_or_b32 s21, s9, s21
	s_and_not1_b32 s9, s17, exec_lo
	s_and_b32 s17, vcc_lo, exec_lo
	s_or_b32 s17, s9, s17
	s_and_not1_b32 exec_lo, exec_lo, s21
	s_cbranch_execz .LBB40_219
.LBB40_214:                             ;   Parent Loop BB40_8 Depth=1
                                        ; =>  This Inner Loop Header: Depth=2
	v_mov_b32_e32 v3, 0
	v_mov_b32_e32 v4, 0
	v_cmp_gt_i32_e32 vcc_lo, s13, v8
	s_and_saveexec_b32 s9, vcc_lo
	s_cbranch_execz .LBB40_216
; %bb.215:                              ;   in Loop: Header=BB40_214 Depth=2
	ds_load_b64 v[3:4], v7
.LBB40_216:                             ;   in Loop: Header=BB40_214 Depth=2
	s_or_b32 exec_lo, exec_lo, s9
	s_and_saveexec_b32 s9, vcc_lo
	s_cbranch_execz .LBB40_213
; %bb.217:                              ;   in Loop: Header=BB40_214 Depth=2
	s_waitcnt lgkmcnt(0)
	v_cmp_o_f64_e32 vcc_lo, v[3:4], v[3:4]
	v_ashrrev_i32_e32 v1, 31, v4
	s_delay_alu instid0(VALU_DEP_1) | instskip(SKIP_1) | instid1(VALU_DEP_2)
	v_or_b32_e32 v5, 0x80000000, v1
	v_xor_b32_e32 v1, v1, v3
	v_xor_b32_e32 v5, v5, v4
	s_delay_alu instid0(VALU_DEP_1) | instskip(NEXT) | instid1(VALU_DEP_3)
	v_cndmask_b32_e32 v5, -1, v5, vcc_lo
	v_cndmask_b32_e32 v1, -1, v1, vcc_lo
	s_delay_alu instid0(VALU_DEP_2) | instskip(NEXT) | instid1(VALU_DEP_2)
	v_and_b32_e32 v6, s45, v5
	v_and_b32_e32 v5, s44, v1
	s_delay_alu instid0(VALU_DEP_1)
	v_cmp_eq_u64_e32 vcc_lo, s[42:43], v[5:6]
	s_and_b32 exec_lo, exec_lo, vcc_lo
	s_cbranch_execz .LBB40_213
; %bb.218:                              ;   in Loop: Header=BB40_214 Depth=2
	v_mov_b32_e32 v1, v13
	ds_store_b128 v13, v[1:4] offset:3072
	s_branch .LBB40_213
.LBB40_219:                             ;   in Loop: Header=BB40_8 Depth=1
	s_set_inst_prefetch_distance 0x2
	s_or_b32 exec_lo, exec_lo, s21
	s_delay_alu instid0(SALU_CYCLE_1)
	s_and_b32 s21, s17, exec_lo
.LBB40_220:                             ;   in Loop: Header=BB40_8 Depth=1
	s_or_b32 exec_lo, exec_lo, s15
	s_mov_b32 s17, -1
	s_mov_b32 s15, 0
	s_mov_b32 s16, 0
.LBB40_221:                             ;   in Loop: Header=BB40_8 Depth=1
	s_mov_b32 s13, 0
                                        ; implicit-def: $sgpr9
	s_and_saveexec_b32 s22, s21
	s_cbranch_execz .LBB40_235
; %bb.222:                              ;   in Loop: Header=BB40_8 Depth=1
	s_xor_b32 s9, s12, -1
	s_delay_alu instid0(SALU_CYCLE_1)
	s_and_not1_b32 vcc_lo, exec_lo, s9
	s_mov_b32 s9, 1
	s_cbranch_vccnz .LBB40_229
; %bb.223:                              ;   in Loop: Header=BB40_8 Depth=1
	s_cmp_gt_i32 s14, s18
	s_cbranch_scc1 .LBB40_230
; %bb.224:                              ;   in Loop: Header=BB40_8 Depth=1
	ds_load_b32 v1, v13 offset:4096
	s_waitcnt lgkmcnt(0)
	v_cmp_ne_u32_e32 vcc_lo, 0, v1
	s_cbranch_vccnz .LBB40_228
; %bb.225:                              ;   in Loop: Header=BB40_8 Depth=1
	s_and_saveexec_b32 s9, s2
	s_cbranch_execz .LBB40_227
; %bb.226:                              ;   in Loop: Header=BB40_8 Depth=1
	v_mov_b32_e32 v1, s18
	ds_store_b32 v13, v1 offset:4100
.LBB40_227:                             ;   in Loop: Header=BB40_8 Depth=1
	s_or_b32 exec_lo, exec_lo, s9
	s_waitcnt lgkmcnt(0)
	s_barrier
	buffer_gl0_inv
.LBB40_228:                             ;   in Loop: Header=BB40_8 Depth=1
	s_or_b64 s[12:13], s[42:43], s[10:11]
	s_or_b64 s[10:11], s[44:45], s[10:11]
	s_mov_b32 s21, 0
	s_mov_b32 s9, 8
	s_branch .LBB40_231
.LBB40_229:                             ;   in Loop: Header=BB40_8 Depth=1
	s_mov_b32 s14, 1
	s_branch .LBB40_234
.LBB40_230:                             ;   in Loop: Header=BB40_8 Depth=1
	s_mov_b32 s21, -1
                                        ; implicit-def: $sgpr9
                                        ; implicit-def: $sgpr12_sgpr13
                                        ; implicit-def: $sgpr10_sgpr11
.LBB40_231:                             ;   in Loop: Header=BB40_8 Depth=1
	s_delay_alu instid0(SALU_CYCLE_1)
	s_and_not1_b32 vcc_lo, exec_lo, s21
	s_cbranch_vccnz .LBB40_233
; %bb.232:                              ;   in Loop: Header=BB40_8 Depth=1
	s_sub_i32 s14, s14, s18
	s_mov_b32 s9, 8
	s_mov_b64 s[12:13], s[42:43]
	s_mov_b64 s[10:11], s[44:45]
.LBB40_233:                             ;   in Loop: Header=BB40_8 Depth=1
	s_mov_b64 s[42:43], s[12:13]
	s_mov_b64 s[44:45], s[10:11]
.LBB40_234:                             ;   in Loop: Header=BB40_8 Depth=1
	s_mov_b32 s13, exec_lo
.LBB40_235:                             ;   in Loop: Header=BB40_8 Depth=1
	s_or_b32 exec_lo, exec_lo, s22
.LBB40_236:                             ;   in Loop: Header=BB40_8 Depth=1
	s_delay_alu instid0(SALU_CYCLE_1)
	s_and_not1_b32 s10, s27, exec_lo
	s_and_b32 s11, s15, exec_lo
	s_and_not1_b32 s12, s28, exec_lo
	s_or_b32 s27, s10, s11
	s_and_not1_b32 s10, s37, exec_lo
	s_and_b32 s11, s17, exec_lo
	s_and_b32 s15, s16, exec_lo
	s_or_b32 s37, s10, s11
	s_or_b32 s28, s12, s15
	s_and_b32 s15, s13, exec_lo
	s_mov_b32 s76, s14
.LBB40_237:                             ;   in Loop: Header=BB40_8 Depth=1
	s_or_b32 exec_lo, exec_lo, s75
.LBB40_238:                             ;   in Loop: Header=BB40_8 Depth=1
	s_delay_alu instid0(SALU_CYCLE_1)
	s_and_not1_b32 s10, s24, exec_lo
	s_and_b32 s11, s27, exec_lo
	s_and_not1_b32 s12, s23, exec_lo
	s_or_b32 s24, s10, s11
	s_and_not1_b32 s10, s25, exec_lo
	s_and_b32 s11, s37, exec_lo
	s_and_b32 s13, s28, exec_lo
	s_or_b32 s25, s10, s11
	s_or_b32 s23, s12, s13
	s_and_b32 s15, s15, exec_lo
	s_mov_b32 s28, s76
.LBB40_239:                             ;   in Loop: Header=BB40_8 Depth=1
	s_or_b32 exec_lo, exec_lo, s26
	s_and_saveexec_b32 s10, s15
	s_delay_alu instid0(SALU_CYCLE_1)
	s_xor_b32 s10, exec_lo, s10
	s_cbranch_execz .LBB40_6
.LBB40_240:                             ;   in Loop: Header=BB40_8 Depth=1
	s_and_b32 s9, s9, -9
	s_delay_alu instid0(SALU_CYCLE_1)
	s_cmp_eq_u32 s9, 0
	s_cbranch_scc1 .LBB40_4
; %bb.241:                              ;   in Loop: Header=BB40_8 Depth=1
	s_mov_b32 s9, -1
	s_mov_b32 s11, -1
                                        ; implicit-def: $sgpr44_sgpr45
                                        ; implicit-def: $sgpr28
                                        ; implicit-def: $sgpr70
                                        ; implicit-def: $sgpr73
	s_branch .LBB40_5
.LBB40_242:
	s_or_b32 exec_lo, exec_lo, s49
	s_xor_b32 s3, s69, -1
	s_xor_b32 s1, s67, -1
	;; [unrolled: 1-line block ×3, first 2 shown]
	s_mov_b32 s0, 0
	s_and_saveexec_b32 s5, s1
	s_delay_alu instid0(SALU_CYCLE_1)
	s_xor_b32 s1, exec_lo, s5
	s_cbranch_execz .LBB40_263
; %bb.243:
	s_and_saveexec_b32 s0, s3
	s_delay_alu instid0(SALU_CYCLE_1)
	s_xor_b32 s3, exec_lo, s0
	s_cbranch_execz .LBB40_261
; %bb.244:
	s_and_saveexec_b32 s0, s4
	s_delay_alu instid0(SALU_CYCLE_1)
	s_xor_b32 s0, exec_lo, s0
; %bb.245:
	v_lshrrev_b32_e32 v1, 31, v4
	s_delay_alu instid0(VALU_DEP_1) | instskip(NEXT) | instid1(VALU_DEP_1)
	v_add_co_u32 v1, s4, v1, -1
	v_add_co_ci_u32_e64 v2, null, 0, -1, s4
	s_delay_alu instid0(VALU_DEP_2) | instskip(NEXT) | instid1(VALU_DEP_2)
	v_xor_b32_e32 v5, v1, v3
	v_or_b32_e32 v2, 0x80000000, v2
	s_delay_alu instid0(VALU_DEP_1)
	v_xor_b32_e32 v6, v2, v4
; %bb.246:
	s_or_b32 exec_lo, exec_lo, s0
	s_and_saveexec_b32 s0, s2
	s_cbranch_execz .LBB40_248
; %bb.247:
	v_dual_mov_b32 v1, 0 :: v_dual_mov_b32 v2, s36
	ds_store_b32 v1, v2 offset:4108
.LBB40_248:
	s_or_b32 exec_lo, exec_lo, s0
	v_mov_b32_e32 v1, 0
	s_waitcnt lgkmcnt(0)
	s_barrier
	buffer_gl0_inv
	s_mov_b32 s4, exec_lo
	ds_load_b32 v1, v1 offset:4108
	s_waitcnt lgkmcnt(0)
	v_min_i32_e32 v1, s36, v1
	s_delay_alu instid0(VALU_DEP_1)
	v_cmpx_lt_i32_e64 v0, v1
	s_cbranch_execz .LBB40_258
; %bb.249:
	v_cmp_u_f64_e32 vcc_lo, v[5:6], v[5:6]
	s_mov_b32 s5, 0
                                        ; implicit-def: $sgpr6
                                        ; implicit-def: $sgpr9
                                        ; implicit-def: $sgpr8
	s_xor_b32 s7, vcc_lo, -1
	s_set_inst_prefetch_distance 0x1
	s_branch .LBB40_251
	.p2align	6
.LBB40_250:                             ;   in Loop: Header=BB40_251 Depth=1
	s_or_b32 exec_lo, exec_lo, s0
	s_delay_alu instid0(SALU_CYCLE_1) | instskip(NEXT) | instid1(SALU_CYCLE_1)
	s_and_b32 s0, exec_lo, s9
	s_or_b32 s5, s0, s5
	s_and_not1_b32 s0, s6, exec_lo
	s_and_b32 s6, s8, exec_lo
	s_delay_alu instid0(SALU_CYCLE_1)
	s_or_b32 s6, s0, s6
	s_and_not1_b32 exec_lo, exec_lo, s5
	s_cbranch_execz .LBB40_253
.LBB40_251:                             ; =>This Inner Loop Header: Depth=1
	v_ashrrev_i32_e32 v12, 31, v11
	s_or_b32 s8, s8, exec_lo
	s_or_b32 s9, s9, exec_lo
	s_delay_alu instid0(VALU_DEP_1) | instskip(NEXT) | instid1(VALU_DEP_1)
	v_lshlrev_b64 v[2:3], 3, v[11:12]
	v_add_co_u32 v2, vcc_lo, s46, v2
	s_delay_alu instid0(VALU_DEP_2)
	v_add_co_ci_u32_e32 v3, vcc_lo, s47, v3, vcc_lo
	global_load_b64 v[2:3], v[2:3], off
	s_waitcnt vmcnt(0)
	v_cmp_o_f64_e32 vcc_lo, v[2:3], v[2:3]
	v_cmp_neq_f64_e64 s0, v[2:3], v[5:6]
	v_mov_b32_e32 v2, v0
                                        ; implicit-def: $vgpr0
	s_or_b32 s10, vcc_lo, s7
	s_delay_alu instid0(VALU_DEP_2) | instid1(SALU_CYCLE_1)
	s_and_b32 s10, s0, s10
	s_delay_alu instid0(SALU_CYCLE_1)
	s_and_saveexec_b32 s0, s10
	s_cbranch_execz .LBB40_250
; %bb.252:                              ;   in Loop: Header=BB40_251 Depth=1
	v_add_nc_u32_e32 v0, s48, v2
	s_and_not1_b32 s9, s9, exec_lo
	v_add_nc_u32_e32 v11, s52, v11
	s_and_not1_b32 s8, s8, exec_lo
	s_delay_alu instid0(VALU_DEP_2) | instskip(SKIP_1) | instid1(SALU_CYCLE_1)
	v_cmp_ge_i32_e32 vcc_lo, v0, v1
	s_and_b32 s10, vcc_lo, exec_lo
	s_or_b32 s9, s9, s10
	s_branch .LBB40_250
.LBB40_253:
	s_set_inst_prefetch_distance 0x2
	s_or_b32 exec_lo, exec_lo, s5
	s_and_saveexec_b32 s0, s6
	s_delay_alu instid0(SALU_CYCLE_1)
	s_xor_b32 s0, exec_lo, s0
	s_cbranch_execz .LBB40_258
; %bb.254:
	s_mov_b32 s5, exec_lo
	s_brev_b32 s0, -2
.LBB40_255:                             ; =>This Inner Loop Header: Depth=1
	s_ctz_i32_b32 s6, s5
	s_delay_alu instid0(SALU_CYCLE_1) | instskip(SKIP_1) | instid1(SALU_CYCLE_1)
	v_readlane_b32 s7, v2, s6
	s_lshl_b32 s6, 1, s6
	s_and_not1_b32 s5, s5, s6
	s_delay_alu instid0(VALU_DEP_1)
	s_min_i32 s0, s0, s7
	s_cmp_lg_u32 s5, 0
	s_cbranch_scc1 .LBB40_255
; %bb.256:
	v_mbcnt_lo_u32_b32 v0, exec_lo, 0
	s_mov_b32 s5, exec_lo
	s_delay_alu instid0(VALU_DEP_1)
	v_cmpx_eq_u32_e32 0, v0
	s_xor_b32 s5, exec_lo, s5
	s_cbranch_execz .LBB40_258
; %bb.257:
	v_dual_mov_b32 v0, 0 :: v_dual_mov_b32 v1, s0
	ds_min_i32 v0, v1 offset:4108
.LBB40_258:
	s_or_b32 exec_lo, exec_lo, s4
	s_waitcnt lgkmcnt(0)
	s_barrier
	buffer_gl0_inv
	s_and_saveexec_b32 s0, s2
	s_cbranch_execz .LBB40_260
; %bb.259:
	v_mov_b32_e32 v2, 0
	s_mul_i32 s4, s38, s29
	s_mul_i32 s6, s33, s29
	s_ashr_i32 s5, s4, 31
	s_delay_alu instid0(SALU_CYCLE_1) | instskip(SKIP_4) | instid1(SALU_CYCLE_1)
	s_lshl_b64 s[4:5], s[4:5], 3
	ds_load_b32 v0, v2 offset:4108
	s_add_u32 s4, s34, s4
	s_addc_u32 s5, s35, s5
	s_ashr_i32 s7, s6, 31
	s_lshl_b64 s[6:7], s[6:7], 3
	s_delay_alu instid0(SALU_CYCLE_1)
	s_add_u32 s6, s30, s6
	s_addc_u32 s7, s31, s7
	s_waitcnt lgkmcnt(0)
	v_ashrrev_i32_e32 v1, 31, v0
	s_clause 0x1
	global_store_b64 v2, v[0:1], s[6:7]
	global_store_b64 v2, v[5:6], s[4:5]
.LBB40_260:
	s_or_b32 exec_lo, exec_lo, s0
.LBB40_261:
	s_or_saveexec_b32 s0, s3
	s_mov_b32 s2, 0
	s_xor_b32 exec_lo, exec_lo, s0
	s_cbranch_execnz .LBB40_269
.LBB40_262:
	s_or_b32 exec_lo, exec_lo, s0
	s_delay_alu instid0(SALU_CYCLE_1)
	s_and_b32 s0, s2, exec_lo
.LBB40_263:
	s_and_not1_saveexec_b32 s1, s1
	s_cbranch_execnz .LBB40_267
; %bb.264:
	s_or_b32 exec_lo, exec_lo, s1
	s_and_saveexec_b32 s1, s0
.LBB40_265:
	; divergent unreachable
.LBB40_266:
	s_nop 0
	s_sendmsg sendmsg(MSG_DEALLOC_VGPRS)
	s_endpgm
.LBB40_267:
	s_cbranch_execnz .LBB40_271
; %bb.268:
	s_or_b32 s0, s0, exec_lo
	s_or_b32 exec_lo, exec_lo, s1
	s_and_saveexec_b32 s1, s0
	s_cbranch_execnz .LBB40_265
	s_branch .LBB40_266
.LBB40_269:
	s_cbranch_execnz .LBB40_273
; %bb.270:
	s_mov_b32 s2, exec_lo
	s_branch .LBB40_262
.LBB40_271:
	s_trap 2
	s_sendmsg_rtn_b32 s0, sendmsg(MSG_RTN_GET_DOORBELL)
	s_mov_b32 ttmp2, m0
	s_waitcnt lgkmcnt(0)
	s_and_b32 s0, s0, 0x3ff
	s_delay_alu instid0(SALU_CYCLE_1) | instskip(NEXT) | instid1(SALU_CYCLE_1)
	s_bitset1_b32 s0, 10
	s_mov_b32 m0, s0
	s_sendmsg sendmsg(MSG_INTERRUPT)
	s_mov_b32 m0, ttmp2
.LBB40_272:                             ; =>This Inner Loop Header: Depth=1
	s_sethalt 5
	s_branch .LBB40_272
.LBB40_273:
	s_trap 2
	s_sendmsg_rtn_b32 s0, sendmsg(MSG_RTN_GET_DOORBELL)
	s_mov_b32 ttmp2, m0
	s_waitcnt lgkmcnt(0)
	s_and_b32 s0, s0, 0x3ff
	s_delay_alu instid0(SALU_CYCLE_1) | instskip(NEXT) | instid1(SALU_CYCLE_1)
	s_bitset1_b32 s0, 10
	s_mov_b32 m0, s0
	s_sendmsg sendmsg(MSG_INTERRUPT)
	s_mov_b32 m0, ttmp2
.LBB40_274:                             ; =>This Inner Loop Header: Depth=1
	s_sethalt 5
	s_branch .LBB40_274
	.section	.rodata,"a",@progbits
	.p2align	6, 0x0
	.amdhsa_kernel _ZN2at6native12_GLOBAL__N_114gatherKthValueIdiLi1EEEvNS_4cuda6detail10TensorInfoIKT_T0_EES8_S8_S8_S8_NS5_IS6_S8_EENS5_IlS8_EE
		.amdhsa_group_segment_fixed_size 4112
		.amdhsa_private_segment_fixed_size 0
		.amdhsa_kernarg_size 920
		.amdhsa_user_sgpr_count 13
		.amdhsa_user_sgpr_dispatch_ptr 0
		.amdhsa_user_sgpr_queue_ptr 0
		.amdhsa_user_sgpr_kernarg_segment_ptr 1
		.amdhsa_user_sgpr_dispatch_id 0
		.amdhsa_user_sgpr_private_segment_size 0
		.amdhsa_wavefront_size32 1
		.amdhsa_uses_dynamic_stack 0
		.amdhsa_enable_private_segment 0
		.amdhsa_system_sgpr_workgroup_id_x 1
		.amdhsa_system_sgpr_workgroup_id_y 1
		.amdhsa_system_sgpr_workgroup_id_z 1
		.amdhsa_system_sgpr_workgroup_info 0
		.amdhsa_system_vgpr_workitem_id 0
		.amdhsa_next_free_vgpr 50
		.amdhsa_next_free_sgpr 84
		.amdhsa_reserve_vcc 1
		.amdhsa_float_round_mode_32 0
		.amdhsa_float_round_mode_16_64 0
		.amdhsa_float_denorm_mode_32 3
		.amdhsa_float_denorm_mode_16_64 3
		.amdhsa_dx10_clamp 1
		.amdhsa_ieee_mode 1
		.amdhsa_fp16_overflow 0
		.amdhsa_workgroup_processor_mode 1
		.amdhsa_memory_ordered 1
		.amdhsa_forward_progress 0
		.amdhsa_shared_vgpr_count 0
		.amdhsa_exception_fp_ieee_invalid_op 0
		.amdhsa_exception_fp_denorm_src 0
		.amdhsa_exception_fp_ieee_div_zero 0
		.amdhsa_exception_fp_ieee_overflow 0
		.amdhsa_exception_fp_ieee_underflow 0
		.amdhsa_exception_fp_ieee_inexact 0
		.amdhsa_exception_int_div_zero 0
	.end_amdhsa_kernel
	.section	.text._ZN2at6native12_GLOBAL__N_114gatherKthValueIdiLi1EEEvNS_4cuda6detail10TensorInfoIKT_T0_EES8_S8_S8_S8_NS5_IS6_S8_EENS5_IlS8_EE,"axG",@progbits,_ZN2at6native12_GLOBAL__N_114gatherKthValueIdiLi1EEEvNS_4cuda6detail10TensorInfoIKT_T0_EES8_S8_S8_S8_NS5_IS6_S8_EENS5_IlS8_EE,comdat
.Lfunc_end40:
	.size	_ZN2at6native12_GLOBAL__N_114gatherKthValueIdiLi1EEEvNS_4cuda6detail10TensorInfoIKT_T0_EES8_S8_S8_S8_NS5_IS6_S8_EENS5_IlS8_EE, .Lfunc_end40-_ZN2at6native12_GLOBAL__N_114gatherKthValueIdiLi1EEEvNS_4cuda6detail10TensorInfoIKT_T0_EES8_S8_S8_S8_NS5_IS6_S8_EENS5_IlS8_EE
                                        ; -- End function
	.section	.AMDGPU.csdata,"",@progbits
; Kernel info:
; codeLenInByte = 10528
; NumSgprs: 86
; NumVgprs: 50
; ScratchSize: 0
; MemoryBound: 0
; FloatMode: 240
; IeeeMode: 1
; LDSByteSize: 4112 bytes/workgroup (compile time only)
; SGPRBlocks: 10
; VGPRBlocks: 6
; NumSGPRsForWavesPerEU: 86
; NumVGPRsForWavesPerEU: 50
; Occupancy: 16
; WaveLimiterHint : 1
; COMPUTE_PGM_RSRC2:SCRATCH_EN: 0
; COMPUTE_PGM_RSRC2:USER_SGPR: 13
; COMPUTE_PGM_RSRC2:TRAP_HANDLER: 0
; COMPUTE_PGM_RSRC2:TGID_X_EN: 1
; COMPUTE_PGM_RSRC2:TGID_Y_EN: 1
; COMPUTE_PGM_RSRC2:TGID_Z_EN: 1
; COMPUTE_PGM_RSRC2:TIDIG_COMP_CNT: 0
	.section	.text._ZN2at6native12_GLOBAL__N_114gatherKthValueIdiLi2EEEvNS_4cuda6detail10TensorInfoIKT_T0_EES8_S8_S8_S8_NS5_IS6_S8_EENS5_IlS8_EE,"axG",@progbits,_ZN2at6native12_GLOBAL__N_114gatherKthValueIdiLi2EEEvNS_4cuda6detail10TensorInfoIKT_T0_EES8_S8_S8_S8_NS5_IS6_S8_EENS5_IlS8_EE,comdat
	.globl	_ZN2at6native12_GLOBAL__N_114gatherKthValueIdiLi2EEEvNS_4cuda6detail10TensorInfoIKT_T0_EES8_S8_S8_S8_NS5_IS6_S8_EENS5_IlS8_EE ; -- Begin function _ZN2at6native12_GLOBAL__N_114gatherKthValueIdiLi2EEEvNS_4cuda6detail10TensorInfoIKT_T0_EES8_S8_S8_S8_NS5_IS6_S8_EENS5_IlS8_EE
	.p2align	8
	.type	_ZN2at6native12_GLOBAL__N_114gatherKthValueIdiLi2EEEvNS_4cuda6detail10TensorInfoIKT_T0_EES8_S8_S8_S8_NS5_IS6_S8_EENS5_IlS8_EE,@function
_ZN2at6native12_GLOBAL__N_114gatherKthValueIdiLi2EEEvNS_4cuda6detail10TensorInfoIKT_T0_EES8_S8_S8_S8_NS5_IS6_S8_EENS5_IlS8_EE: ; @_ZN2at6native12_GLOBAL__N_114gatherKthValueIdiLi2EEEvNS_4cuda6detail10TensorInfoIKT_T0_EES8_S8_S8_S8_NS5_IS6_S8_EENS5_IlS8_EE
; %bb.0:
	s_clause 0x1
	s_load_b64 s[4:5], s[0:1], 0x298
	s_load_b128 s[36:39], s[0:1], 0xd8
	s_add_u32 s2, s0, 0x298
	s_addc_u32 s3, s1, 0
	s_waitcnt lgkmcnt(0)
	s_mul_i32 s5, s5, s15
	s_delay_alu instid0(SALU_CYCLE_1) | instskip(NEXT) | instid1(SALU_CYCLE_1)
	s_add_i32 s5, s5, s14
	s_mul_i32 s29, s5, s4
	s_delay_alu instid0(SALU_CYCLE_1) | instskip(NEXT) | instid1(SALU_CYCLE_1)
	s_add_i32 s29, s29, s13
	s_cmp_ge_i32 s29, s38
	s_cbranch_scc1 .LBB41_266
; %bb.1:
	s_clause 0x8
	s_load_b32 s5, s[0:1], 0xc
	s_load_b32 s38, s[0:1], 0xf4
	;; [unrolled: 1-line block ×3, first 2 shown]
	s_load_b64 s[42:43], s[0:1], 0x154
	s_load_b64 s[34:35], s[0:1], 0xe8
	;; [unrolled: 1-line block ×6, first 2 shown]
	v_cmp_eq_u32_e64 s0, 0, v0
	s_abs_i32 s51, s29
	s_ashr_i32 s52, s29, 31
	s_mov_b32 s61, 0
	s_waitcnt lgkmcnt(0)
	s_abs_i32 s10, s5
	s_abs_i32 s53, s38
	;; [unrolled: 1-line block ×3, first 2 shown]
	v_cvt_f32_u32_e32 v1, s10
	v_cvt_f32_u32_e32 v2, s53
	;; [unrolled: 1-line block ×3, first 2 shown]
	s_sub_i32 s11, 0, s10
	s_sub_i32 s16, 0, s53
	v_rcp_iflag_f32_e32 v1, v1
	v_rcp_iflag_f32_e32 v2, v2
	v_rcp_iflag_f32_e32 v3, v3
	s_sub_i32 s17, 0, s50
	s_ashr_i32 s1, s5, 31
	s_waitcnt_depctr 0xfff
	v_dual_mul_f32 v1, 0x4f7ffffe, v1 :: v_dual_mul_f32 v2, 0x4f7ffffe, v2
	v_mul_f32_e32 v3, 0x4f7ffffe, v3
	s_delay_alu instid0(VALU_DEP_2) | instskip(NEXT) | instid1(VALU_DEP_3)
	v_cvt_u32_f32_e32 v1, v1
	v_cvt_u32_f32_e32 v2, v2
	s_delay_alu instid0(VALU_DEP_3) | instskip(NEXT) | instid1(VALU_DEP_3)
	v_cvt_u32_f32_e32 v3, v3
	v_readfirstlane_b32 s12, v1
	s_delay_alu instid0(VALU_DEP_3) | instskip(NEXT) | instid1(VALU_DEP_3)
	v_readfirstlane_b32 s14, v2
	v_readfirstlane_b32 s15, v3
	s_delay_alu instid0(VALU_DEP_3) | instskip(NEXT) | instid1(VALU_DEP_2)
	s_mul_i32 s11, s11, s12
	s_mul_i32 s16, s16, s14
	s_delay_alu instid0(VALU_DEP_1)
	s_mul_i32 s17, s17, s15
	s_mul_hi_u32 s11, s12, s11
	s_mul_hi_u32 s16, s14, s16
	;; [unrolled: 1-line block ×3, first 2 shown]
	s_add_i32 s12, s12, s11
	s_add_i32 s14, s14, s16
	;; [unrolled: 1-line block ×3, first 2 shown]
	s_mul_hi_u32 s11, s51, s12
	s_mul_hi_u32 s56, s51, s14
	;; [unrolled: 1-line block ×3, first 2 shown]
	s_and_saveexec_b32 s12, s0
	s_cbranch_execz .LBB41_3
; %bb.2:
	v_dual_mov_b32 v1, 0 :: v_dual_mov_b32 v2, s36
	s_delay_alu instid0(VALU_DEP_1)
	v_mov_b32_e32 v3, v1
	ds_store_b96 v1, v[1:3] offset:4096
.LBB41_3:
	s_or_b32 exec_lo, exec_lo, s12
	s_mul_i32 s12, s11, s10
	s_ashr_i32 s57, s38, 31
	s_sub_i32 s12, s51, s12
	s_ashr_i32 s55, s33, 31
	s_xor_b32 s1, s52, s1
	s_add_i32 s14, s11, 1
	s_sub_i32 s15, s12, s10
	s_cmp_ge_u32 s12, s10
	s_waitcnt lgkmcnt(0)
	s_cselect_b32 s11, s14, s11
	s_cselect_b32 s12, s15, s12
	s_add_i32 s14, s11, 1
	s_cmp_ge_u32 s12, s10
	s_barrier
	s_cselect_b32 s10, s14, s11
	buffer_gl0_inv
	s_load_b32 s11, s[2:3], 0xc
	s_xor_b32 s10, s10, s1
	v_mbcnt_lo_u32_b32 v23, -1, 0
	s_sub_i32 s1, s10, s1
	v_cmp_gt_u32_e32 vcc_lo, 32, v0
	s_mul_i32 s5, s1, s5
	s_mul_i32 s1, s1, s8
	s_sub_i32 s5, s29, s5
	v_mov_b32_e32 v13, 0
	s_mul_i32 s5, s5, s9
	v_mul_lo_u32 v11, v0, s39
	s_add_i32 s8, s1, s5
	v_cmp_gt_i32_e64 s1, 4, v23
	s_ashr_i32 s9, s8, 31
	v_dual_mov_b32 v12, v13 :: v_dual_lshlrev_b32 v25, 3, v0
	s_lshl_b64 s[8:9], s[8:9], 3
	s_mov_b32 s10, s39
	s_add_u32 s58, s6, s8
	s_addc_u32 s59, s7, s9
	s_waitcnt lgkmcnt(0)
	s_and_b32 s60, s11, 0xffff
	s_bfe_u32 s5, s11, 0xb0005
	s_lshl_b32 s62, s60, 2
	s_add_i32 s64, s60, -1
	v_cvt_f32_u32_e32 v1, s62
	s_and_b32 s65, vcc_lo, s1
	s_add_i32 s75, s64, s36
	s_cmpk_gt_i32 s36, 0x180
	v_cmp_gt_u32_e64 s1, 2, v0
	v_rcp_iflag_f32_e32 v1, v1
	s_cselect_b32 s66, -1, 0
	s_cmp_gt_u32 s60, 31
	v_lshlrev_b32_e32 v24, 2, v0
	s_cselect_b32 s67, -1, 0
	s_cmp_lt_u32 s13, s4
	v_add_nc_u32_e32 v26, 0xc00, v25
	s_cselect_b32 s4, 12, 18
	v_lshlrev_b32_e32 v34, 5, v0
	s_add_u32 s44, s2, s4
	s_waitcnt_depctr 0xfff
	v_mul_f32_e32 v1, 0x4f7ffffe, v1
	s_addc_u32 s45, s3, 0
	s_add_i32 s2, s5, -1
	s_bfe_u32 s68, s60, 0x30005
	s_cmp_gt_u32 s2, 6
	v_cvt_u32_f32_e32 v1, v1
	s_cselect_b32 s69, -1, 0
	s_and_b32 s70, s5, 0x7f8
	s_cmp_lg_u32 s68, 0
	v_mad_u64_u32 v[18:19], null, s39, v24, s[10:11]
	v_readfirstlane_b32 s3, v1
	s_cselect_b32 s71, -1, 0
	s_sub_i32 s4, 0, s62
	v_cvt_f32_u32_e32 v1, s60
	v_cmp_gt_u32_e64 s2, s36, v0
	s_mul_i32 s4, s4, s3
	v_lshl_or_b32 v35, v23, 2, 0xc00
	s_mul_hi_u32 s4, s3, s4
	v_rcp_iflag_f32_e32 v1, v1
	s_add_i32 s72, s3, s4
	v_lshlrev_b32_e32 v32, 2, v11
	s_mul_hi_u32 s4, s36, s72
	v_cmp_eq_u32_e64 s3, 0, v23
	s_mul_i32 s4, s4, s62
	s_mul_i32 s63, s39, s60
	s_sub_i32 s4, s36, s4
	s_mov_b64 s[46:47], 0
	s_sub_i32 s5, s4, s62
	s_cmp_ge_u32 s4, s62
	s_waitcnt_depctr 0xfff
	v_mul_f32_e32 v3, 0x4f7ffffe, v1
	v_lshlrev_b64 v[1:2], 3, v[11:12]
	s_cselect_b32 s4, s5, s4
	s_mov_b32 s82, 62
	s_sub_i32 s5, s4, s62
	s_cmp_ge_u32 s4, s62
	v_cvt_u32_f32_e32 v3, v3
	s_cselect_b32 s9, s5, s4
	v_add_co_u32 v14, vcc_lo, s58, v1
	s_sub_i32 s73, s36, s9
	v_add_co_ci_u32_e32 v15, vcc_lo, s59, v2, vcc_lo
	v_lshrrev_b32_e32 v2, 3, v0
	v_add_nc_u32_e32 v27, s73, v0
	v_readfirstlane_b32 s5, v3
	v_mov_b32_e32 v5, 0
	v_mov_b32_e32 v6, 0
	v_and_b32_e32 v28, 0x7c, v2
	v_mul_lo_u32 v1, v27, s39
	s_sub_i32 s6, 0, s60
	s_abs_i32 s7, s75
	s_mul_i32 s6, s6, s5
	v_lshlrev_b64 v[3:4], v23, -1
	s_mul_hi_u32 s6, s5, s6
	v_cmp_gt_i32_e64 s4, s36, v0
	s_add_i32 s74, s5, s6
	v_ashrrev_i32_e32 v2, 31, v1
	s_mul_hi_u32 s5, s7, s74
	v_not_b32_e32 v29, v3
	s_mul_i32 s5, s5, s60
	v_or_b32_e32 v3, 3, v24
	v_lshlrev_b64 v[1:2], 3, v[1:2]
	s_sub_i32 s5, s7, s5
	s_ashr_i32 s7, s75, 31
	s_sub_i32 s6, s5, s60
	s_cmp_ge_u32 s5, s60
	v_mul_lo_u32 v31, s39, v3
	s_cselect_b32 s5, s6, s5
	v_add_co_u32 v16, vcc_lo, s58, v1
	v_add3_u32 v1, s60, s36, v0
	s_sub_i32 s6, s5, s60
	s_cmp_ge_u32 s5, s60
	v_add_co_ci_u32_e32 v17, vcc_lo, s59, v2, vcc_lo
	s_cselect_b32 s6, s6, s5
	v_or_b32_e32 v2, 2, v24
	v_subrev_nc_u32_e32 v1, s9, v1
	s_xor_b32 s8, s6, s7
	v_cmp_gt_i32_e64 s5, s73, v24
	s_sub_i32 s7, s7, s8
	v_mul_lo_u32 v30, s39, v2
	v_mul_lo_u32 v33, s39, v1
	s_add_i32 s75, s75, s7
	v_cmp_gt_u32_e64 s6, s36, v27
	v_cmp_gt_i32_e64 s7, s36, v27
	v_cmp_gt_i32_e64 s8, s75, v0
	v_mov_b32_e32 v2, 0x3ff00000
	s_lshl_b32 s76, s63, 2
	s_lshl_b32 s77, s60, 5
	;; [unrolled: 1-line block ×3, first 2 shown]
	s_mov_b32 s85, 0
	s_mov_b64 s[48:49], 0
                                        ; implicit-def: $sgpr79
                                        ; implicit-def: $sgpr81
                                        ; implicit-def: $sgpr80
                                        ; implicit-def: $sgpr84
                                        ; implicit-def: $sgpr86
                                        ; implicit-def: $sgpr83
	s_branch .LBB41_8
.LBB41_4:                               ;   in Loop: Header=BB41_8 Depth=1
	s_xor_b32 s85, s85, 1
	s_add_i32 s12, s82, -2
	s_cmp_eq_u32 s82, 0
	s_mov_b32 s9, 0
	s_cselect_b32 s11, -1, 0
	s_mov_b32 s82, s12
.LBB41_5:                               ;   in Loop: Header=BB41_8 Depth=1
	s_and_not1_b32 s12, s24, exec_lo
	s_and_b32 s9, s9, exec_lo
	s_and_not1_b32 s25, s25, exec_lo
	s_or_b32 s24, s12, s9
	s_and_not1_b32 s23, s23, exec_lo
	s_or_not1_b32 s20, s11, exec_lo
	s_mov_b32 s37, s28
.LBB41_6:                               ;   in Loop: Header=BB41_8 Depth=1
	s_or_b32 exec_lo, exec_lo, s10
	s_delay_alu instid0(SALU_CYCLE_1)
	s_and_not1_b32 s9, s83, exec_lo
	s_and_b32 s10, s24, exec_lo
	s_and_not1_b32 s11, s84, exec_lo
	s_or_b32 s83, s9, s10
	s_and_not1_b32 s9, s86, exec_lo
	s_and_b32 s10, s25, exec_lo
	s_and_b32 s12, s23, exec_lo
	s_or_b32 s86, s9, s10
	s_or_b32 s84, s11, s12
	s_or_not1_b32 s14, s20, exec_lo
.LBB41_7:                               ;   in Loop: Header=BB41_8 Depth=1
	s_or_b32 exec_lo, exec_lo, s19
	s_delay_alu instid0(SALU_CYCLE_1)
	s_and_b32 s9, exec_lo, s14
	v_dual_mov_b32 v3, s46 :: v_dual_mov_b32 v4, s47
	s_or_b32 s61, s9, s61
	s_and_not1_b32 s9, s80, exec_lo
	s_and_b32 s10, s83, exec_lo
	s_and_not1_b32 s11, s79, exec_lo
	s_or_b32 s80, s9, s10
	s_and_not1_b32 s9, s81, exec_lo
	s_and_b32 s10, s86, exec_lo
	s_and_b32 s12, s84, exec_lo
	s_or_b32 s81, s9, s10
	s_or_b32 s79, s11, s12
	s_and_not1_b32 exec_lo, exec_lo, s61
	s_cbranch_execz .LBB41_242
.LBB41_8:                               ; =>This Loop Header: Depth=1
                                        ;     Child Loop BB41_16 Depth 2
                                        ;     Child Loop BB41_35 Depth 2
	;; [unrolled: 1-line block ×16, first 2 shown]
	ds_load_b64 v[3:4], v13 offset:4096
	s_waitcnt lgkmcnt(0)
	v_readfirstlane_b32 s87, v3
	s_delay_alu instid0(VALU_DEP_1)
	s_cmp_gt_i32 s87, 0
	s_cbranch_scc1 .LBB41_42
; %bb.9:                                ;   in Loop: Header=BB41_8 Depth=1
	s_and_b32 vcc_lo, exec_lo, s66
	s_cbranch_vccz .LBB41_24
; %bb.10:                               ;   in Loop: Header=BB41_8 Depth=1
	v_cmp_gt_i32_e32 vcc_lo, 0x181, v4
	s_mov_b32 s10, 0
	s_mov_b32 s9, 0
	s_cbranch_vccz .LBB41_29
; %bb.11:                               ;   in Loop: Header=BB41_8 Depth=1
	v_mov_b32_e32 v3, 0
	v_mov_b32_e32 v4, 0
	s_and_saveexec_b32 s9, s2
	s_cbranch_execz .LBB41_13
; %bb.12:                               ;   in Loop: Header=BB41_8 Depth=1
	global_load_b64 v[3:4], v[14:15], off
.LBB41_13:                              ;   in Loop: Header=BB41_8 Depth=1
	s_or_b32 exec_lo, exec_lo, s9
	s_and_saveexec_b32 s11, s2
	s_cbranch_execz .LBB41_25
; %bb.14:                               ;   in Loop: Header=BB41_8 Depth=1
	global_load_u16 v1, v13, s[44:45]
	v_mov_b32_e32 v10, v0
	s_mov_b32 s12, 0
	s_waitcnt vmcnt(0)
	v_add_nc_u32_e32 v7, v0, v1
	v_mul_lo_u32 v9, s39, v1
	s_delay_alu instid0(VALU_DEP_2)
	v_mul_lo_u32 v12, s39, v7
	s_branch .LBB41_16
.LBB41_15:                              ;   in Loop: Header=BB41_16 Depth=2
	s_or_b32 exec_lo, exec_lo, s9
	v_cmp_le_i32_e32 vcc_lo, s36, v10
	s_waitcnt vmcnt(0)
	v_dual_mov_b32 v3, v7 :: v_dual_add_nc_u32 v12, v12, v9
	v_mov_b32_e32 v4, v8
	s_or_b32 s12, vcc_lo, s12
	s_delay_alu instid0(SALU_CYCLE_1)
	s_and_not1_b32 exec_lo, exec_lo, s12
	s_cbranch_execz .LBB41_25
.LBB41_16:                              ;   Parent Loop BB41_8 Depth=1
                                        ; =>  This Inner Loop Header: Depth=2
	v_dual_mov_b32 v7, 0 :: v_dual_add_nc_u32 v10, v10, v1
	v_mov_b32_e32 v8, 0
	s_mov_b32 s9, exec_lo
	s_delay_alu instid0(VALU_DEP_2)
	v_cmpx_gt_u32_e64 s36, v10
	s_cbranch_execz .LBB41_18
; %bb.17:                               ;   in Loop: Header=BB41_16 Depth=2
	s_delay_alu instid0(VALU_DEP_4) | instskip(NEXT) | instid1(VALU_DEP_1)
	v_lshlrev_b64 v[7:8], 3, v[12:13]
	v_add_co_u32 v7, vcc_lo, s58, v7
	s_delay_alu instid0(VALU_DEP_2)
	v_add_co_ci_u32_e32 v8, vcc_lo, s59, v8, vcc_lo
	global_load_b64 v[7:8], v[7:8], off
.LBB41_18:                              ;   in Loop: Header=BB41_16 Depth=2
	s_or_b32 exec_lo, exec_lo, s9
	v_cmp_o_f64_e32 vcc_lo, v[3:4], v[3:4]
	s_waitcnt lgkmcnt(0)
	v_ashrrev_i32_e32 v19, 31, v4
	s_delay_alu instid0(VALU_DEP_1) | instskip(SKIP_1) | instid1(VALU_DEP_2)
	v_or_b32_e32 v20, 0x80000000, v19
	v_xor_b32_e32 v19, v19, v3
	v_xor_b32_e32 v20, v20, v4
	s_delay_alu instid0(VALU_DEP_1) | instskip(NEXT) | instid1(VALU_DEP_1)
	v_dual_cndmask_b32 v20, -1, v20 :: v_dual_cndmask_b32 v19, -1, v19
	v_and_b32_e32 v20, s49, v20
	s_delay_alu instid0(VALU_DEP_2) | instskip(NEXT) | instid1(VALU_DEP_1)
	v_and_b32_e32 v19, s48, v19
	v_cmp_eq_u64_e32 vcc_lo, s[46:47], v[19:20]
	v_mov_b32_e32 v19, 0
	s_cmp_lg_u32 vcc_lo, 0
	s_cselect_b32 s9, -1, 0
	s_delay_alu instid0(SALU_CYCLE_1) | instskip(NEXT) | instid1(SALU_CYCLE_1)
	s_and_b32 s9, s3, s9
	s_and_saveexec_b32 s13, s9
	s_cbranch_execz .LBB41_22
; %bb.19:                               ;   in Loop: Header=BB41_16 Depth=2
	s_mov_b32 s16, exec_lo
	s_bcnt1_i32_b32 s14, vcc_lo
	v_mbcnt_lo_u32_b32 v19, s16, 0
	s_mov_b32 s15, exec_lo
                                        ; implicit-def: $vgpr20
	s_delay_alu instid0(VALU_DEP_1)
	v_cmpx_eq_u32_e32 0, v19
	s_cbranch_execz .LBB41_21
; %bb.20:                               ;   in Loop: Header=BB41_16 Depth=2
	s_bcnt1_i32_b32 s9, s16
	s_delay_alu instid0(SALU_CYCLE_1) | instskip(NEXT) | instid1(SALU_CYCLE_1)
	s_mul_i32 s9, s14, s9
	v_mov_b32_e32 v20, s9
	ds_add_rtn_u32 v20, v13, v20 offset:4104
.LBB41_21:                              ;   in Loop: Header=BB41_16 Depth=2
	s_or_b32 exec_lo, exec_lo, s15
	s_waitcnt lgkmcnt(0)
	v_readfirstlane_b32 s9, v20
	s_delay_alu instid0(VALU_DEP_1)
	v_mad_u32_u24 v19, s14, v19, s9
.LBB41_22:                              ;   in Loop: Header=BB41_16 Depth=2
	s_or_b32 exec_lo, exec_lo, s13
	ds_bpermute_b32 v19, v13, v19
	s_and_saveexec_b32 s9, vcc_lo
	s_cbranch_execz .LBB41_15
; %bb.23:                               ;   in Loop: Header=BB41_16 Depth=2
	v_and_b32_e32 v20, vcc_lo, v29
	s_delay_alu instid0(VALU_DEP_1) | instskip(NEXT) | instid1(VALU_DEP_1)
	v_bcnt_u32_b32 v20, v20, 0
	v_lshlrev_b32_e32 v20, 3, v20
	s_waitcnt lgkmcnt(0)
	s_delay_alu instid0(VALU_DEP_1)
	v_lshl_add_u32 v19, v19, 3, v20
	ds_store_b64 v19, v[3:4]
	s_branch .LBB41_15
.LBB41_24:                              ;   in Loop: Header=BB41_8 Depth=1
	s_mov_b32 s10, -1
	s_mov_b32 s9, 0
	s_branch .LBB41_28
.LBB41_25:                              ;   in Loop: Header=BB41_8 Depth=1
	s_or_b32 exec_lo, exec_lo, s11
	s_waitcnt vmcnt(0) lgkmcnt(0)
	s_barrier
	buffer_gl0_inv
	s_and_saveexec_b32 s9, s0
	s_cbranch_execz .LBB41_27
; %bb.26:                               ;   in Loop: Header=BB41_8 Depth=1
	ds_load_b32 v1, v13 offset:4104
	s_waitcnt lgkmcnt(0)
	ds_store_b32 v13, v1 offset:4096
.LBB41_27:                              ;   in Loop: Header=BB41_8 Depth=1
	s_or_b32 exec_lo, exec_lo, s9
	s_waitcnt lgkmcnt(0)
	s_mov_b32 s9, -1
	s_barrier
.LBB41_28:                              ;   in Loop: Header=BB41_8 Depth=1
                                        ; implicit-def: $sgpr87
.LBB41_29:                              ;   in Loop: Header=BB41_8 Depth=1
	s_and_b32 vcc_lo, exec_lo, s10
	s_cbranch_vccz .LBB41_40
; %bb.30:                               ;   in Loop: Header=BB41_8 Depth=1
	v_mov_b32_e32 v3, 0
	v_mov_b32_e32 v4, 0
	s_and_saveexec_b32 s9, s2
	s_cbranch_execz .LBB41_32
; %bb.31:                               ;   in Loop: Header=BB41_8 Depth=1
	global_load_b64 v[3:4], v[14:15], off
.LBB41_32:                              ;   in Loop: Header=BB41_8 Depth=1
	s_or_b32 exec_lo, exec_lo, s9
	s_and_saveexec_b32 s9, s4
	s_cbranch_execz .LBB41_37
; %bb.33:                               ;   in Loop: Header=BB41_8 Depth=1
	global_load_u16 v1, v13, s[44:45]
	v_mov_b32_e32 v20, v0
	s_mov_b32 s10, 0
	v_mov_b32_e32 v19, v25
	s_waitcnt vmcnt(0)
	v_add_nc_u32_e32 v7, v0, v1
	v_mul_lo_u32 v9, s39, v1
	v_lshlrev_b32_e32 v10, 3, v1
	s_delay_alu instid0(VALU_DEP_3)
	v_mul_lo_u32 v12, s39, v7
	s_set_inst_prefetch_distance 0x1
	s_branch .LBB41_35
	.p2align	6
.LBB41_34:                              ;   in Loop: Header=BB41_35 Depth=2
	s_or_b32 exec_lo, exec_lo, s11
	v_cmp_le_i32_e32 vcc_lo, s36, v20
	ds_store_b64 v19, v[3:4]
	s_waitcnt vmcnt(0)
	v_dual_mov_b32 v3, v7 :: v_dual_add_nc_u32 v12, v12, v9
	v_dual_mov_b32 v4, v8 :: v_dual_add_nc_u32 v19, v19, v10
	s_or_b32 s10, vcc_lo, s10
	s_delay_alu instid0(SALU_CYCLE_1)
	s_and_not1_b32 exec_lo, exec_lo, s10
	s_cbranch_execz .LBB41_37
.LBB41_35:                              ;   Parent Loop BB41_8 Depth=1
                                        ; =>  This Inner Loop Header: Depth=2
	v_dual_mov_b32 v7, 0 :: v_dual_add_nc_u32 v20, v20, v1
	v_mov_b32_e32 v8, 0
	s_mov_b32 s11, exec_lo
	s_delay_alu instid0(VALU_DEP_2)
	v_cmpx_gt_u32_e64 s36, v20
	s_cbranch_execz .LBB41_34
; %bb.36:                               ;   in Loop: Header=BB41_35 Depth=2
	v_lshlrev_b64 v[7:8], 3, v[12:13]
	s_delay_alu instid0(VALU_DEP_1) | instskip(NEXT) | instid1(VALU_DEP_2)
	v_add_co_u32 v7, vcc_lo, s58, v7
	v_add_co_ci_u32_e32 v8, vcc_lo, s59, v8, vcc_lo
	global_load_b64 v[7:8], v[7:8], off
	s_branch .LBB41_34
.LBB41_37:                              ;   in Loop: Header=BB41_8 Depth=1
	s_set_inst_prefetch_distance 0x2
	s_or_b32 exec_lo, exec_lo, s9
	s_waitcnt vmcnt(0) lgkmcnt(0)
	s_barrier
	buffer_gl0_inv
	s_and_saveexec_b32 s9, s0
	s_cbranch_execz .LBB41_39
; %bb.38:                               ;   in Loop: Header=BB41_8 Depth=1
	v_mov_b32_e32 v1, s36
	ds_store_b32 v13, v1 offset:4096
.LBB41_39:                              ;   in Loop: Header=BB41_8 Depth=1
	s_or_b32 exec_lo, exec_lo, s9
	s_mov_b32 s9, -1
	s_waitcnt lgkmcnt(0)
	s_barrier
                                        ; implicit-def: $sgpr87
.LBB41_40:                              ;   in Loop: Header=BB41_8 Depth=1
	s_and_b32 vcc_lo, exec_lo, s9
	s_cbranch_vccz .LBB41_42
; %bb.41:                               ;   in Loop: Header=BB41_8 Depth=1
	buffer_gl0_inv
	ds_load_b32 v1, v13 offset:4096
	s_waitcnt lgkmcnt(0)
	v_readfirstlane_b32 s87, v1
.LBB41_42:                              ;   in Loop: Header=BB41_8 Depth=1
	s_delay_alu instid0(VALU_DEP_1)
	s_cmp_lt_i32 s87, 1
	s_cbranch_scc0 .LBB41_54
; %bb.43:                               ;   in Loop: Header=BB41_8 Depth=1
	v_dual_mov_b32 v7, 0 :: v_dual_mov_b32 v8, 0
	v_dual_mov_b32 v9, 0 :: v_dual_mov_b32 v10, 0
	s_mov_b32 s89, 0
	s_and_saveexec_b32 s88, s5
	s_cbranch_execz .LBB41_47
; %bb.44:                               ;   in Loop: Header=BB41_8 Depth=1
	v_mov_b32_e32 v1, v24
	s_and_b32 s90, s82, 0xfe
	s_mov_b32 s91, 0
	s_mov_b32 s92, 0
	;; [unrolled: 1-line block ×5, first 2 shown]
.LBB41_45:                              ;   Parent Loop BB41_8 Depth=1
                                        ; =>  This Inner Loop Header: Depth=2
	v_add_nc_u32_e32 v3, s91, v32
	v_add_nc_u32_e32 v7, s91, v18
	;; [unrolled: 1-line block ×5, first 2 shown]
	v_ashrrev_i32_e32 v4, 31, v3
	v_ashrrev_i32_e32 v8, 31, v7
	;; [unrolled: 1-line block ×4, first 2 shown]
	s_add_i32 s91, s91, s76
	v_lshlrev_b64 v[3:4], 3, v[3:4]
	v_lshlrev_b64 v[7:8], 3, v[7:8]
	;; [unrolled: 1-line block ×4, first 2 shown]
	s_delay_alu instid0(VALU_DEP_4)
	v_add_co_u32 v3, vcc_lo, s58, v3
	v_add_co_ci_u32_e32 v4, vcc_lo, s59, v4, vcc_lo
	v_add_co_u32 v7, vcc_lo, s58, v7
	v_add_co_ci_u32_e32 v8, vcc_lo, s59, v8, vcc_lo
	;; [unrolled: 2-line block ×4, first 2 shown]
	s_clause 0x3
	global_load_b64 v[3:4], v[3:4], off
	global_load_b64 v[7:8], v[7:8], off
	global_load_b64 v[9:10], v[9:10], off
	global_load_b64 v[19:20], v[19:20], off
	v_cmp_le_i32_e32 vcc_lo, s73, v1
	s_waitcnt vmcnt(3)
	v_cmp_o_f64_e64 s10, v[3:4], v[3:4]
	s_waitcnt vmcnt(2)
	v_cmp_o_f64_e64 s9, v[7:8], v[7:8]
	;; [unrolled: 2-line block ×4, first 2 shown]
	v_ashrrev_i32_e32 v12, 31, v4
	v_ashrrev_i32_e32 v38, 31, v20
	;; [unrolled: 1-line block ×4, first 2 shown]
	s_delay_alu instid0(VALU_DEP_4) | instskip(NEXT) | instid1(VALU_DEP_4)
	v_or_b32_e32 v40, 0x80000000, v12
	v_or_b32_e32 v43, 0x80000000, v38
	s_delay_alu instid0(VALU_DEP_4) | instskip(NEXT) | instid1(VALU_DEP_4)
	v_or_b32_e32 v41, 0x80000000, v22
	v_or_b32_e32 v42, 0x80000000, v36
	v_xor_b32_e32 v12, v12, v3
	v_xor_b32_e32 v40, v40, v4
	;; [unrolled: 1-line block ×8, first 2 shown]
	v_cndmask_b32_e64 v4, -1, v40, s10
	v_cndmask_b32_e64 v8, -1, v41, s9
	;; [unrolled: 1-line block ×7, first 2 shown]
	v_mov_b32_e32 v21, v13
	v_and_b32_e32 v41, s49, v4
	v_and_b32_e32 v40, s48, v3
	v_lshrrev_b64 v[3:4], s90, v[3:4]
	v_cndmask_b32_e64 v19, -1, v38, s12
	v_dual_mov_b32 v37, v13 :: v_dual_and_b32 v42, s48, v7
	v_and_b32_e32 v43, s49, v8
	v_lshrrev_b64 v[7:8], s90, v[7:8]
	v_dual_mov_b32 v39, v13 :: v_dual_and_b32 v44, s48, v9
	v_lshrrev_b64 v[8:9], s90, v[9:10]
	v_and_b32_e32 v45, s49, v10
	v_lshrrev_b64 v[9:10], s90, v[19:20]
	v_and_b32_e32 v12, 3, v3
	v_and_b32_e32 v47, s49, v20
	;; [unrolled: 1-line block ×4, first 2 shown]
	v_cmp_eq_u64_e64 s9, s[46:47], v[40:41]
	v_cmp_eq_u64_e64 s13, 0, v[12:13]
	v_and_b32_e32 v46, s48, v19
	v_and_b32_e32 v38, 3, v9
	v_cmp_eq_u64_e64 s10, s[46:47], v[42:43]
	v_cmp_eq_u64_e64 s14, 0, v[20:21]
	;; [unrolled: 1-line block ×6, first 2 shown]
	s_and_b32 s13, s9, s13
	v_cmp_eq_u64_e64 s17, 1, v[12:13]
	v_cndmask_b32_e64 v3, 0, 1, s13
	s_and_b32 s13, s10, s14
	v_cmp_eq_u64_e64 s18, 1, v[20:21]
	v_cndmask_b32_e64 v4, 0, 1, s13
	s_and_b32 s13, s11, s15
	v_cmp_eq_u64_e64 s19, 1, v[36:37]
	v_cndmask_b32_e64 v7, 0, 1, s13
	s_and_b32 s13, s12, s16
	v_cmp_eq_u64_e64 s20, 1, v[38:39]
	v_cndmask_b32_e64 v8, 0, 1, s13
	s_and_b32 s13, s9, s17
	v_cmp_eq_u64_e64 s21, 2, v[12:13]
	v_cmp_eq_u64_e64 s25, 3, v[12:13]
	v_cndmask_b32_e64 v9, 0, 1, s13
	s_and_b32 s13, s10, s18
	v_cmp_eq_u64_e64 s22, 2, v[20:21]
	v_cmp_eq_u64_e64 s26, 3, v[20:21]
	v_cndmask_b32_e64 v10, 0, 1, s13
	;; [unrolled: 4-line block ×4, first 2 shown]
	s_and_b32 s13, s9, s21
	s_and_b32 s9, s9, s25
	v_cndmask_b32_e64 v20, 0, 1, s13
	s_and_b32 s13, s10, s22
	v_cndmask_b32_e64 v37, 0, 1, s9
	;; [unrolled: 2-line block ×7, first 2 shown]
	v_cndmask_b32_e64 v40, 0, 1, s9
	v_cmp_ne_u32_e64 s9, 0, v3
	v_cmp_ne_u32_e64 s13, 0, v9
	;; [unrolled: 1-line block ×12, first 2 shown]
	s_bcnt1_i32_b32 s9, s9
	s_bcnt1_i32_b32 s13, s13
	;; [unrolled: 1-line block ×4, first 2 shown]
	v_cmp_ne_u32_e64 s12, 0, v8
	v_cmp_ne_u32_e64 s16, 0, v19
	;; [unrolled: 1-line block ×4, first 2 shown]
	s_bcnt1_i32_b32 s10, s10
	s_bcnt1_i32_b32 s14, s14
	s_bcnt1_i32_b32 s18, s18
	s_bcnt1_i32_b32 s22, s22
	s_add_i32 s9, s9, s95
	s_add_i32 s13, s13, s94
	s_add_i32 s17, s17, s93
	s_add_i32 s21, s21, s92
	s_bcnt1_i32_b32 s11, s11
	s_bcnt1_i32_b32 s15, s15
	s_bcnt1_i32_b32 s19, s19
	s_bcnt1_i32_b32 s23, s23
	s_add_i32 s9, s9, s10
	s_add_i32 s10, s13, s14
	s_add_i32 s13, s17, s18
	s_add_i32 s14, s21, s22
	;; [unrolled: 8-line block ×3, first 2 shown]
	s_add_i32 s95, s9, s12
	s_add_i32 s94, s10, s16
	v_mov_b32_e32 v7, s95
	s_add_i32 s93, s11, s20
	s_add_i32 s92, s13, s24
	v_dual_mov_b32 v8, s94 :: v_dual_mov_b32 v9, s93
	v_mov_b32_e32 v10, s92
	s_or_b32 s89, vcc_lo, s89
	s_delay_alu instid0(SALU_CYCLE_1)
	s_and_not1_b32 exec_lo, exec_lo, s89
	s_cbranch_execnz .LBB41_45
; %bb.46:                               ;   in Loop: Header=BB41_8 Depth=1
	s_or_b32 exec_lo, exec_lo, s89
.LBB41_47:                              ;   in Loop: Header=BB41_8 Depth=1
	s_delay_alu instid0(SALU_CYCLE_1)
	s_or_b32 exec_lo, exec_lo, s88
	v_mov_b32_e32 v21, 0
	v_mov_b32_e32 v22, 0
	s_and_saveexec_b32 s9, s6
	s_cbranch_execz .LBB41_49
; %bb.48:                               ;   in Loop: Header=BB41_8 Depth=1
	global_load_b64 v[21:22], v[16:17], off
.LBB41_49:                              ;   in Loop: Header=BB41_8 Depth=1
	s_or_b32 exec_lo, exec_lo, s9
	s_and_saveexec_b32 s13, s7
	s_cbranch_execz .LBB41_56
; %bb.50:                               ;   in Loop: Header=BB41_8 Depth=1
	v_mov_b32_e32 v3, v33
	v_mov_b32_e32 v1, v27
	s_and_b32 s15, s82, 0xfe
	s_mov_b32 s14, 0
	s_branch .LBB41_52
.LBB41_51:                              ;   in Loop: Header=BB41_52 Depth=2
	s_or_b32 exec_lo, exec_lo, s9
	s_waitcnt vmcnt(0)
	v_cmp_o_f64_e32 vcc_lo, v[21:22], v[21:22]
	v_ashrrev_i32_e32 v4, 31, v22
	v_add_nc_u32_e32 v3, s63, v3
	s_delay_alu instid0(VALU_DEP_2) | instskip(SKIP_1) | instid1(VALU_DEP_2)
	v_or_b32_e32 v12, 0x80000000, v4
	v_xor_b32_e32 v4, v4, v21
	v_xor_b32_e32 v12, v12, v22
	s_delay_alu instid0(VALU_DEP_2) | instskip(NEXT) | instid1(VALU_DEP_2)
	v_cndmask_b32_e32 v21, -1, v4, vcc_lo
	v_cndmask_b32_e32 v22, -1, v12, vcc_lo
	s_delay_alu instid0(VALU_DEP_1) | instskip(SKIP_2) | instid1(VALU_DEP_3)
	v_lshrrev_b64 v[36:37], s15, v[21:22]
	v_and_b32_e32 v21, s48, v21
	v_and_b32_e32 v22, s49, v22
	;; [unrolled: 1-line block ×3, first 2 shown]
	s_delay_alu instid0(VALU_DEP_2) | instskip(NEXT) | instid1(VALU_DEP_2)
	v_cmp_eq_u64_e32 vcc_lo, s[46:47], v[21:22]
	v_cmp_eq_u64_e64 s9, 0, v[12:13]
	v_cmp_eq_u64_e64 s10, 1, v[12:13]
	;; [unrolled: 1-line block ×4, first 2 shown]
	s_delay_alu instid0(VALU_DEP_4) | instskip(NEXT) | instid1(SALU_CYCLE_1)
	s_and_b32 s9, vcc_lo, s9
	v_cndmask_b32_e64 v4, 0, 1, s9
	s_delay_alu instid0(VALU_DEP_4) | instskip(NEXT) | instid1(SALU_CYCLE_1)
	s_and_b32 s9, vcc_lo, s10
	v_cndmask_b32_e64 v12, 0, 1, s9
	s_and_b32 s9, vcc_lo, s11
	s_delay_alu instid0(SALU_CYCLE_1)
	v_cndmask_b32_e64 v21, 0, 1, s9
	s_and_b32 s9, vcc_lo, s12
	v_cmp_ne_u32_e32 vcc_lo, 0, v4
	v_cndmask_b32_e64 v22, 0, 1, s9
	v_cmp_ne_u32_e64 s9, 0, v12
	v_cmp_ne_u32_e64 s10, 0, v21
	v_cmp_le_i32_e64 s12, s36, v1
	s_bcnt1_i32_b32 s16, vcc_lo
	v_cmp_ne_u32_e64 s11, 0, v22
	s_bcnt1_i32_b32 s9, s9
	s_bcnt1_i32_b32 s10, s10
	v_dual_mov_b32 v22, v20 :: v_dual_mov_b32 v21, v19
	s_delay_alu instid0(VALU_DEP_2)
	s_bcnt1_i32_b32 s11, s11
	v_add_nc_u32_e32 v7, s16, v7
	v_add_nc_u32_e32 v8, s9, v8
	;; [unrolled: 1-line block ×4, first 2 shown]
	s_or_b32 s14, s12, s14
	s_delay_alu instid0(SALU_CYCLE_1)
	s_and_not1_b32 exec_lo, exec_lo, s14
	s_cbranch_execz .LBB41_55
.LBB41_52:                              ;   Parent Loop BB41_8 Depth=1
                                        ; =>  This Inner Loop Header: Depth=2
	v_mov_b32_e32 v19, 0
	v_dual_mov_b32 v20, 0 :: v_dual_add_nc_u32 v1, s60, v1
	s_mov_b32 s9, exec_lo
	s_delay_alu instid0(VALU_DEP_1)
	v_cmpx_gt_u32_e64 s36, v1
	s_cbranch_execz .LBB41_51
; %bb.53:                               ;   in Loop: Header=BB41_52 Depth=2
	v_ashrrev_i32_e32 v4, 31, v3
	s_delay_alu instid0(VALU_DEP_1) | instskip(NEXT) | instid1(VALU_DEP_1)
	v_lshlrev_b64 v[19:20], 3, v[3:4]
	v_add_co_u32 v19, vcc_lo, s58, v19
	s_delay_alu instid0(VALU_DEP_2)
	v_add_co_ci_u32_e32 v20, vcc_lo, s59, v20, vcc_lo
	global_load_b64 v[19:20], v[19:20], off
	s_branch .LBB41_51
.LBB41_54:                              ;   in Loop: Header=BB41_8 Depth=1
                                        ; implicit-def: $vgpr10
	s_cbranch_execnz .LBB41_57
	s_branch .LBB41_66
.LBB41_55:                              ;   in Loop: Header=BB41_8 Depth=1
	s_or_b32 exec_lo, exec_lo, s14
.LBB41_56:                              ;   in Loop: Header=BB41_8 Depth=1
	s_delay_alu instid0(SALU_CYCLE_1)
	s_or_b32 exec_lo, exec_lo, s13
	s_branch .LBB41_66
.LBB41_57:                              ;   in Loop: Header=BB41_8 Depth=1
	s_mul_hi_u32 s9, s87, s72
	v_dual_mov_b32 v7, 0 :: v_dual_mov_b32 v8, 0
	s_mul_i32 s9, s9, s62
	v_dual_mov_b32 v9, 0 :: v_dual_mov_b32 v10, 0
	s_sub_i32 s9, s87, s9
	s_mov_b32 s90, 0
	s_sub_i32 s10, s9, s62
	s_cmp_ge_u32 s9, s62
	s_mov_b32 s89, exec_lo
	s_cselect_b32 s9, s10, s9
	s_delay_alu instid0(SALU_CYCLE_1) | instskip(SKIP_2) | instid1(SALU_CYCLE_1)
	s_sub_i32 s10, s9, s62
	s_cmp_ge_u32 s9, s62
	s_cselect_b32 s9, s10, s9
	s_sub_i32 s88, s87, s9
	s_delay_alu instid0(SALU_CYCLE_1)
	v_cmpx_gt_u32_e64 s88, v24
	s_cbranch_execz .LBB41_61
; %bb.58:                               ;   in Loop: Header=BB41_8 Depth=1
	v_mov_b32_e32 v1, v34
	v_mov_b32_e32 v3, v24
	s_and_b32 s91, s82, 0xfe
	s_mov_b32 s92, 0
	s_mov_b32 s93, 0
	;; [unrolled: 1-line block ×4, first 2 shown]
.LBB41_59:                              ;   Parent Loop BB41_8 Depth=1
                                        ; =>  This Inner Loop Header: Depth=2
	ds_load_b128 v[7:10], v1
	s_waitcnt vmcnt(0)
	ds_load_b128 v[19:22], v1 offset:16
	s_waitcnt lgkmcnt(1)
	v_cmp_o_f64_e64 s10, v[7:8], v[7:8]
	s_waitcnt lgkmcnt(0)
	v_cmp_o_f64_e64 s12, v[21:22], v[21:22]
	v_cmp_o_f64_e64 s9, v[9:10], v[9:10]
	;; [unrolled: 1-line block ×3, first 2 shown]
	v_ashrrev_i32_e32 v4, 31, v8
	v_ashrrev_i32_e32 v38, 31, v22
	;; [unrolled: 1-line block ×4, first 2 shown]
	s_delay_alu instid0(VALU_DEP_4) | instskip(NEXT) | instid1(VALU_DEP_4)
	v_or_b32_e32 v40, 0x80000000, v4
	v_or_b32_e32 v44, 0x80000000, v38
	s_delay_alu instid0(VALU_DEP_4) | instskip(NEXT) | instid1(VALU_DEP_4)
	v_or_b32_e32 v42, 0x80000000, v12
	v_or_b32_e32 v43, 0x80000000, v36
	v_xor_b32_e32 v4, v4, v7
	v_xor_b32_e32 v40, v40, v8
	;; [unrolled: 1-line block ×8, first 2 shown]
	v_cndmask_b32_e64 v8, -1, v40, s10
	v_cndmask_b32_e64 v22, -1, v7, s12
	;; [unrolled: 1-line block ×7, first 2 shown]
	v_dual_mov_b32 v37, v13 :: v_dual_and_b32 v42, s48, v7
	v_and_b32_e32 v43, s49, v8
	v_lshrrev_b64 v[7:8], s91, v[7:8]
	v_cndmask_b32_e64 v21, -1, v38, s12
	v_dual_mov_b32 v39, v13 :: v_dual_and_b32 v44, s48, v9
	v_lshrrev_b64 v[8:9], s91, v[9:10]
	v_and_b32_e32 v45, s49, v10
	v_lshrrev_b64 v[9:10], s91, v[19:20]
	v_dual_mov_b32 v41, v13 :: v_dual_and_b32 v46, s48, v19
	v_and_b32_e32 v47, s49, v20
	v_lshrrev_b64 v[19:20], s91, v[21:22]
	v_and_b32_e32 v12, 3, v7
	v_and_b32_e32 v36, 3, v8
	;; [unrolled: 1-line block ×3, first 2 shown]
	v_cmp_eq_u64_e64 s9, s[46:47], v[42:43]
	v_and_b32_e32 v49, s49, v22
	v_cmp_eq_u64_e64 s13, 0, v[12:13]
	v_and_b32_e32 v48, s48, v21
	v_and_b32_e32 v40, 3, v19
	v_cmp_eq_u64_e64 s10, s[46:47], v[44:45]
	v_cmp_eq_u64_e64 s14, 0, v[36:37]
	;; [unrolled: 1-line block ×6, first 2 shown]
	s_and_b32 s13, s9, s13
	v_cmp_eq_u64_e64 s17, 1, v[12:13]
	v_cndmask_b32_e64 v4, 0, 1, s13
	s_and_b32 s13, s10, s14
	v_cmp_eq_u64_e64 s18, 1, v[36:37]
	v_cndmask_b32_e64 v7, 0, 1, s13
	;; [unrolled: 3-line block ×4, first 2 shown]
	s_and_b32 s13, s9, s17
	v_cmp_eq_u64_e64 s21, 2, v[12:13]
	v_cmp_eq_u64_e64 s25, 3, v[12:13]
	v_cndmask_b32_e64 v10, 0, 1, s13
	s_and_b32 s13, s10, s18
	v_cmp_eq_u64_e64 s22, 2, v[36:37]
	v_cmp_eq_u64_e64 s26, 3, v[36:37]
	v_cndmask_b32_e64 v12, 0, 1, s13
	;; [unrolled: 4-line block ×4, first 2 shown]
	s_and_b32 s13, s9, s21
	s_and_b32 s9, s9, s25
	v_cndmask_b32_e64 v21, 0, 1, s13
	s_and_b32 s13, s10, s22
	v_cndmask_b32_e64 v38, 0, 1, s9
	;; [unrolled: 2-line block ×7, first 2 shown]
	v_cndmask_b32_e64 v41, 0, 1, s9
	v_cmp_ne_u32_e64 s9, 0, v4
	v_cmp_ne_u32_e64 s13, 0, v10
	;; [unrolled: 1-line block ×7, first 2 shown]
	s_bcnt1_i32_b32 s9, s9
	s_bcnt1_i32_b32 s13, s13
	v_cmp_ne_u32_e64 s16, 0, v20
	v_cmp_ne_u32_e64 s18, 0, v22
	;; [unrolled: 1-line block ×3, first 2 shown]
	s_bcnt1_i32_b32 s10, s10
	s_bcnt1_i32_b32 s14, s14
	s_add_i32 s9, s9, s95
	s_add_i32 s13, s13, s94
	v_cmp_ne_u32_e64 s11, 0, v8
	v_cmp_ne_u32_e64 s19, 0, v36
	;; [unrolled: 1-line block ×3, first 2 shown]
	s_bcnt1_i32_b32 s15, s15
	s_add_i32 s9, s9, s10
	s_add_i32 s10, s13, s14
	s_bcnt1_i32_b32 s17, s17
	s_bcnt1_i32_b32 s21, s21
	v_cmp_ne_u32_e64 s12, 0, v9
	v_cmp_ne_u32_e64 s20, 0, v37
	;; [unrolled: 1-line block ×3, first 2 shown]
	s_bcnt1_i32_b32 s16, s16
	s_add_i32 s10, s10, s15
	s_bcnt1_i32_b32 s18, s18
	s_bcnt1_i32_b32 s22, s22
	s_add_i32 s17, s17, s93
	s_add_i32 s21, s21, s92
	;; [unrolled: 1-line block ×3, first 2 shown]
	s_delay_alu instid0(SALU_CYCLE_1)
	v_dual_mov_b32 v8, s94 :: v_dual_add_nc_u32 v3, s62, v3
	s_bcnt1_i32_b32 s11, s11
	s_bcnt1_i32_b32 s19, s19
	;; [unrolled: 1-line block ×3, first 2 shown]
	s_add_i32 s13, s17, s18
	s_add_i32 s14, s21, s22
	s_bcnt1_i32_b32 s12, s12
	s_bcnt1_i32_b32 s20, s20
	s_bcnt1_i32_b32 s24, s24
	s_add_i32 s9, s9, s11
	s_add_i32 s11, s13, s19
	;; [unrolled: 1-line block ×3, first 2 shown]
	v_cmp_le_i32_e32 vcc_lo, s88, v3
	s_add_i32 s95, s9, s12
	s_add_i32 s93, s11, s20
	;; [unrolled: 1-line block ×3, first 2 shown]
	s_delay_alu instid0(SALU_CYCLE_1) | instskip(SKIP_3) | instid1(SALU_CYCLE_1)
	v_dual_mov_b32 v10, s92 :: v_dual_add_nc_u32 v1, s77, v1
	v_mov_b32_e32 v7, s95
	v_mov_b32_e32 v9, s93
	s_or_b32 s90, vcc_lo, s90
	s_and_not1_b32 exec_lo, exec_lo, s90
	s_cbranch_execnz .LBB41_59
; %bb.60:                               ;   in Loop: Header=BB41_8 Depth=1
	s_or_b32 exec_lo, exec_lo, s90
.LBB41_61:                              ;   in Loop: Header=BB41_8 Depth=1
	s_delay_alu instid0(SALU_CYCLE_1) | instskip(SKIP_2) | instid1(VALU_DEP_1)
	s_or_b32 exec_lo, exec_lo, s89
	v_add_nc_u32_e32 v1, s88, v0
	s_mov_b32 s14, exec_lo
	v_cmpx_gt_i32_e64 s87, v1
	s_cbranch_execz .LBB41_65
; %bb.62:                               ;   in Loop: Header=BB41_8 Depth=1
	v_lshlrev_b32_e32 v3, 3, v1
	s_and_b32 s16, s82, 0xfe
	s_mov_b32 s15, 0
.LBB41_63:                              ;   Parent Loop BB41_8 Depth=1
                                        ; =>  This Inner Loop Header: Depth=2
	ds_load_b64 v[19:20], v3
	v_add_nc_u32_e32 v3, s78, v3
	s_waitcnt lgkmcnt(0)
	v_cmp_o_f64_e32 vcc_lo, v[19:20], v[19:20]
	v_ashrrev_i32_e32 v4, 31, v20
	s_delay_alu instid0(VALU_DEP_1) | instskip(SKIP_1) | instid1(VALU_DEP_2)
	v_or_b32_e32 v12, 0x80000000, v4
	v_xor_b32_e32 v4, v4, v19
	v_xor_b32_e32 v12, v12, v20
	s_delay_alu instid0(VALU_DEP_1) | instskip(NEXT) | instid1(VALU_DEP_3)
	v_dual_cndmask_b32 v20, -1, v12 :: v_dual_add_nc_u32 v1, s60, v1
	v_cndmask_b32_e32 v19, -1, v4, vcc_lo
	s_delay_alu instid0(VALU_DEP_2) | instskip(SKIP_1) | instid1(VALU_DEP_3)
	v_cmp_le_i32_e64 s9, s87, v1
	s_waitcnt vmcnt(0)
	v_and_b32_e32 v22, s49, v20
	s_delay_alu instid0(VALU_DEP_3) | instskip(SKIP_1) | instid1(VALU_DEP_2)
	v_and_b32_e32 v21, s48, v19
	v_lshrrev_b64 v[19:20], s16, v[19:20]
	v_cmp_eq_u64_e32 vcc_lo, s[46:47], v[21:22]
	s_delay_alu instid0(VALU_DEP_2) | instskip(NEXT) | instid1(VALU_DEP_1)
	v_and_b32_e32 v12, 3, v19
	v_cmp_eq_u64_e64 s10, 0, v[12:13]
	v_cmp_eq_u64_e64 s11, 1, v[12:13]
	;; [unrolled: 1-line block ×4, first 2 shown]
	s_delay_alu instid0(VALU_DEP_4) | instskip(NEXT) | instid1(SALU_CYCLE_1)
	s_and_b32 s10, vcc_lo, s10
	v_cndmask_b32_e64 v4, 0, 1, s10
	s_delay_alu instid0(VALU_DEP_4) | instskip(NEXT) | instid1(SALU_CYCLE_1)
	s_and_b32 s10, vcc_lo, s11
	v_cndmask_b32_e64 v12, 0, 1, s10
	s_and_b32 s10, vcc_lo, s12
	s_delay_alu instid0(SALU_CYCLE_1)
	v_cndmask_b32_e64 v19, 0, 1, s10
	s_and_b32 s10, vcc_lo, s13
	v_cmp_ne_u32_e32 vcc_lo, 0, v4
	v_cndmask_b32_e64 v20, 0, 1, s10
	v_cmp_ne_u32_e64 s10, 0, v12
	v_cmp_ne_u32_e64 s11, 0, v19
	s_bcnt1_i32_b32 s13, vcc_lo
	s_delay_alu instid0(VALU_DEP_3) | instskip(NEXT) | instid1(VALU_DEP_3)
	v_cmp_ne_u32_e64 s12, 0, v20
	s_bcnt1_i32_b32 s10, s10
	s_delay_alu instid0(VALU_DEP_2)
	s_bcnt1_i32_b32 s11, s11
	v_add_nc_u32_e32 v7, s13, v7
	v_add_nc_u32_e32 v8, s10, v8
	s_bcnt1_i32_b32 s12, s12
	v_add_nc_u32_e32 v9, s11, v9
	v_add_nc_u32_e32 v10, s12, v10
	s_or_b32 s15, s9, s15
	s_delay_alu instid0(SALU_CYCLE_1)
	s_and_not1_b32 exec_lo, exec_lo, s15
	s_cbranch_execnz .LBB41_63
; %bb.64:                               ;   in Loop: Header=BB41_8 Depth=1
	s_or_b32 exec_lo, exec_lo, s15
.LBB41_65:                              ;   in Loop: Header=BB41_8 Depth=1
	s_delay_alu instid0(SALU_CYCLE_1)
	s_or_b32 exec_lo, exec_lo, s14
.LBB41_66:                              ;   in Loop: Header=BB41_8 Depth=1
	s_lshl_b32 s9, s85, 7
	s_and_saveexec_b32 s10, s3
	s_cbranch_execz .LBB41_68
; %bb.67:                               ;   in Loop: Header=BB41_8 Depth=1
	v_or_b32_e32 v1, s9, v28
	s_delay_alu instid0(VALU_DEP_1)
	v_lshlrev_b32_e32 v1, 2, v1
	ds_store_b128 v1, v[7:10] offset:3072
.LBB41_68:                              ;   in Loop: Header=BB41_8 Depth=1
	s_or_b32 exec_lo, exec_lo, s10
	s_waitcnt vmcnt(0) lgkmcnt(0)
	s_barrier
	buffer_gl0_inv
	s_and_saveexec_b32 s10, s65
	s_cbranch_execz .LBB41_78
; %bb.69:                               ;   in Loop: Header=BB41_8 Depth=1
	v_mov_b32_e32 v1, 0
	s_and_not1_b32 vcc_lo, exec_lo, s67
	s_cbranch_vccnz .LBB41_77
; %bb.70:                               ;   in Loop: Header=BB41_8 Depth=1
	v_mov_b32_e32 v1, 0
	s_and_not1_b32 vcc_lo, exec_lo, s69
	s_mov_b32 s11, 0
	s_cbranch_vccnz .LBB41_74
; %bb.71:                               ;   in Loop: Header=BB41_8 Depth=1
	v_lshl_add_u32 v3, s85, 9, v35
	v_mov_b32_e32 v1, 0
	.p2align	6
.LBB41_72:                              ;   Parent Loop BB41_8 Depth=1
                                        ; =>  This Inner Loop Header: Depth=2
	ds_load_2addr_b32 v[7:8], v3 offset1:4
	ds_load_2addr_b32 v[9:10], v3 offset0:8 offset1:12
	ds_load_2addr_b32 v[19:20], v3 offset0:16 offset1:20
	;; [unrolled: 1-line block ×3, first 2 shown]
	v_add_nc_u32_e32 v3, 0x80, v3
	s_add_i32 s11, s11, 8
	s_delay_alu instid0(SALU_CYCLE_1) | instskip(SKIP_3) | instid1(VALU_DEP_1)
	s_cmp_eq_u32 s70, s11
	s_waitcnt lgkmcnt(3)
	v_add3_u32 v1, v7, v1, v8
	s_waitcnt lgkmcnt(2)
	v_add3_u32 v1, v9, v1, v10
	s_waitcnt lgkmcnt(1)
	s_delay_alu instid0(VALU_DEP_1) | instskip(SKIP_1) | instid1(VALU_DEP_1)
	v_add3_u32 v1, v19, v1, v20
	s_waitcnt lgkmcnt(0)
	v_add3_u32 v1, v21, v1, v22
	s_cbranch_scc0 .LBB41_72
; %bb.73:                               ;   in Loop: Header=BB41_8 Depth=1
	s_mov_b32 s11, s70
.LBB41_74:                              ;   in Loop: Header=BB41_8 Depth=1
	s_and_not1_b32 vcc_lo, exec_lo, s71
	s_cbranch_vccnz .LBB41_77
; %bb.75:                               ;   in Loop: Header=BB41_8 Depth=1
	s_lshl_b32 s12, s85, 9
	s_lshl_b32 s11, s11, 4
	s_delay_alu instid0(SALU_CYCLE_1)
	v_add3_u32 v3, s12, s11, v35
	s_mov_b32 s11, s68
.LBB41_76:                              ;   Parent Loop BB41_8 Depth=1
                                        ; =>  This Inner Loop Header: Depth=2
	ds_load_b32 v4, v3
	v_add_nc_u32_e32 v3, 16, v3
	s_add_i32 s11, s11, -1
	s_delay_alu instid0(SALU_CYCLE_1)
	s_cmp_lg_u32 s11, 0
	s_waitcnt lgkmcnt(0)
	v_add_nc_u32_e32 v1, v4, v1
	s_cbranch_scc1 .LBB41_76
.LBB41_77:                              ;   in Loop: Header=BB41_8 Depth=1
	v_add_lshl_u32 v3, s9, v23, 2
	ds_store_b32 v3, v1 offset:3072
.LBB41_78:                              ;   in Loop: Header=BB41_8 Depth=1
	s_or_b32 exec_lo, exec_lo, s10
	s_lshl_b32 s9, s9, 2
	s_waitcnt lgkmcnt(0)
	v_mov_b32_e32 v1, s9
	s_barrier
	buffer_gl0_inv
	s_and_b32 s22, s82, 0xfe
	s_delay_alu instid0(SALU_CYCLE_1)
	s_lshl_b64 s[10:11], 3, s22
	ds_load_b128 v[7:10], v1 offset:3072
	s_not_b64 s[12:13], s[10:11]
	s_waitcnt lgkmcnt(0)
	v_readfirstlane_b32 s20, v7
	v_readfirstlane_b32 s27, v8
	;; [unrolled: 1-line block ×4, first 2 shown]
	s_delay_alu instid0(VALU_DEP_4) | instskip(SKIP_3) | instid1(SALU_CYCLE_1)
	s_cmp_eq_u32 s20, 1
	s_cselect_b32 s9, -1, 0
	s_cmp_eq_u32 s37, 1
	s_cselect_b32 s14, -1, 0
	s_and_b32 s15, s9, s14
	s_mov_b32 s14, -1
	s_and_b32 vcc_lo, exec_lo, s15
	s_cbranch_vccz .LBB41_90
; %bb.79:                               ;   in Loop: Header=BB41_8 Depth=1
	ds_load_b32 v1, v13 offset:4096
	s_waitcnt lgkmcnt(0)
	s_barrier
	buffer_gl0_inv
	v_readfirstlane_b32 s16, v1
	s_and_saveexec_b32 s9, s1
	s_cbranch_execz .LBB41_81
; %bb.80:                               ;   in Loop: Header=BB41_8 Depth=1
	v_mov_b32_e32 v12, v13
	ds_store_b64 v26, v[12:13]
.LBB41_81:                              ;   in Loop: Header=BB41_8 Depth=1
	s_or_b32 exec_lo, exec_lo, s9
	s_and_b64 s[46:47], s[46:47], s[12:13]
	s_or_b64 s[48:49], s[48:49], s[10:11]
	s_cmp_lt_i32 s16, 1
	s_waitcnt lgkmcnt(0)
	s_barrier
	buffer_gl0_inv
	s_cbranch_scc0 .LBB41_91
; %bb.82:                               ;   in Loop: Header=BB41_8 Depth=1
	s_mov_b32 s9, 0
                                        ; implicit-def: $vgpr5_vgpr6
	s_and_saveexec_b32 s17, s8
	s_cbranch_execz .LBB41_93
; %bb.83:                               ;   in Loop: Header=BB41_8 Depth=1
	v_mov_b32_e32 v7, v11
	v_mov_b32_e32 v9, v0
	s_mov_b32 s23, 0
                                        ; implicit-def: $sgpr19
	s_branch .LBB41_85
.LBB41_84:                              ;   in Loop: Header=BB41_85 Depth=2
	s_or_b32 exec_lo, exec_lo, s9
	s_waitcnt vmcnt(0) lgkmcnt(0)
	s_barrier
	buffer_gl0_inv
	ds_load_b128 v[3:6], v13 offset:3072
	v_add_nc_u32_e32 v9, s60, v9
	v_add_nc_u32_e32 v7, s63, v7
	s_waitcnt lgkmcnt(0)
	s_barrier
	buffer_gl0_inv
	v_cmp_le_i32_e64 s9, s75, v9
	v_cmp_neq_f64_e32 vcc_lo, 0, v[3:4]
	s_delay_alu instid0(VALU_DEP_2) | instskip(NEXT) | instid1(SALU_CYCLE_1)
	s_or_b32 s9, s9, vcc_lo
	s_and_b32 s9, exec_lo, s9
	s_delay_alu instid0(SALU_CYCLE_1) | instskip(SKIP_2) | instid1(SALU_CYCLE_1)
	s_or_b32 s23, s9, s23
	s_and_not1_b32 s9, s19, exec_lo
	s_and_b32 s19, vcc_lo, exec_lo
	s_or_b32 s19, s9, s19
	s_and_not1_b32 exec_lo, exec_lo, s23
	s_cbranch_execz .LBB41_92
.LBB41_85:                              ;   Parent Loop BB41_8 Depth=1
                                        ; =>  This Inner Loop Header: Depth=2
	v_mov_b32_e32 v3, 0
	v_mov_b32_e32 v4, 0
	v_cmp_gt_i32_e32 vcc_lo, s36, v9
	s_and_saveexec_b32 s24, vcc_lo
	s_cbranch_execz .LBB41_87
; %bb.86:                               ;   in Loop: Header=BB41_85 Depth=2
	v_ashrrev_i32_e32 v8, 31, v7
	s_delay_alu instid0(VALU_DEP_1) | instskip(NEXT) | instid1(VALU_DEP_1)
	v_lshlrev_b64 v[3:4], 3, v[7:8]
	v_add_co_u32 v3, s9, s58, v3
	s_delay_alu instid0(VALU_DEP_1)
	v_add_co_ci_u32_e64 v4, s9, s59, v4, s9
	global_load_b64 v[3:4], v[3:4], off
.LBB41_87:                              ;   in Loop: Header=BB41_85 Depth=2
	s_or_b32 exec_lo, exec_lo, s24
	s_and_saveexec_b32 s9, vcc_lo
	s_cbranch_execz .LBB41_84
; %bb.88:                               ;   in Loop: Header=BB41_85 Depth=2
	s_waitcnt vmcnt(0)
	v_cmp_o_f64_e32 vcc_lo, v[3:4], v[3:4]
	v_ashrrev_i32_e32 v1, 31, v4
	s_delay_alu instid0(VALU_DEP_1) | instskip(SKIP_1) | instid1(VALU_DEP_2)
	v_or_b32_e32 v5, 0x80000000, v1
	v_xor_b32_e32 v1, v1, v3
	v_xor_b32_e32 v5, v5, v4
	s_delay_alu instid0(VALU_DEP_1) | instskip(NEXT) | instid1(VALU_DEP_3)
	v_cndmask_b32_e32 v5, -1, v5, vcc_lo
	v_cndmask_b32_e32 v1, -1, v1, vcc_lo
	s_delay_alu instid0(VALU_DEP_2) | instskip(NEXT) | instid1(VALU_DEP_2)
	v_and_b32_e32 v6, s49, v5
	v_and_b32_e32 v5, s48, v1
	s_delay_alu instid0(VALU_DEP_1)
	v_cmp_eq_u64_e32 vcc_lo, s[46:47], v[5:6]
	s_and_b32 exec_lo, exec_lo, vcc_lo
	s_cbranch_execz .LBB41_84
; %bb.89:                               ;   in Loop: Header=BB41_85 Depth=2
	v_mov_b32_e32 v1, v13
	ds_store_b128 v13, v[1:4] offset:3072
	s_branch .LBB41_84
.LBB41_90:                              ;   in Loop: Header=BB41_8 Depth=1
	s_mov_b32 s9, -1
                                        ; implicit-def: $sgpr17
                                        ; implicit-def: $sgpr23
                                        ; implicit-def: $sgpr19
	s_branch .LBB41_104
.LBB41_91:                              ;   in Loop: Header=BB41_8 Depth=1
	s_mov_b32 s17, -1
	s_mov_b32 s9, 0
                                        ; implicit-def: $sgpr19
                                        ; implicit-def: $vgpr5_vgpr6
	s_mov_b32 s23, s17
	s_cbranch_execnz .LBB41_94
	s_branch .LBB41_104
.LBB41_92:                              ;   in Loop: Header=BB41_8 Depth=1
	s_or_b32 exec_lo, exec_lo, s23
	s_delay_alu instid0(SALU_CYCLE_1)
	s_and_b32 s9, s19, exec_lo
.LBB41_93:                              ;   in Loop: Header=BB41_8 Depth=1
	s_or_b32 exec_lo, exec_lo, s17
	s_mov_b32 s19, -1
	s_mov_b32 s17, 0
	s_delay_alu instid0(SALU_CYCLE_1)
	s_mov_b32 s23, s17
	s_branch .LBB41_104
.LBB41_94:                              ;   in Loop: Header=BB41_8 Depth=1
	s_add_i32 s19, s16, s64
                                        ; implicit-def: $vgpr5_vgpr6
	s_delay_alu instid0(SALU_CYCLE_1) | instskip(NEXT) | instid1(SALU_CYCLE_1)
	s_abs_i32 s9, s19
	s_mul_hi_u32 s17, s9, s74
	s_delay_alu instid0(SALU_CYCLE_1) | instskip(NEXT) | instid1(SALU_CYCLE_1)
	s_mul_i32 s17, s17, s60
	s_sub_i32 s9, s9, s17
	s_ashr_i32 s17, s19, 31
	s_sub_i32 s23, s9, s60
	s_cmp_ge_u32 s9, s60
	s_cselect_b32 s9, s23, s9
	s_delay_alu instid0(SALU_CYCLE_1) | instskip(SKIP_2) | instid1(SALU_CYCLE_1)
	s_sub_i32 s23, s9, s60
	s_cmp_ge_u32 s9, s60
	s_cselect_b32 s9, s23, s9
	s_xor_b32 s9, s9, s17
	s_delay_alu instid0(SALU_CYCLE_1)
	s_sub_i32 s9, s17, s9
	s_mov_b32 s17, exec_lo
	s_add_i32 s19, s19, s9
	s_mov_b32 s9, 0
	v_cmpx_gt_i32_e64 s19, v0
	s_cbranch_execz .LBB41_103
; %bb.95:                               ;   in Loop: Header=BB41_8 Depth=1
	v_dual_mov_b32 v7, v25 :: v_dual_mov_b32 v8, v0
	s_mov_b32 s24, 0
                                        ; implicit-def: $sgpr23
	s_set_inst_prefetch_distance 0x1
	s_branch .LBB41_97
	.p2align	6
.LBB41_96:                              ;   in Loop: Header=BB41_97 Depth=2
	s_or_b32 exec_lo, exec_lo, s9
	s_waitcnt lgkmcnt(0)
	s_barrier
	buffer_gl0_inv
	ds_load_b128 v[3:6], v13 offset:3072
	v_add_nc_u32_e32 v8, s60, v8
	v_add_nc_u32_e32 v7, s78, v7
	s_waitcnt lgkmcnt(0)
	s_barrier
	buffer_gl0_inv
	v_cmp_le_i32_e64 s9, s19, v8
	v_cmp_neq_f64_e32 vcc_lo, 0, v[3:4]
	s_delay_alu instid0(VALU_DEP_2) | instskip(NEXT) | instid1(SALU_CYCLE_1)
	s_or_b32 s9, s9, vcc_lo
	s_and_b32 s9, exec_lo, s9
	s_delay_alu instid0(SALU_CYCLE_1) | instskip(SKIP_2) | instid1(SALU_CYCLE_1)
	s_or_b32 s24, s9, s24
	s_and_not1_b32 s9, s23, exec_lo
	s_and_b32 s23, vcc_lo, exec_lo
	s_or_b32 s23, s9, s23
	s_and_not1_b32 exec_lo, exec_lo, s24
	s_cbranch_execz .LBB41_102
.LBB41_97:                              ;   Parent Loop BB41_8 Depth=1
                                        ; =>  This Inner Loop Header: Depth=2
	v_mov_b32_e32 v3, 0
	v_mov_b32_e32 v4, 0
	v_cmp_gt_i32_e32 vcc_lo, s16, v8
	s_and_saveexec_b32 s9, vcc_lo
	s_cbranch_execz .LBB41_99
; %bb.98:                               ;   in Loop: Header=BB41_97 Depth=2
	ds_load_b64 v[3:4], v7
.LBB41_99:                              ;   in Loop: Header=BB41_97 Depth=2
	s_or_b32 exec_lo, exec_lo, s9
	s_and_saveexec_b32 s9, vcc_lo
	s_cbranch_execz .LBB41_96
; %bb.100:                              ;   in Loop: Header=BB41_97 Depth=2
	s_waitcnt lgkmcnt(0)
	v_cmp_o_f64_e32 vcc_lo, v[3:4], v[3:4]
	v_ashrrev_i32_e32 v1, 31, v4
	s_delay_alu instid0(VALU_DEP_1) | instskip(SKIP_1) | instid1(VALU_DEP_2)
	v_or_b32_e32 v5, 0x80000000, v1
	v_xor_b32_e32 v1, v1, v3
	v_xor_b32_e32 v5, v5, v4
	s_delay_alu instid0(VALU_DEP_1) | instskip(NEXT) | instid1(VALU_DEP_3)
	v_cndmask_b32_e32 v5, -1, v5, vcc_lo
	v_cndmask_b32_e32 v1, -1, v1, vcc_lo
	s_delay_alu instid0(VALU_DEP_2) | instskip(NEXT) | instid1(VALU_DEP_2)
	v_and_b32_e32 v6, s49, v5
	v_and_b32_e32 v5, s48, v1
	s_delay_alu instid0(VALU_DEP_1)
	v_cmp_eq_u64_e32 vcc_lo, s[46:47], v[5:6]
	s_and_b32 exec_lo, exec_lo, vcc_lo
	s_cbranch_execz .LBB41_96
; %bb.101:                              ;   in Loop: Header=BB41_97 Depth=2
	v_mov_b32_e32 v1, v13
	ds_store_b128 v13, v[1:4] offset:3072
	s_branch .LBB41_96
.LBB41_102:                             ;   in Loop: Header=BB41_8 Depth=1
	s_set_inst_prefetch_distance 0x2
	s_or_b32 exec_lo, exec_lo, s24
	s_delay_alu instid0(SALU_CYCLE_1)
	s_and_b32 s9, s23, exec_lo
.LBB41_103:                             ;   in Loop: Header=BB41_8 Depth=1
	s_or_b32 exec_lo, exec_lo, s17
	s_mov_b32 s23, -1
	s_mov_b32 s17, 0
	s_mov_b32 s19, 0
.LBB41_104:                             ;   in Loop: Header=BB41_8 Depth=1
	s_and_not1_b32 s16, s83, exec_lo
	s_and_b32 s17, s17, exec_lo
	s_and_b32 s19, s19, exec_lo
	s_or_b32 s83, s16, s17
	s_and_not1_b32 s16, s86, exec_lo
	s_and_b32 s17, s23, exec_lo
	s_and_not1_b32 s23, s84, exec_lo
	s_or_b32 s86, s16, s17
	s_or_b32 s84, s23, s19
	s_and_saveexec_b32 s19, s9
	s_cbranch_execz .LBB41_7
; %bb.105:                              ;   in Loop: Header=BB41_8 Depth=1
	s_xor_b32 s9, s15, -1
	s_mov_b32 s23, 0
	s_and_not1_b32 vcc_lo, exec_lo, s9
	s_mov_b32 s28, 1
	s_cbranch_vccnz .LBB41_116
; %bb.106:                              ;   in Loop: Header=BB41_8 Depth=1
	s_cmp_gt_i32 s37, s20
	s_mov_b32 s23, -1
                                        ; implicit-def: $sgpr9
                                        ; implicit-def: $sgpr14_sgpr15
                                        ; implicit-def: $sgpr16_sgpr17
	s_cbranch_scc1 .LBB41_112
; %bb.107:                              ;   in Loop: Header=BB41_8 Depth=1
	ds_load_b32 v1, v13 offset:4096
	s_waitcnt lgkmcnt(0)
	v_cmp_ne_u32_e32 vcc_lo, 0, v1
	s_cbranch_vccnz .LBB41_111
; %bb.108:                              ;   in Loop: Header=BB41_8 Depth=1
	s_and_saveexec_b32 s9, s0
	s_cbranch_execz .LBB41_110
; %bb.109:                              ;   in Loop: Header=BB41_8 Depth=1
	v_mov_b32_e32 v1, s20
	ds_store_b32 v13, v1 offset:4100
.LBB41_110:                             ;   in Loop: Header=BB41_8 Depth=1
	s_or_b32 exec_lo, exec_lo, s9
	s_waitcnt lgkmcnt(0)
	s_barrier
	buffer_gl0_inv
.LBB41_111:                             ;   in Loop: Header=BB41_8 Depth=1
	s_and_b64 s[14:15], s[46:47], s[12:13]
	s_or_b64 s[16:17], s[48:49], s[10:11]
	s_mov_b32 s23, 0
	s_mov_b32 s9, 8
.LBB41_112:                             ;   in Loop: Header=BB41_8 Depth=1
	s_and_not1_b32 vcc_lo, exec_lo, s23
	s_cbranch_vccnz .LBB41_114
; %bb.113:                              ;   in Loop: Header=BB41_8 Depth=1
	s_sub_i32 s37, s37, s20
	s_mov_b32 s23, -1
	s_mov_b32 s9, 0
	s_mov_b64 s[14:15], s[46:47]
	s_mov_b64 s[16:17], s[48:49]
.LBB41_114:                             ;   in Loop: Header=BB41_8 Depth=1
	s_delay_alu instid0(SALU_CYCLE_1)
	s_mov_b64 s[48:49], s[16:17]
	s_mov_b64 s[46:47], s[14:15]
	s_mov_b32 s28, s37
	s_and_b32 vcc_lo, exec_lo, s23
	s_mov_b32 s20, -1
	s_cbranch_vccnz .LBB41_117
.LBB41_115:                             ;   in Loop: Header=BB41_8 Depth=1
	s_mov_b32 s15, -1
                                        ; implicit-def: $sgpr23
                                        ; implicit-def: $sgpr25
                                        ; implicit-def: $sgpr24
	s_delay_alu instid0(SALU_CYCLE_1) | instskip(NEXT) | instid1(SALU_CYCLE_1)
	s_and_saveexec_b32 s10, s15
	s_xor_b32 s10, exec_lo, s10
	s_cbranch_execz .LBB41_6
	s_branch .LBB41_240
.LBB41_116:                             ;   in Loop: Header=BB41_8 Depth=1
	s_mov_b32 s9, 1
	s_and_b32 vcc_lo, exec_lo, s23
	s_mov_b32 s20, -1
	s_cbranch_vccz .LBB41_115
.LBB41_117:                             ;   in Loop: Header=BB41_8 Depth=1
	s_cmp_eq_u32 s27, 1
	s_mov_b32 s16, -1
	s_cselect_b32 s9, -1, 0
	s_cmp_eq_u32 s28, 1
	s_cselect_b32 s14, -1, 0
	s_delay_alu instid0(SALU_CYCLE_1) | instskip(NEXT) | instid1(SALU_CYCLE_1)
	s_and_b32 s14, s9, s14
	s_and_b32 vcc_lo, exec_lo, s14
	s_cbranch_vccz .LBB41_129
; %bb.118:                              ;   in Loop: Header=BB41_8 Depth=1
	ds_load_b32 v1, v13 offset:4096
	s_waitcnt lgkmcnt(0)
	s_barrier
	buffer_gl0_inv
	v_readfirstlane_b32 s15, v1
	s_and_saveexec_b32 s9, s1
	s_cbranch_execz .LBB41_120
; %bb.119:                              ;   in Loop: Header=BB41_8 Depth=1
	v_mov_b32_e32 v12, v13
	ds_store_b64 v26, v[12:13]
.LBB41_120:                             ;   in Loop: Header=BB41_8 Depth=1
	s_or_b32 exec_lo, exec_lo, s9
	s_lshl_b64 s[16:17], 1, s22
	s_and_b64 s[24:25], s[46:47], s[12:13]
	s_or_b64 s[48:49], s[48:49], s[10:11]
	s_or_b64 s[46:47], s[24:25], s[16:17]
	s_cmp_gt_i32 s15, 0
	s_waitcnt lgkmcnt(0)
	s_barrier
	buffer_gl0_inv
	s_cbranch_scc1 .LBB41_130
; %bb.121:                              ;   in Loop: Header=BB41_8 Depth=1
	s_mov_b32 s16, 0
                                        ; implicit-def: $vgpr5_vgpr6
	s_and_saveexec_b32 s17, s8
	s_cbranch_execz .LBB41_132
; %bb.122:                              ;   in Loop: Header=BB41_8 Depth=1
	v_mov_b32_e32 v7, v11
	v_mov_b32_e32 v9, v0
	s_mov_b32 s23, 0
                                        ; implicit-def: $sgpr16
	s_branch .LBB41_124
.LBB41_123:                             ;   in Loop: Header=BB41_124 Depth=2
	s_or_b32 exec_lo, exec_lo, s9
	s_waitcnt vmcnt(0) lgkmcnt(0)
	s_barrier
	buffer_gl0_inv
	ds_load_b128 v[3:6], v13 offset:3072
	v_add_nc_u32_e32 v9, s60, v9
	v_add_nc_u32_e32 v7, s63, v7
	s_waitcnt lgkmcnt(0)
	s_barrier
	buffer_gl0_inv
	v_cmp_le_i32_e64 s9, s75, v9
	v_cmp_neq_f64_e32 vcc_lo, 0, v[3:4]
	s_delay_alu instid0(VALU_DEP_2) | instskip(NEXT) | instid1(SALU_CYCLE_1)
	s_or_b32 s9, s9, vcc_lo
	s_and_b32 s9, exec_lo, s9
	s_delay_alu instid0(SALU_CYCLE_1) | instskip(SKIP_2) | instid1(SALU_CYCLE_1)
	s_or_b32 s23, s9, s23
	s_and_not1_b32 s9, s16, exec_lo
	s_and_b32 s16, vcc_lo, exec_lo
	s_or_b32 s16, s9, s16
	s_and_not1_b32 exec_lo, exec_lo, s23
	s_cbranch_execz .LBB41_131
.LBB41_124:                             ;   Parent Loop BB41_8 Depth=1
                                        ; =>  This Inner Loop Header: Depth=2
	v_mov_b32_e32 v3, 0
	v_mov_b32_e32 v4, 0
	v_cmp_gt_i32_e32 vcc_lo, s36, v9
	s_and_saveexec_b32 s24, vcc_lo
	s_cbranch_execz .LBB41_126
; %bb.125:                              ;   in Loop: Header=BB41_124 Depth=2
	v_ashrrev_i32_e32 v8, 31, v7
	s_delay_alu instid0(VALU_DEP_1) | instskip(NEXT) | instid1(VALU_DEP_1)
	v_lshlrev_b64 v[3:4], 3, v[7:8]
	v_add_co_u32 v3, s9, s58, v3
	s_delay_alu instid0(VALU_DEP_1)
	v_add_co_ci_u32_e64 v4, s9, s59, v4, s9
	global_load_b64 v[3:4], v[3:4], off
.LBB41_126:                             ;   in Loop: Header=BB41_124 Depth=2
	s_or_b32 exec_lo, exec_lo, s24
	s_and_saveexec_b32 s9, vcc_lo
	s_cbranch_execz .LBB41_123
; %bb.127:                              ;   in Loop: Header=BB41_124 Depth=2
	s_waitcnt vmcnt(0)
	v_cmp_o_f64_e32 vcc_lo, v[3:4], v[3:4]
	v_ashrrev_i32_e32 v1, 31, v4
	s_delay_alu instid0(VALU_DEP_1) | instskip(SKIP_1) | instid1(VALU_DEP_2)
	v_or_b32_e32 v5, 0x80000000, v1
	v_xor_b32_e32 v1, v1, v3
	v_xor_b32_e32 v5, v5, v4
	s_delay_alu instid0(VALU_DEP_1) | instskip(NEXT) | instid1(VALU_DEP_3)
	v_cndmask_b32_e32 v5, -1, v5, vcc_lo
	v_cndmask_b32_e32 v1, -1, v1, vcc_lo
	s_delay_alu instid0(VALU_DEP_2) | instskip(NEXT) | instid1(VALU_DEP_2)
	v_and_b32_e32 v6, s49, v5
	v_and_b32_e32 v5, s48, v1
	s_delay_alu instid0(VALU_DEP_1)
	v_cmp_eq_u64_e32 vcc_lo, s[46:47], v[5:6]
	s_and_b32 exec_lo, exec_lo, vcc_lo
	s_cbranch_execz .LBB41_123
; %bb.128:                              ;   in Loop: Header=BB41_124 Depth=2
	v_mov_b32_e32 v1, v13
	ds_store_b128 v13, v[1:4] offset:3072
	s_branch .LBB41_123
.LBB41_129:                             ;   in Loop: Header=BB41_8 Depth=1
                                        ; implicit-def: $sgpr24
                                        ; implicit-def: $sgpr25
                                        ; implicit-def: $sgpr23
	s_branch .LBB41_143
.LBB41_130:                             ;   in Loop: Header=BB41_8 Depth=1
	s_mov_b32 s24, -1
	s_mov_b32 s16, 0
                                        ; implicit-def: $sgpr23
                                        ; implicit-def: $vgpr5_vgpr6
	s_mov_b32 s25, s24
	s_cbranch_execnz .LBB41_133
	s_branch .LBB41_143
.LBB41_131:                             ;   in Loop: Header=BB41_8 Depth=1
	s_or_b32 exec_lo, exec_lo, s23
	s_delay_alu instid0(SALU_CYCLE_1)
	s_and_b32 s16, s16, exec_lo
.LBB41_132:                             ;   in Loop: Header=BB41_8 Depth=1
	s_or_b32 exec_lo, exec_lo, s17
	s_mov_b32 s23, -1
	s_mov_b32 s24, 0
	s_delay_alu instid0(SALU_CYCLE_1)
	s_mov_b32 s25, s24
	s_branch .LBB41_143
.LBB41_133:                             ;   in Loop: Header=BB41_8 Depth=1
	s_add_i32 s23, s15, s64
                                        ; implicit-def: $vgpr5_vgpr6
	s_delay_alu instid0(SALU_CYCLE_1) | instskip(NEXT) | instid1(SALU_CYCLE_1)
	s_abs_i32 s9, s23
	s_mul_hi_u32 s16, s9, s74
	s_delay_alu instid0(SALU_CYCLE_1) | instskip(NEXT) | instid1(SALU_CYCLE_1)
	s_mul_i32 s16, s16, s60
	s_sub_i32 s9, s9, s16
	s_ashr_i32 s16, s23, 31
	s_sub_i32 s17, s9, s60
	s_cmp_ge_u32 s9, s60
	s_cselect_b32 s9, s17, s9
	s_delay_alu instid0(SALU_CYCLE_1) | instskip(SKIP_4) | instid1(SALU_CYCLE_1)
	s_sub_i32 s17, s9, s60
	s_cmp_ge_u32 s9, s60
	s_cselect_b32 s9, s17, s9
	s_mov_b32 s17, exec_lo
	s_xor_b32 s9, s9, s16
	s_sub_i32 s9, s16, s9
	s_mov_b32 s16, 0
	s_add_i32 s23, s23, s9
	s_delay_alu instid0(SALU_CYCLE_1)
	v_cmpx_gt_i32_e64 s23, v0
	s_cbranch_execz .LBB41_142
; %bb.134:                              ;   in Loop: Header=BB41_8 Depth=1
	v_dual_mov_b32 v7, v25 :: v_dual_mov_b32 v8, v0
	s_mov_b32 s24, 0
                                        ; implicit-def: $sgpr16
	s_set_inst_prefetch_distance 0x1
	s_branch .LBB41_136
	.p2align	6
.LBB41_135:                             ;   in Loop: Header=BB41_136 Depth=2
	s_or_b32 exec_lo, exec_lo, s9
	s_waitcnt lgkmcnt(0)
	s_barrier
	buffer_gl0_inv
	ds_load_b128 v[3:6], v13 offset:3072
	v_add_nc_u32_e32 v8, s60, v8
	v_add_nc_u32_e32 v7, s78, v7
	s_waitcnt lgkmcnt(0)
	s_barrier
	buffer_gl0_inv
	v_cmp_le_i32_e64 s9, s23, v8
	v_cmp_neq_f64_e32 vcc_lo, 0, v[3:4]
	s_delay_alu instid0(VALU_DEP_2) | instskip(NEXT) | instid1(SALU_CYCLE_1)
	s_or_b32 s9, s9, vcc_lo
	s_and_b32 s9, exec_lo, s9
	s_delay_alu instid0(SALU_CYCLE_1) | instskip(SKIP_2) | instid1(SALU_CYCLE_1)
	s_or_b32 s24, s9, s24
	s_and_not1_b32 s9, s16, exec_lo
	s_and_b32 s16, vcc_lo, exec_lo
	s_or_b32 s16, s9, s16
	s_and_not1_b32 exec_lo, exec_lo, s24
	s_cbranch_execz .LBB41_141
.LBB41_136:                             ;   Parent Loop BB41_8 Depth=1
                                        ; =>  This Inner Loop Header: Depth=2
	v_mov_b32_e32 v3, 0
	v_mov_b32_e32 v4, 0
	v_cmp_gt_i32_e32 vcc_lo, s15, v8
	s_and_saveexec_b32 s9, vcc_lo
	s_cbranch_execz .LBB41_138
; %bb.137:                              ;   in Loop: Header=BB41_136 Depth=2
	ds_load_b64 v[3:4], v7
.LBB41_138:                             ;   in Loop: Header=BB41_136 Depth=2
	s_or_b32 exec_lo, exec_lo, s9
	s_and_saveexec_b32 s9, vcc_lo
	s_cbranch_execz .LBB41_135
; %bb.139:                              ;   in Loop: Header=BB41_136 Depth=2
	s_waitcnt lgkmcnt(0)
	v_cmp_o_f64_e32 vcc_lo, v[3:4], v[3:4]
	v_ashrrev_i32_e32 v1, 31, v4
	s_delay_alu instid0(VALU_DEP_1) | instskip(SKIP_1) | instid1(VALU_DEP_2)
	v_or_b32_e32 v5, 0x80000000, v1
	v_xor_b32_e32 v1, v1, v3
	v_xor_b32_e32 v5, v5, v4
	s_delay_alu instid0(VALU_DEP_1) | instskip(NEXT) | instid1(VALU_DEP_3)
	v_cndmask_b32_e32 v5, -1, v5, vcc_lo
	v_cndmask_b32_e32 v1, -1, v1, vcc_lo
	s_delay_alu instid0(VALU_DEP_2) | instskip(NEXT) | instid1(VALU_DEP_2)
	v_and_b32_e32 v6, s49, v5
	v_and_b32_e32 v5, s48, v1
	s_delay_alu instid0(VALU_DEP_1)
	v_cmp_eq_u64_e32 vcc_lo, s[46:47], v[5:6]
	s_and_b32 exec_lo, exec_lo, vcc_lo
	s_cbranch_execz .LBB41_135
; %bb.140:                              ;   in Loop: Header=BB41_136 Depth=2
	v_mov_b32_e32 v1, v13
	ds_store_b128 v13, v[1:4] offset:3072
	s_branch .LBB41_135
.LBB41_141:                             ;   in Loop: Header=BB41_8 Depth=1
	s_set_inst_prefetch_distance 0x2
	s_or_b32 exec_lo, exec_lo, s24
	s_delay_alu instid0(SALU_CYCLE_1)
	s_and_b32 s16, s16, exec_lo
.LBB41_142:                             ;   in Loop: Header=BB41_8 Depth=1
	s_or_b32 exec_lo, exec_lo, s17
	s_mov_b32 s25, -1
	s_mov_b32 s24, 0
	s_mov_b32 s23, 0
.LBB41_143:                             ;   in Loop: Header=BB41_8 Depth=1
	s_mov_b32 s15, 0
                                        ; implicit-def: $sgpr9
	s_and_saveexec_b32 s26, s16
	s_cbranch_execz .LBB41_239
; %bb.144:                              ;   in Loop: Header=BB41_8 Depth=1
	s_xor_b32 s9, s14, -1
	s_mov_b32 s37, 0
	s_and_not1_b32 vcc_lo, exec_lo, s9
	s_mov_b32 s88, 1
	s_cbranch_vccnz .LBB41_155
; %bb.145:                              ;   in Loop: Header=BB41_8 Depth=1
	s_cmp_gt_i32 s28, s27
	s_mov_b32 s37, -1
                                        ; implicit-def: $sgpr9
                                        ; implicit-def: $sgpr14_sgpr15
                                        ; implicit-def: $sgpr16_sgpr17
	s_cbranch_scc1 .LBB41_151
; %bb.146:                              ;   in Loop: Header=BB41_8 Depth=1
	ds_load_b32 v1, v13 offset:4096
	s_waitcnt lgkmcnt(0)
	v_cmp_ne_u32_e32 vcc_lo, 0, v1
	s_cbranch_vccnz .LBB41_150
; %bb.147:                              ;   in Loop: Header=BB41_8 Depth=1
	s_and_saveexec_b32 s9, s0
	s_cbranch_execz .LBB41_149
; %bb.148:                              ;   in Loop: Header=BB41_8 Depth=1
	v_mov_b32_e32 v1, s27
	ds_store_b32 v13, v1 offset:4100
.LBB41_149:                             ;   in Loop: Header=BB41_8 Depth=1
	s_or_b32 exec_lo, exec_lo, s9
	s_waitcnt lgkmcnt(0)
	s_barrier
	buffer_gl0_inv
.LBB41_150:                             ;   in Loop: Header=BB41_8 Depth=1
	s_lshl_b64 s[14:15], 1, s22
	s_and_b64 s[16:17], s[46:47], s[12:13]
	s_mov_b32 s37, 0
	s_or_b64 s[14:15], s[16:17], s[14:15]
	s_or_b64 s[16:17], s[48:49], s[10:11]
	s_mov_b32 s9, 8
.LBB41_151:                             ;   in Loop: Header=BB41_8 Depth=1
	s_and_not1_b32 vcc_lo, exec_lo, s37
	s_cbranch_vccnz .LBB41_153
; %bb.152:                              ;   in Loop: Header=BB41_8 Depth=1
	s_sub_i32 s28, s28, s27
	s_mov_b32 s37, -1
	s_mov_b32 s9, 0
	s_mov_b64 s[14:15], s[46:47]
	s_mov_b64 s[16:17], s[48:49]
.LBB41_153:                             ;   in Loop: Header=BB41_8 Depth=1
	s_delay_alu instid0(SALU_CYCLE_1)
	s_mov_b64 s[48:49], s[16:17]
	s_mov_b64 s[46:47], s[14:15]
	s_mov_b32 s88, s28
	s_and_not1_b32 vcc_lo, exec_lo, s37
	s_mov_b32 s15, -1
	s_cbranch_vccz .LBB41_156
.LBB41_154:                             ;   in Loop: Header=BB41_8 Depth=1
                                        ; implicit-def: $sgpr28
                                        ; implicit-def: $sgpr37
                                        ; implicit-def: $sgpr27
	s_branch .LBB41_238
.LBB41_155:                             ;   in Loop: Header=BB41_8 Depth=1
	s_mov_b32 s9, 1
	s_and_not1_b32 vcc_lo, exec_lo, s37
	s_mov_b32 s15, -1
	s_cbranch_vccnz .LBB41_154
.LBB41_156:                             ;   in Loop: Header=BB41_8 Depth=1
	s_cmp_eq_u32 s21, 1
	s_mov_b32 s16, -1
	s_cselect_b32 s9, -1, 0
	s_cmp_eq_u32 s88, 1
	s_cselect_b32 s14, -1, 0
	s_delay_alu instid0(SALU_CYCLE_1) | instskip(NEXT) | instid1(SALU_CYCLE_1)
	s_and_b32 s14, s9, s14
	s_and_b32 vcc_lo, exec_lo, s14
	s_cbranch_vccz .LBB41_168
; %bb.157:                              ;   in Loop: Header=BB41_8 Depth=1
	ds_load_b32 v1, v13 offset:4096
	s_waitcnt lgkmcnt(0)
	s_barrier
	buffer_gl0_inv
	v_readfirstlane_b32 s15, v1
	s_and_saveexec_b32 s9, s1
	s_cbranch_execz .LBB41_159
; %bb.158:                              ;   in Loop: Header=BB41_8 Depth=1
	v_mov_b32_e32 v12, v13
	ds_store_b64 v26, v[12:13]
.LBB41_159:                             ;   in Loop: Header=BB41_8 Depth=1
	s_or_b32 exec_lo, exec_lo, s9
	s_lshl_b64 s[16:17], 2, s22
	s_and_b64 s[46:47], s[46:47], s[12:13]
	s_or_b64 s[48:49], s[48:49], s[10:11]
	s_or_b64 s[46:47], s[46:47], s[16:17]
	s_cmp_gt_i32 s15, 0
	s_waitcnt lgkmcnt(0)
	s_barrier
	buffer_gl0_inv
	s_cbranch_scc1 .LBB41_169
; %bb.160:                              ;   in Loop: Header=BB41_8 Depth=1
	s_mov_b32 s16, 0
                                        ; implicit-def: $vgpr5_vgpr6
	s_and_saveexec_b32 s17, s8
	s_cbranch_execz .LBB41_171
; %bb.161:                              ;   in Loop: Header=BB41_8 Depth=1
	v_mov_b32_e32 v7, v11
	v_mov_b32_e32 v9, v0
	s_mov_b32 s27, 0
                                        ; implicit-def: $sgpr16
	s_branch .LBB41_163
.LBB41_162:                             ;   in Loop: Header=BB41_163 Depth=2
	s_or_b32 exec_lo, exec_lo, s9
	s_waitcnt vmcnt(0) lgkmcnt(0)
	s_barrier
	buffer_gl0_inv
	ds_load_b128 v[3:6], v13 offset:3072
	v_add_nc_u32_e32 v9, s60, v9
	v_add_nc_u32_e32 v7, s63, v7
	s_waitcnt lgkmcnt(0)
	s_barrier
	buffer_gl0_inv
	v_cmp_le_i32_e64 s9, s75, v9
	v_cmp_neq_f64_e32 vcc_lo, 0, v[3:4]
	s_delay_alu instid0(VALU_DEP_2) | instskip(NEXT) | instid1(SALU_CYCLE_1)
	s_or_b32 s9, s9, vcc_lo
	s_and_b32 s9, exec_lo, s9
	s_delay_alu instid0(SALU_CYCLE_1) | instskip(SKIP_2) | instid1(SALU_CYCLE_1)
	s_or_b32 s27, s9, s27
	s_and_not1_b32 s9, s16, exec_lo
	s_and_b32 s16, vcc_lo, exec_lo
	s_or_b32 s16, s9, s16
	s_and_not1_b32 exec_lo, exec_lo, s27
	s_cbranch_execz .LBB41_170
.LBB41_163:                             ;   Parent Loop BB41_8 Depth=1
                                        ; =>  This Inner Loop Header: Depth=2
	v_mov_b32_e32 v3, 0
	v_mov_b32_e32 v4, 0
	v_cmp_gt_i32_e32 vcc_lo, s36, v9
	s_and_saveexec_b32 s28, vcc_lo
	s_cbranch_execz .LBB41_165
; %bb.164:                              ;   in Loop: Header=BB41_163 Depth=2
	v_ashrrev_i32_e32 v8, 31, v7
	s_delay_alu instid0(VALU_DEP_1) | instskip(NEXT) | instid1(VALU_DEP_1)
	v_lshlrev_b64 v[3:4], 3, v[7:8]
	v_add_co_u32 v3, s9, s58, v3
	s_delay_alu instid0(VALU_DEP_1)
	v_add_co_ci_u32_e64 v4, s9, s59, v4, s9
	global_load_b64 v[3:4], v[3:4], off
.LBB41_165:                             ;   in Loop: Header=BB41_163 Depth=2
	s_or_b32 exec_lo, exec_lo, s28
	s_and_saveexec_b32 s9, vcc_lo
	s_cbranch_execz .LBB41_162
; %bb.166:                              ;   in Loop: Header=BB41_163 Depth=2
	s_waitcnt vmcnt(0)
	v_cmp_o_f64_e32 vcc_lo, v[3:4], v[3:4]
	v_ashrrev_i32_e32 v1, 31, v4
	s_delay_alu instid0(VALU_DEP_1) | instskip(SKIP_1) | instid1(VALU_DEP_2)
	v_or_b32_e32 v5, 0x80000000, v1
	v_xor_b32_e32 v1, v1, v3
	v_xor_b32_e32 v5, v5, v4
	s_delay_alu instid0(VALU_DEP_1) | instskip(NEXT) | instid1(VALU_DEP_3)
	v_cndmask_b32_e32 v5, -1, v5, vcc_lo
	v_cndmask_b32_e32 v1, -1, v1, vcc_lo
	s_delay_alu instid0(VALU_DEP_2) | instskip(NEXT) | instid1(VALU_DEP_2)
	v_and_b32_e32 v6, s49, v5
	v_and_b32_e32 v5, s48, v1
	s_delay_alu instid0(VALU_DEP_1)
	v_cmp_eq_u64_e32 vcc_lo, s[46:47], v[5:6]
	s_and_b32 exec_lo, exec_lo, vcc_lo
	s_cbranch_execz .LBB41_162
; %bb.167:                              ;   in Loop: Header=BB41_163 Depth=2
	v_mov_b32_e32 v1, v13
	ds_store_b128 v13, v[1:4] offset:3072
	s_branch .LBB41_162
.LBB41_168:                             ;   in Loop: Header=BB41_8 Depth=1
                                        ; implicit-def: $sgpr27
                                        ; implicit-def: $sgpr37
                                        ; implicit-def: $sgpr28
	s_branch .LBB41_182
.LBB41_169:                             ;   in Loop: Header=BB41_8 Depth=1
	s_mov_b32 s27, -1
	s_mov_b32 s16, 0
                                        ; implicit-def: $sgpr28
                                        ; implicit-def: $vgpr5_vgpr6
	s_mov_b32 s37, s27
	s_cbranch_execnz .LBB41_172
	s_branch .LBB41_182
.LBB41_170:                             ;   in Loop: Header=BB41_8 Depth=1
	s_or_b32 exec_lo, exec_lo, s27
	s_delay_alu instid0(SALU_CYCLE_1)
	s_and_b32 s16, s16, exec_lo
.LBB41_171:                             ;   in Loop: Header=BB41_8 Depth=1
	s_or_b32 exec_lo, exec_lo, s17
	s_mov_b32 s28, -1
	s_mov_b32 s27, 0
	s_delay_alu instid0(SALU_CYCLE_1)
	s_mov_b32 s37, s27
	s_branch .LBB41_182
.LBB41_172:                             ;   in Loop: Header=BB41_8 Depth=1
	s_add_i32 s27, s15, s64
                                        ; implicit-def: $vgpr5_vgpr6
	s_delay_alu instid0(SALU_CYCLE_1) | instskip(NEXT) | instid1(SALU_CYCLE_1)
	s_abs_i32 s9, s27
	s_mul_hi_u32 s16, s9, s74
	s_delay_alu instid0(SALU_CYCLE_1) | instskip(NEXT) | instid1(SALU_CYCLE_1)
	s_mul_i32 s16, s16, s60
	s_sub_i32 s9, s9, s16
	s_ashr_i32 s16, s27, 31
	s_sub_i32 s17, s9, s60
	s_cmp_ge_u32 s9, s60
	s_cselect_b32 s9, s17, s9
	s_delay_alu instid0(SALU_CYCLE_1) | instskip(SKIP_4) | instid1(SALU_CYCLE_1)
	s_sub_i32 s17, s9, s60
	s_cmp_ge_u32 s9, s60
	s_cselect_b32 s9, s17, s9
	s_mov_b32 s17, exec_lo
	s_xor_b32 s9, s9, s16
	s_sub_i32 s9, s16, s9
	s_mov_b32 s16, 0
	s_add_i32 s27, s27, s9
	s_delay_alu instid0(SALU_CYCLE_1)
	v_cmpx_gt_i32_e64 s27, v0
	s_cbranch_execz .LBB41_181
; %bb.173:                              ;   in Loop: Header=BB41_8 Depth=1
	v_dual_mov_b32 v7, v25 :: v_dual_mov_b32 v8, v0
	s_mov_b32 s28, 0
                                        ; implicit-def: $sgpr16
	s_set_inst_prefetch_distance 0x1
	s_branch .LBB41_175
	.p2align	6
.LBB41_174:                             ;   in Loop: Header=BB41_175 Depth=2
	s_or_b32 exec_lo, exec_lo, s9
	s_waitcnt lgkmcnt(0)
	s_barrier
	buffer_gl0_inv
	ds_load_b128 v[3:6], v13 offset:3072
	v_add_nc_u32_e32 v8, s60, v8
	v_add_nc_u32_e32 v7, s78, v7
	s_waitcnt lgkmcnt(0)
	s_barrier
	buffer_gl0_inv
	v_cmp_le_i32_e64 s9, s27, v8
	v_cmp_neq_f64_e32 vcc_lo, 0, v[3:4]
	s_delay_alu instid0(VALU_DEP_2) | instskip(NEXT) | instid1(SALU_CYCLE_1)
	s_or_b32 s9, s9, vcc_lo
	s_and_b32 s9, exec_lo, s9
	s_delay_alu instid0(SALU_CYCLE_1) | instskip(SKIP_2) | instid1(SALU_CYCLE_1)
	s_or_b32 s28, s9, s28
	s_and_not1_b32 s9, s16, exec_lo
	s_and_b32 s16, vcc_lo, exec_lo
	s_or_b32 s16, s9, s16
	s_and_not1_b32 exec_lo, exec_lo, s28
	s_cbranch_execz .LBB41_180
.LBB41_175:                             ;   Parent Loop BB41_8 Depth=1
                                        ; =>  This Inner Loop Header: Depth=2
	v_mov_b32_e32 v3, 0
	v_mov_b32_e32 v4, 0
	v_cmp_gt_i32_e32 vcc_lo, s15, v8
	s_and_saveexec_b32 s9, vcc_lo
	s_cbranch_execz .LBB41_177
; %bb.176:                              ;   in Loop: Header=BB41_175 Depth=2
	ds_load_b64 v[3:4], v7
.LBB41_177:                             ;   in Loop: Header=BB41_175 Depth=2
	s_or_b32 exec_lo, exec_lo, s9
	s_and_saveexec_b32 s9, vcc_lo
	s_cbranch_execz .LBB41_174
; %bb.178:                              ;   in Loop: Header=BB41_175 Depth=2
	s_waitcnt lgkmcnt(0)
	v_cmp_o_f64_e32 vcc_lo, v[3:4], v[3:4]
	v_ashrrev_i32_e32 v1, 31, v4
	s_delay_alu instid0(VALU_DEP_1) | instskip(SKIP_1) | instid1(VALU_DEP_2)
	v_or_b32_e32 v5, 0x80000000, v1
	v_xor_b32_e32 v1, v1, v3
	v_xor_b32_e32 v5, v5, v4
	s_delay_alu instid0(VALU_DEP_1) | instskip(NEXT) | instid1(VALU_DEP_3)
	v_cndmask_b32_e32 v5, -1, v5, vcc_lo
	v_cndmask_b32_e32 v1, -1, v1, vcc_lo
	s_delay_alu instid0(VALU_DEP_2) | instskip(NEXT) | instid1(VALU_DEP_2)
	v_and_b32_e32 v6, s49, v5
	v_and_b32_e32 v5, s48, v1
	s_delay_alu instid0(VALU_DEP_1)
	v_cmp_eq_u64_e32 vcc_lo, s[46:47], v[5:6]
	s_and_b32 exec_lo, exec_lo, vcc_lo
	s_cbranch_execz .LBB41_174
; %bb.179:                              ;   in Loop: Header=BB41_175 Depth=2
	v_mov_b32_e32 v1, v13
	ds_store_b128 v13, v[1:4] offset:3072
	s_branch .LBB41_174
.LBB41_180:                             ;   in Loop: Header=BB41_8 Depth=1
	s_set_inst_prefetch_distance 0x2
	s_or_b32 exec_lo, exec_lo, s28
	s_delay_alu instid0(SALU_CYCLE_1)
	s_and_b32 s16, s16, exec_lo
.LBB41_181:                             ;   in Loop: Header=BB41_8 Depth=1
	s_or_b32 exec_lo, exec_lo, s17
	s_mov_b32 s37, -1
	s_mov_b32 s27, 0
	s_mov_b32 s28, 0
.LBB41_182:                             ;   in Loop: Header=BB41_8 Depth=1
	s_mov_b32 s15, 0
                                        ; implicit-def: $sgpr9
	s_and_saveexec_b32 s87, s16
	s_cbranch_execz .LBB41_237
; %bb.183:                              ;   in Loop: Header=BB41_8 Depth=1
	s_xor_b32 s9, s14, -1
	s_mov_b32 s89, 0
	s_and_not1_b32 vcc_lo, exec_lo, s9
	s_mov_b32 s14, 1
	s_cbranch_vccnz .LBB41_194
; %bb.184:                              ;   in Loop: Header=BB41_8 Depth=1
	s_cmp_gt_i32 s88, s21
	s_mov_b32 s89, -1
                                        ; implicit-def: $sgpr9
                                        ; implicit-def: $sgpr14_sgpr15
                                        ; implicit-def: $sgpr16_sgpr17
	s_cbranch_scc1 .LBB41_190
; %bb.185:                              ;   in Loop: Header=BB41_8 Depth=1
	ds_load_b32 v1, v13 offset:4096
	s_waitcnt lgkmcnt(0)
	v_cmp_ne_u32_e32 vcc_lo, 0, v1
	s_cbranch_vccnz .LBB41_189
; %bb.186:                              ;   in Loop: Header=BB41_8 Depth=1
	s_and_saveexec_b32 s9, s0
	s_cbranch_execz .LBB41_188
; %bb.187:                              ;   in Loop: Header=BB41_8 Depth=1
	v_mov_b32_e32 v1, s21
	ds_store_b32 v13, v1 offset:4100
.LBB41_188:                             ;   in Loop: Header=BB41_8 Depth=1
	s_or_b32 exec_lo, exec_lo, s9
	s_waitcnt lgkmcnt(0)
	s_barrier
	buffer_gl0_inv
.LBB41_189:                             ;   in Loop: Header=BB41_8 Depth=1
	s_lshl_b64 s[14:15], 2, s22
	s_and_b64 s[12:13], s[46:47], s[12:13]
	s_or_b64 s[16:17], s[48:49], s[10:11]
	s_or_b64 s[14:15], s[12:13], s[14:15]
	s_mov_b32 s89, 0
	s_mov_b32 s9, 8
.LBB41_190:                             ;   in Loop: Header=BB41_8 Depth=1
	s_and_not1_b32 vcc_lo, exec_lo, s89
	s_cbranch_vccnz .LBB41_192
; %bb.191:                              ;   in Loop: Header=BB41_8 Depth=1
	s_sub_i32 s88, s88, s21
	s_mov_b32 s89, -1
	s_mov_b32 s9, 0
	s_mov_b64 s[14:15], s[46:47]
	s_mov_b64 s[16:17], s[48:49]
.LBB41_192:                             ;   in Loop: Header=BB41_8 Depth=1
	s_delay_alu instid0(SALU_CYCLE_1)
	s_mov_b64 s[48:49], s[16:17]
	s_mov_b64 s[46:47], s[14:15]
	s_mov_b32 s14, s88
	s_and_not1_b32 vcc_lo, exec_lo, s89
	s_mov_b32 s13, -1
	s_cbranch_vccz .LBB41_195
.LBB41_193:                             ;   in Loop: Header=BB41_8 Depth=1
                                        ; implicit-def: $sgpr15
                                        ; implicit-def: $sgpr17
                                        ; implicit-def: $sgpr16
	s_branch .LBB41_236
.LBB41_194:                             ;   in Loop: Header=BB41_8 Depth=1
	s_mov_b32 s9, 1
	s_and_not1_b32 vcc_lo, exec_lo, s89
	s_mov_b32 s13, -1
	s_cbranch_vccnz .LBB41_193
.LBB41_195:                             ;   in Loop: Header=BB41_8 Depth=1
	s_cmp_eq_u32 s18, 1
	s_mov_b32 s21, -1
	s_cselect_b32 s9, -1, 0
	s_cmp_eq_u32 s14, 1
	s_cselect_b32 s12, -1, 0
	s_delay_alu instid0(SALU_CYCLE_1) | instskip(NEXT) | instid1(SALU_CYCLE_1)
	s_and_b32 s12, s9, s12
	s_and_b32 vcc_lo, exec_lo, s12
	s_cbranch_vccz .LBB41_207
; %bb.196:                              ;   in Loop: Header=BB41_8 Depth=1
	ds_load_b32 v1, v13 offset:4096
	s_waitcnt lgkmcnt(0)
	s_barrier
	buffer_gl0_inv
	v_readfirstlane_b32 s13, v1
	s_and_saveexec_b32 s9, s1
	s_cbranch_execz .LBB41_198
; %bb.197:                              ;   in Loop: Header=BB41_8 Depth=1
	v_mov_b32_e32 v12, v13
	ds_store_b64 v26, v[12:13]
.LBB41_198:                             ;   in Loop: Header=BB41_8 Depth=1
	s_or_b32 exec_lo, exec_lo, s9
	s_or_b64 s[46:47], s[46:47], s[10:11]
	s_or_b64 s[48:49], s[48:49], s[10:11]
	s_cmp_gt_i32 s13, 0
	s_waitcnt lgkmcnt(0)
	s_barrier
	buffer_gl0_inv
	s_cbranch_scc1 .LBB41_208
; %bb.199:                              ;   in Loop: Header=BB41_8 Depth=1
	s_mov_b32 s21, 0
                                        ; implicit-def: $vgpr5_vgpr6
	s_and_saveexec_b32 s15, s8
	s_cbranch_execz .LBB41_210
; %bb.200:                              ;   in Loop: Header=BB41_8 Depth=1
	v_mov_b32_e32 v7, v11
	v_mov_b32_e32 v9, v0
	s_mov_b32 s17, 0
                                        ; implicit-def: $sgpr16
	s_branch .LBB41_202
.LBB41_201:                             ;   in Loop: Header=BB41_202 Depth=2
	s_or_b32 exec_lo, exec_lo, s9
	s_waitcnt vmcnt(0) lgkmcnt(0)
	s_barrier
	buffer_gl0_inv
	ds_load_b128 v[3:6], v13 offset:3072
	v_add_nc_u32_e32 v9, s60, v9
	v_add_nc_u32_e32 v7, s63, v7
	s_waitcnt lgkmcnt(0)
	s_barrier
	buffer_gl0_inv
	v_cmp_le_i32_e64 s9, s75, v9
	v_cmp_neq_f64_e32 vcc_lo, 0, v[3:4]
	s_delay_alu instid0(VALU_DEP_2) | instskip(NEXT) | instid1(SALU_CYCLE_1)
	s_or_b32 s9, s9, vcc_lo
	s_and_b32 s9, exec_lo, s9
	s_delay_alu instid0(SALU_CYCLE_1) | instskip(SKIP_2) | instid1(SALU_CYCLE_1)
	s_or_b32 s17, s9, s17
	s_and_not1_b32 s9, s16, exec_lo
	s_and_b32 s16, vcc_lo, exec_lo
	s_or_b32 s16, s9, s16
	s_and_not1_b32 exec_lo, exec_lo, s17
	s_cbranch_execz .LBB41_209
.LBB41_202:                             ;   Parent Loop BB41_8 Depth=1
                                        ; =>  This Inner Loop Header: Depth=2
	v_mov_b32_e32 v3, 0
	v_mov_b32_e32 v4, 0
	v_cmp_gt_i32_e32 vcc_lo, s36, v9
	s_and_saveexec_b32 s21, vcc_lo
	s_cbranch_execz .LBB41_204
; %bb.203:                              ;   in Loop: Header=BB41_202 Depth=2
	v_ashrrev_i32_e32 v8, 31, v7
	s_delay_alu instid0(VALU_DEP_1) | instskip(NEXT) | instid1(VALU_DEP_1)
	v_lshlrev_b64 v[3:4], 3, v[7:8]
	v_add_co_u32 v3, s9, s58, v3
	s_delay_alu instid0(VALU_DEP_1)
	v_add_co_ci_u32_e64 v4, s9, s59, v4, s9
	global_load_b64 v[3:4], v[3:4], off
.LBB41_204:                             ;   in Loop: Header=BB41_202 Depth=2
	s_or_b32 exec_lo, exec_lo, s21
	s_and_saveexec_b32 s9, vcc_lo
	s_cbranch_execz .LBB41_201
; %bb.205:                              ;   in Loop: Header=BB41_202 Depth=2
	s_waitcnt vmcnt(0)
	v_cmp_o_f64_e32 vcc_lo, v[3:4], v[3:4]
	v_ashrrev_i32_e32 v1, 31, v4
	s_delay_alu instid0(VALU_DEP_1) | instskip(SKIP_1) | instid1(VALU_DEP_2)
	v_or_b32_e32 v5, 0x80000000, v1
	v_xor_b32_e32 v1, v1, v3
	v_xor_b32_e32 v5, v5, v4
	s_delay_alu instid0(VALU_DEP_1) | instskip(NEXT) | instid1(VALU_DEP_3)
	v_cndmask_b32_e32 v5, -1, v5, vcc_lo
	v_cndmask_b32_e32 v1, -1, v1, vcc_lo
	s_delay_alu instid0(VALU_DEP_2) | instskip(NEXT) | instid1(VALU_DEP_2)
	v_and_b32_e32 v6, s49, v5
	v_and_b32_e32 v5, s48, v1
	s_delay_alu instid0(VALU_DEP_1)
	v_cmp_eq_u64_e32 vcc_lo, s[46:47], v[5:6]
	s_and_b32 exec_lo, exec_lo, vcc_lo
	s_cbranch_execz .LBB41_201
; %bb.206:                              ;   in Loop: Header=BB41_202 Depth=2
	v_mov_b32_e32 v1, v13
	ds_store_b128 v13, v[1:4] offset:3072
	s_branch .LBB41_201
.LBB41_207:                             ;   in Loop: Header=BB41_8 Depth=1
                                        ; implicit-def: $sgpr15
                                        ; implicit-def: $sgpr17
                                        ; implicit-def: $sgpr16
	s_branch .LBB41_221
.LBB41_208:                             ;   in Loop: Header=BB41_8 Depth=1
	s_mov_b32 s15, -1
	s_mov_b32 s21, 0
                                        ; implicit-def: $sgpr16
                                        ; implicit-def: $vgpr5_vgpr6
	s_mov_b32 s17, s15
	s_cbranch_execnz .LBB41_211
	s_branch .LBB41_221
.LBB41_209:                             ;   in Loop: Header=BB41_8 Depth=1
	s_or_b32 exec_lo, exec_lo, s17
	s_delay_alu instid0(SALU_CYCLE_1)
	s_and_b32 s21, s16, exec_lo
.LBB41_210:                             ;   in Loop: Header=BB41_8 Depth=1
	s_or_b32 exec_lo, exec_lo, s15
	s_mov_b32 s16, -1
	s_mov_b32 s15, 0
	s_delay_alu instid0(SALU_CYCLE_1)
	s_mov_b32 s17, s15
	s_branch .LBB41_221
.LBB41_211:                             ;   in Loop: Header=BB41_8 Depth=1
	s_add_i32 s16, s13, s64
	s_mov_b32 s21, 0
	s_abs_i32 s9, s16
                                        ; implicit-def: $vgpr5_vgpr6
	s_delay_alu instid0(SALU_CYCLE_1) | instskip(NEXT) | instid1(SALU_CYCLE_1)
	s_mul_hi_u32 s15, s9, s74
	s_mul_i32 s15, s15, s60
	s_delay_alu instid0(SALU_CYCLE_1) | instskip(SKIP_4) | instid1(SALU_CYCLE_1)
	s_sub_i32 s9, s9, s15
	s_ashr_i32 s15, s16, 31
	s_sub_i32 s17, s9, s60
	s_cmp_ge_u32 s9, s60
	s_cselect_b32 s9, s17, s9
	s_sub_i32 s17, s9, s60
	s_cmp_ge_u32 s9, s60
	s_cselect_b32 s9, s17, s9
	s_delay_alu instid0(SALU_CYCLE_1) | instskip(NEXT) | instid1(SALU_CYCLE_1)
	s_xor_b32 s9, s9, s15
	s_sub_i32 s9, s15, s9
	s_mov_b32 s15, exec_lo
	s_add_i32 s16, s16, s9
	s_delay_alu instid0(SALU_CYCLE_1)
	v_cmpx_gt_i32_e64 s16, v0
	s_cbranch_execz .LBB41_220
; %bb.212:                              ;   in Loop: Header=BB41_8 Depth=1
	v_dual_mov_b32 v7, v25 :: v_dual_mov_b32 v8, v0
                                        ; implicit-def: $sgpr17
	s_set_inst_prefetch_distance 0x1
	s_branch .LBB41_214
	.p2align	6
.LBB41_213:                             ;   in Loop: Header=BB41_214 Depth=2
	s_or_b32 exec_lo, exec_lo, s9
	s_waitcnt lgkmcnt(0)
	s_barrier
	buffer_gl0_inv
	ds_load_b128 v[3:6], v13 offset:3072
	v_add_nc_u32_e32 v8, s60, v8
	v_add_nc_u32_e32 v7, s78, v7
	s_waitcnt lgkmcnt(0)
	s_barrier
	buffer_gl0_inv
	v_cmp_le_i32_e64 s9, s16, v8
	v_cmp_neq_f64_e32 vcc_lo, 0, v[3:4]
	s_delay_alu instid0(VALU_DEP_2) | instskip(NEXT) | instid1(SALU_CYCLE_1)
	s_or_b32 s9, s9, vcc_lo
	s_and_b32 s9, exec_lo, s9
	s_delay_alu instid0(SALU_CYCLE_1) | instskip(SKIP_2) | instid1(SALU_CYCLE_1)
	s_or_b32 s21, s9, s21
	s_and_not1_b32 s9, s17, exec_lo
	s_and_b32 s17, vcc_lo, exec_lo
	s_or_b32 s17, s9, s17
	s_and_not1_b32 exec_lo, exec_lo, s21
	s_cbranch_execz .LBB41_219
.LBB41_214:                             ;   Parent Loop BB41_8 Depth=1
                                        ; =>  This Inner Loop Header: Depth=2
	v_mov_b32_e32 v3, 0
	v_mov_b32_e32 v4, 0
	v_cmp_gt_i32_e32 vcc_lo, s13, v8
	s_and_saveexec_b32 s9, vcc_lo
	s_cbranch_execz .LBB41_216
; %bb.215:                              ;   in Loop: Header=BB41_214 Depth=2
	ds_load_b64 v[3:4], v7
.LBB41_216:                             ;   in Loop: Header=BB41_214 Depth=2
	s_or_b32 exec_lo, exec_lo, s9
	s_and_saveexec_b32 s9, vcc_lo
	s_cbranch_execz .LBB41_213
; %bb.217:                              ;   in Loop: Header=BB41_214 Depth=2
	s_waitcnt lgkmcnt(0)
	v_cmp_o_f64_e32 vcc_lo, v[3:4], v[3:4]
	v_ashrrev_i32_e32 v1, 31, v4
	s_delay_alu instid0(VALU_DEP_1) | instskip(SKIP_1) | instid1(VALU_DEP_2)
	v_or_b32_e32 v5, 0x80000000, v1
	v_xor_b32_e32 v1, v1, v3
	v_xor_b32_e32 v5, v5, v4
	s_delay_alu instid0(VALU_DEP_1) | instskip(NEXT) | instid1(VALU_DEP_3)
	v_cndmask_b32_e32 v5, -1, v5, vcc_lo
	v_cndmask_b32_e32 v1, -1, v1, vcc_lo
	s_delay_alu instid0(VALU_DEP_2) | instskip(NEXT) | instid1(VALU_DEP_2)
	v_and_b32_e32 v6, s49, v5
	v_and_b32_e32 v5, s48, v1
	s_delay_alu instid0(VALU_DEP_1)
	v_cmp_eq_u64_e32 vcc_lo, s[46:47], v[5:6]
	s_and_b32 exec_lo, exec_lo, vcc_lo
	s_cbranch_execz .LBB41_213
; %bb.218:                              ;   in Loop: Header=BB41_214 Depth=2
	v_mov_b32_e32 v1, v13
	ds_store_b128 v13, v[1:4] offset:3072
	s_branch .LBB41_213
.LBB41_219:                             ;   in Loop: Header=BB41_8 Depth=1
	s_set_inst_prefetch_distance 0x2
	s_or_b32 exec_lo, exec_lo, s21
	s_delay_alu instid0(SALU_CYCLE_1)
	s_and_b32 s21, s17, exec_lo
.LBB41_220:                             ;   in Loop: Header=BB41_8 Depth=1
	s_or_b32 exec_lo, exec_lo, s15
	s_mov_b32 s17, -1
	s_mov_b32 s15, 0
	s_mov_b32 s16, 0
.LBB41_221:                             ;   in Loop: Header=BB41_8 Depth=1
	s_mov_b32 s13, 0
                                        ; implicit-def: $sgpr9
	s_and_saveexec_b32 s22, s21
	s_cbranch_execz .LBB41_235
; %bb.222:                              ;   in Loop: Header=BB41_8 Depth=1
	s_xor_b32 s9, s12, -1
	s_delay_alu instid0(SALU_CYCLE_1)
	s_and_not1_b32 vcc_lo, exec_lo, s9
	s_mov_b32 s9, 1
	s_cbranch_vccnz .LBB41_229
; %bb.223:                              ;   in Loop: Header=BB41_8 Depth=1
	s_cmp_gt_i32 s14, s18
	s_cbranch_scc1 .LBB41_230
; %bb.224:                              ;   in Loop: Header=BB41_8 Depth=1
	ds_load_b32 v1, v13 offset:4096
	s_waitcnt lgkmcnt(0)
	v_cmp_ne_u32_e32 vcc_lo, 0, v1
	s_cbranch_vccnz .LBB41_228
; %bb.225:                              ;   in Loop: Header=BB41_8 Depth=1
	s_and_saveexec_b32 s9, s0
	s_cbranch_execz .LBB41_227
; %bb.226:                              ;   in Loop: Header=BB41_8 Depth=1
	v_mov_b32_e32 v1, s18
	ds_store_b32 v13, v1 offset:4100
.LBB41_227:                             ;   in Loop: Header=BB41_8 Depth=1
	s_or_b32 exec_lo, exec_lo, s9
	s_waitcnt lgkmcnt(0)
	s_barrier
	buffer_gl0_inv
.LBB41_228:                             ;   in Loop: Header=BB41_8 Depth=1
	s_or_b64 s[12:13], s[46:47], s[10:11]
	s_or_b64 s[10:11], s[48:49], s[10:11]
	s_mov_b32 s21, 0
	s_mov_b32 s9, 8
	s_branch .LBB41_231
.LBB41_229:                             ;   in Loop: Header=BB41_8 Depth=1
	s_mov_b32 s14, 1
	s_branch .LBB41_234
.LBB41_230:                             ;   in Loop: Header=BB41_8 Depth=1
	s_mov_b32 s21, -1
                                        ; implicit-def: $sgpr9
                                        ; implicit-def: $sgpr12_sgpr13
                                        ; implicit-def: $sgpr10_sgpr11
.LBB41_231:                             ;   in Loop: Header=BB41_8 Depth=1
	s_delay_alu instid0(SALU_CYCLE_1)
	s_and_not1_b32 vcc_lo, exec_lo, s21
	s_cbranch_vccnz .LBB41_233
; %bb.232:                              ;   in Loop: Header=BB41_8 Depth=1
	s_sub_i32 s14, s14, s18
	s_mov_b32 s9, 8
	s_mov_b64 s[12:13], s[46:47]
	s_mov_b64 s[10:11], s[48:49]
.LBB41_233:                             ;   in Loop: Header=BB41_8 Depth=1
	s_mov_b64 s[46:47], s[12:13]
	s_mov_b64 s[48:49], s[10:11]
.LBB41_234:                             ;   in Loop: Header=BB41_8 Depth=1
	s_mov_b32 s13, exec_lo
.LBB41_235:                             ;   in Loop: Header=BB41_8 Depth=1
	s_or_b32 exec_lo, exec_lo, s22
.LBB41_236:                             ;   in Loop: Header=BB41_8 Depth=1
	s_delay_alu instid0(SALU_CYCLE_1)
	s_and_not1_b32 s10, s27, exec_lo
	s_and_b32 s11, s15, exec_lo
	s_and_not1_b32 s12, s28, exec_lo
	s_or_b32 s27, s10, s11
	s_and_not1_b32 s10, s37, exec_lo
	s_and_b32 s11, s17, exec_lo
	s_and_b32 s15, s16, exec_lo
	s_or_b32 s37, s10, s11
	s_or_b32 s28, s12, s15
	s_and_b32 s15, s13, exec_lo
	s_mov_b32 s88, s14
.LBB41_237:                             ;   in Loop: Header=BB41_8 Depth=1
	s_or_b32 exec_lo, exec_lo, s87
.LBB41_238:                             ;   in Loop: Header=BB41_8 Depth=1
	s_delay_alu instid0(SALU_CYCLE_1)
	s_and_not1_b32 s10, s24, exec_lo
	s_and_b32 s11, s27, exec_lo
	s_and_not1_b32 s12, s23, exec_lo
	s_or_b32 s24, s10, s11
	s_and_not1_b32 s10, s25, exec_lo
	s_and_b32 s11, s37, exec_lo
	s_and_b32 s13, s28, exec_lo
	s_or_b32 s25, s10, s11
	s_or_b32 s23, s12, s13
	s_and_b32 s15, s15, exec_lo
	s_mov_b32 s28, s88
.LBB41_239:                             ;   in Loop: Header=BB41_8 Depth=1
	s_or_b32 exec_lo, exec_lo, s26
	s_and_saveexec_b32 s10, s15
	s_delay_alu instid0(SALU_CYCLE_1)
	s_xor_b32 s10, exec_lo, s10
	s_cbranch_execz .LBB41_6
.LBB41_240:                             ;   in Loop: Header=BB41_8 Depth=1
	s_and_b32 s9, s9, -9
	s_delay_alu instid0(SALU_CYCLE_1)
	s_cmp_eq_u32 s9, 0
	s_cbranch_scc1 .LBB41_4
; %bb.241:                              ;   in Loop: Header=BB41_8 Depth=1
	s_mov_b32 s9, -1
	s_mov_b32 s11, -1
                                        ; implicit-def: $sgpr48_sgpr49
                                        ; implicit-def: $sgpr28
                                        ; implicit-def: $sgpr82
                                        ; implicit-def: $sgpr85
	s_branch .LBB41_5
.LBB41_242:
	s_or_b32 exec_lo, exec_lo, s61
	s_xor_b32 s3, s81, -1
	s_xor_b32 s2, s79, -1
	;; [unrolled: 1-line block ×3, first 2 shown]
	s_mov_b32 s1, 0
	s_and_saveexec_b32 s5, s2
	s_delay_alu instid0(SALU_CYCLE_1)
	s_xor_b32 s2, exec_lo, s5
	s_cbranch_execz .LBB41_263
; %bb.243:
	s_and_saveexec_b32 s1, s3
	s_delay_alu instid0(SALU_CYCLE_1)
	s_xor_b32 s3, exec_lo, s1
	s_cbranch_execz .LBB41_261
; %bb.244:
	s_and_saveexec_b32 s1, s4
	s_delay_alu instid0(SALU_CYCLE_1)
	s_xor_b32 s1, exec_lo, s1
; %bb.245:
	v_lshrrev_b32_e32 v1, 31, v4
	s_delay_alu instid0(VALU_DEP_1) | instskip(NEXT) | instid1(VALU_DEP_1)
	v_add_co_u32 v1, s4, v1, -1
	v_add_co_ci_u32_e64 v2, null, 0, -1, s4
	s_delay_alu instid0(VALU_DEP_2) | instskip(NEXT) | instid1(VALU_DEP_2)
	v_xor_b32_e32 v5, v1, v3
	v_or_b32_e32 v2, 0x80000000, v2
	s_delay_alu instid0(VALU_DEP_1)
	v_xor_b32_e32 v6, v2, v4
; %bb.246:
	s_or_b32 exec_lo, exec_lo, s1
	s_and_saveexec_b32 s1, s0
	s_cbranch_execz .LBB41_248
; %bb.247:
	v_dual_mov_b32 v1, 0 :: v_dual_mov_b32 v2, s36
	ds_store_b32 v1, v2 offset:4108
.LBB41_248:
	s_or_b32 exec_lo, exec_lo, s1
	v_mov_b32_e32 v1, 0
	s_waitcnt lgkmcnt(0)
	s_barrier
	buffer_gl0_inv
	s_mov_b32 s4, exec_lo
	ds_load_b32 v1, v1 offset:4108
	s_waitcnt lgkmcnt(0)
	v_min_i32_e32 v1, s36, v1
	s_delay_alu instid0(VALU_DEP_1)
	v_cmpx_lt_i32_e64 v0, v1
	s_cbranch_execz .LBB41_258
; %bb.249:
	v_cmp_u_f64_e32 vcc_lo, v[5:6], v[5:6]
	s_mov_b32 s5, 0
                                        ; implicit-def: $sgpr6
                                        ; implicit-def: $sgpr9
                                        ; implicit-def: $sgpr8
	s_xor_b32 s7, vcc_lo, -1
	s_set_inst_prefetch_distance 0x1
	s_branch .LBB41_251
	.p2align	6
.LBB41_250:                             ;   in Loop: Header=BB41_251 Depth=1
	s_or_b32 exec_lo, exec_lo, s1
	s_delay_alu instid0(SALU_CYCLE_1) | instskip(NEXT) | instid1(SALU_CYCLE_1)
	s_and_b32 s1, exec_lo, s9
	s_or_b32 s5, s1, s5
	s_and_not1_b32 s1, s6, exec_lo
	s_and_b32 s6, s8, exec_lo
	s_delay_alu instid0(SALU_CYCLE_1)
	s_or_b32 s6, s1, s6
	s_and_not1_b32 exec_lo, exec_lo, s5
	s_cbranch_execz .LBB41_253
.LBB41_251:                             ; =>This Inner Loop Header: Depth=1
	v_ashrrev_i32_e32 v12, 31, v11
	s_or_b32 s8, s8, exec_lo
	s_or_b32 s9, s9, exec_lo
	s_delay_alu instid0(VALU_DEP_1) | instskip(NEXT) | instid1(VALU_DEP_1)
	v_lshlrev_b64 v[2:3], 3, v[11:12]
	v_add_co_u32 v2, vcc_lo, s58, v2
	s_delay_alu instid0(VALU_DEP_2)
	v_add_co_ci_u32_e32 v3, vcc_lo, s59, v3, vcc_lo
	global_load_b64 v[2:3], v[2:3], off
	s_waitcnt vmcnt(0)
	v_cmp_o_f64_e32 vcc_lo, v[2:3], v[2:3]
	v_cmp_neq_f64_e64 s1, v[2:3], v[5:6]
	v_mov_b32_e32 v2, v0
                                        ; implicit-def: $vgpr0
	s_or_b32 s10, vcc_lo, s7
	s_delay_alu instid0(VALU_DEP_2) | instid1(SALU_CYCLE_1)
	s_and_b32 s10, s1, s10
	s_delay_alu instid0(SALU_CYCLE_1)
	s_and_saveexec_b32 s1, s10
	s_cbranch_execz .LBB41_250
; %bb.252:                              ;   in Loop: Header=BB41_251 Depth=1
	v_add_nc_u32_e32 v0, s60, v2
	s_and_not1_b32 s9, s9, exec_lo
	v_add_nc_u32_e32 v11, s63, v11
	s_and_not1_b32 s8, s8, exec_lo
	s_delay_alu instid0(VALU_DEP_2) | instskip(SKIP_1) | instid1(SALU_CYCLE_1)
	v_cmp_ge_i32_e32 vcc_lo, v0, v1
	s_and_b32 s10, vcc_lo, exec_lo
	s_or_b32 s9, s9, s10
	s_branch .LBB41_250
.LBB41_253:
	s_set_inst_prefetch_distance 0x2
	s_or_b32 exec_lo, exec_lo, s5
	s_and_saveexec_b32 s1, s6
	s_delay_alu instid0(SALU_CYCLE_1)
	s_xor_b32 s1, exec_lo, s1
	s_cbranch_execz .LBB41_258
; %bb.254:
	s_mov_b32 s5, exec_lo
	s_brev_b32 s1, -2
.LBB41_255:                             ; =>This Inner Loop Header: Depth=1
	s_ctz_i32_b32 s6, s5
	s_delay_alu instid0(SALU_CYCLE_1) | instskip(SKIP_1) | instid1(SALU_CYCLE_1)
	v_readlane_b32 s7, v2, s6
	s_lshl_b32 s6, 1, s6
	s_and_not1_b32 s5, s5, s6
	s_delay_alu instid0(VALU_DEP_1)
	s_min_i32 s1, s1, s7
	s_cmp_lg_u32 s5, 0
	s_cbranch_scc1 .LBB41_255
; %bb.256:
	v_mbcnt_lo_u32_b32 v0, exec_lo, 0
	s_mov_b32 s5, exec_lo
	s_delay_alu instid0(VALU_DEP_1)
	v_cmpx_eq_u32_e32 0, v0
	s_xor_b32 s5, exec_lo, s5
	s_cbranch_execz .LBB41_258
; %bb.257:
	v_dual_mov_b32 v0, 0 :: v_dual_mov_b32 v1, s1
	ds_min_i32 v0, v1 offset:4108
.LBB41_258:
	s_or_b32 exec_lo, exec_lo, s4
	s_waitcnt lgkmcnt(0)
	s_barrier
	buffer_gl0_inv
	s_and_saveexec_b32 s1, s0
	s_cbranch_execz .LBB41_260
; %bb.259:
	s_mul_i32 s0, s56, s53
	s_xor_b32 s4, s52, s57
	s_sub_i32 s0, s51, s0
	s_add_i32 s5, s56, 1
	s_sub_i32 s6, s0, s53
	s_cmp_ge_u32 s0, s53
	v_mov_b32_e32 v2, 0
	s_cselect_b32 s5, s5, s56
	s_cselect_b32 s0, s6, s0
	s_add_i32 s6, s5, 1
	s_cmp_ge_u32 s0, s53
	s_mul_i32 s0, s54, s50
	s_cselect_b32 s5, s6, s5
	s_sub_i32 s0, s51, s0
	s_xor_b32 s5, s5, s4
	s_xor_b32 s6, s52, s55
	s_sub_i32 s4, s5, s4
	s_add_i32 s7, s54, 1
	s_mul_i32 s5, s4, s38
	s_mul_i32 s4, s4, s42
	s_sub_i32 s5, s29, s5
	s_sub_i32 s8, s0, s50
	s_mul_i32 s5, s5, s43
	ds_load_b32 v0, v2 offset:4108
	s_add_i32 s4, s4, s5
	s_cmp_ge_u32 s0, s50
	s_cselect_b32 s5, s7, s54
	s_cselect_b32 s0, s8, s0
	s_add_i32 s7, s5, 1
	s_cmp_ge_u32 s0, s50
	s_cselect_b32 s0, s7, s5
	s_ashr_i32 s5, s4, 31
	s_xor_b32 s0, s0, s6
	s_lshl_b64 s[4:5], s[4:5], 3
	s_sub_i32 s0, s0, s6
	s_delay_alu instid0(SALU_CYCLE_1) | instskip(SKIP_2) | instid1(SALU_CYCLE_1)
	s_mul_i32 s6, s0, s33
	s_mul_i32 s0, s0, s40
	s_sub_i32 s6, s29, s6
	s_mul_i32 s6, s6, s41
	s_waitcnt lgkmcnt(0)
	v_ashrrev_i32_e32 v1, 31, v0
	s_add_i32 s6, s0, s6
	s_add_u32 s4, s34, s4
	s_addc_u32 s5, s35, s5
	s_ashr_i32 s7, s6, 31
	s_delay_alu instid0(SALU_CYCLE_1) | instskip(NEXT) | instid1(SALU_CYCLE_1)
	s_lshl_b64 s[6:7], s[6:7], 3
	s_add_u32 s6, s30, s6
	s_addc_u32 s7, s31, s7
	s_clause 0x1
	global_store_b64 v2, v[0:1], s[6:7]
	global_store_b64 v2, v[5:6], s[4:5]
.LBB41_260:
	s_or_b32 exec_lo, exec_lo, s1
.LBB41_261:
	s_or_saveexec_b32 s0, s3
	s_mov_b32 s1, 0
	s_xor_b32 exec_lo, exec_lo, s0
	s_cbranch_execnz .LBB41_269
.LBB41_262:
	s_or_b32 exec_lo, exec_lo, s0
	s_delay_alu instid0(SALU_CYCLE_1)
	s_and_b32 s1, s1, exec_lo
.LBB41_263:
	s_and_not1_saveexec_b32 s0, s2
	s_cbranch_execnz .LBB41_267
; %bb.264:
	s_or_b32 exec_lo, exec_lo, s0
	s_and_saveexec_b32 s0, s1
.LBB41_265:
	; divergent unreachable
.LBB41_266:
	s_nop 0
	s_sendmsg sendmsg(MSG_DEALLOC_VGPRS)
	s_endpgm
.LBB41_267:
	s_cbranch_execnz .LBB41_271
; %bb.268:
	s_or_b32 s1, s1, exec_lo
	s_or_b32 exec_lo, exec_lo, s0
	s_and_saveexec_b32 s0, s1
	s_cbranch_execnz .LBB41_265
	s_branch .LBB41_266
.LBB41_269:
	s_cbranch_execnz .LBB41_273
; %bb.270:
	s_mov_b32 s1, exec_lo
	s_branch .LBB41_262
.LBB41_271:
	s_trap 2
	s_sendmsg_rtn_b32 s0, sendmsg(MSG_RTN_GET_DOORBELL)
	s_mov_b32 ttmp2, m0
	s_waitcnt lgkmcnt(0)
	s_and_b32 s0, s0, 0x3ff
	s_delay_alu instid0(SALU_CYCLE_1) | instskip(NEXT) | instid1(SALU_CYCLE_1)
	s_bitset1_b32 s0, 10
	s_mov_b32 m0, s0
	s_sendmsg sendmsg(MSG_INTERRUPT)
	s_mov_b32 m0, ttmp2
.LBB41_272:                             ; =>This Inner Loop Header: Depth=1
	s_sethalt 5
	s_branch .LBB41_272
.LBB41_273:
	s_trap 2
	s_sendmsg_rtn_b32 s0, sendmsg(MSG_RTN_GET_DOORBELL)
	s_mov_b32 ttmp2, m0
	s_waitcnt lgkmcnt(0)
	s_and_b32 s0, s0, 0x3ff
	s_delay_alu instid0(SALU_CYCLE_1) | instskip(NEXT) | instid1(SALU_CYCLE_1)
	s_bitset1_b32 s0, 10
	s_mov_b32 m0, s0
	s_sendmsg sendmsg(MSG_INTERRUPT)
	s_mov_b32 m0, ttmp2
.LBB41_274:                             ; =>This Inner Loop Header: Depth=1
	s_sethalt 5
	s_branch .LBB41_274
	.section	.rodata,"a",@progbits
	.p2align	6, 0x0
	.amdhsa_kernel _ZN2at6native12_GLOBAL__N_114gatherKthValueIdiLi2EEEvNS_4cuda6detail10TensorInfoIKT_T0_EES8_S8_S8_S8_NS5_IS6_S8_EENS5_IlS8_EE
		.amdhsa_group_segment_fixed_size 4112
		.amdhsa_private_segment_fixed_size 0
		.amdhsa_kernarg_size 920
		.amdhsa_user_sgpr_count 13
		.amdhsa_user_sgpr_dispatch_ptr 0
		.amdhsa_user_sgpr_queue_ptr 0
		.amdhsa_user_sgpr_kernarg_segment_ptr 1
		.amdhsa_user_sgpr_dispatch_id 0
		.amdhsa_user_sgpr_private_segment_size 0
		.amdhsa_wavefront_size32 1
		.amdhsa_uses_dynamic_stack 0
		.amdhsa_enable_private_segment 0
		.amdhsa_system_sgpr_workgroup_id_x 1
		.amdhsa_system_sgpr_workgroup_id_y 1
		.amdhsa_system_sgpr_workgroup_id_z 1
		.amdhsa_system_sgpr_workgroup_info 0
		.amdhsa_system_vgpr_workitem_id 0
		.amdhsa_next_free_vgpr 50
		.amdhsa_next_free_sgpr 96
		.amdhsa_reserve_vcc 1
		.amdhsa_float_round_mode_32 0
		.amdhsa_float_round_mode_16_64 0
		.amdhsa_float_denorm_mode_32 3
		.amdhsa_float_denorm_mode_16_64 3
		.amdhsa_dx10_clamp 1
		.amdhsa_ieee_mode 1
		.amdhsa_fp16_overflow 0
		.amdhsa_workgroup_processor_mode 1
		.amdhsa_memory_ordered 1
		.amdhsa_forward_progress 0
		.amdhsa_shared_vgpr_count 0
		.amdhsa_exception_fp_ieee_invalid_op 0
		.amdhsa_exception_fp_denorm_src 0
		.amdhsa_exception_fp_ieee_div_zero 0
		.amdhsa_exception_fp_ieee_overflow 0
		.amdhsa_exception_fp_ieee_underflow 0
		.amdhsa_exception_fp_ieee_inexact 0
		.amdhsa_exception_int_div_zero 0
	.end_amdhsa_kernel
	.section	.text._ZN2at6native12_GLOBAL__N_114gatherKthValueIdiLi2EEEvNS_4cuda6detail10TensorInfoIKT_T0_EES8_S8_S8_S8_NS5_IS6_S8_EENS5_IlS8_EE,"axG",@progbits,_ZN2at6native12_GLOBAL__N_114gatherKthValueIdiLi2EEEvNS_4cuda6detail10TensorInfoIKT_T0_EES8_S8_S8_S8_NS5_IS6_S8_EENS5_IlS8_EE,comdat
.Lfunc_end41:
	.size	_ZN2at6native12_GLOBAL__N_114gatherKthValueIdiLi2EEEvNS_4cuda6detail10TensorInfoIKT_T0_EES8_S8_S8_S8_NS5_IS6_S8_EENS5_IlS8_EE, .Lfunc_end41-_ZN2at6native12_GLOBAL__N_114gatherKthValueIdiLi2EEEvNS_4cuda6detail10TensorInfoIKT_T0_EES8_S8_S8_S8_NS5_IS6_S8_EENS5_IlS8_EE
                                        ; -- End function
	.section	.AMDGPU.csdata,"",@progbits
; Kernel info:
; codeLenInByte = 10932
; NumSgprs: 98
; NumVgprs: 50
; ScratchSize: 0
; MemoryBound: 0
; FloatMode: 240
; IeeeMode: 1
; LDSByteSize: 4112 bytes/workgroup (compile time only)
; SGPRBlocks: 12
; VGPRBlocks: 6
; NumSGPRsForWavesPerEU: 98
; NumVGPRsForWavesPerEU: 50
; Occupancy: 16
; WaveLimiterHint : 1
; COMPUTE_PGM_RSRC2:SCRATCH_EN: 0
; COMPUTE_PGM_RSRC2:USER_SGPR: 13
; COMPUTE_PGM_RSRC2:TRAP_HANDLER: 0
; COMPUTE_PGM_RSRC2:TGID_X_EN: 1
; COMPUTE_PGM_RSRC2:TGID_Y_EN: 1
; COMPUTE_PGM_RSRC2:TGID_Z_EN: 1
; COMPUTE_PGM_RSRC2:TIDIG_COMP_CNT: 0
	.section	.text._ZN2at6native12_GLOBAL__N_114gatherKthValueIdiLi3EEEvNS_4cuda6detail10TensorInfoIKT_T0_EES8_S8_S8_S8_NS5_IS6_S8_EENS5_IlS8_EE,"axG",@progbits,_ZN2at6native12_GLOBAL__N_114gatherKthValueIdiLi3EEEvNS_4cuda6detail10TensorInfoIKT_T0_EES8_S8_S8_S8_NS5_IS6_S8_EENS5_IlS8_EE,comdat
	.globl	_ZN2at6native12_GLOBAL__N_114gatherKthValueIdiLi3EEEvNS_4cuda6detail10TensorInfoIKT_T0_EES8_S8_S8_S8_NS5_IS6_S8_EENS5_IlS8_EE ; -- Begin function _ZN2at6native12_GLOBAL__N_114gatherKthValueIdiLi3EEEvNS_4cuda6detail10TensorInfoIKT_T0_EES8_S8_S8_S8_NS5_IS6_S8_EENS5_IlS8_EE
	.p2align	8
	.type	_ZN2at6native12_GLOBAL__N_114gatherKthValueIdiLi3EEEvNS_4cuda6detail10TensorInfoIKT_T0_EES8_S8_S8_S8_NS5_IS6_S8_EENS5_IlS8_EE,@function
_ZN2at6native12_GLOBAL__N_114gatherKthValueIdiLi3EEEvNS_4cuda6detail10TensorInfoIKT_T0_EES8_S8_S8_S8_NS5_IS6_S8_EENS5_IlS8_EE: ; @_ZN2at6native12_GLOBAL__N_114gatherKthValueIdiLi3EEEvNS_4cuda6detail10TensorInfoIKT_T0_EES8_S8_S8_S8_NS5_IS6_S8_EENS5_IlS8_EE
; %bb.0:
	s_clause 0x1
	s_load_b64 s[8:9], s[0:1], 0x298
	s_load_b128 s[44:47], s[0:1], 0xd8
	s_add_u32 s2, s0, 0x298
	s_addc_u32 s3, s1, 0
	s_waitcnt lgkmcnt(0)
	s_mul_i32 s4, s9, s15
	s_delay_alu instid0(SALU_CYCLE_1) | instskip(NEXT) | instid1(SALU_CYCLE_1)
	s_add_i32 s4, s4, s14
	s_mul_i32 s29, s4, s8
	s_delay_alu instid0(SALU_CYCLE_1) | instskip(NEXT) | instid1(SALU_CYCLE_1)
	s_add_i32 s29, s29, s13
	s_cmp_ge_i32 s29, s46
	s_cbranch_scc1 .LBB42_266
; %bb.1:
	s_clause 0x3
	s_load_b64 s[10:11], s[0:1], 0xc
	s_load_b64 s[30:31], s[0:1], 0xf4
	;; [unrolled: 1-line block ×4, first 2 shown]
	s_abs_i32 s14, s29
	s_mov_b32 s69, 0
	s_waitcnt lgkmcnt(0)
	s_ashr_i32 s4, s11, 31
	s_delay_alu instid0(SALU_CYCLE_1) | instskip(NEXT) | instid1(SALU_CYCLE_1)
	s_add_i32 s5, s11, s4
	s_xor_b32 s5, s5, s4
	s_delay_alu instid0(SALU_CYCLE_1) | instskip(SKIP_1) | instid1(VALU_DEP_1)
	v_cvt_f32_u32_e32 v1, s5
	s_sub_i32 s7, 0, s5
	v_rcp_iflag_f32_e32 v1, v1
	s_waitcnt_depctr 0xfff
	v_mul_f32_e32 v1, 0x4f7ffffe, v1
	s_delay_alu instid0(VALU_DEP_1) | instskip(NEXT) | instid1(VALU_DEP_1)
	v_cvt_u32_f32_e32 v1, v1
	v_readfirstlane_b32 s6, v1
	s_delay_alu instid0(VALU_DEP_1) | instskip(NEXT) | instid1(SALU_CYCLE_1)
	s_mul_i32 s7, s7, s6
	s_mul_hi_u32 s7, s6, s7
	s_delay_alu instid0(SALU_CYCLE_1)
	s_add_i32 s6, s6, s7
	s_ashr_i32 s7, s29, 31
	s_mul_hi_u32 s6, s14, s6
	s_xor_b32 s4, s7, s4
	s_mul_i32 s9, s6, s5
	s_add_i32 s12, s6, 1
	s_sub_i32 s9, s14, s9
	s_delay_alu instid0(SALU_CYCLE_1)
	s_sub_i32 s15, s9, s5
	s_cmp_ge_u32 s9, s5
	s_cselect_b32 s6, s12, s6
	s_cselect_b32 s9, s15, s9
	s_add_i32 s12, s6, 1
	s_cmp_ge_u32 s9, s5
	s_cselect_b32 s5, s12, s6
	s_ashr_i32 s6, s31, 31
	s_abs_i32 s12, s10
	s_add_i32 s9, s31, s6
	v_cvt_f32_u32_e32 v2, s12
	s_xor_b32 s15, s9, s6
	s_xor_b32 s5, s5, s4
	v_cvt_f32_u32_e32 v1, s15
	s_sub_i32 s9, s5, s4
	v_rcp_iflag_f32_e32 v2, v2
	s_xor_b32 s5, s7, s6
	s_sub_i32 s6, 0, s15
	v_rcp_iflag_f32_e32 v1, v1
	s_sub_i32 s19, 0, s12
	s_ashr_i32 s16, s10, 31
	s_ashr_i32 s17, s9, 31
	s_abs_i32 s18, s9
	s_waitcnt_depctr 0xfff
	v_dual_mul_f32 v2, 0x4f7ffffe, v2 :: v_dual_mul_f32 v1, 0x4f7ffffe, v1
	s_delay_alu instid0(VALU_DEP_1) | instskip(NEXT) | instid1(VALU_DEP_2)
	v_cvt_u32_f32_e32 v2, v2
	v_cvt_u32_f32_e32 v1, v1
	s_delay_alu instid0(VALU_DEP_2) | instskip(NEXT) | instid1(VALU_DEP_2)
	v_readfirstlane_b32 s20, v2
	v_readfirstlane_b32 s4, v1
	s_delay_alu instid0(VALU_DEP_2) | instskip(NEXT) | instid1(VALU_DEP_1)
	s_mul_i32 s19, s19, s20
	s_mul_i32 s6, s6, s4
	s_delay_alu instid0(SALU_CYCLE_1) | instskip(NEXT) | instid1(SALU_CYCLE_1)
	s_mul_hi_u32 s6, s4, s6
	s_add_i32 s4, s4, s6
	s_mul_hi_u32 s6, s20, s19
	s_mul_hi_u32 s4, s14, s4
	s_add_i32 s20, s20, s6
	s_mul_i32 s19, s4, s15
	s_delay_alu instid0(SALU_CYCLE_1)
	s_sub_i32 s6, s14, s19
	s_add_i32 s19, s4, 1
	s_sub_i32 s21, s6, s15
	s_cmp_ge_u32 s6, s15
	s_cselect_b32 s4, s19, s4
	s_cselect_b32 s6, s21, s6
	s_add_i32 s19, s4, 1
	s_cmp_ge_u32 s6, s15
	s_cselect_b32 s4, s19, s4
	s_ashr_i32 s6, s35, 31
	s_abs_i32 s58, s30
	s_add_i32 s15, s35, s6
	v_cvt_f32_u32_e32 v2, s58
	s_xor_b32 s15, s15, s6
	s_xor_b32 s22, s7, s6
	v_cvt_f32_u32_e32 v1, s15
	s_sub_i32 s6, 0, s15
	v_rcp_iflag_f32_e32 v2, v2
	s_xor_b32 s4, s4, s5
	s_sub_i32 s21, 0, s58
	v_rcp_iflag_f32_e32 v1, v1
	s_sub_i32 s46, s4, s5
	s_delay_alu instid0(SALU_CYCLE_1) | instskip(SKIP_2) | instid1(VALU_DEP_1)
	s_abs_i32 s59, s46
	s_waitcnt_depctr 0xfff
	v_dual_mul_f32 v2, 0x4f7ffffe, v2 :: v_dual_mul_f32 v1, 0x4f7ffffe, v1
	v_cvt_u32_f32_e32 v2, v2
	s_delay_alu instid0(VALU_DEP_2) | instskip(NEXT) | instid1(VALU_DEP_2)
	v_cvt_u32_f32_e32 v1, v1
	v_readfirstlane_b32 s7, v2
	s_delay_alu instid0(VALU_DEP_2) | instskip(NEXT) | instid1(VALU_DEP_2)
	v_readfirstlane_b32 s19, v1
	s_mul_i32 s21, s21, s7
	s_delay_alu instid0(SALU_CYCLE_1) | instskip(NEXT) | instid1(VALU_DEP_1)
	s_mul_hi_u32 s5, s7, s21
	s_mul_i32 s6, s6, s19
	s_delay_alu instid0(SALU_CYCLE_1) | instskip(NEXT) | instid1(SALU_CYCLE_1)
	s_mul_hi_u32 s4, s19, s6
	s_add_i32 s19, s19, s4
	s_delay_alu instid0(SALU_CYCLE_1)
	s_mul_hi_u32 s4, s14, s19
	s_add_i32 s19, s7, s5
	s_mul_i32 s6, s4, s15
	s_mul_hi_u32 s63, s59, s19
	s_sub_i32 s5, s14, s6
	s_add_i32 s6, s4, 1
	s_sub_i32 s7, s5, s15
	s_cmp_ge_u32 s5, s15
	s_cselect_b32 s4, s6, s4
	s_cselect_b32 s5, s7, s5
	s_add_i32 s6, s4, 1
	s_cmp_ge_u32 s5, s15
	s_clause 0x1
	s_load_b128 s[40:43], s[0:1], 0x154
	s_load_b64 s[14:15], s[0:1], 0x0
	s_cselect_b32 s21, s6, s4
	s_abs_i32 s33, s34
	s_clause 0x2
	s_load_b128 s[36:39], s[0:1], 0x22c
	s_load_b64 s[50:51], s[0:1], 0xe8
	s_load_b128 s[4:7], s[0:1], 0x6c
	v_cvt_f32_u32_e32 v1, s33
	s_mul_hi_u32 s1, s18, s20
	s_sub_i32 s20, 0, s33
	s_xor_b32 s0, s21, s22
	s_delay_alu instid0(VALU_DEP_1)
	v_rcp_iflag_f32_e32 v1, v1
	s_waitcnt lgkmcnt(0)
	s_sub_i32 s39, s0, s22
	v_cmp_eq_u32_e64 s0, 0, v0
	s_abs_i32 s60, s39
	s_waitcnt_depctr 0xfff
	v_mul_f32_e32 v1, 0x4f7ffffe, v1
	s_delay_alu instid0(VALU_DEP_1) | instskip(NEXT) | instid1(VALU_DEP_1)
	v_cvt_u32_f32_e32 v1, v1
	v_readfirstlane_b32 s7, v1
	s_delay_alu instid0(VALU_DEP_1) | instskip(NEXT) | instid1(SALU_CYCLE_1)
	s_mul_i32 s20, s20, s7
	s_mul_hi_u32 s20, s7, s20
	s_delay_alu instid0(SALU_CYCLE_1) | instskip(NEXT) | instid1(SALU_CYCLE_1)
	s_add_i32 s7, s7, s20
	s_mul_hi_u32 s43, s60, s7
	s_and_saveexec_b32 s7, s0
	s_cbranch_execz .LBB42_3
; %bb.2:
	v_dual_mov_b32 v1, 0 :: v_dual_mov_b32 v2, s44
	s_delay_alu instid0(VALU_DEP_1)
	v_mov_b32_e32 v3, v1
	ds_store_b96 v1, v[1:3] offset:4096
.LBB42_3:
	s_or_b32 exec_lo, exec_lo, s7
	s_mul_i32 s7, s9, s11
	s_mul_i32 s11, s1, s12
	s_ashr_i32 s64, s46, 31
	s_sub_i32 s11, s18, s11
	s_ashr_i32 s65, s30, 31
	s_ashr_i32 s61, s39, 31
	s_ashr_i32 s62, s34, 31
	s_sub_i32 s7, s29, s7
	s_xor_b32 s16, s17, s16
	s_add_i32 s17, s1, 1
	s_sub_i32 s18, s11, s12
	s_cmp_ge_u32 s11, s12
	s_waitcnt lgkmcnt(0)
	s_cselect_b32 s1, s17, s1
	s_cselect_b32 s11, s18, s11
	s_add_i32 s17, s1, 1
	s_cmp_ge_u32 s11, s12
	s_barrier
	s_cselect_b32 s1, s17, s1
	buffer_gl0_inv
	s_load_b32 s11, s[2:3], 0xc
	s_xor_b32 s1, s1, s16
	s_mul_i32 s7, s7, s6
	s_sub_i32 s1, s1, s16
	v_mbcnt_lo_u32_b32 v23, -1, 0
	s_mul_i32 s10, s1, s10
	s_mul_i32 s1, s1, s4
	s_sub_i32 s9, s9, s10
	v_cmp_gt_u32_e32 vcc_lo, 32, v0
	s_mul_i32 s5, s9, s5
	v_mov_b32_e32 v13, 0
	s_add_i32 s5, s5, s7
	v_mul_lo_u32 v11, v0, s47
	s_add_i32 s4, s5, s1
	v_cmp_gt_i32_e64 s1, 4, v23
	s_ashr_i32 s5, s4, 31
	v_dual_mov_b32 v12, v13 :: v_dual_lshlrev_b32 v25, 3, v0
	s_lshl_b64 s[4:5], s[4:5], 3
	s_mov_b32 s10, s47
	s_add_u32 s66, s14, s4
	s_addc_u32 s67, s15, s5
	s_waitcnt lgkmcnt(0)
	s_and_b32 s68, s11, 0xffff
	s_bfe_u32 s4, s11, 0xb0005
	s_lshl_b32 s70, s68, 2
	s_add_i32 s72, s68, -1
	v_cvt_f32_u32_e32 v1, s70
	s_and_b32 s73, vcc_lo, s1
	s_add_i32 s83, s72, s44
	s_cmpk_gt_i32 s44, 0x180
	v_add_nc_u32_e32 v26, 0xc00, v25
	v_rcp_iflag_f32_e32 v1, v1
	s_cselect_b32 s74, -1, 0
	s_cmp_gt_u32 s68, 31
	v_lshlrev_b32_e32 v24, 2, v0
	s_cselect_b32 s75, -1, 0
	s_cmp_lt_u32 s13, s8
	v_lshlrev_b32_e32 v32, 2, v11
	s_cselect_b32 s1, 12, 18
	v_mad_u64_u32 v[18:19], null, s47, v24, s[10:11]
	s_waitcnt_depctr 0xfff
	v_mul_f32_e32 v1, 0x4f7ffffe, v1
	s_add_u32 s52, s2, s1
	s_addc_u32 s53, s3, 0
	s_add_i32 s1, s4, -1
	s_bfe_u32 s76, s68, 0x30005
	v_cvt_u32_f32_e32 v1, v1
	s_cmp_gt_u32 s1, 6
	v_cmp_eq_u32_e64 s1, 0, v23
	s_cselect_b32 s77, -1, 0
	s_and_b32 s78, s4, 0x7f8
	v_readfirstlane_b32 s2, v1
	s_cmp_lg_u32 s76, 0
	v_cvt_f32_u32_e32 v1, s68
	s_cselect_b32 s79, -1, 0
	s_sub_i32 s3, 0, s70
	v_lshl_or_b32 v35, v23, 2, 0xc00
	s_mul_i32 s3, s3, s2
	v_rcp_iflag_f32_e32 v3, v1
	s_mul_hi_u32 s3, s2, s3
	v_lshlrev_b64 v[1:2], 3, v[11:12]
	s_add_i32 s80, s2, s3
	v_lshlrev_b32_e32 v34, 5, v0
	s_mul_hi_u32 s3, s44, s80
	v_mov_b32_e32 v5, 0
	s_mul_i32 s3, s3, s70
	v_add_co_u32 v14, vcc_lo, s66, v1
	s_sub_i32 s3, s44, s3
	s_waitcnt_depctr 0xfff
	v_mul_f32_e32 v3, 0x4f7ffffe, v3
	s_sub_i32 s4, s3, s70
	s_cmp_ge_u32 s3, s70
	v_add_co_ci_u32_e32 v15, vcc_lo, s67, v2, vcc_lo
	s_cselect_b32 s4, s4, s3
	v_cvt_u32_f32_e32 v3, v3
	s_sub_i32 s5, s4, s70
	s_cmp_ge_u32 s4, s70
	v_lshrrev_b32_e32 v2, 3, v0
	s_cselect_b32 s9, s5, s4
	v_readfirstlane_b32 s5, v3
	s_sub_i32 s81, s44, s9
	s_delay_alu instid0(SALU_CYCLE_1)
	v_dual_mov_b32 v6, 0 :: v_dual_add_nc_u32 v27, s81, v0
	v_and_b32_e32 v28, 0x7c, v2
	s_sub_i32 s6, 0, s68
	s_abs_i32 s7, s83
	s_mul_i32 s6, s6, s5
	v_mul_lo_u32 v1, v27, s47
	s_mul_hi_u32 s6, s5, s6
	v_lshlrev_b64 v[3:4], v23, -1
	s_add_i32 s82, s5, s6
	v_cmp_gt_u32_e64 s2, 2, v0
	s_mul_hi_u32 s5, s7, s82
	v_cmp_gt_u32_e64 s3, s44, v0
	s_mul_i32 s5, s5, s68
	v_ashrrev_i32_e32 v2, 31, v1
	s_sub_i32 s5, s7, s5
	s_ashr_i32 s7, s83, 31
	s_sub_i32 s6, s5, s68
	s_cmp_ge_u32 s5, s68
	v_lshlrev_b64 v[1:2], 3, v[1:2]
	s_cselect_b32 s5, s6, s5
	v_not_b32_e32 v29, v3
	s_sub_i32 s6, s5, s68
	s_cmp_ge_u32 s5, s68
	v_or_b32_e32 v3, 3, v24
	v_add_co_u32 v16, vcc_lo, s66, v1
	v_add3_u32 v1, s68, s44, v0
	s_cselect_b32 s6, s6, s5
	v_add_co_ci_u32_e32 v17, vcc_lo, s67, v2, vcc_lo
	v_or_b32_e32 v2, 2, v24
	s_delay_alu instid0(VALU_DEP_3)
	v_subrev_nc_u32_e32 v1, s9, v1
	s_xor_b32 s8, s6, s7
	v_mul_lo_u32 v31, s47, v3
	s_sub_i32 s7, s7, s8
	v_mul_lo_u32 v30, s47, v2
	v_mul_lo_u32 v33, s47, v1
	s_add_i32 s83, s83, s7
	v_cmp_gt_i32_e64 s4, s44, v0
	v_cmp_gt_i32_e64 s5, s81, v24
	v_cmp_gt_u32_e64 s6, s44, v27
	v_cmp_gt_i32_e64 s7, s44, v27
	v_cmp_gt_i32_e64 s8, s83, v0
	v_mov_b32_e32 v2, 0x3ff00000
	s_mul_i32 s71, s47, s68
	s_lshl_b32 s85, s68, 5
	s_lshl_b32 s84, s71, 2
	;; [unrolled: 1-line block ×3, first 2 shown]
	s_mov_b64 s[54:55], 0
	s_mov_b32 s90, 62
	s_mov_b32 s93, 0
	s_mov_b64 s[56:57], 0
                                        ; implicit-def: $sgpr87
                                        ; implicit-def: $sgpr89
                                        ; implicit-def: $sgpr88
                                        ; implicit-def: $sgpr92
                                        ; implicit-def: $sgpr94
                                        ; implicit-def: $sgpr91
	s_branch .LBB42_8
.LBB42_4:                               ;   in Loop: Header=BB42_8 Depth=1
	s_xor_b32 s93, s93, 1
	s_add_i32 s12, s90, -2
	s_cmp_eq_u32 s90, 0
	s_mov_b32 s9, 0
	s_cselect_b32 s11, -1, 0
	s_mov_b32 s90, s12
.LBB42_5:                               ;   in Loop: Header=BB42_8 Depth=1
	s_and_not1_b32 s12, s24, exec_lo
	s_and_b32 s9, s9, exec_lo
	s_and_not1_b32 s25, s25, exec_lo
	s_or_b32 s24, s12, s9
	s_and_not1_b32 s23, s23, exec_lo
	s_or_not1_b32 s20, s11, exec_lo
	s_mov_b32 s45, s28
.LBB42_6:                               ;   in Loop: Header=BB42_8 Depth=1
	s_or_b32 exec_lo, exec_lo, s10
	s_delay_alu instid0(SALU_CYCLE_1)
	s_and_not1_b32 s9, s91, exec_lo
	s_and_b32 s10, s24, exec_lo
	s_and_not1_b32 s11, s92, exec_lo
	s_or_b32 s91, s9, s10
	s_and_not1_b32 s9, s94, exec_lo
	s_and_b32 s10, s25, exec_lo
	s_and_b32 s12, s23, exec_lo
	s_or_b32 s94, s9, s10
	s_or_b32 s92, s11, s12
	s_or_not1_b32 s14, s20, exec_lo
.LBB42_7:                               ;   in Loop: Header=BB42_8 Depth=1
	s_or_b32 exec_lo, exec_lo, s19
	s_delay_alu instid0(SALU_CYCLE_1)
	s_and_b32 s9, exec_lo, s14
	v_dual_mov_b32 v3, s54 :: v_dual_mov_b32 v4, s55
	s_or_b32 s69, s9, s69
	s_and_not1_b32 s9, s88, exec_lo
	s_and_b32 s10, s91, exec_lo
	s_and_not1_b32 s11, s87, exec_lo
	s_or_b32 s88, s9, s10
	s_and_not1_b32 s9, s89, exec_lo
	s_and_b32 s10, s94, exec_lo
	s_and_b32 s12, s92, exec_lo
	s_or_b32 s89, s9, s10
	s_or_b32 s87, s11, s12
	s_and_not1_b32 exec_lo, exec_lo, s69
	s_cbranch_execz .LBB42_242
.LBB42_8:                               ; =>This Loop Header: Depth=1
                                        ;     Child Loop BB42_16 Depth 2
                                        ;     Child Loop BB42_35 Depth 2
	;; [unrolled: 1-line block ×16, first 2 shown]
	ds_load_b64 v[3:4], v13 offset:4096
	s_waitcnt lgkmcnt(0)
	v_readfirstlane_b32 s95, v3
	s_delay_alu instid0(VALU_DEP_1)
	s_cmp_gt_i32 s95, 0
	s_cbranch_scc1 .LBB42_42
; %bb.9:                                ;   in Loop: Header=BB42_8 Depth=1
	s_and_b32 vcc_lo, exec_lo, s74
	s_cbranch_vccz .LBB42_24
; %bb.10:                               ;   in Loop: Header=BB42_8 Depth=1
	v_cmp_gt_i32_e32 vcc_lo, 0x181, v4
	s_mov_b32 s10, 0
	s_mov_b32 s9, 0
	s_cbranch_vccz .LBB42_29
; %bb.11:                               ;   in Loop: Header=BB42_8 Depth=1
	v_mov_b32_e32 v3, 0
	v_mov_b32_e32 v4, 0
	s_and_saveexec_b32 s9, s3
	s_cbranch_execz .LBB42_13
; %bb.12:                               ;   in Loop: Header=BB42_8 Depth=1
	global_load_b64 v[3:4], v[14:15], off
.LBB42_13:                              ;   in Loop: Header=BB42_8 Depth=1
	s_or_b32 exec_lo, exec_lo, s9
	s_and_saveexec_b32 s11, s3
	s_cbranch_execz .LBB42_25
; %bb.14:                               ;   in Loop: Header=BB42_8 Depth=1
	global_load_u16 v1, v13, s[52:53]
	v_mov_b32_e32 v10, v0
	s_mov_b32 s12, 0
	s_waitcnt vmcnt(0)
	v_add_nc_u32_e32 v7, v0, v1
	v_mul_lo_u32 v9, s47, v1
	s_delay_alu instid0(VALU_DEP_2)
	v_mul_lo_u32 v12, s47, v7
	s_branch .LBB42_16
.LBB42_15:                              ;   in Loop: Header=BB42_16 Depth=2
	s_or_b32 exec_lo, exec_lo, s9
	v_cmp_le_i32_e32 vcc_lo, s44, v10
	s_waitcnt vmcnt(0)
	v_dual_mov_b32 v3, v7 :: v_dual_add_nc_u32 v12, v12, v9
	v_mov_b32_e32 v4, v8
	s_or_b32 s12, vcc_lo, s12
	s_delay_alu instid0(SALU_CYCLE_1)
	s_and_not1_b32 exec_lo, exec_lo, s12
	s_cbranch_execz .LBB42_25
.LBB42_16:                              ;   Parent Loop BB42_8 Depth=1
                                        ; =>  This Inner Loop Header: Depth=2
	v_dual_mov_b32 v7, 0 :: v_dual_add_nc_u32 v10, v10, v1
	v_mov_b32_e32 v8, 0
	s_mov_b32 s9, exec_lo
	s_delay_alu instid0(VALU_DEP_2)
	v_cmpx_gt_u32_e64 s44, v10
	s_cbranch_execz .LBB42_18
; %bb.17:                               ;   in Loop: Header=BB42_16 Depth=2
	s_delay_alu instid0(VALU_DEP_4) | instskip(NEXT) | instid1(VALU_DEP_1)
	v_lshlrev_b64 v[7:8], 3, v[12:13]
	v_add_co_u32 v7, vcc_lo, s66, v7
	s_delay_alu instid0(VALU_DEP_2)
	v_add_co_ci_u32_e32 v8, vcc_lo, s67, v8, vcc_lo
	global_load_b64 v[7:8], v[7:8], off
.LBB42_18:                              ;   in Loop: Header=BB42_16 Depth=2
	s_or_b32 exec_lo, exec_lo, s9
	v_cmp_o_f64_e32 vcc_lo, v[3:4], v[3:4]
	s_waitcnt lgkmcnt(0)
	v_ashrrev_i32_e32 v19, 31, v4
	s_delay_alu instid0(VALU_DEP_1) | instskip(SKIP_1) | instid1(VALU_DEP_2)
	v_or_b32_e32 v20, 0x80000000, v19
	v_xor_b32_e32 v19, v19, v3
	v_xor_b32_e32 v20, v20, v4
	s_delay_alu instid0(VALU_DEP_1) | instskip(NEXT) | instid1(VALU_DEP_1)
	v_dual_cndmask_b32 v20, -1, v20 :: v_dual_cndmask_b32 v19, -1, v19
	v_and_b32_e32 v20, s57, v20
	s_delay_alu instid0(VALU_DEP_2) | instskip(NEXT) | instid1(VALU_DEP_1)
	v_and_b32_e32 v19, s56, v19
	v_cmp_eq_u64_e32 vcc_lo, s[54:55], v[19:20]
	v_mov_b32_e32 v19, 0
	s_cmp_lg_u32 vcc_lo, 0
	s_cselect_b32 s9, -1, 0
	s_delay_alu instid0(SALU_CYCLE_1) | instskip(NEXT) | instid1(SALU_CYCLE_1)
	s_and_b32 s9, s1, s9
	s_and_saveexec_b32 s13, s9
	s_cbranch_execz .LBB42_22
; %bb.19:                               ;   in Loop: Header=BB42_16 Depth=2
	s_mov_b32 s16, exec_lo
	s_bcnt1_i32_b32 s14, vcc_lo
	v_mbcnt_lo_u32_b32 v19, s16, 0
	s_mov_b32 s15, exec_lo
                                        ; implicit-def: $vgpr20
	s_delay_alu instid0(VALU_DEP_1)
	v_cmpx_eq_u32_e32 0, v19
	s_cbranch_execz .LBB42_21
; %bb.20:                               ;   in Loop: Header=BB42_16 Depth=2
	s_bcnt1_i32_b32 s9, s16
	s_delay_alu instid0(SALU_CYCLE_1) | instskip(NEXT) | instid1(SALU_CYCLE_1)
	s_mul_i32 s9, s14, s9
	v_mov_b32_e32 v20, s9
	ds_add_rtn_u32 v20, v13, v20 offset:4104
.LBB42_21:                              ;   in Loop: Header=BB42_16 Depth=2
	s_or_b32 exec_lo, exec_lo, s15
	s_waitcnt lgkmcnt(0)
	v_readfirstlane_b32 s9, v20
	s_delay_alu instid0(VALU_DEP_1)
	v_mad_u32_u24 v19, s14, v19, s9
.LBB42_22:                              ;   in Loop: Header=BB42_16 Depth=2
	s_or_b32 exec_lo, exec_lo, s13
	ds_bpermute_b32 v19, v13, v19
	s_and_saveexec_b32 s9, vcc_lo
	s_cbranch_execz .LBB42_15
; %bb.23:                               ;   in Loop: Header=BB42_16 Depth=2
	v_and_b32_e32 v20, vcc_lo, v29
	s_delay_alu instid0(VALU_DEP_1) | instskip(NEXT) | instid1(VALU_DEP_1)
	v_bcnt_u32_b32 v20, v20, 0
	v_lshlrev_b32_e32 v20, 3, v20
	s_waitcnt lgkmcnt(0)
	s_delay_alu instid0(VALU_DEP_1)
	v_lshl_add_u32 v19, v19, 3, v20
	ds_store_b64 v19, v[3:4]
	s_branch .LBB42_15
.LBB42_24:                              ;   in Loop: Header=BB42_8 Depth=1
	s_mov_b32 s10, -1
	s_mov_b32 s9, 0
	s_branch .LBB42_28
.LBB42_25:                              ;   in Loop: Header=BB42_8 Depth=1
	s_or_b32 exec_lo, exec_lo, s11
	s_waitcnt vmcnt(0) lgkmcnt(0)
	s_barrier
	buffer_gl0_inv
	s_and_saveexec_b32 s9, s0
	s_cbranch_execz .LBB42_27
; %bb.26:                               ;   in Loop: Header=BB42_8 Depth=1
	ds_load_b32 v1, v13 offset:4104
	s_waitcnt lgkmcnt(0)
	ds_store_b32 v13, v1 offset:4096
.LBB42_27:                              ;   in Loop: Header=BB42_8 Depth=1
	s_or_b32 exec_lo, exec_lo, s9
	s_waitcnt lgkmcnt(0)
	s_mov_b32 s9, -1
	s_barrier
.LBB42_28:                              ;   in Loop: Header=BB42_8 Depth=1
                                        ; implicit-def: $sgpr95
.LBB42_29:                              ;   in Loop: Header=BB42_8 Depth=1
	s_and_b32 vcc_lo, exec_lo, s10
	s_cbranch_vccz .LBB42_40
; %bb.30:                               ;   in Loop: Header=BB42_8 Depth=1
	v_mov_b32_e32 v3, 0
	v_mov_b32_e32 v4, 0
	s_and_saveexec_b32 s9, s3
	s_cbranch_execz .LBB42_32
; %bb.31:                               ;   in Loop: Header=BB42_8 Depth=1
	global_load_b64 v[3:4], v[14:15], off
.LBB42_32:                              ;   in Loop: Header=BB42_8 Depth=1
	s_or_b32 exec_lo, exec_lo, s9
	s_and_saveexec_b32 s9, s4
	s_cbranch_execz .LBB42_37
; %bb.33:                               ;   in Loop: Header=BB42_8 Depth=1
	global_load_u16 v1, v13, s[52:53]
	v_mov_b32_e32 v20, v0
	s_mov_b32 s10, 0
	v_mov_b32_e32 v19, v25
	s_waitcnt vmcnt(0)
	v_add_nc_u32_e32 v7, v0, v1
	v_mul_lo_u32 v9, s47, v1
	v_lshlrev_b32_e32 v10, 3, v1
	s_delay_alu instid0(VALU_DEP_3)
	v_mul_lo_u32 v12, s47, v7
	s_set_inst_prefetch_distance 0x1
	s_branch .LBB42_35
	.p2align	6
.LBB42_34:                              ;   in Loop: Header=BB42_35 Depth=2
	s_or_b32 exec_lo, exec_lo, s11
	v_cmp_le_i32_e32 vcc_lo, s44, v20
	ds_store_b64 v19, v[3:4]
	s_waitcnt vmcnt(0)
	v_dual_mov_b32 v3, v7 :: v_dual_add_nc_u32 v12, v12, v9
	v_dual_mov_b32 v4, v8 :: v_dual_add_nc_u32 v19, v19, v10
	s_or_b32 s10, vcc_lo, s10
	s_delay_alu instid0(SALU_CYCLE_1)
	s_and_not1_b32 exec_lo, exec_lo, s10
	s_cbranch_execz .LBB42_37
.LBB42_35:                              ;   Parent Loop BB42_8 Depth=1
                                        ; =>  This Inner Loop Header: Depth=2
	v_dual_mov_b32 v7, 0 :: v_dual_add_nc_u32 v20, v20, v1
	v_mov_b32_e32 v8, 0
	s_mov_b32 s11, exec_lo
	s_delay_alu instid0(VALU_DEP_2)
	v_cmpx_gt_u32_e64 s44, v20
	s_cbranch_execz .LBB42_34
; %bb.36:                               ;   in Loop: Header=BB42_35 Depth=2
	v_lshlrev_b64 v[7:8], 3, v[12:13]
	s_delay_alu instid0(VALU_DEP_1) | instskip(NEXT) | instid1(VALU_DEP_2)
	v_add_co_u32 v7, vcc_lo, s66, v7
	v_add_co_ci_u32_e32 v8, vcc_lo, s67, v8, vcc_lo
	global_load_b64 v[7:8], v[7:8], off
	s_branch .LBB42_34
.LBB42_37:                              ;   in Loop: Header=BB42_8 Depth=1
	s_set_inst_prefetch_distance 0x2
	s_or_b32 exec_lo, exec_lo, s9
	s_waitcnt vmcnt(0) lgkmcnt(0)
	s_barrier
	buffer_gl0_inv
	s_and_saveexec_b32 s9, s0
	s_cbranch_execz .LBB42_39
; %bb.38:                               ;   in Loop: Header=BB42_8 Depth=1
	v_mov_b32_e32 v1, s44
	ds_store_b32 v13, v1 offset:4096
.LBB42_39:                              ;   in Loop: Header=BB42_8 Depth=1
	s_or_b32 exec_lo, exec_lo, s9
	s_mov_b32 s9, -1
	s_waitcnt lgkmcnt(0)
	s_barrier
                                        ; implicit-def: $sgpr95
.LBB42_40:                              ;   in Loop: Header=BB42_8 Depth=1
	s_and_b32 vcc_lo, exec_lo, s9
	s_cbranch_vccz .LBB42_42
; %bb.41:                               ;   in Loop: Header=BB42_8 Depth=1
	buffer_gl0_inv
	ds_load_b32 v1, v13 offset:4096
	s_waitcnt lgkmcnt(0)
	v_readfirstlane_b32 s95, v1
.LBB42_42:                              ;   in Loop: Header=BB42_8 Depth=1
	s_delay_alu instid0(VALU_DEP_1)
	s_cmp_lt_i32 s95, 1
	s_cbranch_scc0 .LBB42_54
; %bb.43:                               ;   in Loop: Header=BB42_8 Depth=1
	v_dual_mov_b32 v7, 0 :: v_dual_mov_b32 v8, 0
	v_dual_mov_b32 v9, 0 :: v_dual_mov_b32 v10, 0
	s_mov_b32 s97, 0
	s_and_saveexec_b32 s96, s5
	s_cbranch_execz .LBB42_47
; %bb.44:                               ;   in Loop: Header=BB42_8 Depth=1
	v_mov_b32_e32 v1, v24
	s_and_b32 s98, s90, 0xfe
	s_mov_b32 s99, 0
	s_mov_b32 s100, 0
	;; [unrolled: 1-line block ×5, first 2 shown]
.LBB42_45:                              ;   Parent Loop BB42_8 Depth=1
                                        ; =>  This Inner Loop Header: Depth=2
	v_add_nc_u32_e32 v3, s99, v32
	v_add_nc_u32_e32 v7, s99, v18
	;; [unrolled: 1-line block ×5, first 2 shown]
	v_ashrrev_i32_e32 v4, 31, v3
	v_ashrrev_i32_e32 v8, 31, v7
	;; [unrolled: 1-line block ×4, first 2 shown]
	s_add_i32 s99, s99, s84
	v_lshlrev_b64 v[3:4], 3, v[3:4]
	v_lshlrev_b64 v[7:8], 3, v[7:8]
	;; [unrolled: 1-line block ×4, first 2 shown]
	s_delay_alu instid0(VALU_DEP_4)
	v_add_co_u32 v3, vcc_lo, s66, v3
	v_add_co_ci_u32_e32 v4, vcc_lo, s67, v4, vcc_lo
	v_add_co_u32 v7, vcc_lo, s66, v7
	v_add_co_ci_u32_e32 v8, vcc_lo, s67, v8, vcc_lo
	v_add_co_u32 v9, vcc_lo, s66, v9
	v_add_co_ci_u32_e32 v10, vcc_lo, s67, v10, vcc_lo
	v_add_co_u32 v19, vcc_lo, s66, v19
	v_add_co_ci_u32_e32 v20, vcc_lo, s67, v20, vcc_lo
	s_clause 0x3
	global_load_b64 v[3:4], v[3:4], off
	global_load_b64 v[7:8], v[7:8], off
	;; [unrolled: 1-line block ×4, first 2 shown]
	v_cmp_le_i32_e32 vcc_lo, s81, v1
	s_waitcnt vmcnt(3)
	v_cmp_o_f64_e64 s10, v[3:4], v[3:4]
	s_waitcnt vmcnt(2)
	v_cmp_o_f64_e64 s9, v[7:8], v[7:8]
	;; [unrolled: 2-line block ×4, first 2 shown]
	v_ashrrev_i32_e32 v12, 31, v4
	v_ashrrev_i32_e32 v38, 31, v20
	;; [unrolled: 1-line block ×4, first 2 shown]
	s_delay_alu instid0(VALU_DEP_4) | instskip(NEXT) | instid1(VALU_DEP_4)
	v_or_b32_e32 v40, 0x80000000, v12
	v_or_b32_e32 v43, 0x80000000, v38
	s_delay_alu instid0(VALU_DEP_4) | instskip(NEXT) | instid1(VALU_DEP_4)
	v_or_b32_e32 v41, 0x80000000, v22
	v_or_b32_e32 v42, 0x80000000, v36
	v_xor_b32_e32 v12, v12, v3
	v_xor_b32_e32 v40, v40, v4
	;; [unrolled: 1-line block ×8, first 2 shown]
	v_cndmask_b32_e64 v4, -1, v40, s10
	v_cndmask_b32_e64 v8, -1, v41, s9
	;; [unrolled: 1-line block ×7, first 2 shown]
	v_mov_b32_e32 v21, v13
	v_and_b32_e32 v41, s57, v4
	v_and_b32_e32 v40, s56, v3
	v_lshrrev_b64 v[3:4], s98, v[3:4]
	v_cndmask_b32_e64 v19, -1, v38, s12
	v_dual_mov_b32 v37, v13 :: v_dual_and_b32 v42, s56, v7
	v_and_b32_e32 v43, s57, v8
	v_lshrrev_b64 v[7:8], s98, v[7:8]
	v_dual_mov_b32 v39, v13 :: v_dual_and_b32 v44, s56, v9
	v_lshrrev_b64 v[8:9], s98, v[9:10]
	v_and_b32_e32 v45, s57, v10
	v_lshrrev_b64 v[9:10], s98, v[19:20]
	v_and_b32_e32 v12, 3, v3
	v_and_b32_e32 v47, s57, v20
	;; [unrolled: 1-line block ×4, first 2 shown]
	v_cmp_eq_u64_e64 s9, s[54:55], v[40:41]
	v_cmp_eq_u64_e64 s13, 0, v[12:13]
	v_and_b32_e32 v46, s56, v19
	v_and_b32_e32 v38, 3, v9
	v_cmp_eq_u64_e64 s10, s[54:55], v[42:43]
	v_cmp_eq_u64_e64 s14, 0, v[20:21]
	v_cmp_eq_u64_e64 s11, s[54:55], v[44:45]
	v_cmp_eq_u64_e64 s15, 0, v[36:37]
	v_cmp_eq_u64_e64 s12, s[54:55], v[46:47]
	v_cmp_eq_u64_e64 s16, 0, v[38:39]
	s_and_b32 s13, s9, s13
	v_cmp_eq_u64_e64 s17, 1, v[12:13]
	v_cndmask_b32_e64 v3, 0, 1, s13
	s_and_b32 s13, s10, s14
	v_cmp_eq_u64_e64 s18, 1, v[20:21]
	v_cndmask_b32_e64 v4, 0, 1, s13
	;; [unrolled: 3-line block ×4, first 2 shown]
	s_and_b32 s13, s9, s17
	v_cmp_eq_u64_e64 s21, 2, v[12:13]
	v_cmp_eq_u64_e64 s25, 3, v[12:13]
	v_cndmask_b32_e64 v9, 0, 1, s13
	s_and_b32 s13, s10, s18
	v_cmp_eq_u64_e64 s22, 2, v[20:21]
	v_cmp_eq_u64_e64 s26, 3, v[20:21]
	v_cndmask_b32_e64 v10, 0, 1, s13
	;; [unrolled: 4-line block ×4, first 2 shown]
	s_and_b32 s13, s9, s21
	s_and_b32 s9, s9, s25
	v_cndmask_b32_e64 v20, 0, 1, s13
	s_and_b32 s13, s10, s22
	v_cndmask_b32_e64 v37, 0, 1, s9
	;; [unrolled: 2-line block ×7, first 2 shown]
	v_cndmask_b32_e64 v40, 0, 1, s9
	v_cmp_ne_u32_e64 s9, 0, v3
	v_cmp_ne_u32_e64 s13, 0, v9
	;; [unrolled: 1-line block ×12, first 2 shown]
	s_bcnt1_i32_b32 s9, s9
	s_bcnt1_i32_b32 s13, s13
	s_bcnt1_i32_b32 s17, s17
	s_bcnt1_i32_b32 s21, s21
	v_cmp_ne_u32_e64 s12, 0, v8
	v_cmp_ne_u32_e64 s16, 0, v19
	;; [unrolled: 1-line block ×4, first 2 shown]
	s_bcnt1_i32_b32 s10, s10
	s_bcnt1_i32_b32 s14, s14
	s_bcnt1_i32_b32 s18, s18
	s_bcnt1_i32_b32 s22, s22
	s_add_i32 s9, s9, s103
	s_add_i32 s13, s13, s102
	s_add_i32 s17, s17, s101
	s_add_i32 s21, s21, s100
	s_bcnt1_i32_b32 s11, s11
	s_bcnt1_i32_b32 s15, s15
	s_bcnt1_i32_b32 s19, s19
	s_bcnt1_i32_b32 s23, s23
	s_add_i32 s9, s9, s10
	s_add_i32 s10, s13, s14
	s_add_i32 s13, s17, s18
	s_add_i32 s14, s21, s22
	;; [unrolled: 8-line block ×3, first 2 shown]
	s_add_i32 s103, s9, s12
	s_add_i32 s102, s10, s16
	v_mov_b32_e32 v7, s103
	s_add_i32 s101, s11, s20
	s_add_i32 s100, s13, s24
	v_dual_mov_b32 v8, s102 :: v_dual_mov_b32 v9, s101
	v_mov_b32_e32 v10, s100
	s_or_b32 s97, vcc_lo, s97
	s_delay_alu instid0(SALU_CYCLE_1)
	s_and_not1_b32 exec_lo, exec_lo, s97
	s_cbranch_execnz .LBB42_45
; %bb.46:                               ;   in Loop: Header=BB42_8 Depth=1
	s_or_b32 exec_lo, exec_lo, s97
.LBB42_47:                              ;   in Loop: Header=BB42_8 Depth=1
	s_delay_alu instid0(SALU_CYCLE_1)
	s_or_b32 exec_lo, exec_lo, s96
	v_mov_b32_e32 v21, 0
	v_mov_b32_e32 v22, 0
	s_and_saveexec_b32 s9, s6
	s_cbranch_execz .LBB42_49
; %bb.48:                               ;   in Loop: Header=BB42_8 Depth=1
	global_load_b64 v[21:22], v[16:17], off
.LBB42_49:                              ;   in Loop: Header=BB42_8 Depth=1
	s_or_b32 exec_lo, exec_lo, s9
	s_and_saveexec_b32 s13, s7
	s_cbranch_execz .LBB42_56
; %bb.50:                               ;   in Loop: Header=BB42_8 Depth=1
	v_mov_b32_e32 v3, v33
	v_mov_b32_e32 v1, v27
	s_and_b32 s15, s90, 0xfe
	s_mov_b32 s14, 0
	s_branch .LBB42_52
.LBB42_51:                              ;   in Loop: Header=BB42_52 Depth=2
	s_or_b32 exec_lo, exec_lo, s9
	s_waitcnt vmcnt(0)
	v_cmp_o_f64_e32 vcc_lo, v[21:22], v[21:22]
	v_ashrrev_i32_e32 v4, 31, v22
	v_add_nc_u32_e32 v3, s71, v3
	s_delay_alu instid0(VALU_DEP_2) | instskip(SKIP_1) | instid1(VALU_DEP_2)
	v_or_b32_e32 v12, 0x80000000, v4
	v_xor_b32_e32 v4, v4, v21
	v_xor_b32_e32 v12, v12, v22
	s_delay_alu instid0(VALU_DEP_2) | instskip(NEXT) | instid1(VALU_DEP_2)
	v_cndmask_b32_e32 v21, -1, v4, vcc_lo
	v_cndmask_b32_e32 v22, -1, v12, vcc_lo
	s_delay_alu instid0(VALU_DEP_1) | instskip(SKIP_2) | instid1(VALU_DEP_3)
	v_lshrrev_b64 v[36:37], s15, v[21:22]
	v_and_b32_e32 v21, s56, v21
	v_and_b32_e32 v22, s57, v22
	;; [unrolled: 1-line block ×3, first 2 shown]
	s_delay_alu instid0(VALU_DEP_2) | instskip(NEXT) | instid1(VALU_DEP_2)
	v_cmp_eq_u64_e32 vcc_lo, s[54:55], v[21:22]
	v_cmp_eq_u64_e64 s9, 0, v[12:13]
	v_cmp_eq_u64_e64 s10, 1, v[12:13]
	v_cmp_eq_u64_e64 s11, 2, v[12:13]
	v_cmp_eq_u64_e64 s12, 3, v[12:13]
	s_delay_alu instid0(VALU_DEP_4) | instskip(NEXT) | instid1(SALU_CYCLE_1)
	s_and_b32 s9, vcc_lo, s9
	v_cndmask_b32_e64 v4, 0, 1, s9
	s_delay_alu instid0(VALU_DEP_4) | instskip(NEXT) | instid1(SALU_CYCLE_1)
	s_and_b32 s9, vcc_lo, s10
	v_cndmask_b32_e64 v12, 0, 1, s9
	s_and_b32 s9, vcc_lo, s11
	s_delay_alu instid0(SALU_CYCLE_1)
	v_cndmask_b32_e64 v21, 0, 1, s9
	s_and_b32 s9, vcc_lo, s12
	v_cmp_ne_u32_e32 vcc_lo, 0, v4
	v_cndmask_b32_e64 v22, 0, 1, s9
	v_cmp_ne_u32_e64 s9, 0, v12
	v_cmp_ne_u32_e64 s10, 0, v21
	v_cmp_le_i32_e64 s12, s44, v1
	s_bcnt1_i32_b32 s16, vcc_lo
	v_cmp_ne_u32_e64 s11, 0, v22
	s_bcnt1_i32_b32 s9, s9
	s_bcnt1_i32_b32 s10, s10
	v_dual_mov_b32 v22, v20 :: v_dual_mov_b32 v21, v19
	s_delay_alu instid0(VALU_DEP_2)
	s_bcnt1_i32_b32 s11, s11
	v_add_nc_u32_e32 v7, s16, v7
	v_add_nc_u32_e32 v8, s9, v8
	;; [unrolled: 1-line block ×4, first 2 shown]
	s_or_b32 s14, s12, s14
	s_delay_alu instid0(SALU_CYCLE_1)
	s_and_not1_b32 exec_lo, exec_lo, s14
	s_cbranch_execz .LBB42_55
.LBB42_52:                              ;   Parent Loop BB42_8 Depth=1
                                        ; =>  This Inner Loop Header: Depth=2
	v_mov_b32_e32 v19, 0
	v_dual_mov_b32 v20, 0 :: v_dual_add_nc_u32 v1, s68, v1
	s_mov_b32 s9, exec_lo
	s_delay_alu instid0(VALU_DEP_1)
	v_cmpx_gt_u32_e64 s44, v1
	s_cbranch_execz .LBB42_51
; %bb.53:                               ;   in Loop: Header=BB42_52 Depth=2
	v_ashrrev_i32_e32 v4, 31, v3
	s_delay_alu instid0(VALU_DEP_1) | instskip(NEXT) | instid1(VALU_DEP_1)
	v_lshlrev_b64 v[19:20], 3, v[3:4]
	v_add_co_u32 v19, vcc_lo, s66, v19
	s_delay_alu instid0(VALU_DEP_2)
	v_add_co_ci_u32_e32 v20, vcc_lo, s67, v20, vcc_lo
	global_load_b64 v[19:20], v[19:20], off
	s_branch .LBB42_51
.LBB42_54:                              ;   in Loop: Header=BB42_8 Depth=1
                                        ; implicit-def: $vgpr10
	s_cbranch_execnz .LBB42_57
	s_branch .LBB42_66
.LBB42_55:                              ;   in Loop: Header=BB42_8 Depth=1
	s_or_b32 exec_lo, exec_lo, s14
.LBB42_56:                              ;   in Loop: Header=BB42_8 Depth=1
	s_delay_alu instid0(SALU_CYCLE_1)
	s_or_b32 exec_lo, exec_lo, s13
	s_branch .LBB42_66
.LBB42_57:                              ;   in Loop: Header=BB42_8 Depth=1
	s_mul_hi_u32 s9, s95, s80
	v_dual_mov_b32 v7, 0 :: v_dual_mov_b32 v8, 0
	s_mul_i32 s9, s9, s70
	v_dual_mov_b32 v9, 0 :: v_dual_mov_b32 v10, 0
	s_sub_i32 s9, s95, s9
	s_mov_b32 s98, 0
	s_sub_i32 s10, s9, s70
	s_cmp_ge_u32 s9, s70
	s_mov_b32 s97, exec_lo
	s_cselect_b32 s9, s10, s9
	s_delay_alu instid0(SALU_CYCLE_1) | instskip(SKIP_2) | instid1(SALU_CYCLE_1)
	s_sub_i32 s10, s9, s70
	s_cmp_ge_u32 s9, s70
	s_cselect_b32 s9, s10, s9
	s_sub_i32 s96, s95, s9
	s_delay_alu instid0(SALU_CYCLE_1)
	v_cmpx_gt_u32_e64 s96, v24
	s_cbranch_execz .LBB42_61
; %bb.58:                               ;   in Loop: Header=BB42_8 Depth=1
	v_mov_b32_e32 v1, v34
	v_mov_b32_e32 v3, v24
	s_and_b32 s99, s90, 0xfe
	s_mov_b32 s100, 0
	s_mov_b32 s101, 0
	;; [unrolled: 1-line block ×4, first 2 shown]
.LBB42_59:                              ;   Parent Loop BB42_8 Depth=1
                                        ; =>  This Inner Loop Header: Depth=2
	ds_load_b128 v[7:10], v1
	s_waitcnt vmcnt(0)
	ds_load_b128 v[19:22], v1 offset:16
	s_waitcnt lgkmcnt(1)
	v_cmp_o_f64_e64 s10, v[7:8], v[7:8]
	s_waitcnt lgkmcnt(0)
	v_cmp_o_f64_e64 s12, v[21:22], v[21:22]
	v_cmp_o_f64_e64 s9, v[9:10], v[9:10]
	;; [unrolled: 1-line block ×3, first 2 shown]
	v_ashrrev_i32_e32 v4, 31, v8
	v_ashrrev_i32_e32 v38, 31, v22
	;; [unrolled: 1-line block ×4, first 2 shown]
	s_delay_alu instid0(VALU_DEP_4) | instskip(NEXT) | instid1(VALU_DEP_4)
	v_or_b32_e32 v40, 0x80000000, v4
	v_or_b32_e32 v44, 0x80000000, v38
	s_delay_alu instid0(VALU_DEP_4) | instskip(NEXT) | instid1(VALU_DEP_4)
	v_or_b32_e32 v42, 0x80000000, v12
	v_or_b32_e32 v43, 0x80000000, v36
	v_xor_b32_e32 v4, v4, v7
	v_xor_b32_e32 v40, v40, v8
	;; [unrolled: 1-line block ×8, first 2 shown]
	v_cndmask_b32_e64 v8, -1, v40, s10
	v_cndmask_b32_e64 v22, -1, v7, s12
	;; [unrolled: 1-line block ×7, first 2 shown]
	v_dual_mov_b32 v37, v13 :: v_dual_and_b32 v42, s56, v7
	v_and_b32_e32 v43, s57, v8
	v_lshrrev_b64 v[7:8], s99, v[7:8]
	v_cndmask_b32_e64 v21, -1, v38, s12
	v_dual_mov_b32 v39, v13 :: v_dual_and_b32 v44, s56, v9
	v_lshrrev_b64 v[8:9], s99, v[9:10]
	v_and_b32_e32 v45, s57, v10
	v_lshrrev_b64 v[9:10], s99, v[19:20]
	v_dual_mov_b32 v41, v13 :: v_dual_and_b32 v46, s56, v19
	v_and_b32_e32 v47, s57, v20
	v_lshrrev_b64 v[19:20], s99, v[21:22]
	v_and_b32_e32 v12, 3, v7
	v_and_b32_e32 v36, 3, v8
	;; [unrolled: 1-line block ×3, first 2 shown]
	v_cmp_eq_u64_e64 s9, s[54:55], v[42:43]
	v_and_b32_e32 v49, s57, v22
	v_cmp_eq_u64_e64 s13, 0, v[12:13]
	v_and_b32_e32 v48, s56, v21
	v_and_b32_e32 v40, 3, v19
	v_cmp_eq_u64_e64 s10, s[54:55], v[44:45]
	v_cmp_eq_u64_e64 s14, 0, v[36:37]
	v_cmp_eq_u64_e64 s11, s[54:55], v[46:47]
	v_cmp_eq_u64_e64 s15, 0, v[38:39]
	v_cmp_eq_u64_e64 s12, s[54:55], v[48:49]
	v_cmp_eq_u64_e64 s16, 0, v[40:41]
	s_and_b32 s13, s9, s13
	v_cmp_eq_u64_e64 s17, 1, v[12:13]
	v_cndmask_b32_e64 v4, 0, 1, s13
	s_and_b32 s13, s10, s14
	v_cmp_eq_u64_e64 s18, 1, v[36:37]
	v_cndmask_b32_e64 v7, 0, 1, s13
	s_and_b32 s13, s11, s15
	v_cmp_eq_u64_e64 s19, 1, v[38:39]
	v_cndmask_b32_e64 v8, 0, 1, s13
	s_and_b32 s13, s12, s16
	v_cmp_eq_u64_e64 s20, 1, v[40:41]
	v_cndmask_b32_e64 v9, 0, 1, s13
	s_and_b32 s13, s9, s17
	v_cmp_eq_u64_e64 s21, 2, v[12:13]
	v_cmp_eq_u64_e64 s25, 3, v[12:13]
	v_cndmask_b32_e64 v10, 0, 1, s13
	s_and_b32 s13, s10, s18
	v_cmp_eq_u64_e64 s22, 2, v[36:37]
	v_cmp_eq_u64_e64 s26, 3, v[36:37]
	v_cndmask_b32_e64 v12, 0, 1, s13
	;; [unrolled: 4-line block ×4, first 2 shown]
	s_and_b32 s13, s9, s21
	s_and_b32 s9, s9, s25
	v_cndmask_b32_e64 v21, 0, 1, s13
	s_and_b32 s13, s10, s22
	v_cndmask_b32_e64 v38, 0, 1, s9
	;; [unrolled: 2-line block ×7, first 2 shown]
	v_cndmask_b32_e64 v41, 0, 1, s9
	v_cmp_ne_u32_e64 s9, 0, v4
	v_cmp_ne_u32_e64 s13, 0, v10
	;; [unrolled: 1-line block ×7, first 2 shown]
	s_bcnt1_i32_b32 s9, s9
	s_bcnt1_i32_b32 s13, s13
	v_cmp_ne_u32_e64 s16, 0, v20
	v_cmp_ne_u32_e64 s18, 0, v22
	;; [unrolled: 1-line block ×3, first 2 shown]
	s_bcnt1_i32_b32 s10, s10
	s_bcnt1_i32_b32 s14, s14
	s_add_i32 s9, s9, s103
	s_add_i32 s13, s13, s102
	v_cmp_ne_u32_e64 s11, 0, v8
	v_cmp_ne_u32_e64 s19, 0, v36
	;; [unrolled: 1-line block ×3, first 2 shown]
	s_bcnt1_i32_b32 s15, s15
	s_add_i32 s9, s9, s10
	s_add_i32 s10, s13, s14
	s_bcnt1_i32_b32 s17, s17
	s_bcnt1_i32_b32 s21, s21
	v_cmp_ne_u32_e64 s12, 0, v9
	v_cmp_ne_u32_e64 s20, 0, v37
	;; [unrolled: 1-line block ×3, first 2 shown]
	s_bcnt1_i32_b32 s16, s16
	s_add_i32 s10, s10, s15
	s_bcnt1_i32_b32 s18, s18
	s_bcnt1_i32_b32 s22, s22
	s_add_i32 s17, s17, s101
	s_add_i32 s21, s21, s100
	;; [unrolled: 1-line block ×3, first 2 shown]
	s_delay_alu instid0(SALU_CYCLE_1)
	v_dual_mov_b32 v8, s102 :: v_dual_add_nc_u32 v3, s70, v3
	s_bcnt1_i32_b32 s11, s11
	s_bcnt1_i32_b32 s19, s19
	;; [unrolled: 1-line block ×3, first 2 shown]
	s_add_i32 s13, s17, s18
	s_add_i32 s14, s21, s22
	s_bcnt1_i32_b32 s12, s12
	s_bcnt1_i32_b32 s20, s20
	;; [unrolled: 1-line block ×3, first 2 shown]
	s_add_i32 s9, s9, s11
	s_add_i32 s11, s13, s19
	;; [unrolled: 1-line block ×3, first 2 shown]
	v_cmp_le_i32_e32 vcc_lo, s96, v3
	s_add_i32 s103, s9, s12
	s_add_i32 s101, s11, s20
	;; [unrolled: 1-line block ×3, first 2 shown]
	s_delay_alu instid0(SALU_CYCLE_1) | instskip(SKIP_3) | instid1(SALU_CYCLE_1)
	v_dual_mov_b32 v10, s100 :: v_dual_add_nc_u32 v1, s85, v1
	v_mov_b32_e32 v7, s103
	v_mov_b32_e32 v9, s101
	s_or_b32 s98, vcc_lo, s98
	s_and_not1_b32 exec_lo, exec_lo, s98
	s_cbranch_execnz .LBB42_59
; %bb.60:                               ;   in Loop: Header=BB42_8 Depth=1
	s_or_b32 exec_lo, exec_lo, s98
.LBB42_61:                              ;   in Loop: Header=BB42_8 Depth=1
	s_delay_alu instid0(SALU_CYCLE_1) | instskip(SKIP_2) | instid1(VALU_DEP_1)
	s_or_b32 exec_lo, exec_lo, s97
	v_add_nc_u32_e32 v1, s96, v0
	s_mov_b32 s14, exec_lo
	v_cmpx_gt_i32_e64 s95, v1
	s_cbranch_execz .LBB42_65
; %bb.62:                               ;   in Loop: Header=BB42_8 Depth=1
	v_lshlrev_b32_e32 v3, 3, v1
	s_and_b32 s16, s90, 0xfe
	s_mov_b32 s15, 0
.LBB42_63:                              ;   Parent Loop BB42_8 Depth=1
                                        ; =>  This Inner Loop Header: Depth=2
	ds_load_b64 v[19:20], v3
	v_add_nc_u32_e32 v3, s86, v3
	s_waitcnt lgkmcnt(0)
	v_cmp_o_f64_e32 vcc_lo, v[19:20], v[19:20]
	v_ashrrev_i32_e32 v4, 31, v20
	s_delay_alu instid0(VALU_DEP_1) | instskip(SKIP_1) | instid1(VALU_DEP_2)
	v_or_b32_e32 v12, 0x80000000, v4
	v_xor_b32_e32 v4, v4, v19
	v_xor_b32_e32 v12, v12, v20
	s_delay_alu instid0(VALU_DEP_1) | instskip(NEXT) | instid1(VALU_DEP_3)
	v_dual_cndmask_b32 v20, -1, v12 :: v_dual_add_nc_u32 v1, s68, v1
	v_cndmask_b32_e32 v19, -1, v4, vcc_lo
	s_delay_alu instid0(VALU_DEP_2) | instskip(SKIP_1) | instid1(VALU_DEP_3)
	v_cmp_le_i32_e64 s9, s95, v1
	s_waitcnt vmcnt(0)
	v_and_b32_e32 v22, s57, v20
	s_delay_alu instid0(VALU_DEP_3) | instskip(SKIP_1) | instid1(VALU_DEP_2)
	v_and_b32_e32 v21, s56, v19
	v_lshrrev_b64 v[19:20], s16, v[19:20]
	v_cmp_eq_u64_e32 vcc_lo, s[54:55], v[21:22]
	s_delay_alu instid0(VALU_DEP_2) | instskip(NEXT) | instid1(VALU_DEP_1)
	v_and_b32_e32 v12, 3, v19
	v_cmp_eq_u64_e64 s10, 0, v[12:13]
	v_cmp_eq_u64_e64 s11, 1, v[12:13]
	;; [unrolled: 1-line block ×4, first 2 shown]
	s_delay_alu instid0(VALU_DEP_4) | instskip(NEXT) | instid1(SALU_CYCLE_1)
	s_and_b32 s10, vcc_lo, s10
	v_cndmask_b32_e64 v4, 0, 1, s10
	s_delay_alu instid0(VALU_DEP_4) | instskip(NEXT) | instid1(SALU_CYCLE_1)
	s_and_b32 s10, vcc_lo, s11
	v_cndmask_b32_e64 v12, 0, 1, s10
	s_and_b32 s10, vcc_lo, s12
	s_delay_alu instid0(SALU_CYCLE_1)
	v_cndmask_b32_e64 v19, 0, 1, s10
	s_and_b32 s10, vcc_lo, s13
	v_cmp_ne_u32_e32 vcc_lo, 0, v4
	v_cndmask_b32_e64 v20, 0, 1, s10
	v_cmp_ne_u32_e64 s10, 0, v12
	v_cmp_ne_u32_e64 s11, 0, v19
	s_bcnt1_i32_b32 s13, vcc_lo
	s_delay_alu instid0(VALU_DEP_3) | instskip(NEXT) | instid1(VALU_DEP_3)
	v_cmp_ne_u32_e64 s12, 0, v20
	s_bcnt1_i32_b32 s10, s10
	s_delay_alu instid0(VALU_DEP_2)
	s_bcnt1_i32_b32 s11, s11
	v_add_nc_u32_e32 v7, s13, v7
	v_add_nc_u32_e32 v8, s10, v8
	s_bcnt1_i32_b32 s12, s12
	v_add_nc_u32_e32 v9, s11, v9
	v_add_nc_u32_e32 v10, s12, v10
	s_or_b32 s15, s9, s15
	s_delay_alu instid0(SALU_CYCLE_1)
	s_and_not1_b32 exec_lo, exec_lo, s15
	s_cbranch_execnz .LBB42_63
; %bb.64:                               ;   in Loop: Header=BB42_8 Depth=1
	s_or_b32 exec_lo, exec_lo, s15
.LBB42_65:                              ;   in Loop: Header=BB42_8 Depth=1
	s_delay_alu instid0(SALU_CYCLE_1)
	s_or_b32 exec_lo, exec_lo, s14
.LBB42_66:                              ;   in Loop: Header=BB42_8 Depth=1
	s_lshl_b32 s9, s93, 7
	s_and_saveexec_b32 s10, s1
	s_cbranch_execz .LBB42_68
; %bb.67:                               ;   in Loop: Header=BB42_8 Depth=1
	v_or_b32_e32 v1, s9, v28
	s_delay_alu instid0(VALU_DEP_1)
	v_lshlrev_b32_e32 v1, 2, v1
	ds_store_b128 v1, v[7:10] offset:3072
.LBB42_68:                              ;   in Loop: Header=BB42_8 Depth=1
	s_or_b32 exec_lo, exec_lo, s10
	s_waitcnt vmcnt(0) lgkmcnt(0)
	s_barrier
	buffer_gl0_inv
	s_and_saveexec_b32 s10, s73
	s_cbranch_execz .LBB42_78
; %bb.69:                               ;   in Loop: Header=BB42_8 Depth=1
	v_mov_b32_e32 v1, 0
	s_and_not1_b32 vcc_lo, exec_lo, s75
	s_cbranch_vccnz .LBB42_77
; %bb.70:                               ;   in Loop: Header=BB42_8 Depth=1
	v_mov_b32_e32 v1, 0
	s_and_not1_b32 vcc_lo, exec_lo, s77
	s_mov_b32 s11, 0
	s_cbranch_vccnz .LBB42_74
; %bb.71:                               ;   in Loop: Header=BB42_8 Depth=1
	v_lshl_add_u32 v3, s93, 9, v35
	v_mov_b32_e32 v1, 0
	.p2align	6
.LBB42_72:                              ;   Parent Loop BB42_8 Depth=1
                                        ; =>  This Inner Loop Header: Depth=2
	ds_load_2addr_b32 v[7:8], v3 offset1:4
	ds_load_2addr_b32 v[9:10], v3 offset0:8 offset1:12
	ds_load_2addr_b32 v[19:20], v3 offset0:16 offset1:20
	;; [unrolled: 1-line block ×3, first 2 shown]
	v_add_nc_u32_e32 v3, 0x80, v3
	s_add_i32 s11, s11, 8
	s_delay_alu instid0(SALU_CYCLE_1) | instskip(SKIP_3) | instid1(VALU_DEP_1)
	s_cmp_eq_u32 s78, s11
	s_waitcnt lgkmcnt(3)
	v_add3_u32 v1, v7, v1, v8
	s_waitcnt lgkmcnt(2)
	v_add3_u32 v1, v9, v1, v10
	s_waitcnt lgkmcnt(1)
	s_delay_alu instid0(VALU_DEP_1) | instskip(SKIP_1) | instid1(VALU_DEP_1)
	v_add3_u32 v1, v19, v1, v20
	s_waitcnt lgkmcnt(0)
	v_add3_u32 v1, v21, v1, v22
	s_cbranch_scc0 .LBB42_72
; %bb.73:                               ;   in Loop: Header=BB42_8 Depth=1
	s_mov_b32 s11, s78
.LBB42_74:                              ;   in Loop: Header=BB42_8 Depth=1
	s_and_not1_b32 vcc_lo, exec_lo, s79
	s_cbranch_vccnz .LBB42_77
; %bb.75:                               ;   in Loop: Header=BB42_8 Depth=1
	s_lshl_b32 s12, s93, 9
	s_lshl_b32 s11, s11, 4
	s_delay_alu instid0(SALU_CYCLE_1)
	v_add3_u32 v3, s12, s11, v35
	s_mov_b32 s11, s76
.LBB42_76:                              ;   Parent Loop BB42_8 Depth=1
                                        ; =>  This Inner Loop Header: Depth=2
	ds_load_b32 v4, v3
	v_add_nc_u32_e32 v3, 16, v3
	s_add_i32 s11, s11, -1
	s_delay_alu instid0(SALU_CYCLE_1)
	s_cmp_lg_u32 s11, 0
	s_waitcnt lgkmcnt(0)
	v_add_nc_u32_e32 v1, v4, v1
	s_cbranch_scc1 .LBB42_76
.LBB42_77:                              ;   in Loop: Header=BB42_8 Depth=1
	v_add_lshl_u32 v3, s9, v23, 2
	ds_store_b32 v3, v1 offset:3072
.LBB42_78:                              ;   in Loop: Header=BB42_8 Depth=1
	s_or_b32 exec_lo, exec_lo, s10
	s_lshl_b32 s9, s9, 2
	s_waitcnt lgkmcnt(0)
	v_mov_b32_e32 v1, s9
	s_barrier
	buffer_gl0_inv
	s_and_b32 s22, s90, 0xfe
	s_delay_alu instid0(SALU_CYCLE_1)
	s_lshl_b64 s[10:11], 3, s22
	ds_load_b128 v[7:10], v1 offset:3072
	s_not_b64 s[12:13], s[10:11]
	s_waitcnt lgkmcnt(0)
	v_readfirstlane_b32 s20, v7
	v_readfirstlane_b32 s27, v8
	;; [unrolled: 1-line block ×4, first 2 shown]
	s_delay_alu instid0(VALU_DEP_4) | instskip(SKIP_3) | instid1(SALU_CYCLE_1)
	s_cmp_eq_u32 s20, 1
	s_cselect_b32 s9, -1, 0
	s_cmp_eq_u32 s45, 1
	s_cselect_b32 s14, -1, 0
	s_and_b32 s15, s9, s14
	s_mov_b32 s14, -1
	s_and_b32 vcc_lo, exec_lo, s15
	s_cbranch_vccz .LBB42_90
; %bb.79:                               ;   in Loop: Header=BB42_8 Depth=1
	ds_load_b32 v1, v13 offset:4096
	s_waitcnt lgkmcnt(0)
	s_barrier
	buffer_gl0_inv
	v_readfirstlane_b32 s16, v1
	s_and_saveexec_b32 s9, s2
	s_cbranch_execz .LBB42_81
; %bb.80:                               ;   in Loop: Header=BB42_8 Depth=1
	v_mov_b32_e32 v12, v13
	ds_store_b64 v26, v[12:13]
.LBB42_81:                              ;   in Loop: Header=BB42_8 Depth=1
	s_or_b32 exec_lo, exec_lo, s9
	s_and_b64 s[54:55], s[54:55], s[12:13]
	s_or_b64 s[56:57], s[56:57], s[10:11]
	s_cmp_lt_i32 s16, 1
	s_waitcnt lgkmcnt(0)
	s_barrier
	buffer_gl0_inv
	s_cbranch_scc0 .LBB42_91
; %bb.82:                               ;   in Loop: Header=BB42_8 Depth=1
	s_mov_b32 s9, 0
                                        ; implicit-def: $vgpr5_vgpr6
	s_and_saveexec_b32 s17, s8
	s_cbranch_execz .LBB42_93
; %bb.83:                               ;   in Loop: Header=BB42_8 Depth=1
	v_mov_b32_e32 v7, v11
	v_mov_b32_e32 v9, v0
	s_mov_b32 s23, 0
                                        ; implicit-def: $sgpr19
	s_branch .LBB42_85
.LBB42_84:                              ;   in Loop: Header=BB42_85 Depth=2
	s_or_b32 exec_lo, exec_lo, s9
	s_waitcnt vmcnt(0) lgkmcnt(0)
	s_barrier
	buffer_gl0_inv
	ds_load_b128 v[3:6], v13 offset:3072
	v_add_nc_u32_e32 v9, s68, v9
	v_add_nc_u32_e32 v7, s71, v7
	s_waitcnt lgkmcnt(0)
	s_barrier
	buffer_gl0_inv
	v_cmp_le_i32_e64 s9, s83, v9
	v_cmp_neq_f64_e32 vcc_lo, 0, v[3:4]
	s_delay_alu instid0(VALU_DEP_2) | instskip(NEXT) | instid1(SALU_CYCLE_1)
	s_or_b32 s9, s9, vcc_lo
	s_and_b32 s9, exec_lo, s9
	s_delay_alu instid0(SALU_CYCLE_1) | instskip(SKIP_2) | instid1(SALU_CYCLE_1)
	s_or_b32 s23, s9, s23
	s_and_not1_b32 s9, s19, exec_lo
	s_and_b32 s19, vcc_lo, exec_lo
	s_or_b32 s19, s9, s19
	s_and_not1_b32 exec_lo, exec_lo, s23
	s_cbranch_execz .LBB42_92
.LBB42_85:                              ;   Parent Loop BB42_8 Depth=1
                                        ; =>  This Inner Loop Header: Depth=2
	v_mov_b32_e32 v3, 0
	v_mov_b32_e32 v4, 0
	v_cmp_gt_i32_e32 vcc_lo, s44, v9
	s_and_saveexec_b32 s24, vcc_lo
	s_cbranch_execz .LBB42_87
; %bb.86:                               ;   in Loop: Header=BB42_85 Depth=2
	v_ashrrev_i32_e32 v8, 31, v7
	s_delay_alu instid0(VALU_DEP_1) | instskip(NEXT) | instid1(VALU_DEP_1)
	v_lshlrev_b64 v[3:4], 3, v[7:8]
	v_add_co_u32 v3, s9, s66, v3
	s_delay_alu instid0(VALU_DEP_1)
	v_add_co_ci_u32_e64 v4, s9, s67, v4, s9
	global_load_b64 v[3:4], v[3:4], off
.LBB42_87:                              ;   in Loop: Header=BB42_85 Depth=2
	s_or_b32 exec_lo, exec_lo, s24
	s_and_saveexec_b32 s9, vcc_lo
	s_cbranch_execz .LBB42_84
; %bb.88:                               ;   in Loop: Header=BB42_85 Depth=2
	s_waitcnt vmcnt(0)
	v_cmp_o_f64_e32 vcc_lo, v[3:4], v[3:4]
	v_ashrrev_i32_e32 v1, 31, v4
	s_delay_alu instid0(VALU_DEP_1) | instskip(SKIP_1) | instid1(VALU_DEP_2)
	v_or_b32_e32 v5, 0x80000000, v1
	v_xor_b32_e32 v1, v1, v3
	v_xor_b32_e32 v5, v5, v4
	s_delay_alu instid0(VALU_DEP_1) | instskip(NEXT) | instid1(VALU_DEP_3)
	v_cndmask_b32_e32 v5, -1, v5, vcc_lo
	v_cndmask_b32_e32 v1, -1, v1, vcc_lo
	s_delay_alu instid0(VALU_DEP_2) | instskip(NEXT) | instid1(VALU_DEP_2)
	v_and_b32_e32 v6, s57, v5
	v_and_b32_e32 v5, s56, v1
	s_delay_alu instid0(VALU_DEP_1)
	v_cmp_eq_u64_e32 vcc_lo, s[54:55], v[5:6]
	s_and_b32 exec_lo, exec_lo, vcc_lo
	s_cbranch_execz .LBB42_84
; %bb.89:                               ;   in Loop: Header=BB42_85 Depth=2
	v_mov_b32_e32 v1, v13
	ds_store_b128 v13, v[1:4] offset:3072
	s_branch .LBB42_84
.LBB42_90:                              ;   in Loop: Header=BB42_8 Depth=1
	s_mov_b32 s9, -1
                                        ; implicit-def: $sgpr17
                                        ; implicit-def: $sgpr23
                                        ; implicit-def: $sgpr19
	s_branch .LBB42_104
.LBB42_91:                              ;   in Loop: Header=BB42_8 Depth=1
	s_mov_b32 s17, -1
	s_mov_b32 s9, 0
                                        ; implicit-def: $sgpr19
                                        ; implicit-def: $vgpr5_vgpr6
	s_mov_b32 s23, s17
	s_cbranch_execnz .LBB42_94
	s_branch .LBB42_104
.LBB42_92:                              ;   in Loop: Header=BB42_8 Depth=1
	s_or_b32 exec_lo, exec_lo, s23
	s_delay_alu instid0(SALU_CYCLE_1)
	s_and_b32 s9, s19, exec_lo
.LBB42_93:                              ;   in Loop: Header=BB42_8 Depth=1
	s_or_b32 exec_lo, exec_lo, s17
	s_mov_b32 s19, -1
	s_mov_b32 s17, 0
	s_delay_alu instid0(SALU_CYCLE_1)
	s_mov_b32 s23, s17
	s_branch .LBB42_104
.LBB42_94:                              ;   in Loop: Header=BB42_8 Depth=1
	s_add_i32 s19, s16, s72
                                        ; implicit-def: $vgpr5_vgpr6
	s_delay_alu instid0(SALU_CYCLE_1) | instskip(NEXT) | instid1(SALU_CYCLE_1)
	s_abs_i32 s9, s19
	s_mul_hi_u32 s17, s9, s82
	s_delay_alu instid0(SALU_CYCLE_1) | instskip(NEXT) | instid1(SALU_CYCLE_1)
	s_mul_i32 s17, s17, s68
	s_sub_i32 s9, s9, s17
	s_ashr_i32 s17, s19, 31
	s_sub_i32 s23, s9, s68
	s_cmp_ge_u32 s9, s68
	s_cselect_b32 s9, s23, s9
	s_delay_alu instid0(SALU_CYCLE_1) | instskip(SKIP_2) | instid1(SALU_CYCLE_1)
	s_sub_i32 s23, s9, s68
	s_cmp_ge_u32 s9, s68
	s_cselect_b32 s9, s23, s9
	s_xor_b32 s9, s9, s17
	s_delay_alu instid0(SALU_CYCLE_1)
	s_sub_i32 s9, s17, s9
	s_mov_b32 s17, exec_lo
	s_add_i32 s19, s19, s9
	s_mov_b32 s9, 0
	v_cmpx_gt_i32_e64 s19, v0
	s_cbranch_execz .LBB42_103
; %bb.95:                               ;   in Loop: Header=BB42_8 Depth=1
	v_dual_mov_b32 v7, v25 :: v_dual_mov_b32 v8, v0
	s_mov_b32 s24, 0
                                        ; implicit-def: $sgpr23
	s_set_inst_prefetch_distance 0x1
	s_branch .LBB42_97
	.p2align	6
.LBB42_96:                              ;   in Loop: Header=BB42_97 Depth=2
	s_or_b32 exec_lo, exec_lo, s9
	s_waitcnt lgkmcnt(0)
	s_barrier
	buffer_gl0_inv
	ds_load_b128 v[3:6], v13 offset:3072
	v_add_nc_u32_e32 v8, s68, v8
	v_add_nc_u32_e32 v7, s86, v7
	s_waitcnt lgkmcnt(0)
	s_barrier
	buffer_gl0_inv
	v_cmp_le_i32_e64 s9, s19, v8
	v_cmp_neq_f64_e32 vcc_lo, 0, v[3:4]
	s_delay_alu instid0(VALU_DEP_2) | instskip(NEXT) | instid1(SALU_CYCLE_1)
	s_or_b32 s9, s9, vcc_lo
	s_and_b32 s9, exec_lo, s9
	s_delay_alu instid0(SALU_CYCLE_1) | instskip(SKIP_2) | instid1(SALU_CYCLE_1)
	s_or_b32 s24, s9, s24
	s_and_not1_b32 s9, s23, exec_lo
	s_and_b32 s23, vcc_lo, exec_lo
	s_or_b32 s23, s9, s23
	s_and_not1_b32 exec_lo, exec_lo, s24
	s_cbranch_execz .LBB42_102
.LBB42_97:                              ;   Parent Loop BB42_8 Depth=1
                                        ; =>  This Inner Loop Header: Depth=2
	v_mov_b32_e32 v3, 0
	v_mov_b32_e32 v4, 0
	v_cmp_gt_i32_e32 vcc_lo, s16, v8
	s_and_saveexec_b32 s9, vcc_lo
	s_cbranch_execz .LBB42_99
; %bb.98:                               ;   in Loop: Header=BB42_97 Depth=2
	ds_load_b64 v[3:4], v7
.LBB42_99:                              ;   in Loop: Header=BB42_97 Depth=2
	s_or_b32 exec_lo, exec_lo, s9
	s_and_saveexec_b32 s9, vcc_lo
	s_cbranch_execz .LBB42_96
; %bb.100:                              ;   in Loop: Header=BB42_97 Depth=2
	s_waitcnt lgkmcnt(0)
	v_cmp_o_f64_e32 vcc_lo, v[3:4], v[3:4]
	v_ashrrev_i32_e32 v1, 31, v4
	s_delay_alu instid0(VALU_DEP_1) | instskip(SKIP_1) | instid1(VALU_DEP_2)
	v_or_b32_e32 v5, 0x80000000, v1
	v_xor_b32_e32 v1, v1, v3
	v_xor_b32_e32 v5, v5, v4
	s_delay_alu instid0(VALU_DEP_1) | instskip(NEXT) | instid1(VALU_DEP_3)
	v_cndmask_b32_e32 v5, -1, v5, vcc_lo
	v_cndmask_b32_e32 v1, -1, v1, vcc_lo
	s_delay_alu instid0(VALU_DEP_2) | instskip(NEXT) | instid1(VALU_DEP_2)
	v_and_b32_e32 v6, s57, v5
	v_and_b32_e32 v5, s56, v1
	s_delay_alu instid0(VALU_DEP_1)
	v_cmp_eq_u64_e32 vcc_lo, s[54:55], v[5:6]
	s_and_b32 exec_lo, exec_lo, vcc_lo
	s_cbranch_execz .LBB42_96
; %bb.101:                              ;   in Loop: Header=BB42_97 Depth=2
	v_mov_b32_e32 v1, v13
	ds_store_b128 v13, v[1:4] offset:3072
	s_branch .LBB42_96
.LBB42_102:                             ;   in Loop: Header=BB42_8 Depth=1
	s_set_inst_prefetch_distance 0x2
	s_or_b32 exec_lo, exec_lo, s24
	s_delay_alu instid0(SALU_CYCLE_1)
	s_and_b32 s9, s23, exec_lo
.LBB42_103:                             ;   in Loop: Header=BB42_8 Depth=1
	s_or_b32 exec_lo, exec_lo, s17
	s_mov_b32 s23, -1
	s_mov_b32 s17, 0
	s_mov_b32 s19, 0
.LBB42_104:                             ;   in Loop: Header=BB42_8 Depth=1
	s_and_not1_b32 s16, s91, exec_lo
	s_and_b32 s17, s17, exec_lo
	s_and_b32 s19, s19, exec_lo
	s_or_b32 s91, s16, s17
	s_and_not1_b32 s16, s94, exec_lo
	s_and_b32 s17, s23, exec_lo
	s_and_not1_b32 s23, s92, exec_lo
	s_or_b32 s94, s16, s17
	s_or_b32 s92, s23, s19
	s_and_saveexec_b32 s19, s9
	s_cbranch_execz .LBB42_7
; %bb.105:                              ;   in Loop: Header=BB42_8 Depth=1
	s_xor_b32 s9, s15, -1
	s_mov_b32 s23, 0
	s_and_not1_b32 vcc_lo, exec_lo, s9
	s_mov_b32 s28, 1
	s_cbranch_vccnz .LBB42_116
; %bb.106:                              ;   in Loop: Header=BB42_8 Depth=1
	s_cmp_gt_i32 s45, s20
	s_mov_b32 s23, -1
                                        ; implicit-def: $sgpr9
                                        ; implicit-def: $sgpr14_sgpr15
                                        ; implicit-def: $sgpr16_sgpr17
	s_cbranch_scc1 .LBB42_112
; %bb.107:                              ;   in Loop: Header=BB42_8 Depth=1
	ds_load_b32 v1, v13 offset:4096
	s_waitcnt lgkmcnt(0)
	v_cmp_ne_u32_e32 vcc_lo, 0, v1
	s_cbranch_vccnz .LBB42_111
; %bb.108:                              ;   in Loop: Header=BB42_8 Depth=1
	s_and_saveexec_b32 s9, s0
	s_cbranch_execz .LBB42_110
; %bb.109:                              ;   in Loop: Header=BB42_8 Depth=1
	v_mov_b32_e32 v1, s20
	ds_store_b32 v13, v1 offset:4100
.LBB42_110:                             ;   in Loop: Header=BB42_8 Depth=1
	s_or_b32 exec_lo, exec_lo, s9
	s_waitcnt lgkmcnt(0)
	s_barrier
	buffer_gl0_inv
.LBB42_111:                             ;   in Loop: Header=BB42_8 Depth=1
	s_and_b64 s[14:15], s[54:55], s[12:13]
	s_or_b64 s[16:17], s[56:57], s[10:11]
	s_mov_b32 s23, 0
	s_mov_b32 s9, 8
.LBB42_112:                             ;   in Loop: Header=BB42_8 Depth=1
	s_and_not1_b32 vcc_lo, exec_lo, s23
	s_cbranch_vccnz .LBB42_114
; %bb.113:                              ;   in Loop: Header=BB42_8 Depth=1
	s_sub_i32 s45, s45, s20
	s_mov_b32 s23, -1
	s_mov_b32 s9, 0
	s_mov_b64 s[14:15], s[54:55]
	s_mov_b64 s[16:17], s[56:57]
.LBB42_114:                             ;   in Loop: Header=BB42_8 Depth=1
	s_delay_alu instid0(SALU_CYCLE_1)
	s_mov_b64 s[56:57], s[16:17]
	s_mov_b64 s[54:55], s[14:15]
	s_mov_b32 s28, s45
	s_and_b32 vcc_lo, exec_lo, s23
	s_mov_b32 s20, -1
	s_cbranch_vccnz .LBB42_117
.LBB42_115:                             ;   in Loop: Header=BB42_8 Depth=1
	s_mov_b32 s15, -1
                                        ; implicit-def: $sgpr23
                                        ; implicit-def: $sgpr25
                                        ; implicit-def: $sgpr24
	s_delay_alu instid0(SALU_CYCLE_1) | instskip(NEXT) | instid1(SALU_CYCLE_1)
	s_and_saveexec_b32 s10, s15
	s_xor_b32 s10, exec_lo, s10
	s_cbranch_execz .LBB42_6
	s_branch .LBB42_240
.LBB42_116:                             ;   in Loop: Header=BB42_8 Depth=1
	s_mov_b32 s9, 1
	s_and_b32 vcc_lo, exec_lo, s23
	s_mov_b32 s20, -1
	s_cbranch_vccz .LBB42_115
.LBB42_117:                             ;   in Loop: Header=BB42_8 Depth=1
	s_cmp_eq_u32 s27, 1
	s_mov_b32 s16, -1
	s_cselect_b32 s9, -1, 0
	s_cmp_eq_u32 s28, 1
	s_cselect_b32 s14, -1, 0
	s_delay_alu instid0(SALU_CYCLE_1) | instskip(NEXT) | instid1(SALU_CYCLE_1)
	s_and_b32 s14, s9, s14
	s_and_b32 vcc_lo, exec_lo, s14
	s_cbranch_vccz .LBB42_129
; %bb.118:                              ;   in Loop: Header=BB42_8 Depth=1
	ds_load_b32 v1, v13 offset:4096
	s_waitcnt lgkmcnt(0)
	s_barrier
	buffer_gl0_inv
	v_readfirstlane_b32 s15, v1
	s_and_saveexec_b32 s9, s2
	s_cbranch_execz .LBB42_120
; %bb.119:                              ;   in Loop: Header=BB42_8 Depth=1
	v_mov_b32_e32 v12, v13
	ds_store_b64 v26, v[12:13]
.LBB42_120:                             ;   in Loop: Header=BB42_8 Depth=1
	s_or_b32 exec_lo, exec_lo, s9
	s_lshl_b64 s[16:17], 1, s22
	s_and_b64 s[24:25], s[54:55], s[12:13]
	s_or_b64 s[56:57], s[56:57], s[10:11]
	s_or_b64 s[54:55], s[24:25], s[16:17]
	s_cmp_gt_i32 s15, 0
	s_waitcnt lgkmcnt(0)
	s_barrier
	buffer_gl0_inv
	s_cbranch_scc1 .LBB42_130
; %bb.121:                              ;   in Loop: Header=BB42_8 Depth=1
	s_mov_b32 s16, 0
                                        ; implicit-def: $vgpr5_vgpr6
	s_and_saveexec_b32 s17, s8
	s_cbranch_execz .LBB42_132
; %bb.122:                              ;   in Loop: Header=BB42_8 Depth=1
	v_mov_b32_e32 v7, v11
	v_mov_b32_e32 v9, v0
	s_mov_b32 s23, 0
                                        ; implicit-def: $sgpr16
	s_branch .LBB42_124
.LBB42_123:                             ;   in Loop: Header=BB42_124 Depth=2
	s_or_b32 exec_lo, exec_lo, s9
	s_waitcnt vmcnt(0) lgkmcnt(0)
	s_barrier
	buffer_gl0_inv
	ds_load_b128 v[3:6], v13 offset:3072
	v_add_nc_u32_e32 v9, s68, v9
	v_add_nc_u32_e32 v7, s71, v7
	s_waitcnt lgkmcnt(0)
	s_barrier
	buffer_gl0_inv
	v_cmp_le_i32_e64 s9, s83, v9
	v_cmp_neq_f64_e32 vcc_lo, 0, v[3:4]
	s_delay_alu instid0(VALU_DEP_2) | instskip(NEXT) | instid1(SALU_CYCLE_1)
	s_or_b32 s9, s9, vcc_lo
	s_and_b32 s9, exec_lo, s9
	s_delay_alu instid0(SALU_CYCLE_1) | instskip(SKIP_2) | instid1(SALU_CYCLE_1)
	s_or_b32 s23, s9, s23
	s_and_not1_b32 s9, s16, exec_lo
	s_and_b32 s16, vcc_lo, exec_lo
	s_or_b32 s16, s9, s16
	s_and_not1_b32 exec_lo, exec_lo, s23
	s_cbranch_execz .LBB42_131
.LBB42_124:                             ;   Parent Loop BB42_8 Depth=1
                                        ; =>  This Inner Loop Header: Depth=2
	v_mov_b32_e32 v3, 0
	v_mov_b32_e32 v4, 0
	v_cmp_gt_i32_e32 vcc_lo, s44, v9
	s_and_saveexec_b32 s24, vcc_lo
	s_cbranch_execz .LBB42_126
; %bb.125:                              ;   in Loop: Header=BB42_124 Depth=2
	v_ashrrev_i32_e32 v8, 31, v7
	s_delay_alu instid0(VALU_DEP_1) | instskip(NEXT) | instid1(VALU_DEP_1)
	v_lshlrev_b64 v[3:4], 3, v[7:8]
	v_add_co_u32 v3, s9, s66, v3
	s_delay_alu instid0(VALU_DEP_1)
	v_add_co_ci_u32_e64 v4, s9, s67, v4, s9
	global_load_b64 v[3:4], v[3:4], off
.LBB42_126:                             ;   in Loop: Header=BB42_124 Depth=2
	s_or_b32 exec_lo, exec_lo, s24
	s_and_saveexec_b32 s9, vcc_lo
	s_cbranch_execz .LBB42_123
; %bb.127:                              ;   in Loop: Header=BB42_124 Depth=2
	s_waitcnt vmcnt(0)
	v_cmp_o_f64_e32 vcc_lo, v[3:4], v[3:4]
	v_ashrrev_i32_e32 v1, 31, v4
	s_delay_alu instid0(VALU_DEP_1) | instskip(SKIP_1) | instid1(VALU_DEP_2)
	v_or_b32_e32 v5, 0x80000000, v1
	v_xor_b32_e32 v1, v1, v3
	v_xor_b32_e32 v5, v5, v4
	s_delay_alu instid0(VALU_DEP_1) | instskip(NEXT) | instid1(VALU_DEP_3)
	v_cndmask_b32_e32 v5, -1, v5, vcc_lo
	v_cndmask_b32_e32 v1, -1, v1, vcc_lo
	s_delay_alu instid0(VALU_DEP_2) | instskip(NEXT) | instid1(VALU_DEP_2)
	v_and_b32_e32 v6, s57, v5
	v_and_b32_e32 v5, s56, v1
	s_delay_alu instid0(VALU_DEP_1)
	v_cmp_eq_u64_e32 vcc_lo, s[54:55], v[5:6]
	s_and_b32 exec_lo, exec_lo, vcc_lo
	s_cbranch_execz .LBB42_123
; %bb.128:                              ;   in Loop: Header=BB42_124 Depth=2
	v_mov_b32_e32 v1, v13
	ds_store_b128 v13, v[1:4] offset:3072
	s_branch .LBB42_123
.LBB42_129:                             ;   in Loop: Header=BB42_8 Depth=1
                                        ; implicit-def: $sgpr24
                                        ; implicit-def: $sgpr25
                                        ; implicit-def: $sgpr23
	s_branch .LBB42_143
.LBB42_130:                             ;   in Loop: Header=BB42_8 Depth=1
	s_mov_b32 s24, -1
	s_mov_b32 s16, 0
                                        ; implicit-def: $sgpr23
                                        ; implicit-def: $vgpr5_vgpr6
	s_mov_b32 s25, s24
	s_cbranch_execnz .LBB42_133
	s_branch .LBB42_143
.LBB42_131:                             ;   in Loop: Header=BB42_8 Depth=1
	s_or_b32 exec_lo, exec_lo, s23
	s_delay_alu instid0(SALU_CYCLE_1)
	s_and_b32 s16, s16, exec_lo
.LBB42_132:                             ;   in Loop: Header=BB42_8 Depth=1
	s_or_b32 exec_lo, exec_lo, s17
	s_mov_b32 s23, -1
	s_mov_b32 s24, 0
	s_delay_alu instid0(SALU_CYCLE_1)
	s_mov_b32 s25, s24
	s_branch .LBB42_143
.LBB42_133:                             ;   in Loop: Header=BB42_8 Depth=1
	s_add_i32 s23, s15, s72
                                        ; implicit-def: $vgpr5_vgpr6
	s_delay_alu instid0(SALU_CYCLE_1) | instskip(NEXT) | instid1(SALU_CYCLE_1)
	s_abs_i32 s9, s23
	s_mul_hi_u32 s16, s9, s82
	s_delay_alu instid0(SALU_CYCLE_1) | instskip(NEXT) | instid1(SALU_CYCLE_1)
	s_mul_i32 s16, s16, s68
	s_sub_i32 s9, s9, s16
	s_ashr_i32 s16, s23, 31
	s_sub_i32 s17, s9, s68
	s_cmp_ge_u32 s9, s68
	s_cselect_b32 s9, s17, s9
	s_delay_alu instid0(SALU_CYCLE_1) | instskip(SKIP_4) | instid1(SALU_CYCLE_1)
	s_sub_i32 s17, s9, s68
	s_cmp_ge_u32 s9, s68
	s_cselect_b32 s9, s17, s9
	s_mov_b32 s17, exec_lo
	s_xor_b32 s9, s9, s16
	s_sub_i32 s9, s16, s9
	s_mov_b32 s16, 0
	s_add_i32 s23, s23, s9
	s_delay_alu instid0(SALU_CYCLE_1)
	v_cmpx_gt_i32_e64 s23, v0
	s_cbranch_execz .LBB42_142
; %bb.134:                              ;   in Loop: Header=BB42_8 Depth=1
	v_dual_mov_b32 v7, v25 :: v_dual_mov_b32 v8, v0
	s_mov_b32 s24, 0
                                        ; implicit-def: $sgpr16
	s_set_inst_prefetch_distance 0x1
	s_branch .LBB42_136
	.p2align	6
.LBB42_135:                             ;   in Loop: Header=BB42_136 Depth=2
	s_or_b32 exec_lo, exec_lo, s9
	s_waitcnt lgkmcnt(0)
	s_barrier
	buffer_gl0_inv
	ds_load_b128 v[3:6], v13 offset:3072
	v_add_nc_u32_e32 v8, s68, v8
	v_add_nc_u32_e32 v7, s86, v7
	s_waitcnt lgkmcnt(0)
	s_barrier
	buffer_gl0_inv
	v_cmp_le_i32_e64 s9, s23, v8
	v_cmp_neq_f64_e32 vcc_lo, 0, v[3:4]
	s_delay_alu instid0(VALU_DEP_2) | instskip(NEXT) | instid1(SALU_CYCLE_1)
	s_or_b32 s9, s9, vcc_lo
	s_and_b32 s9, exec_lo, s9
	s_delay_alu instid0(SALU_CYCLE_1) | instskip(SKIP_2) | instid1(SALU_CYCLE_1)
	s_or_b32 s24, s9, s24
	s_and_not1_b32 s9, s16, exec_lo
	s_and_b32 s16, vcc_lo, exec_lo
	s_or_b32 s16, s9, s16
	s_and_not1_b32 exec_lo, exec_lo, s24
	s_cbranch_execz .LBB42_141
.LBB42_136:                             ;   Parent Loop BB42_8 Depth=1
                                        ; =>  This Inner Loop Header: Depth=2
	v_mov_b32_e32 v3, 0
	v_mov_b32_e32 v4, 0
	v_cmp_gt_i32_e32 vcc_lo, s15, v8
	s_and_saveexec_b32 s9, vcc_lo
	s_cbranch_execz .LBB42_138
; %bb.137:                              ;   in Loop: Header=BB42_136 Depth=2
	ds_load_b64 v[3:4], v7
.LBB42_138:                             ;   in Loop: Header=BB42_136 Depth=2
	s_or_b32 exec_lo, exec_lo, s9
	s_and_saveexec_b32 s9, vcc_lo
	s_cbranch_execz .LBB42_135
; %bb.139:                              ;   in Loop: Header=BB42_136 Depth=2
	s_waitcnt lgkmcnt(0)
	v_cmp_o_f64_e32 vcc_lo, v[3:4], v[3:4]
	v_ashrrev_i32_e32 v1, 31, v4
	s_delay_alu instid0(VALU_DEP_1) | instskip(SKIP_1) | instid1(VALU_DEP_2)
	v_or_b32_e32 v5, 0x80000000, v1
	v_xor_b32_e32 v1, v1, v3
	v_xor_b32_e32 v5, v5, v4
	s_delay_alu instid0(VALU_DEP_1) | instskip(NEXT) | instid1(VALU_DEP_3)
	v_cndmask_b32_e32 v5, -1, v5, vcc_lo
	v_cndmask_b32_e32 v1, -1, v1, vcc_lo
	s_delay_alu instid0(VALU_DEP_2) | instskip(NEXT) | instid1(VALU_DEP_2)
	v_and_b32_e32 v6, s57, v5
	v_and_b32_e32 v5, s56, v1
	s_delay_alu instid0(VALU_DEP_1)
	v_cmp_eq_u64_e32 vcc_lo, s[54:55], v[5:6]
	s_and_b32 exec_lo, exec_lo, vcc_lo
	s_cbranch_execz .LBB42_135
; %bb.140:                              ;   in Loop: Header=BB42_136 Depth=2
	v_mov_b32_e32 v1, v13
	ds_store_b128 v13, v[1:4] offset:3072
	s_branch .LBB42_135
.LBB42_141:                             ;   in Loop: Header=BB42_8 Depth=1
	s_set_inst_prefetch_distance 0x2
	s_or_b32 exec_lo, exec_lo, s24
	s_delay_alu instid0(SALU_CYCLE_1)
	s_and_b32 s16, s16, exec_lo
.LBB42_142:                             ;   in Loop: Header=BB42_8 Depth=1
	s_or_b32 exec_lo, exec_lo, s17
	s_mov_b32 s25, -1
	s_mov_b32 s24, 0
	s_mov_b32 s23, 0
.LBB42_143:                             ;   in Loop: Header=BB42_8 Depth=1
	s_mov_b32 s15, 0
                                        ; implicit-def: $sgpr9
	s_and_saveexec_b32 s26, s16
	s_cbranch_execz .LBB42_239
; %bb.144:                              ;   in Loop: Header=BB42_8 Depth=1
	s_xor_b32 s9, s14, -1
	s_mov_b32 s45, 0
	s_and_not1_b32 vcc_lo, exec_lo, s9
	s_mov_b32 s96, 1
	s_cbranch_vccnz .LBB42_155
; %bb.145:                              ;   in Loop: Header=BB42_8 Depth=1
	s_cmp_gt_i32 s28, s27
	s_mov_b32 s45, -1
                                        ; implicit-def: $sgpr9
                                        ; implicit-def: $sgpr14_sgpr15
                                        ; implicit-def: $sgpr16_sgpr17
	s_cbranch_scc1 .LBB42_151
; %bb.146:                              ;   in Loop: Header=BB42_8 Depth=1
	ds_load_b32 v1, v13 offset:4096
	s_waitcnt lgkmcnt(0)
	v_cmp_ne_u32_e32 vcc_lo, 0, v1
	s_cbranch_vccnz .LBB42_150
; %bb.147:                              ;   in Loop: Header=BB42_8 Depth=1
	s_and_saveexec_b32 s9, s0
	s_cbranch_execz .LBB42_149
; %bb.148:                              ;   in Loop: Header=BB42_8 Depth=1
	v_mov_b32_e32 v1, s27
	ds_store_b32 v13, v1 offset:4100
.LBB42_149:                             ;   in Loop: Header=BB42_8 Depth=1
	s_or_b32 exec_lo, exec_lo, s9
	s_waitcnt lgkmcnt(0)
	s_barrier
	buffer_gl0_inv
.LBB42_150:                             ;   in Loop: Header=BB42_8 Depth=1
	s_lshl_b64 s[14:15], 1, s22
	s_and_b64 s[16:17], s[54:55], s[12:13]
	s_mov_b32 s45, 0
	s_or_b64 s[14:15], s[16:17], s[14:15]
	s_or_b64 s[16:17], s[56:57], s[10:11]
	s_mov_b32 s9, 8
.LBB42_151:                             ;   in Loop: Header=BB42_8 Depth=1
	s_and_not1_b32 vcc_lo, exec_lo, s45
	s_cbranch_vccnz .LBB42_153
; %bb.152:                              ;   in Loop: Header=BB42_8 Depth=1
	s_sub_i32 s28, s28, s27
	s_mov_b32 s45, -1
	s_mov_b32 s9, 0
	s_mov_b64 s[14:15], s[54:55]
	s_mov_b64 s[16:17], s[56:57]
.LBB42_153:                             ;   in Loop: Header=BB42_8 Depth=1
	s_delay_alu instid0(SALU_CYCLE_1)
	s_mov_b64 s[56:57], s[16:17]
	s_mov_b64 s[54:55], s[14:15]
	s_mov_b32 s96, s28
	s_and_not1_b32 vcc_lo, exec_lo, s45
	s_mov_b32 s15, -1
	s_cbranch_vccz .LBB42_156
.LBB42_154:                             ;   in Loop: Header=BB42_8 Depth=1
                                        ; implicit-def: $sgpr28
                                        ; implicit-def: $sgpr45
                                        ; implicit-def: $sgpr27
	s_branch .LBB42_238
.LBB42_155:                             ;   in Loop: Header=BB42_8 Depth=1
	s_mov_b32 s9, 1
	s_and_not1_b32 vcc_lo, exec_lo, s45
	s_mov_b32 s15, -1
	s_cbranch_vccnz .LBB42_154
.LBB42_156:                             ;   in Loop: Header=BB42_8 Depth=1
	s_cmp_eq_u32 s21, 1
	s_mov_b32 s16, -1
	s_cselect_b32 s9, -1, 0
	s_cmp_eq_u32 s96, 1
	s_cselect_b32 s14, -1, 0
	s_delay_alu instid0(SALU_CYCLE_1) | instskip(NEXT) | instid1(SALU_CYCLE_1)
	s_and_b32 s14, s9, s14
	s_and_b32 vcc_lo, exec_lo, s14
	s_cbranch_vccz .LBB42_168
; %bb.157:                              ;   in Loop: Header=BB42_8 Depth=1
	ds_load_b32 v1, v13 offset:4096
	s_waitcnt lgkmcnt(0)
	s_barrier
	buffer_gl0_inv
	v_readfirstlane_b32 s15, v1
	s_and_saveexec_b32 s9, s2
	s_cbranch_execz .LBB42_159
; %bb.158:                              ;   in Loop: Header=BB42_8 Depth=1
	v_mov_b32_e32 v12, v13
	ds_store_b64 v26, v[12:13]
.LBB42_159:                             ;   in Loop: Header=BB42_8 Depth=1
	s_or_b32 exec_lo, exec_lo, s9
	s_lshl_b64 s[16:17], 2, s22
	s_and_b64 s[54:55], s[54:55], s[12:13]
	s_or_b64 s[56:57], s[56:57], s[10:11]
	s_or_b64 s[54:55], s[54:55], s[16:17]
	s_cmp_gt_i32 s15, 0
	s_waitcnt lgkmcnt(0)
	s_barrier
	buffer_gl0_inv
	s_cbranch_scc1 .LBB42_169
; %bb.160:                              ;   in Loop: Header=BB42_8 Depth=1
	s_mov_b32 s16, 0
                                        ; implicit-def: $vgpr5_vgpr6
	s_and_saveexec_b32 s17, s8
	s_cbranch_execz .LBB42_171
; %bb.161:                              ;   in Loop: Header=BB42_8 Depth=1
	v_mov_b32_e32 v7, v11
	v_mov_b32_e32 v9, v0
	s_mov_b32 s27, 0
                                        ; implicit-def: $sgpr16
	s_branch .LBB42_163
.LBB42_162:                             ;   in Loop: Header=BB42_163 Depth=2
	s_or_b32 exec_lo, exec_lo, s9
	s_waitcnt vmcnt(0) lgkmcnt(0)
	s_barrier
	buffer_gl0_inv
	ds_load_b128 v[3:6], v13 offset:3072
	v_add_nc_u32_e32 v9, s68, v9
	v_add_nc_u32_e32 v7, s71, v7
	s_waitcnt lgkmcnt(0)
	s_barrier
	buffer_gl0_inv
	v_cmp_le_i32_e64 s9, s83, v9
	v_cmp_neq_f64_e32 vcc_lo, 0, v[3:4]
	s_delay_alu instid0(VALU_DEP_2) | instskip(NEXT) | instid1(SALU_CYCLE_1)
	s_or_b32 s9, s9, vcc_lo
	s_and_b32 s9, exec_lo, s9
	s_delay_alu instid0(SALU_CYCLE_1) | instskip(SKIP_2) | instid1(SALU_CYCLE_1)
	s_or_b32 s27, s9, s27
	s_and_not1_b32 s9, s16, exec_lo
	s_and_b32 s16, vcc_lo, exec_lo
	s_or_b32 s16, s9, s16
	s_and_not1_b32 exec_lo, exec_lo, s27
	s_cbranch_execz .LBB42_170
.LBB42_163:                             ;   Parent Loop BB42_8 Depth=1
                                        ; =>  This Inner Loop Header: Depth=2
	v_mov_b32_e32 v3, 0
	v_mov_b32_e32 v4, 0
	v_cmp_gt_i32_e32 vcc_lo, s44, v9
	s_and_saveexec_b32 s28, vcc_lo
	s_cbranch_execz .LBB42_165
; %bb.164:                              ;   in Loop: Header=BB42_163 Depth=2
	v_ashrrev_i32_e32 v8, 31, v7
	s_delay_alu instid0(VALU_DEP_1) | instskip(NEXT) | instid1(VALU_DEP_1)
	v_lshlrev_b64 v[3:4], 3, v[7:8]
	v_add_co_u32 v3, s9, s66, v3
	s_delay_alu instid0(VALU_DEP_1)
	v_add_co_ci_u32_e64 v4, s9, s67, v4, s9
	global_load_b64 v[3:4], v[3:4], off
.LBB42_165:                             ;   in Loop: Header=BB42_163 Depth=2
	s_or_b32 exec_lo, exec_lo, s28
	s_and_saveexec_b32 s9, vcc_lo
	s_cbranch_execz .LBB42_162
; %bb.166:                              ;   in Loop: Header=BB42_163 Depth=2
	s_waitcnt vmcnt(0)
	v_cmp_o_f64_e32 vcc_lo, v[3:4], v[3:4]
	v_ashrrev_i32_e32 v1, 31, v4
	s_delay_alu instid0(VALU_DEP_1) | instskip(SKIP_1) | instid1(VALU_DEP_2)
	v_or_b32_e32 v5, 0x80000000, v1
	v_xor_b32_e32 v1, v1, v3
	v_xor_b32_e32 v5, v5, v4
	s_delay_alu instid0(VALU_DEP_1) | instskip(NEXT) | instid1(VALU_DEP_3)
	v_cndmask_b32_e32 v5, -1, v5, vcc_lo
	v_cndmask_b32_e32 v1, -1, v1, vcc_lo
	s_delay_alu instid0(VALU_DEP_2) | instskip(NEXT) | instid1(VALU_DEP_2)
	v_and_b32_e32 v6, s57, v5
	v_and_b32_e32 v5, s56, v1
	s_delay_alu instid0(VALU_DEP_1)
	v_cmp_eq_u64_e32 vcc_lo, s[54:55], v[5:6]
	s_and_b32 exec_lo, exec_lo, vcc_lo
	s_cbranch_execz .LBB42_162
; %bb.167:                              ;   in Loop: Header=BB42_163 Depth=2
	v_mov_b32_e32 v1, v13
	ds_store_b128 v13, v[1:4] offset:3072
	s_branch .LBB42_162
.LBB42_168:                             ;   in Loop: Header=BB42_8 Depth=1
                                        ; implicit-def: $sgpr27
                                        ; implicit-def: $sgpr45
                                        ; implicit-def: $sgpr28
	s_branch .LBB42_182
.LBB42_169:                             ;   in Loop: Header=BB42_8 Depth=1
	s_mov_b32 s27, -1
	s_mov_b32 s16, 0
                                        ; implicit-def: $sgpr28
                                        ; implicit-def: $vgpr5_vgpr6
	s_mov_b32 s45, s27
	s_cbranch_execnz .LBB42_172
	s_branch .LBB42_182
.LBB42_170:                             ;   in Loop: Header=BB42_8 Depth=1
	s_or_b32 exec_lo, exec_lo, s27
	s_delay_alu instid0(SALU_CYCLE_1)
	s_and_b32 s16, s16, exec_lo
.LBB42_171:                             ;   in Loop: Header=BB42_8 Depth=1
	s_or_b32 exec_lo, exec_lo, s17
	s_mov_b32 s28, -1
	s_mov_b32 s27, 0
	s_delay_alu instid0(SALU_CYCLE_1)
	s_mov_b32 s45, s27
	s_branch .LBB42_182
.LBB42_172:                             ;   in Loop: Header=BB42_8 Depth=1
	s_add_i32 s27, s15, s72
                                        ; implicit-def: $vgpr5_vgpr6
	s_delay_alu instid0(SALU_CYCLE_1) | instskip(NEXT) | instid1(SALU_CYCLE_1)
	s_abs_i32 s9, s27
	s_mul_hi_u32 s16, s9, s82
	s_delay_alu instid0(SALU_CYCLE_1) | instskip(NEXT) | instid1(SALU_CYCLE_1)
	s_mul_i32 s16, s16, s68
	s_sub_i32 s9, s9, s16
	s_ashr_i32 s16, s27, 31
	s_sub_i32 s17, s9, s68
	s_cmp_ge_u32 s9, s68
	s_cselect_b32 s9, s17, s9
	s_delay_alu instid0(SALU_CYCLE_1) | instskip(SKIP_4) | instid1(SALU_CYCLE_1)
	s_sub_i32 s17, s9, s68
	s_cmp_ge_u32 s9, s68
	s_cselect_b32 s9, s17, s9
	s_mov_b32 s17, exec_lo
	s_xor_b32 s9, s9, s16
	s_sub_i32 s9, s16, s9
	s_mov_b32 s16, 0
	s_add_i32 s27, s27, s9
	s_delay_alu instid0(SALU_CYCLE_1)
	v_cmpx_gt_i32_e64 s27, v0
	s_cbranch_execz .LBB42_181
; %bb.173:                              ;   in Loop: Header=BB42_8 Depth=1
	v_dual_mov_b32 v7, v25 :: v_dual_mov_b32 v8, v0
	s_mov_b32 s28, 0
                                        ; implicit-def: $sgpr16
	s_set_inst_prefetch_distance 0x1
	s_branch .LBB42_175
	.p2align	6
.LBB42_174:                             ;   in Loop: Header=BB42_175 Depth=2
	s_or_b32 exec_lo, exec_lo, s9
	s_waitcnt lgkmcnt(0)
	s_barrier
	buffer_gl0_inv
	ds_load_b128 v[3:6], v13 offset:3072
	v_add_nc_u32_e32 v8, s68, v8
	v_add_nc_u32_e32 v7, s86, v7
	s_waitcnt lgkmcnt(0)
	s_barrier
	buffer_gl0_inv
	v_cmp_le_i32_e64 s9, s27, v8
	v_cmp_neq_f64_e32 vcc_lo, 0, v[3:4]
	s_delay_alu instid0(VALU_DEP_2) | instskip(NEXT) | instid1(SALU_CYCLE_1)
	s_or_b32 s9, s9, vcc_lo
	s_and_b32 s9, exec_lo, s9
	s_delay_alu instid0(SALU_CYCLE_1) | instskip(SKIP_2) | instid1(SALU_CYCLE_1)
	s_or_b32 s28, s9, s28
	s_and_not1_b32 s9, s16, exec_lo
	s_and_b32 s16, vcc_lo, exec_lo
	s_or_b32 s16, s9, s16
	s_and_not1_b32 exec_lo, exec_lo, s28
	s_cbranch_execz .LBB42_180
.LBB42_175:                             ;   Parent Loop BB42_8 Depth=1
                                        ; =>  This Inner Loop Header: Depth=2
	v_mov_b32_e32 v3, 0
	v_mov_b32_e32 v4, 0
	v_cmp_gt_i32_e32 vcc_lo, s15, v8
	s_and_saveexec_b32 s9, vcc_lo
	s_cbranch_execz .LBB42_177
; %bb.176:                              ;   in Loop: Header=BB42_175 Depth=2
	ds_load_b64 v[3:4], v7
.LBB42_177:                             ;   in Loop: Header=BB42_175 Depth=2
	s_or_b32 exec_lo, exec_lo, s9
	s_and_saveexec_b32 s9, vcc_lo
	s_cbranch_execz .LBB42_174
; %bb.178:                              ;   in Loop: Header=BB42_175 Depth=2
	s_waitcnt lgkmcnt(0)
	v_cmp_o_f64_e32 vcc_lo, v[3:4], v[3:4]
	v_ashrrev_i32_e32 v1, 31, v4
	s_delay_alu instid0(VALU_DEP_1) | instskip(SKIP_1) | instid1(VALU_DEP_2)
	v_or_b32_e32 v5, 0x80000000, v1
	v_xor_b32_e32 v1, v1, v3
	v_xor_b32_e32 v5, v5, v4
	s_delay_alu instid0(VALU_DEP_1) | instskip(NEXT) | instid1(VALU_DEP_3)
	v_cndmask_b32_e32 v5, -1, v5, vcc_lo
	v_cndmask_b32_e32 v1, -1, v1, vcc_lo
	s_delay_alu instid0(VALU_DEP_2) | instskip(NEXT) | instid1(VALU_DEP_2)
	v_and_b32_e32 v6, s57, v5
	v_and_b32_e32 v5, s56, v1
	s_delay_alu instid0(VALU_DEP_1)
	v_cmp_eq_u64_e32 vcc_lo, s[54:55], v[5:6]
	s_and_b32 exec_lo, exec_lo, vcc_lo
	s_cbranch_execz .LBB42_174
; %bb.179:                              ;   in Loop: Header=BB42_175 Depth=2
	v_mov_b32_e32 v1, v13
	ds_store_b128 v13, v[1:4] offset:3072
	s_branch .LBB42_174
.LBB42_180:                             ;   in Loop: Header=BB42_8 Depth=1
	s_set_inst_prefetch_distance 0x2
	s_or_b32 exec_lo, exec_lo, s28
	s_delay_alu instid0(SALU_CYCLE_1)
	s_and_b32 s16, s16, exec_lo
.LBB42_181:                             ;   in Loop: Header=BB42_8 Depth=1
	s_or_b32 exec_lo, exec_lo, s17
	s_mov_b32 s45, -1
	s_mov_b32 s27, 0
	s_mov_b32 s28, 0
.LBB42_182:                             ;   in Loop: Header=BB42_8 Depth=1
	s_mov_b32 s15, 0
                                        ; implicit-def: $sgpr9
	s_and_saveexec_b32 s95, s16
	s_cbranch_execz .LBB42_237
; %bb.183:                              ;   in Loop: Header=BB42_8 Depth=1
	s_xor_b32 s9, s14, -1
	s_mov_b32 s97, 0
	s_and_not1_b32 vcc_lo, exec_lo, s9
	s_mov_b32 s14, 1
	s_cbranch_vccnz .LBB42_194
; %bb.184:                              ;   in Loop: Header=BB42_8 Depth=1
	s_cmp_gt_i32 s96, s21
	s_mov_b32 s97, -1
                                        ; implicit-def: $sgpr9
                                        ; implicit-def: $sgpr14_sgpr15
                                        ; implicit-def: $sgpr16_sgpr17
	s_cbranch_scc1 .LBB42_190
; %bb.185:                              ;   in Loop: Header=BB42_8 Depth=1
	ds_load_b32 v1, v13 offset:4096
	s_waitcnt lgkmcnt(0)
	v_cmp_ne_u32_e32 vcc_lo, 0, v1
	s_cbranch_vccnz .LBB42_189
; %bb.186:                              ;   in Loop: Header=BB42_8 Depth=1
	s_and_saveexec_b32 s9, s0
	s_cbranch_execz .LBB42_188
; %bb.187:                              ;   in Loop: Header=BB42_8 Depth=1
	v_mov_b32_e32 v1, s21
	ds_store_b32 v13, v1 offset:4100
.LBB42_188:                             ;   in Loop: Header=BB42_8 Depth=1
	s_or_b32 exec_lo, exec_lo, s9
	s_waitcnt lgkmcnt(0)
	s_barrier
	buffer_gl0_inv
.LBB42_189:                             ;   in Loop: Header=BB42_8 Depth=1
	s_lshl_b64 s[14:15], 2, s22
	s_and_b64 s[12:13], s[54:55], s[12:13]
	s_or_b64 s[16:17], s[56:57], s[10:11]
	s_or_b64 s[14:15], s[12:13], s[14:15]
	s_mov_b32 s97, 0
	s_mov_b32 s9, 8
.LBB42_190:                             ;   in Loop: Header=BB42_8 Depth=1
	s_and_not1_b32 vcc_lo, exec_lo, s97
	s_cbranch_vccnz .LBB42_192
; %bb.191:                              ;   in Loop: Header=BB42_8 Depth=1
	s_sub_i32 s96, s96, s21
	s_mov_b32 s97, -1
	s_mov_b32 s9, 0
	s_mov_b64 s[14:15], s[54:55]
	s_mov_b64 s[16:17], s[56:57]
.LBB42_192:                             ;   in Loop: Header=BB42_8 Depth=1
	s_delay_alu instid0(SALU_CYCLE_1)
	s_mov_b64 s[56:57], s[16:17]
	s_mov_b64 s[54:55], s[14:15]
	s_mov_b32 s14, s96
	s_and_not1_b32 vcc_lo, exec_lo, s97
	s_mov_b32 s13, -1
	s_cbranch_vccz .LBB42_195
.LBB42_193:                             ;   in Loop: Header=BB42_8 Depth=1
                                        ; implicit-def: $sgpr15
                                        ; implicit-def: $sgpr17
                                        ; implicit-def: $sgpr16
	s_branch .LBB42_236
.LBB42_194:                             ;   in Loop: Header=BB42_8 Depth=1
	s_mov_b32 s9, 1
	s_and_not1_b32 vcc_lo, exec_lo, s97
	s_mov_b32 s13, -1
	s_cbranch_vccnz .LBB42_193
.LBB42_195:                             ;   in Loop: Header=BB42_8 Depth=1
	s_cmp_eq_u32 s18, 1
	s_mov_b32 s21, -1
	s_cselect_b32 s9, -1, 0
	s_cmp_eq_u32 s14, 1
	s_cselect_b32 s12, -1, 0
	s_delay_alu instid0(SALU_CYCLE_1) | instskip(NEXT) | instid1(SALU_CYCLE_1)
	s_and_b32 s12, s9, s12
	s_and_b32 vcc_lo, exec_lo, s12
	s_cbranch_vccz .LBB42_207
; %bb.196:                              ;   in Loop: Header=BB42_8 Depth=1
	ds_load_b32 v1, v13 offset:4096
	s_waitcnt lgkmcnt(0)
	s_barrier
	buffer_gl0_inv
	v_readfirstlane_b32 s13, v1
	s_and_saveexec_b32 s9, s2
	s_cbranch_execz .LBB42_198
; %bb.197:                              ;   in Loop: Header=BB42_8 Depth=1
	v_mov_b32_e32 v12, v13
	ds_store_b64 v26, v[12:13]
.LBB42_198:                             ;   in Loop: Header=BB42_8 Depth=1
	s_or_b32 exec_lo, exec_lo, s9
	s_or_b64 s[54:55], s[54:55], s[10:11]
	s_or_b64 s[56:57], s[56:57], s[10:11]
	s_cmp_gt_i32 s13, 0
	s_waitcnt lgkmcnt(0)
	s_barrier
	buffer_gl0_inv
	s_cbranch_scc1 .LBB42_208
; %bb.199:                              ;   in Loop: Header=BB42_8 Depth=1
	s_mov_b32 s21, 0
                                        ; implicit-def: $vgpr5_vgpr6
	s_and_saveexec_b32 s15, s8
	s_cbranch_execz .LBB42_210
; %bb.200:                              ;   in Loop: Header=BB42_8 Depth=1
	v_mov_b32_e32 v7, v11
	v_mov_b32_e32 v9, v0
	s_mov_b32 s17, 0
                                        ; implicit-def: $sgpr16
	s_branch .LBB42_202
.LBB42_201:                             ;   in Loop: Header=BB42_202 Depth=2
	s_or_b32 exec_lo, exec_lo, s9
	s_waitcnt vmcnt(0) lgkmcnt(0)
	s_barrier
	buffer_gl0_inv
	ds_load_b128 v[3:6], v13 offset:3072
	v_add_nc_u32_e32 v9, s68, v9
	v_add_nc_u32_e32 v7, s71, v7
	s_waitcnt lgkmcnt(0)
	s_barrier
	buffer_gl0_inv
	v_cmp_le_i32_e64 s9, s83, v9
	v_cmp_neq_f64_e32 vcc_lo, 0, v[3:4]
	s_delay_alu instid0(VALU_DEP_2) | instskip(NEXT) | instid1(SALU_CYCLE_1)
	s_or_b32 s9, s9, vcc_lo
	s_and_b32 s9, exec_lo, s9
	s_delay_alu instid0(SALU_CYCLE_1) | instskip(SKIP_2) | instid1(SALU_CYCLE_1)
	s_or_b32 s17, s9, s17
	s_and_not1_b32 s9, s16, exec_lo
	s_and_b32 s16, vcc_lo, exec_lo
	s_or_b32 s16, s9, s16
	s_and_not1_b32 exec_lo, exec_lo, s17
	s_cbranch_execz .LBB42_209
.LBB42_202:                             ;   Parent Loop BB42_8 Depth=1
                                        ; =>  This Inner Loop Header: Depth=2
	v_mov_b32_e32 v3, 0
	v_mov_b32_e32 v4, 0
	v_cmp_gt_i32_e32 vcc_lo, s44, v9
	s_and_saveexec_b32 s21, vcc_lo
	s_cbranch_execz .LBB42_204
; %bb.203:                              ;   in Loop: Header=BB42_202 Depth=2
	v_ashrrev_i32_e32 v8, 31, v7
	s_delay_alu instid0(VALU_DEP_1) | instskip(NEXT) | instid1(VALU_DEP_1)
	v_lshlrev_b64 v[3:4], 3, v[7:8]
	v_add_co_u32 v3, s9, s66, v3
	s_delay_alu instid0(VALU_DEP_1)
	v_add_co_ci_u32_e64 v4, s9, s67, v4, s9
	global_load_b64 v[3:4], v[3:4], off
.LBB42_204:                             ;   in Loop: Header=BB42_202 Depth=2
	s_or_b32 exec_lo, exec_lo, s21
	s_and_saveexec_b32 s9, vcc_lo
	s_cbranch_execz .LBB42_201
; %bb.205:                              ;   in Loop: Header=BB42_202 Depth=2
	s_waitcnt vmcnt(0)
	v_cmp_o_f64_e32 vcc_lo, v[3:4], v[3:4]
	v_ashrrev_i32_e32 v1, 31, v4
	s_delay_alu instid0(VALU_DEP_1) | instskip(SKIP_1) | instid1(VALU_DEP_2)
	v_or_b32_e32 v5, 0x80000000, v1
	v_xor_b32_e32 v1, v1, v3
	v_xor_b32_e32 v5, v5, v4
	s_delay_alu instid0(VALU_DEP_1) | instskip(NEXT) | instid1(VALU_DEP_3)
	v_cndmask_b32_e32 v5, -1, v5, vcc_lo
	v_cndmask_b32_e32 v1, -1, v1, vcc_lo
	s_delay_alu instid0(VALU_DEP_2) | instskip(NEXT) | instid1(VALU_DEP_2)
	v_and_b32_e32 v6, s57, v5
	v_and_b32_e32 v5, s56, v1
	s_delay_alu instid0(VALU_DEP_1)
	v_cmp_eq_u64_e32 vcc_lo, s[54:55], v[5:6]
	s_and_b32 exec_lo, exec_lo, vcc_lo
	s_cbranch_execz .LBB42_201
; %bb.206:                              ;   in Loop: Header=BB42_202 Depth=2
	v_mov_b32_e32 v1, v13
	ds_store_b128 v13, v[1:4] offset:3072
	s_branch .LBB42_201
.LBB42_207:                             ;   in Loop: Header=BB42_8 Depth=1
                                        ; implicit-def: $sgpr15
                                        ; implicit-def: $sgpr17
                                        ; implicit-def: $sgpr16
	s_branch .LBB42_221
.LBB42_208:                             ;   in Loop: Header=BB42_8 Depth=1
	s_mov_b32 s15, -1
	s_mov_b32 s21, 0
                                        ; implicit-def: $sgpr16
                                        ; implicit-def: $vgpr5_vgpr6
	s_mov_b32 s17, s15
	s_cbranch_execnz .LBB42_211
	s_branch .LBB42_221
.LBB42_209:                             ;   in Loop: Header=BB42_8 Depth=1
	s_or_b32 exec_lo, exec_lo, s17
	s_delay_alu instid0(SALU_CYCLE_1)
	s_and_b32 s21, s16, exec_lo
.LBB42_210:                             ;   in Loop: Header=BB42_8 Depth=1
	s_or_b32 exec_lo, exec_lo, s15
	s_mov_b32 s16, -1
	s_mov_b32 s15, 0
	s_delay_alu instid0(SALU_CYCLE_1)
	s_mov_b32 s17, s15
	s_branch .LBB42_221
.LBB42_211:                             ;   in Loop: Header=BB42_8 Depth=1
	s_add_i32 s16, s13, s72
	s_mov_b32 s21, 0
	s_abs_i32 s9, s16
                                        ; implicit-def: $vgpr5_vgpr6
	s_delay_alu instid0(SALU_CYCLE_1) | instskip(NEXT) | instid1(SALU_CYCLE_1)
	s_mul_hi_u32 s15, s9, s82
	s_mul_i32 s15, s15, s68
	s_delay_alu instid0(SALU_CYCLE_1) | instskip(SKIP_4) | instid1(SALU_CYCLE_1)
	s_sub_i32 s9, s9, s15
	s_ashr_i32 s15, s16, 31
	s_sub_i32 s17, s9, s68
	s_cmp_ge_u32 s9, s68
	s_cselect_b32 s9, s17, s9
	s_sub_i32 s17, s9, s68
	s_cmp_ge_u32 s9, s68
	s_cselect_b32 s9, s17, s9
	s_delay_alu instid0(SALU_CYCLE_1) | instskip(NEXT) | instid1(SALU_CYCLE_1)
	s_xor_b32 s9, s9, s15
	s_sub_i32 s9, s15, s9
	s_mov_b32 s15, exec_lo
	s_add_i32 s16, s16, s9
	s_delay_alu instid0(SALU_CYCLE_1)
	v_cmpx_gt_i32_e64 s16, v0
	s_cbranch_execz .LBB42_220
; %bb.212:                              ;   in Loop: Header=BB42_8 Depth=1
	v_dual_mov_b32 v7, v25 :: v_dual_mov_b32 v8, v0
                                        ; implicit-def: $sgpr17
	s_set_inst_prefetch_distance 0x1
	s_branch .LBB42_214
	.p2align	6
.LBB42_213:                             ;   in Loop: Header=BB42_214 Depth=2
	s_or_b32 exec_lo, exec_lo, s9
	s_waitcnt lgkmcnt(0)
	s_barrier
	buffer_gl0_inv
	ds_load_b128 v[3:6], v13 offset:3072
	v_add_nc_u32_e32 v8, s68, v8
	v_add_nc_u32_e32 v7, s86, v7
	s_waitcnt lgkmcnt(0)
	s_barrier
	buffer_gl0_inv
	v_cmp_le_i32_e64 s9, s16, v8
	v_cmp_neq_f64_e32 vcc_lo, 0, v[3:4]
	s_delay_alu instid0(VALU_DEP_2) | instskip(NEXT) | instid1(SALU_CYCLE_1)
	s_or_b32 s9, s9, vcc_lo
	s_and_b32 s9, exec_lo, s9
	s_delay_alu instid0(SALU_CYCLE_1) | instskip(SKIP_2) | instid1(SALU_CYCLE_1)
	s_or_b32 s21, s9, s21
	s_and_not1_b32 s9, s17, exec_lo
	s_and_b32 s17, vcc_lo, exec_lo
	s_or_b32 s17, s9, s17
	s_and_not1_b32 exec_lo, exec_lo, s21
	s_cbranch_execz .LBB42_219
.LBB42_214:                             ;   Parent Loop BB42_8 Depth=1
                                        ; =>  This Inner Loop Header: Depth=2
	v_mov_b32_e32 v3, 0
	v_mov_b32_e32 v4, 0
	v_cmp_gt_i32_e32 vcc_lo, s13, v8
	s_and_saveexec_b32 s9, vcc_lo
	s_cbranch_execz .LBB42_216
; %bb.215:                              ;   in Loop: Header=BB42_214 Depth=2
	ds_load_b64 v[3:4], v7
.LBB42_216:                             ;   in Loop: Header=BB42_214 Depth=2
	s_or_b32 exec_lo, exec_lo, s9
	s_and_saveexec_b32 s9, vcc_lo
	s_cbranch_execz .LBB42_213
; %bb.217:                              ;   in Loop: Header=BB42_214 Depth=2
	s_waitcnt lgkmcnt(0)
	v_cmp_o_f64_e32 vcc_lo, v[3:4], v[3:4]
	v_ashrrev_i32_e32 v1, 31, v4
	s_delay_alu instid0(VALU_DEP_1) | instskip(SKIP_1) | instid1(VALU_DEP_2)
	v_or_b32_e32 v5, 0x80000000, v1
	v_xor_b32_e32 v1, v1, v3
	v_xor_b32_e32 v5, v5, v4
	s_delay_alu instid0(VALU_DEP_1) | instskip(NEXT) | instid1(VALU_DEP_3)
	v_cndmask_b32_e32 v5, -1, v5, vcc_lo
	v_cndmask_b32_e32 v1, -1, v1, vcc_lo
	s_delay_alu instid0(VALU_DEP_2) | instskip(NEXT) | instid1(VALU_DEP_2)
	v_and_b32_e32 v6, s57, v5
	v_and_b32_e32 v5, s56, v1
	s_delay_alu instid0(VALU_DEP_1)
	v_cmp_eq_u64_e32 vcc_lo, s[54:55], v[5:6]
	s_and_b32 exec_lo, exec_lo, vcc_lo
	s_cbranch_execz .LBB42_213
; %bb.218:                              ;   in Loop: Header=BB42_214 Depth=2
	v_mov_b32_e32 v1, v13
	ds_store_b128 v13, v[1:4] offset:3072
	s_branch .LBB42_213
.LBB42_219:                             ;   in Loop: Header=BB42_8 Depth=1
	s_set_inst_prefetch_distance 0x2
	s_or_b32 exec_lo, exec_lo, s21
	s_delay_alu instid0(SALU_CYCLE_1)
	s_and_b32 s21, s17, exec_lo
.LBB42_220:                             ;   in Loop: Header=BB42_8 Depth=1
	s_or_b32 exec_lo, exec_lo, s15
	s_mov_b32 s17, -1
	s_mov_b32 s15, 0
	s_mov_b32 s16, 0
.LBB42_221:                             ;   in Loop: Header=BB42_8 Depth=1
	s_mov_b32 s13, 0
                                        ; implicit-def: $sgpr9
	s_and_saveexec_b32 s22, s21
	s_cbranch_execz .LBB42_235
; %bb.222:                              ;   in Loop: Header=BB42_8 Depth=1
	s_xor_b32 s9, s12, -1
	s_delay_alu instid0(SALU_CYCLE_1)
	s_and_not1_b32 vcc_lo, exec_lo, s9
	s_mov_b32 s9, 1
	s_cbranch_vccnz .LBB42_229
; %bb.223:                              ;   in Loop: Header=BB42_8 Depth=1
	s_cmp_gt_i32 s14, s18
	s_cbranch_scc1 .LBB42_230
; %bb.224:                              ;   in Loop: Header=BB42_8 Depth=1
	ds_load_b32 v1, v13 offset:4096
	s_waitcnt lgkmcnt(0)
	v_cmp_ne_u32_e32 vcc_lo, 0, v1
	s_cbranch_vccnz .LBB42_228
; %bb.225:                              ;   in Loop: Header=BB42_8 Depth=1
	s_and_saveexec_b32 s9, s0
	s_cbranch_execz .LBB42_227
; %bb.226:                              ;   in Loop: Header=BB42_8 Depth=1
	v_mov_b32_e32 v1, s18
	ds_store_b32 v13, v1 offset:4100
.LBB42_227:                             ;   in Loop: Header=BB42_8 Depth=1
	s_or_b32 exec_lo, exec_lo, s9
	s_waitcnt lgkmcnt(0)
	s_barrier
	buffer_gl0_inv
.LBB42_228:                             ;   in Loop: Header=BB42_8 Depth=1
	s_or_b64 s[12:13], s[54:55], s[10:11]
	s_or_b64 s[10:11], s[56:57], s[10:11]
	s_mov_b32 s21, 0
	s_mov_b32 s9, 8
	s_branch .LBB42_231
.LBB42_229:                             ;   in Loop: Header=BB42_8 Depth=1
	s_mov_b32 s14, 1
	s_branch .LBB42_234
.LBB42_230:                             ;   in Loop: Header=BB42_8 Depth=1
	s_mov_b32 s21, -1
                                        ; implicit-def: $sgpr9
                                        ; implicit-def: $sgpr12_sgpr13
                                        ; implicit-def: $sgpr10_sgpr11
.LBB42_231:                             ;   in Loop: Header=BB42_8 Depth=1
	s_delay_alu instid0(SALU_CYCLE_1)
	s_and_not1_b32 vcc_lo, exec_lo, s21
	s_cbranch_vccnz .LBB42_233
; %bb.232:                              ;   in Loop: Header=BB42_8 Depth=1
	s_sub_i32 s14, s14, s18
	s_mov_b32 s9, 8
	s_mov_b64 s[12:13], s[54:55]
	s_mov_b64 s[10:11], s[56:57]
.LBB42_233:                             ;   in Loop: Header=BB42_8 Depth=1
	s_mov_b64 s[54:55], s[12:13]
	s_mov_b64 s[56:57], s[10:11]
.LBB42_234:                             ;   in Loop: Header=BB42_8 Depth=1
	s_mov_b32 s13, exec_lo
.LBB42_235:                             ;   in Loop: Header=BB42_8 Depth=1
	s_or_b32 exec_lo, exec_lo, s22
.LBB42_236:                             ;   in Loop: Header=BB42_8 Depth=1
	s_delay_alu instid0(SALU_CYCLE_1)
	s_and_not1_b32 s10, s27, exec_lo
	s_and_b32 s11, s15, exec_lo
	s_and_not1_b32 s12, s28, exec_lo
	s_or_b32 s27, s10, s11
	s_and_not1_b32 s10, s45, exec_lo
	s_and_b32 s11, s17, exec_lo
	s_and_b32 s15, s16, exec_lo
	s_or_b32 s45, s10, s11
	s_or_b32 s28, s12, s15
	s_and_b32 s15, s13, exec_lo
	s_mov_b32 s96, s14
.LBB42_237:                             ;   in Loop: Header=BB42_8 Depth=1
	s_or_b32 exec_lo, exec_lo, s95
.LBB42_238:                             ;   in Loop: Header=BB42_8 Depth=1
	s_delay_alu instid0(SALU_CYCLE_1)
	s_and_not1_b32 s10, s24, exec_lo
	s_and_b32 s11, s27, exec_lo
	s_and_not1_b32 s12, s23, exec_lo
	s_or_b32 s24, s10, s11
	s_and_not1_b32 s10, s25, exec_lo
	s_and_b32 s11, s45, exec_lo
	s_and_b32 s13, s28, exec_lo
	s_or_b32 s25, s10, s11
	s_or_b32 s23, s12, s13
	s_and_b32 s15, s15, exec_lo
	s_mov_b32 s28, s96
.LBB42_239:                             ;   in Loop: Header=BB42_8 Depth=1
	s_or_b32 exec_lo, exec_lo, s26
	s_and_saveexec_b32 s10, s15
	s_delay_alu instid0(SALU_CYCLE_1)
	s_xor_b32 s10, exec_lo, s10
	s_cbranch_execz .LBB42_6
.LBB42_240:                             ;   in Loop: Header=BB42_8 Depth=1
	s_and_b32 s9, s9, -9
	s_delay_alu instid0(SALU_CYCLE_1)
	s_cmp_eq_u32 s9, 0
	s_cbranch_scc1 .LBB42_4
; %bb.241:                              ;   in Loop: Header=BB42_8 Depth=1
	s_mov_b32 s9, -1
	s_mov_b32 s11, -1
                                        ; implicit-def: $sgpr56_sgpr57
                                        ; implicit-def: $sgpr28
                                        ; implicit-def: $sgpr90
                                        ; implicit-def: $sgpr93
	s_branch .LBB42_5
.LBB42_242:
	s_or_b32 exec_lo, exec_lo, s69
	s_xor_b32 s3, s89, -1
	s_xor_b32 s2, s87, -1
	;; [unrolled: 1-line block ×3, first 2 shown]
	s_mov_b32 s1, 0
	s_and_saveexec_b32 s5, s2
	s_delay_alu instid0(SALU_CYCLE_1)
	s_xor_b32 s2, exec_lo, s5
	s_cbranch_execz .LBB42_263
; %bb.243:
	s_and_saveexec_b32 s1, s3
	s_delay_alu instid0(SALU_CYCLE_1)
	s_xor_b32 s3, exec_lo, s1
	s_cbranch_execz .LBB42_261
; %bb.244:
	s_and_saveexec_b32 s1, s4
	s_delay_alu instid0(SALU_CYCLE_1)
	s_xor_b32 s1, exec_lo, s1
; %bb.245:
	v_lshrrev_b32_e32 v1, 31, v4
	s_delay_alu instid0(VALU_DEP_1) | instskip(NEXT) | instid1(VALU_DEP_1)
	v_add_co_u32 v1, s4, v1, -1
	v_add_co_ci_u32_e64 v2, null, 0, -1, s4
	s_delay_alu instid0(VALU_DEP_2) | instskip(NEXT) | instid1(VALU_DEP_2)
	v_xor_b32_e32 v5, v1, v3
	v_or_b32_e32 v2, 0x80000000, v2
	s_delay_alu instid0(VALU_DEP_1)
	v_xor_b32_e32 v6, v2, v4
; %bb.246:
	s_or_b32 exec_lo, exec_lo, s1
	s_and_saveexec_b32 s1, s0
	s_cbranch_execz .LBB42_248
; %bb.247:
	v_dual_mov_b32 v1, 0 :: v_dual_mov_b32 v2, s44
	ds_store_b32 v1, v2 offset:4108
.LBB42_248:
	s_or_b32 exec_lo, exec_lo, s1
	v_mov_b32_e32 v1, 0
	s_waitcnt lgkmcnt(0)
	s_barrier
	buffer_gl0_inv
	s_mov_b32 s4, exec_lo
	ds_load_b32 v1, v1 offset:4108
	s_waitcnt lgkmcnt(0)
	v_min_i32_e32 v1, s44, v1
	s_delay_alu instid0(VALU_DEP_1)
	v_cmpx_lt_i32_e64 v0, v1
	s_cbranch_execz .LBB42_258
; %bb.249:
	v_cmp_u_f64_e32 vcc_lo, v[5:6], v[5:6]
	s_mov_b32 s5, 0
                                        ; implicit-def: $sgpr6
                                        ; implicit-def: $sgpr9
                                        ; implicit-def: $sgpr8
	s_xor_b32 s7, vcc_lo, -1
	s_set_inst_prefetch_distance 0x1
	s_branch .LBB42_251
	.p2align	6
.LBB42_250:                             ;   in Loop: Header=BB42_251 Depth=1
	s_or_b32 exec_lo, exec_lo, s1
	s_delay_alu instid0(SALU_CYCLE_1) | instskip(NEXT) | instid1(SALU_CYCLE_1)
	s_and_b32 s1, exec_lo, s9
	s_or_b32 s5, s1, s5
	s_and_not1_b32 s1, s6, exec_lo
	s_and_b32 s6, s8, exec_lo
	s_delay_alu instid0(SALU_CYCLE_1)
	s_or_b32 s6, s1, s6
	s_and_not1_b32 exec_lo, exec_lo, s5
	s_cbranch_execz .LBB42_253
.LBB42_251:                             ; =>This Inner Loop Header: Depth=1
	v_ashrrev_i32_e32 v12, 31, v11
	s_or_b32 s8, s8, exec_lo
	s_or_b32 s9, s9, exec_lo
	s_delay_alu instid0(VALU_DEP_1) | instskip(NEXT) | instid1(VALU_DEP_1)
	v_lshlrev_b64 v[2:3], 3, v[11:12]
	v_add_co_u32 v2, vcc_lo, s66, v2
	s_delay_alu instid0(VALU_DEP_2)
	v_add_co_ci_u32_e32 v3, vcc_lo, s67, v3, vcc_lo
	global_load_b64 v[2:3], v[2:3], off
	s_waitcnt vmcnt(0)
	v_cmp_o_f64_e32 vcc_lo, v[2:3], v[2:3]
	v_cmp_neq_f64_e64 s1, v[2:3], v[5:6]
	v_mov_b32_e32 v2, v0
                                        ; implicit-def: $vgpr0
	s_or_b32 s10, vcc_lo, s7
	s_delay_alu instid0(VALU_DEP_2) | instid1(SALU_CYCLE_1)
	s_and_b32 s10, s1, s10
	s_delay_alu instid0(SALU_CYCLE_1)
	s_and_saveexec_b32 s1, s10
	s_cbranch_execz .LBB42_250
; %bb.252:                              ;   in Loop: Header=BB42_251 Depth=1
	v_add_nc_u32_e32 v0, s68, v2
	s_and_not1_b32 s9, s9, exec_lo
	v_add_nc_u32_e32 v11, s71, v11
	s_and_not1_b32 s8, s8, exec_lo
	s_delay_alu instid0(VALU_DEP_2) | instskip(SKIP_1) | instid1(SALU_CYCLE_1)
	v_cmp_ge_i32_e32 vcc_lo, v0, v1
	s_and_b32 s10, vcc_lo, exec_lo
	s_or_b32 s9, s9, s10
	s_branch .LBB42_250
.LBB42_253:
	s_set_inst_prefetch_distance 0x2
	s_or_b32 exec_lo, exec_lo, s5
	s_and_saveexec_b32 s1, s6
	s_delay_alu instid0(SALU_CYCLE_1)
	s_xor_b32 s1, exec_lo, s1
	s_cbranch_execz .LBB42_258
; %bb.254:
	s_mov_b32 s5, exec_lo
	s_brev_b32 s1, -2
.LBB42_255:                             ; =>This Inner Loop Header: Depth=1
	s_ctz_i32_b32 s6, s5
	s_delay_alu instid0(SALU_CYCLE_1) | instskip(SKIP_1) | instid1(SALU_CYCLE_1)
	v_readlane_b32 s7, v2, s6
	s_lshl_b32 s6, 1, s6
	s_and_not1_b32 s5, s5, s6
	s_delay_alu instid0(VALU_DEP_1)
	s_min_i32 s1, s1, s7
	s_cmp_lg_u32 s5, 0
	s_cbranch_scc1 .LBB42_255
; %bb.256:
	v_mbcnt_lo_u32_b32 v0, exec_lo, 0
	s_mov_b32 s5, exec_lo
	s_delay_alu instid0(VALU_DEP_1)
	v_cmpx_eq_u32_e32 0, v0
	s_xor_b32 s5, exec_lo, s5
	s_cbranch_execz .LBB42_258
; %bb.257:
	v_dual_mov_b32 v0, 0 :: v_dual_mov_b32 v1, s1
	ds_min_i32 v0, v1 offset:4108
.LBB42_258:
	s_or_b32 exec_lo, exec_lo, s4
	s_waitcnt lgkmcnt(0)
	s_barrier
	buffer_gl0_inv
	s_and_saveexec_b32 s1, s0
	s_cbranch_execz .LBB42_260
; %bb.259:
	s_mul_i32 s4, s63, s58
	s_mul_i32 s0, s46, s31
	s_sub_i32 s4, s59, s4
	s_sub_i32 s0, s29, s0
	s_xor_b32 s5, s64, s65
	s_add_i32 s6, s63, 1
	s_sub_i32 s7, s4, s58
	s_cmp_ge_u32 s4, s58
	s_mul_i32 s0, s0, s42
	s_cselect_b32 s6, s6, s63
	s_cselect_b32 s4, s7, s4
	s_add_i32 s7, s6, 1
	s_cmp_ge_u32 s4, s58
	v_mov_b32_e32 v2, 0
	s_cselect_b32 s4, s7, s6
	s_mul_i32 s7, s43, s33
	s_xor_b32 s4, s4, s5
	s_mul_i32 s6, s39, s35
	s_sub_i32 s4, s4, s5
	s_sub_i32 s6, s29, s6
	s_mul_i32 s5, s4, s30
	s_mul_i32 s4, s4, s40
	s_sub_i32 s5, s46, s5
	s_xor_b32 s8, s61, s62
	s_mul_i32 s5, s5, s41
	ds_load_b32 v0, v2 offset:4108
	s_add_i32 s0, s5, s0
	s_sub_i32 s5, s60, s7
	s_add_i32 s4, s0, s4
	s_add_i32 s0, s43, 1
	s_sub_i32 s7, s5, s33
	s_cmp_ge_u32 s5, s33
	s_mul_i32 s6, s6, s38
	s_cselect_b32 s0, s0, s43
	s_cselect_b32 s5, s7, s5
	s_add_i32 s7, s0, 1
	s_cmp_ge_u32 s5, s33
	s_cselect_b32 s0, s7, s0
	s_delay_alu instid0(SALU_CYCLE_1) | instskip(NEXT) | instid1(SALU_CYCLE_1)
	s_xor_b32 s0, s0, s8
	s_sub_i32 s0, s0, s8
	s_delay_alu instid0(SALU_CYCLE_1)
	s_mul_i32 s5, s0, s34
	s_mul_i32 s0, s0, s36
	s_sub_i32 s7, s39, s5
	s_ashr_i32 s5, s4, 31
	s_mul_i32 s7, s7, s37
	s_lshl_b64 s[4:5], s[4:5], 3
	s_add_i32 s6, s7, s6
	s_waitcnt lgkmcnt(0)
	v_ashrrev_i32_e32 v1, 31, v0
	s_add_i32 s6, s6, s0
	s_add_u32 s4, s50, s4
	s_addc_u32 s5, s51, s5
	s_ashr_i32 s7, s6, 31
	s_delay_alu instid0(SALU_CYCLE_1) | instskip(NEXT) | instid1(SALU_CYCLE_1)
	s_lshl_b64 s[6:7], s[6:7], 3
	s_add_u32 s6, s48, s6
	s_addc_u32 s7, s49, s7
	s_clause 0x1
	global_store_b64 v2, v[0:1], s[6:7]
	global_store_b64 v2, v[5:6], s[4:5]
.LBB42_260:
	s_or_b32 exec_lo, exec_lo, s1
.LBB42_261:
	s_or_saveexec_b32 s0, s3
	s_mov_b32 s1, 0
	s_xor_b32 exec_lo, exec_lo, s0
	s_cbranch_execnz .LBB42_269
.LBB42_262:
	s_or_b32 exec_lo, exec_lo, s0
	s_delay_alu instid0(SALU_CYCLE_1)
	s_and_b32 s1, s1, exec_lo
.LBB42_263:
	s_and_not1_saveexec_b32 s0, s2
	s_cbranch_execnz .LBB42_267
; %bb.264:
	s_or_b32 exec_lo, exec_lo, s0
	s_and_saveexec_b32 s0, s1
.LBB42_265:
	; divergent unreachable
.LBB42_266:
	s_nop 0
	s_sendmsg sendmsg(MSG_DEALLOC_VGPRS)
	s_endpgm
.LBB42_267:
	s_cbranch_execnz .LBB42_271
; %bb.268:
	s_or_b32 s1, s1, exec_lo
	s_or_b32 exec_lo, exec_lo, s0
	s_and_saveexec_b32 s0, s1
	s_cbranch_execnz .LBB42_265
	s_branch .LBB42_266
.LBB42_269:
	s_cbranch_execnz .LBB42_273
; %bb.270:
	s_mov_b32 s1, exec_lo
	s_branch .LBB42_262
.LBB42_271:
	s_trap 2
	s_sendmsg_rtn_b32 s0, sendmsg(MSG_RTN_GET_DOORBELL)
	s_mov_b32 ttmp2, m0
	s_waitcnt lgkmcnt(0)
	s_and_b32 s0, s0, 0x3ff
	s_delay_alu instid0(SALU_CYCLE_1) | instskip(NEXT) | instid1(SALU_CYCLE_1)
	s_bitset1_b32 s0, 10
	s_mov_b32 m0, s0
	s_sendmsg sendmsg(MSG_INTERRUPT)
	s_mov_b32 m0, ttmp2
.LBB42_272:                             ; =>This Inner Loop Header: Depth=1
	s_sethalt 5
	s_branch .LBB42_272
.LBB42_273:
	s_trap 2
	s_sendmsg_rtn_b32 s0, sendmsg(MSG_RTN_GET_DOORBELL)
	s_mov_b32 ttmp2, m0
	s_waitcnt lgkmcnt(0)
	s_and_b32 s0, s0, 0x3ff
	s_delay_alu instid0(SALU_CYCLE_1) | instskip(NEXT) | instid1(SALU_CYCLE_1)
	s_bitset1_b32 s0, 10
	s_mov_b32 m0, s0
	s_sendmsg sendmsg(MSG_INTERRUPT)
	s_mov_b32 m0, ttmp2
.LBB42_274:                             ; =>This Inner Loop Header: Depth=1
	s_sethalt 5
	s_branch .LBB42_274
	.section	.rodata,"a",@progbits
	.p2align	6, 0x0
	.amdhsa_kernel _ZN2at6native12_GLOBAL__N_114gatherKthValueIdiLi3EEEvNS_4cuda6detail10TensorInfoIKT_T0_EES8_S8_S8_S8_NS5_IS6_S8_EENS5_IlS8_EE
		.amdhsa_group_segment_fixed_size 4112
		.amdhsa_private_segment_fixed_size 0
		.amdhsa_kernarg_size 920
		.amdhsa_user_sgpr_count 13
		.amdhsa_user_sgpr_dispatch_ptr 0
		.amdhsa_user_sgpr_queue_ptr 0
		.amdhsa_user_sgpr_kernarg_segment_ptr 1
		.amdhsa_user_sgpr_dispatch_id 0
		.amdhsa_user_sgpr_private_segment_size 0
		.amdhsa_wavefront_size32 1
		.amdhsa_uses_dynamic_stack 0
		.amdhsa_enable_private_segment 0
		.amdhsa_system_sgpr_workgroup_id_x 1
		.amdhsa_system_sgpr_workgroup_id_y 1
		.amdhsa_system_sgpr_workgroup_id_z 1
		.amdhsa_system_sgpr_workgroup_info 0
		.amdhsa_system_vgpr_workitem_id 0
		.amdhsa_next_free_vgpr 50
		.amdhsa_next_free_sgpr 104
		.amdhsa_reserve_vcc 1
		.amdhsa_float_round_mode_32 0
		.amdhsa_float_round_mode_16_64 0
		.amdhsa_float_denorm_mode_32 3
		.amdhsa_float_denorm_mode_16_64 3
		.amdhsa_dx10_clamp 1
		.amdhsa_ieee_mode 1
		.amdhsa_fp16_overflow 0
		.amdhsa_workgroup_processor_mode 1
		.amdhsa_memory_ordered 1
		.amdhsa_forward_progress 0
		.amdhsa_shared_vgpr_count 0
		.amdhsa_exception_fp_ieee_invalid_op 0
		.amdhsa_exception_fp_denorm_src 0
		.amdhsa_exception_fp_ieee_div_zero 0
		.amdhsa_exception_fp_ieee_overflow 0
		.amdhsa_exception_fp_ieee_underflow 0
		.amdhsa_exception_fp_ieee_inexact 0
		.amdhsa_exception_int_div_zero 0
	.end_amdhsa_kernel
	.section	.text._ZN2at6native12_GLOBAL__N_114gatherKthValueIdiLi3EEEvNS_4cuda6detail10TensorInfoIKT_T0_EES8_S8_S8_S8_NS5_IS6_S8_EENS5_IlS8_EE,"axG",@progbits,_ZN2at6native12_GLOBAL__N_114gatherKthValueIdiLi3EEEvNS_4cuda6detail10TensorInfoIKT_T0_EES8_S8_S8_S8_NS5_IS6_S8_EENS5_IlS8_EE,comdat
.Lfunc_end42:
	.size	_ZN2at6native12_GLOBAL__N_114gatherKthValueIdiLi3EEEvNS_4cuda6detail10TensorInfoIKT_T0_EES8_S8_S8_S8_NS5_IS6_S8_EENS5_IlS8_EE, .Lfunc_end42-_ZN2at6native12_GLOBAL__N_114gatherKthValueIdiLi3EEEvNS_4cuda6detail10TensorInfoIKT_T0_EES8_S8_S8_S8_NS5_IS6_S8_EENS5_IlS8_EE
                                        ; -- End function
	.section	.AMDGPU.csdata,"",@progbits
; Kernel info:
; codeLenInByte = 11424
; NumSgprs: 106
; NumVgprs: 50
; ScratchSize: 0
; MemoryBound: 0
; FloatMode: 240
; IeeeMode: 1
; LDSByteSize: 4112 bytes/workgroup (compile time only)
; SGPRBlocks: 13
; VGPRBlocks: 6
; NumSGPRsForWavesPerEU: 106
; NumVGPRsForWavesPerEU: 50
; Occupancy: 16
; WaveLimiterHint : 1
; COMPUTE_PGM_RSRC2:SCRATCH_EN: 0
; COMPUTE_PGM_RSRC2:USER_SGPR: 13
; COMPUTE_PGM_RSRC2:TRAP_HANDLER: 0
; COMPUTE_PGM_RSRC2:TGID_X_EN: 1
; COMPUTE_PGM_RSRC2:TGID_Y_EN: 1
; COMPUTE_PGM_RSRC2:TGID_Z_EN: 1
; COMPUTE_PGM_RSRC2:TIDIG_COMP_CNT: 0
	.section	.text._ZN2at6native12_GLOBAL__N_114gatherKthValueIdiLin1EEEvNS_4cuda6detail10TensorInfoIKT_T0_EES8_S8_S8_S8_NS5_IS6_S8_EENS5_IlS8_EE,"axG",@progbits,_ZN2at6native12_GLOBAL__N_114gatherKthValueIdiLin1EEEvNS_4cuda6detail10TensorInfoIKT_T0_EES8_S8_S8_S8_NS5_IS6_S8_EENS5_IlS8_EE,comdat
	.globl	_ZN2at6native12_GLOBAL__N_114gatherKthValueIdiLin1EEEvNS_4cuda6detail10TensorInfoIKT_T0_EES8_S8_S8_S8_NS5_IS6_S8_EENS5_IlS8_EE ; -- Begin function _ZN2at6native12_GLOBAL__N_114gatherKthValueIdiLin1EEEvNS_4cuda6detail10TensorInfoIKT_T0_EES8_S8_S8_S8_NS5_IS6_S8_EENS5_IlS8_EE
	.p2align	8
	.type	_ZN2at6native12_GLOBAL__N_114gatherKthValueIdiLin1EEEvNS_4cuda6detail10TensorInfoIKT_T0_EES8_S8_S8_S8_NS5_IS6_S8_EENS5_IlS8_EE,@function
_ZN2at6native12_GLOBAL__N_114gatherKthValueIdiLin1EEEvNS_4cuda6detail10TensorInfoIKT_T0_EES8_S8_S8_S8_NS5_IS6_S8_EENS5_IlS8_EE: ; @_ZN2at6native12_GLOBAL__N_114gatherKthValueIdiLin1EEEvNS_4cuda6detail10TensorInfoIKT_T0_EES8_S8_S8_S8_NS5_IS6_S8_EENS5_IlS8_EE
; %bb.0:
	s_clause 0x1
	s_load_b64 s[6:7], s[0:1], 0x298
	s_load_b128 s[36:39], s[0:1], 0xd8
	s_add_u32 s4, s0, 0x298
	s_addc_u32 s5, s1, 0
	s_waitcnt lgkmcnt(0)
	s_mul_i32 s2, s7, s15
	s_delay_alu instid0(SALU_CYCLE_1) | instskip(NEXT) | instid1(SALU_CYCLE_1)
	s_add_i32 s2, s2, s14
	s_mul_i32 s2, s2, s6
	s_delay_alu instid0(SALU_CYCLE_1) | instskip(NEXT) | instid1(SALU_CYCLE_1)
	s_add_i32 s33, s2, s13
	s_cmp_ge_i32 s33, s38
	s_cbranch_scc1 .LBB43_275
; %bb.1:
	s_load_b32 s8, s[0:1], 0xd0
	s_mov_b32 s3, 0
	s_mov_b32 s7, s33
	s_waitcnt lgkmcnt(0)
	s_cmp_lt_i32 s8, 2
	s_cbranch_scc1 .LBB43_4
; %bb.2:
	s_add_i32 s2, s8, -1
	s_delay_alu instid0(SALU_CYCLE_1)
	s_lshl_b64 s[10:11], s[2:3], 2
	s_add_i32 s2, s8, 1
	s_add_u32 s7, s10, s0
	s_addc_u32 s9, s11, s1
	s_add_u32 s8, s7, 8
	s_addc_u32 s9, s9, 0
	s_mov_b32 s7, s33
	s_set_inst_prefetch_distance 0x1
	.p2align	6
.LBB43_3:                               ; =>This Inner Loop Header: Depth=1
	s_clause 0x1
	s_load_b32 s10, s[8:9], 0x0
	s_load_b32 s11, s[8:9], 0x64
	s_mov_b32 s16, s7
	s_waitcnt lgkmcnt(0)
	s_abs_i32 s12, s10
	s_delay_alu instid0(SALU_CYCLE_1)
	v_cvt_f32_u32_e32 v1, s12
	s_sub_i32 s15, 0, s12
	s_waitcnt_depctr 0xfff
	v_rcp_iflag_f32_e32 v1, v1
	s_waitcnt_depctr 0xfff
	v_mul_f32_e32 v1, 0x4f7ffffe, v1
	s_delay_alu instid0(VALU_DEP_1) | instskip(NEXT) | instid1(VALU_DEP_1)
	v_cvt_u32_f32_e32 v1, v1
	v_readfirstlane_b32 s14, v1
	s_delay_alu instid0(VALU_DEP_1) | instskip(NEXT) | instid1(SALU_CYCLE_1)
	s_mul_i32 s15, s15, s14
	s_mul_hi_u32 s7, s14, s15
	s_abs_i32 s15, s16
	s_add_i32 s14, s14, s7
	s_delay_alu instid0(SALU_CYCLE_1)
	s_mul_hi_u32 s7, s15, s14
	s_xor_b32 s14, s16, s10
	s_mul_i32 s17, s7, s12
	s_ashr_i32 s14, s14, 31
	s_sub_i32 s15, s15, s17
	s_add_i32 s17, s7, 1
	s_sub_i32 s18, s15, s12
	s_cmp_ge_u32 s15, s12
	s_cselect_b32 s7, s17, s7
	s_cselect_b32 s15, s18, s15
	s_add_i32 s17, s7, 1
	s_cmp_ge_u32 s15, s12
	s_cselect_b32 s7, s17, s7
	s_add_i32 s2, s2, -1
	s_xor_b32 s7, s7, s14
	s_delay_alu instid0(SALU_CYCLE_1) | instskip(NEXT) | instid1(SALU_CYCLE_1)
	s_sub_i32 s7, s7, s14
	s_mul_i32 s10, s7, s10
	s_delay_alu instid0(SALU_CYCLE_1) | instskip(NEXT) | instid1(SALU_CYCLE_1)
	s_sub_i32 s10, s16, s10
	s_mul_i32 s10, s11, s10
	s_delay_alu instid0(SALU_CYCLE_1)
	s_add_i32 s3, s10, s3
	s_add_u32 s8, s8, -4
	s_addc_u32 s9, s9, -1
	s_cmp_gt_u32 s2, 2
	s_cbranch_scc1 .LBB43_3
.LBB43_4:
	s_set_inst_prefetch_distance 0x2
	s_load_b32 s2, s[0:1], 0x1b8
	s_add_u32 s8, s0, 0xe8
	s_addc_u32 s9, s1, 0
	s_mov_b32 s29, 0
	s_mov_b32 s38, s33
	s_waitcnt lgkmcnt(0)
	s_cmp_lt_i32 s2, 2
	s_cbranch_scc1 .LBB43_7
; %bb.5:
	s_add_i32 s28, s2, -1
	s_add_i32 s2, s2, 1
	s_lshl_b64 s[10:11], s[28:29], 2
	s_mov_b32 s38, s33
	s_add_u32 s10, s10, s8
	s_addc_u32 s11, s11, s9
	s_add_u32 s10, s10, 8
	s_addc_u32 s11, s11, 0
	s_set_inst_prefetch_distance 0x1
	.p2align	6
.LBB43_6:                               ; =>This Inner Loop Header: Depth=1
	s_clause 0x1
	s_load_b32 s12, s[10:11], 0x0
	s_load_b32 s14, s[10:11], 0x64
	s_abs_i32 s19, s38
	s_mov_b32 s18, s38
	s_waitcnt lgkmcnt(0)
	s_abs_i32 s15, s12
	s_delay_alu instid0(SALU_CYCLE_1)
	v_cvt_f32_u32_e32 v1, s15
	s_sub_i32 s17, 0, s15
	s_waitcnt_depctr 0xfff
	v_rcp_iflag_f32_e32 v1, v1
	s_waitcnt_depctr 0xfff
	v_mul_f32_e32 v1, 0x4f7ffffe, v1
	s_delay_alu instid0(VALU_DEP_1) | instskip(NEXT) | instid1(VALU_DEP_1)
	v_cvt_u32_f32_e32 v1, v1
	v_readfirstlane_b32 s16, v1
	s_delay_alu instid0(VALU_DEP_1) | instskip(NEXT) | instid1(SALU_CYCLE_1)
	s_mul_i32 s17, s17, s16
	s_mul_hi_u32 s17, s16, s17
	s_delay_alu instid0(SALU_CYCLE_1) | instskip(SKIP_4) | instid1(SALU_CYCLE_1)
	s_add_i32 s16, s16, s17
	s_xor_b32 s17, s38, s12
	s_mul_hi_u32 s16, s19, s16
	s_ashr_i32 s17, s17, 31
	s_mul_i32 s20, s16, s15
	s_sub_i32 s19, s19, s20
	s_add_i32 s20, s16, 1
	s_sub_i32 s21, s19, s15
	s_cmp_ge_u32 s19, s15
	s_cselect_b32 s16, s20, s16
	s_cselect_b32 s19, s21, s19
	s_add_i32 s20, s16, 1
	s_cmp_ge_u32 s19, s15
	s_cselect_b32 s15, s20, s16
	s_add_i32 s2, s2, -1
	s_xor_b32 s15, s15, s17
	s_delay_alu instid0(SALU_CYCLE_1) | instskip(NEXT) | instid1(SALU_CYCLE_1)
	s_sub_i32 s38, s15, s17
	s_mul_i32 s12, s38, s12
	s_delay_alu instid0(SALU_CYCLE_1) | instskip(NEXT) | instid1(SALU_CYCLE_1)
	s_sub_i32 s12, s18, s12
	s_mul_i32 s12, s14, s12
	s_delay_alu instid0(SALU_CYCLE_1)
	s_add_i32 s29, s12, s29
	s_add_u32 s10, s10, -4
	s_addc_u32 s11, s11, -1
	s_cmp_gt_u32 s2, 2
	s_cbranch_scc1 .LBB43_6
.LBB43_7:
	s_set_inst_prefetch_distance 0x2
	s_clause 0x1
	s_load_b32 s12, s[0:1], 0x6c
	s_load_b32 s2, s[0:1], 0x290
	s_add_u32 s10, s0, 0x1c0
	s_addc_u32 s11, s1, 0
	s_mov_b32 s31, 0
	s_waitcnt lgkmcnt(0)
	s_cmp_lt_i32 s2, 2
	s_cbranch_scc1 .LBB43_10
; %bb.8:
	s_add_i32 s30, s2, -1
	s_add_i32 s2, s2, 1
	s_lshl_b64 s[14:15], s[30:31], 2
	s_delay_alu instid0(SALU_CYCLE_1)
	s_add_u32 s10, s14, s10
	s_addc_u32 s11, s15, s11
	s_add_u32 s10, s10, 8
	s_addc_u32 s11, s11, 0
	s_set_inst_prefetch_distance 0x1
	.p2align	6
.LBB43_9:                               ; =>This Inner Loop Header: Depth=1
	s_clause 0x1
	s_load_b32 s14, s[10:11], 0x0
	s_load_b32 s15, s[10:11], 0x64
	s_abs_i32 s20, s33
	s_mov_b32 s19, s33
	s_waitcnt lgkmcnt(0)
	s_abs_i32 s16, s14
	s_delay_alu instid0(SALU_CYCLE_1)
	v_cvt_f32_u32_e32 v1, s16
	s_sub_i32 s18, 0, s16
	s_waitcnt_depctr 0xfff
	v_rcp_iflag_f32_e32 v1, v1
	s_waitcnt_depctr 0xfff
	v_mul_f32_e32 v1, 0x4f7ffffe, v1
	s_delay_alu instid0(VALU_DEP_1) | instskip(NEXT) | instid1(VALU_DEP_1)
	v_cvt_u32_f32_e32 v1, v1
	v_readfirstlane_b32 s17, v1
	s_delay_alu instid0(VALU_DEP_1) | instskip(NEXT) | instid1(SALU_CYCLE_1)
	s_mul_i32 s18, s18, s17
	s_mul_hi_u32 s18, s17, s18
	s_delay_alu instid0(SALU_CYCLE_1) | instskip(SKIP_4) | instid1(SALU_CYCLE_1)
	s_add_i32 s17, s17, s18
	s_xor_b32 s18, s33, s14
	s_mul_hi_u32 s17, s20, s17
	s_ashr_i32 s18, s18, 31
	s_mul_i32 s21, s17, s16
	s_sub_i32 s20, s20, s21
	s_add_i32 s21, s17, 1
	s_sub_i32 s22, s20, s16
	s_cmp_ge_u32 s20, s16
	s_cselect_b32 s17, s21, s17
	s_cselect_b32 s20, s22, s20
	s_add_i32 s21, s17, 1
	s_cmp_ge_u32 s20, s16
	s_cselect_b32 s16, s21, s17
	s_add_i32 s2, s2, -1
	s_xor_b32 s16, s16, s18
	s_delay_alu instid0(SALU_CYCLE_1) | instskip(NEXT) | instid1(SALU_CYCLE_1)
	s_sub_i32 s33, s16, s18
	s_mul_i32 s14, s33, s14
	s_delay_alu instid0(SALU_CYCLE_1) | instskip(NEXT) | instid1(SALU_CYCLE_1)
	s_sub_i32 s14, s19, s14
	s_mul_i32 s14, s15, s14
	s_delay_alu instid0(SALU_CYCLE_1)
	s_add_i32 s31, s14, s31
	s_add_u32 s10, s10, -4
	s_addc_u32 s11, s11, -1
	s_cmp_gt_u32 s2, 2
	s_cbranch_scc1 .LBB43_9
.LBB43_10:
	s_set_inst_prefetch_distance 0x2
	s_clause 0x3
	s_load_b32 s30, s[8:9], 0x6c
	s_load_b64 s[8:9], s[0:1], 0x0
	s_load_b64 s[40:41], s[0:1], 0xe8
	;; [unrolled: 1-line block ×3, first 2 shown]
	v_cmp_eq_u32_e64 s2, 0, v0
	s_mov_b32 s52, 0
	s_delay_alu instid0(VALU_DEP_1)
	s_and_saveexec_b32 s10, s2
	s_cbranch_execz .LBB43_12
; %bb.11:
	v_dual_mov_b32 v1, 0 :: v_dual_mov_b32 v2, s36
	s_delay_alu instid0(VALU_DEP_1)
	v_mov_b32_e32 v3, v1
	ds_store_b96 v1, v[1:3] offset:4096
.LBB43_12:
	s_or_b32 exec_lo, exec_lo, s10
	s_waitcnt lgkmcnt(0)
	s_barrier
	buffer_gl0_inv
	s_load_b32 s14, s[4:5], 0xc
	s_load_b32 s48, s[0:1], 0x22c
	s_mul_i32 s0, s12, s7
	v_mbcnt_lo_u32_b32 v23, -1, 0
	s_add_i32 s0, s0, s3
	v_cmp_gt_u32_e32 vcc_lo, 32, v0
	s_ashr_i32 s1, s0, 31
	v_mov_b32_e32 v13, 0
	s_lshl_b64 s[10:11], s[0:1], 3
	v_cmp_gt_i32_e64 s1, 4, v23
	s_add_u32 s49, s8, s10
	s_addc_u32 s50, s9, s11
	v_mul_lo_u32 v11, v0, s39
	v_dual_mov_b32 v12, v13 :: v_dual_lshlrev_b32 v25, 3, v0
	s_and_b32 s54, vcc_lo, s1
	v_lshrrev_b32_e32 v3, 3, v0
	s_mov_b32 s10, s39
	v_cmp_gt_u32_e64 s0, 2, v0
	v_cmp_gt_u32_e64 s1, s36, v0
	s_waitcnt lgkmcnt(0)
	s_and_b32 s51, s14, 0xffff
	s_bfe_u32 s3, s14, 0xb0005
	s_lshl_b32 s53, s51, 2
	s_add_i32 s56, s51, -1
	v_cvt_f32_u32_e32 v1, s53
	s_add_i32 s66, s56, s36
	s_cmpk_gt_i32 s36, 0x180
	v_cvt_f32_u32_e32 v2, s51
	s_cselect_b32 s57, -1, 0
	v_rcp_iflag_f32_e32 v1, v1
	s_cmp_gt_u32 s51, 31
	v_lshlrev_b32_e32 v24, 2, v0
	s_cselect_b32 s58, -1, 0
	s_cmp_lt_u32 s13, s6
	v_rcp_iflag_f32_e32 v2, v2
	s_cselect_b32 s6, 12, 18
	v_lshlrev_b64 v[4:5], 3, v[11:12]
	s_add_u32 s42, s4, s6
	s_addc_u32 s43, s5, 0
	s_waitcnt_depctr 0xfff
	v_mul_f32_e32 v1, 0x4f7ffffe, v1
	s_add_i32 s4, s3, -1
	s_bfe_u32 s59, s51, 0x30005
	s_cmp_gt_u32 s4, 6
	v_add_co_u32 v14, vcc_lo, s49, v4
	v_cvt_u32_f32_e32 v1, v1
	s_cselect_b32 s60, -1, 0
	s_and_b32 s61, s3, 0x7f8
	s_cmp_lg_u32 s59, 0
	v_lshlrev_b32_e32 v32, 2, v11
	v_readfirstlane_b32 s4, v1
	s_cselect_b32 s62, -1, 0
	s_sub_i32 s3, 0, s53
	v_mul_f32_e32 v1, 0x4f7ffffe, v2
	v_and_b32_e32 v28, 0x7c, v3
	s_mul_i32 s5, s3, s4
	v_add_co_ci_u32_e32 v15, vcc_lo, s50, v5, vcc_lo
	v_mov_b32_e32 v5, 0
	s_mul_hi_u32 s5, s4, s5
	v_cvt_u32_f32_e32 v1, v1
	s_add_i32 s63, s4, s5
	v_mad_u64_u32 v[18:19], null, s39, v24, s[10:11]
	s_mul_hi_u32 s5, s36, s63
	v_cmp_gt_i32_e64 s3, s36, v0
	s_mul_i32 s5, s5, s53
	v_cmp_eq_u32_e64 s4, 0, v23
	s_sub_i32 s5, s36, s5
	v_add_nc_u32_e32 v26, 0xc00, v25
	s_sub_i32 s6, s5, s53
	s_cmp_ge_u32 s5, s53
	v_lshlrev_b32_e32 v34, 5, v0
	s_cselect_b32 s5, s6, s5
	v_readfirstlane_b32 s6, v1
	s_sub_i32 s7, s5, s53
	s_cmp_ge_u32 s5, s53
	v_lshlrev_b64 v[1:2], v23, -1
	s_cselect_b32 s9, s7, s5
	v_mov_b32_e32 v6, 0
	s_sub_i32 s64, s36, s9
	s_sub_i32 s5, 0, s51
	v_add_nc_u32_e32 v27, s64, v0
	s_mul_i32 s5, s5, s6
	s_abs_i32 s7, s66
	s_mul_hi_u32 s5, s6, s5
	v_not_b32_e32 v29, v1
	v_mul_lo_u32 v2, v27, s39
	s_add_i32 s65, s6, s5
	v_lshl_or_b32 v35, v23, 2, 0xc00
	s_mul_hi_u32 s5, s7, s65
	s_mul_i32 s55, s39, s51
	s_mul_i32 s5, s5, s51
	s_mov_b64 s[44:45], 0
	s_sub_i32 s5, s7, s5
	v_ashrrev_i32_e32 v3, 31, v2
	s_ashr_i32 s7, s66, 31
	s_sub_i32 s6, s5, s51
	s_cmp_ge_u32 s5, s51
	s_mov_b32 s73, 62
	v_lshlrev_b64 v[1:2], 3, v[2:3]
	s_cselect_b32 s5, s6, s5
	v_or_b32_e32 v3, 3, v24
	s_sub_i32 s6, s5, s51
	s_cmp_ge_u32 s5, s51
	s_mov_b32 s76, 0
	v_add_co_u32 v16, vcc_lo, s49, v1
	v_add3_u32 v1, s51, s36, v0
	s_cselect_b32 s6, s6, s5
	v_add_co_ci_u32_e32 v17, vcc_lo, s50, v2, vcc_lo
	v_or_b32_e32 v2, 2, v24
	s_delay_alu instid0(VALU_DEP_3)
	v_subrev_nc_u32_e32 v1, s9, v1
	s_xor_b32 s8, s6, s7
	v_mul_lo_u32 v31, s39, v3
	s_sub_i32 s7, s7, s8
	v_mul_lo_u32 v30, s39, v2
	v_mul_lo_u32 v33, s39, v1
	s_add_i32 s66, s66, s7
	v_cmp_gt_i32_e64 s5, s64, v24
	v_cmp_gt_u32_e64 s6, s36, v27
	v_cmp_gt_i32_e64 s7, s36, v27
	v_cmp_gt_i32_e64 s8, s66, v0
	v_mov_b32_e32 v2, 0x3ff00000
	s_lshl_b32 s67, s55, 2
	s_lshl_b32 s68, s51, 5
	;; [unrolled: 1-line block ×3, first 2 shown]
	s_mov_b64 s[46:47], 0
                                        ; implicit-def: $sgpr70
                                        ; implicit-def: $sgpr72
                                        ; implicit-def: $sgpr71
                                        ; implicit-def: $sgpr75
                                        ; implicit-def: $sgpr77
                                        ; implicit-def: $sgpr74
	s_branch .LBB43_17
.LBB43_13:                              ;   in Loop: Header=BB43_17 Depth=1
	s_xor_b32 s76, s76, 1
	s_add_i32 s12, s73, -2
	s_cmp_eq_u32 s73, 0
	s_mov_b32 s9, 0
	s_cselect_b32 s11, -1, 0
	s_mov_b32 s73, s12
.LBB43_14:                              ;   in Loop: Header=BB43_17 Depth=1
	s_and_not1_b32 s12, s24, exec_lo
	s_and_b32 s9, s9, exec_lo
	s_and_not1_b32 s25, s25, exec_lo
	s_or_b32 s24, s12, s9
	s_and_not1_b32 s23, s23, exec_lo
	s_or_not1_b32 s20, s11, exec_lo
	s_mov_b32 s37, s28
.LBB43_15:                              ;   in Loop: Header=BB43_17 Depth=1
	s_or_b32 exec_lo, exec_lo, s10
	s_delay_alu instid0(SALU_CYCLE_1)
	s_and_not1_b32 s9, s74, exec_lo
	s_and_b32 s10, s24, exec_lo
	s_and_not1_b32 s11, s75, exec_lo
	s_or_b32 s74, s9, s10
	s_and_not1_b32 s9, s77, exec_lo
	s_and_b32 s10, s25, exec_lo
	s_and_b32 s12, s23, exec_lo
	s_or_b32 s77, s9, s10
	s_or_b32 s75, s11, s12
	s_or_not1_b32 s14, s20, exec_lo
.LBB43_16:                              ;   in Loop: Header=BB43_17 Depth=1
	s_or_b32 exec_lo, exec_lo, s19
	s_delay_alu instid0(SALU_CYCLE_1)
	s_and_b32 s9, exec_lo, s14
	v_dual_mov_b32 v3, s44 :: v_dual_mov_b32 v4, s45
	s_or_b32 s52, s9, s52
	s_and_not1_b32 s9, s71, exec_lo
	s_and_b32 s10, s74, exec_lo
	s_and_not1_b32 s11, s70, exec_lo
	s_or_b32 s71, s9, s10
	s_and_not1_b32 s9, s72, exec_lo
	s_and_b32 s10, s77, exec_lo
	s_and_b32 s12, s75, exec_lo
	s_or_b32 s72, s9, s10
	s_or_b32 s70, s11, s12
	s_and_not1_b32 exec_lo, exec_lo, s52
	s_cbranch_execz .LBB43_251
.LBB43_17:                              ; =>This Loop Header: Depth=1
                                        ;     Child Loop BB43_25 Depth 2
                                        ;     Child Loop BB43_44 Depth 2
	;; [unrolled: 1-line block ×16, first 2 shown]
	ds_load_b64 v[3:4], v13 offset:4096
	s_waitcnt lgkmcnt(0)
	v_readfirstlane_b32 s78, v3
	s_delay_alu instid0(VALU_DEP_1)
	s_cmp_gt_i32 s78, 0
	s_cbranch_scc1 .LBB43_51
; %bb.18:                               ;   in Loop: Header=BB43_17 Depth=1
	s_and_b32 vcc_lo, exec_lo, s57
	s_cbranch_vccz .LBB43_33
; %bb.19:                               ;   in Loop: Header=BB43_17 Depth=1
	v_cmp_gt_i32_e32 vcc_lo, 0x181, v4
	s_mov_b32 s10, 0
	s_mov_b32 s9, 0
	s_cbranch_vccz .LBB43_38
; %bb.20:                               ;   in Loop: Header=BB43_17 Depth=1
	v_mov_b32_e32 v3, 0
	v_mov_b32_e32 v4, 0
	s_and_saveexec_b32 s9, s1
	s_cbranch_execz .LBB43_22
; %bb.21:                               ;   in Loop: Header=BB43_17 Depth=1
	global_load_b64 v[3:4], v[14:15], off
.LBB43_22:                              ;   in Loop: Header=BB43_17 Depth=1
	s_or_b32 exec_lo, exec_lo, s9
	s_and_saveexec_b32 s11, s1
	s_cbranch_execz .LBB43_34
; %bb.23:                               ;   in Loop: Header=BB43_17 Depth=1
	global_load_u16 v1, v13, s[42:43]
	v_mov_b32_e32 v10, v0
	s_mov_b32 s12, 0
	s_waitcnt vmcnt(0)
	v_add_nc_u32_e32 v7, v0, v1
	v_mul_lo_u32 v9, s39, v1
	s_delay_alu instid0(VALU_DEP_2)
	v_mul_lo_u32 v12, s39, v7
	s_branch .LBB43_25
.LBB43_24:                              ;   in Loop: Header=BB43_25 Depth=2
	s_or_b32 exec_lo, exec_lo, s9
	v_cmp_le_i32_e32 vcc_lo, s36, v10
	s_waitcnt vmcnt(0)
	v_dual_mov_b32 v3, v7 :: v_dual_add_nc_u32 v12, v12, v9
	v_mov_b32_e32 v4, v8
	s_or_b32 s12, vcc_lo, s12
	s_delay_alu instid0(SALU_CYCLE_1)
	s_and_not1_b32 exec_lo, exec_lo, s12
	s_cbranch_execz .LBB43_34
.LBB43_25:                              ;   Parent Loop BB43_17 Depth=1
                                        ; =>  This Inner Loop Header: Depth=2
	v_dual_mov_b32 v7, 0 :: v_dual_add_nc_u32 v10, v10, v1
	v_mov_b32_e32 v8, 0
	s_mov_b32 s9, exec_lo
	s_delay_alu instid0(VALU_DEP_2)
	v_cmpx_gt_u32_e64 s36, v10
	s_cbranch_execz .LBB43_27
; %bb.26:                               ;   in Loop: Header=BB43_25 Depth=2
	s_delay_alu instid0(VALU_DEP_4) | instskip(NEXT) | instid1(VALU_DEP_1)
	v_lshlrev_b64 v[7:8], 3, v[12:13]
	v_add_co_u32 v7, vcc_lo, s49, v7
	s_delay_alu instid0(VALU_DEP_2)
	v_add_co_ci_u32_e32 v8, vcc_lo, s50, v8, vcc_lo
	global_load_b64 v[7:8], v[7:8], off
.LBB43_27:                              ;   in Loop: Header=BB43_25 Depth=2
	s_or_b32 exec_lo, exec_lo, s9
	v_cmp_o_f64_e32 vcc_lo, v[3:4], v[3:4]
	s_waitcnt lgkmcnt(0)
	v_ashrrev_i32_e32 v19, 31, v4
	s_delay_alu instid0(VALU_DEP_1) | instskip(SKIP_1) | instid1(VALU_DEP_2)
	v_or_b32_e32 v20, 0x80000000, v19
	v_xor_b32_e32 v19, v19, v3
	v_xor_b32_e32 v20, v20, v4
	s_delay_alu instid0(VALU_DEP_1) | instskip(NEXT) | instid1(VALU_DEP_1)
	v_dual_cndmask_b32 v20, -1, v20 :: v_dual_cndmask_b32 v19, -1, v19
	v_and_b32_e32 v20, s47, v20
	s_delay_alu instid0(VALU_DEP_2) | instskip(NEXT) | instid1(VALU_DEP_1)
	v_and_b32_e32 v19, s46, v19
	v_cmp_eq_u64_e32 vcc_lo, s[44:45], v[19:20]
	v_mov_b32_e32 v19, 0
	s_cmp_lg_u32 vcc_lo, 0
	s_cselect_b32 s9, -1, 0
	s_delay_alu instid0(SALU_CYCLE_1) | instskip(NEXT) | instid1(SALU_CYCLE_1)
	s_and_b32 s9, s4, s9
	s_and_saveexec_b32 s13, s9
	s_cbranch_execz .LBB43_31
; %bb.28:                               ;   in Loop: Header=BB43_25 Depth=2
	s_mov_b32 s16, exec_lo
	s_bcnt1_i32_b32 s14, vcc_lo
	v_mbcnt_lo_u32_b32 v19, s16, 0
	s_mov_b32 s15, exec_lo
                                        ; implicit-def: $vgpr20
	s_delay_alu instid0(VALU_DEP_1)
	v_cmpx_eq_u32_e32 0, v19
	s_cbranch_execz .LBB43_30
; %bb.29:                               ;   in Loop: Header=BB43_25 Depth=2
	s_bcnt1_i32_b32 s9, s16
	s_delay_alu instid0(SALU_CYCLE_1) | instskip(NEXT) | instid1(SALU_CYCLE_1)
	s_mul_i32 s9, s14, s9
	v_mov_b32_e32 v20, s9
	ds_add_rtn_u32 v20, v13, v20 offset:4104
.LBB43_30:                              ;   in Loop: Header=BB43_25 Depth=2
	s_or_b32 exec_lo, exec_lo, s15
	s_waitcnt lgkmcnt(0)
	v_readfirstlane_b32 s9, v20
	s_delay_alu instid0(VALU_DEP_1)
	v_mad_u32_u24 v19, s14, v19, s9
.LBB43_31:                              ;   in Loop: Header=BB43_25 Depth=2
	s_or_b32 exec_lo, exec_lo, s13
	ds_bpermute_b32 v19, v13, v19
	s_and_saveexec_b32 s9, vcc_lo
	s_cbranch_execz .LBB43_24
; %bb.32:                               ;   in Loop: Header=BB43_25 Depth=2
	v_and_b32_e32 v20, vcc_lo, v29
	s_delay_alu instid0(VALU_DEP_1) | instskip(NEXT) | instid1(VALU_DEP_1)
	v_bcnt_u32_b32 v20, v20, 0
	v_lshlrev_b32_e32 v20, 3, v20
	s_waitcnt lgkmcnt(0)
	s_delay_alu instid0(VALU_DEP_1)
	v_lshl_add_u32 v19, v19, 3, v20
	ds_store_b64 v19, v[3:4]
	s_branch .LBB43_24
.LBB43_33:                              ;   in Loop: Header=BB43_17 Depth=1
	s_mov_b32 s10, -1
	s_mov_b32 s9, 0
	s_branch .LBB43_37
.LBB43_34:                              ;   in Loop: Header=BB43_17 Depth=1
	s_or_b32 exec_lo, exec_lo, s11
	s_waitcnt vmcnt(0) lgkmcnt(0)
	s_barrier
	buffer_gl0_inv
	s_and_saveexec_b32 s9, s2
	s_cbranch_execz .LBB43_36
; %bb.35:                               ;   in Loop: Header=BB43_17 Depth=1
	ds_load_b32 v1, v13 offset:4104
	s_waitcnt lgkmcnt(0)
	ds_store_b32 v13, v1 offset:4096
.LBB43_36:                              ;   in Loop: Header=BB43_17 Depth=1
	s_or_b32 exec_lo, exec_lo, s9
	s_waitcnt lgkmcnt(0)
	s_mov_b32 s9, -1
	s_barrier
.LBB43_37:                              ;   in Loop: Header=BB43_17 Depth=1
                                        ; implicit-def: $sgpr78
.LBB43_38:                              ;   in Loop: Header=BB43_17 Depth=1
	s_and_b32 vcc_lo, exec_lo, s10
	s_cbranch_vccz .LBB43_49
; %bb.39:                               ;   in Loop: Header=BB43_17 Depth=1
	v_mov_b32_e32 v3, 0
	v_mov_b32_e32 v4, 0
	s_and_saveexec_b32 s9, s1
	s_cbranch_execz .LBB43_41
; %bb.40:                               ;   in Loop: Header=BB43_17 Depth=1
	global_load_b64 v[3:4], v[14:15], off
.LBB43_41:                              ;   in Loop: Header=BB43_17 Depth=1
	s_or_b32 exec_lo, exec_lo, s9
	s_and_saveexec_b32 s9, s3
	s_cbranch_execz .LBB43_46
; %bb.42:                               ;   in Loop: Header=BB43_17 Depth=1
	global_load_u16 v1, v13, s[42:43]
	v_mov_b32_e32 v20, v0
	s_mov_b32 s10, 0
	v_mov_b32_e32 v19, v25
	s_waitcnt vmcnt(0)
	v_add_nc_u32_e32 v7, v0, v1
	v_mul_lo_u32 v9, s39, v1
	v_lshlrev_b32_e32 v10, 3, v1
	s_delay_alu instid0(VALU_DEP_3)
	v_mul_lo_u32 v12, s39, v7
	s_set_inst_prefetch_distance 0x1
	s_branch .LBB43_44
	.p2align	6
.LBB43_43:                              ;   in Loop: Header=BB43_44 Depth=2
	s_or_b32 exec_lo, exec_lo, s11
	v_cmp_le_i32_e32 vcc_lo, s36, v20
	ds_store_b64 v19, v[3:4]
	s_waitcnt vmcnt(0)
	v_dual_mov_b32 v3, v7 :: v_dual_add_nc_u32 v12, v12, v9
	v_dual_mov_b32 v4, v8 :: v_dual_add_nc_u32 v19, v19, v10
	s_or_b32 s10, vcc_lo, s10
	s_delay_alu instid0(SALU_CYCLE_1)
	s_and_not1_b32 exec_lo, exec_lo, s10
	s_cbranch_execz .LBB43_46
.LBB43_44:                              ;   Parent Loop BB43_17 Depth=1
                                        ; =>  This Inner Loop Header: Depth=2
	v_dual_mov_b32 v7, 0 :: v_dual_add_nc_u32 v20, v20, v1
	v_mov_b32_e32 v8, 0
	s_mov_b32 s11, exec_lo
	s_delay_alu instid0(VALU_DEP_2)
	v_cmpx_gt_u32_e64 s36, v20
	s_cbranch_execz .LBB43_43
; %bb.45:                               ;   in Loop: Header=BB43_44 Depth=2
	v_lshlrev_b64 v[7:8], 3, v[12:13]
	s_delay_alu instid0(VALU_DEP_1) | instskip(NEXT) | instid1(VALU_DEP_2)
	v_add_co_u32 v7, vcc_lo, s49, v7
	v_add_co_ci_u32_e32 v8, vcc_lo, s50, v8, vcc_lo
	global_load_b64 v[7:8], v[7:8], off
	s_branch .LBB43_43
.LBB43_46:                              ;   in Loop: Header=BB43_17 Depth=1
	s_set_inst_prefetch_distance 0x2
	s_or_b32 exec_lo, exec_lo, s9
	s_waitcnt vmcnt(0) lgkmcnt(0)
	s_barrier
	buffer_gl0_inv
	s_and_saveexec_b32 s9, s2
	s_cbranch_execz .LBB43_48
; %bb.47:                               ;   in Loop: Header=BB43_17 Depth=1
	v_mov_b32_e32 v1, s36
	ds_store_b32 v13, v1 offset:4096
.LBB43_48:                              ;   in Loop: Header=BB43_17 Depth=1
	s_or_b32 exec_lo, exec_lo, s9
	s_mov_b32 s9, -1
	s_waitcnt lgkmcnt(0)
	s_barrier
                                        ; implicit-def: $sgpr78
.LBB43_49:                              ;   in Loop: Header=BB43_17 Depth=1
	s_and_b32 vcc_lo, exec_lo, s9
	s_cbranch_vccz .LBB43_51
; %bb.50:                               ;   in Loop: Header=BB43_17 Depth=1
	buffer_gl0_inv
	ds_load_b32 v1, v13 offset:4096
	s_waitcnt lgkmcnt(0)
	v_readfirstlane_b32 s78, v1
.LBB43_51:                              ;   in Loop: Header=BB43_17 Depth=1
	s_delay_alu instid0(VALU_DEP_1)
	s_cmp_lt_i32 s78, 1
	s_cbranch_scc0 .LBB43_63
; %bb.52:                               ;   in Loop: Header=BB43_17 Depth=1
	v_dual_mov_b32 v7, 0 :: v_dual_mov_b32 v8, 0
	v_dual_mov_b32 v9, 0 :: v_dual_mov_b32 v10, 0
	s_mov_b32 s80, 0
	s_and_saveexec_b32 s79, s5
	s_cbranch_execz .LBB43_56
; %bb.53:                               ;   in Loop: Header=BB43_17 Depth=1
	v_mov_b32_e32 v1, v24
	s_and_b32 s81, s73, 0xfe
	s_mov_b32 s82, 0
	s_mov_b32 s83, 0
	;; [unrolled: 1-line block ×5, first 2 shown]
.LBB43_54:                              ;   Parent Loop BB43_17 Depth=1
                                        ; =>  This Inner Loop Header: Depth=2
	v_add_nc_u32_e32 v3, s82, v32
	v_add_nc_u32_e32 v7, s82, v18
	v_add_nc_u32_e32 v9, s82, v30
	v_add_nc_u32_e32 v19, s82, v31
	v_add_nc_u32_e32 v1, s53, v1
	v_ashrrev_i32_e32 v4, 31, v3
	v_ashrrev_i32_e32 v8, 31, v7
	;; [unrolled: 1-line block ×4, first 2 shown]
	s_add_i32 s82, s82, s67
	v_lshlrev_b64 v[3:4], 3, v[3:4]
	v_lshlrev_b64 v[7:8], 3, v[7:8]
	;; [unrolled: 1-line block ×4, first 2 shown]
	s_delay_alu instid0(VALU_DEP_4)
	v_add_co_u32 v3, vcc_lo, s49, v3
	v_add_co_ci_u32_e32 v4, vcc_lo, s50, v4, vcc_lo
	v_add_co_u32 v7, vcc_lo, s49, v7
	v_add_co_ci_u32_e32 v8, vcc_lo, s50, v8, vcc_lo
	;; [unrolled: 2-line block ×4, first 2 shown]
	s_clause 0x3
	global_load_b64 v[3:4], v[3:4], off
	global_load_b64 v[7:8], v[7:8], off
	;; [unrolled: 1-line block ×4, first 2 shown]
	v_cmp_le_i32_e32 vcc_lo, s64, v1
	s_waitcnt vmcnt(3)
	v_cmp_o_f64_e64 s10, v[3:4], v[3:4]
	s_waitcnt vmcnt(2)
	v_cmp_o_f64_e64 s9, v[7:8], v[7:8]
	;; [unrolled: 2-line block ×4, first 2 shown]
	v_ashrrev_i32_e32 v12, 31, v4
	v_ashrrev_i32_e32 v38, 31, v20
	;; [unrolled: 1-line block ×4, first 2 shown]
	s_delay_alu instid0(VALU_DEP_4) | instskip(NEXT) | instid1(VALU_DEP_4)
	v_or_b32_e32 v40, 0x80000000, v12
	v_or_b32_e32 v43, 0x80000000, v38
	s_delay_alu instid0(VALU_DEP_4) | instskip(NEXT) | instid1(VALU_DEP_4)
	v_or_b32_e32 v41, 0x80000000, v22
	v_or_b32_e32 v42, 0x80000000, v36
	v_xor_b32_e32 v12, v12, v3
	v_xor_b32_e32 v40, v40, v4
	;; [unrolled: 1-line block ×8, first 2 shown]
	v_cndmask_b32_e64 v4, -1, v40, s10
	v_cndmask_b32_e64 v8, -1, v41, s9
	;; [unrolled: 1-line block ×7, first 2 shown]
	v_mov_b32_e32 v21, v13
	v_and_b32_e32 v41, s47, v4
	v_and_b32_e32 v40, s46, v3
	v_lshrrev_b64 v[3:4], s81, v[3:4]
	v_cndmask_b32_e64 v19, -1, v38, s12
	v_dual_mov_b32 v37, v13 :: v_dual_and_b32 v42, s46, v7
	v_and_b32_e32 v43, s47, v8
	v_lshrrev_b64 v[7:8], s81, v[7:8]
	v_dual_mov_b32 v39, v13 :: v_dual_and_b32 v44, s46, v9
	v_lshrrev_b64 v[8:9], s81, v[9:10]
	v_and_b32_e32 v45, s47, v10
	v_lshrrev_b64 v[9:10], s81, v[19:20]
	v_and_b32_e32 v12, 3, v3
	v_and_b32_e32 v47, s47, v20
	v_and_b32_e32 v20, 3, v7
	v_and_b32_e32 v36, 3, v8
	v_cmp_eq_u64_e64 s9, s[44:45], v[40:41]
	v_cmp_eq_u64_e64 s13, 0, v[12:13]
	v_and_b32_e32 v46, s46, v19
	v_and_b32_e32 v38, 3, v9
	v_cmp_eq_u64_e64 s10, s[44:45], v[42:43]
	v_cmp_eq_u64_e64 s14, 0, v[20:21]
	;; [unrolled: 1-line block ×6, first 2 shown]
	s_and_b32 s13, s9, s13
	v_cmp_eq_u64_e64 s17, 1, v[12:13]
	v_cndmask_b32_e64 v3, 0, 1, s13
	s_and_b32 s13, s10, s14
	v_cmp_eq_u64_e64 s18, 1, v[20:21]
	v_cndmask_b32_e64 v4, 0, 1, s13
	;; [unrolled: 3-line block ×4, first 2 shown]
	s_and_b32 s13, s9, s17
	v_cmp_eq_u64_e64 s21, 2, v[12:13]
	v_cmp_eq_u64_e64 s25, 3, v[12:13]
	v_cndmask_b32_e64 v9, 0, 1, s13
	s_and_b32 s13, s10, s18
	v_cmp_eq_u64_e64 s22, 2, v[20:21]
	v_cmp_eq_u64_e64 s26, 3, v[20:21]
	v_cndmask_b32_e64 v10, 0, 1, s13
	;; [unrolled: 4-line block ×4, first 2 shown]
	s_and_b32 s13, s9, s21
	s_and_b32 s9, s9, s25
	v_cndmask_b32_e64 v20, 0, 1, s13
	s_and_b32 s13, s10, s22
	v_cndmask_b32_e64 v37, 0, 1, s9
	;; [unrolled: 2-line block ×7, first 2 shown]
	v_cndmask_b32_e64 v40, 0, 1, s9
	v_cmp_ne_u32_e64 s9, 0, v3
	v_cmp_ne_u32_e64 s13, 0, v9
	;; [unrolled: 1-line block ×12, first 2 shown]
	s_bcnt1_i32_b32 s9, s9
	s_bcnt1_i32_b32 s13, s13
	;; [unrolled: 1-line block ×4, first 2 shown]
	v_cmp_ne_u32_e64 s12, 0, v8
	v_cmp_ne_u32_e64 s16, 0, v19
	;; [unrolled: 1-line block ×4, first 2 shown]
	s_bcnt1_i32_b32 s10, s10
	s_bcnt1_i32_b32 s14, s14
	s_bcnt1_i32_b32 s18, s18
	s_bcnt1_i32_b32 s22, s22
	s_add_i32 s9, s9, s86
	s_add_i32 s13, s13, s85
	s_add_i32 s17, s17, s84
	s_add_i32 s21, s21, s83
	s_bcnt1_i32_b32 s11, s11
	s_bcnt1_i32_b32 s15, s15
	s_bcnt1_i32_b32 s19, s19
	s_bcnt1_i32_b32 s23, s23
	s_add_i32 s9, s9, s10
	s_add_i32 s10, s13, s14
	s_add_i32 s13, s17, s18
	s_add_i32 s14, s21, s22
	;; [unrolled: 8-line block ×3, first 2 shown]
	s_add_i32 s86, s9, s12
	s_add_i32 s85, s10, s16
	v_mov_b32_e32 v7, s86
	s_add_i32 s84, s11, s20
	s_add_i32 s83, s13, s24
	v_dual_mov_b32 v8, s85 :: v_dual_mov_b32 v9, s84
	v_mov_b32_e32 v10, s83
	s_or_b32 s80, vcc_lo, s80
	s_delay_alu instid0(SALU_CYCLE_1)
	s_and_not1_b32 exec_lo, exec_lo, s80
	s_cbranch_execnz .LBB43_54
; %bb.55:                               ;   in Loop: Header=BB43_17 Depth=1
	s_or_b32 exec_lo, exec_lo, s80
.LBB43_56:                              ;   in Loop: Header=BB43_17 Depth=1
	s_delay_alu instid0(SALU_CYCLE_1)
	s_or_b32 exec_lo, exec_lo, s79
	v_mov_b32_e32 v21, 0
	v_mov_b32_e32 v22, 0
	s_and_saveexec_b32 s9, s6
	s_cbranch_execz .LBB43_58
; %bb.57:                               ;   in Loop: Header=BB43_17 Depth=1
	global_load_b64 v[21:22], v[16:17], off
.LBB43_58:                              ;   in Loop: Header=BB43_17 Depth=1
	s_or_b32 exec_lo, exec_lo, s9
	s_and_saveexec_b32 s13, s7
	s_cbranch_execz .LBB43_65
; %bb.59:                               ;   in Loop: Header=BB43_17 Depth=1
	v_mov_b32_e32 v3, v33
	v_mov_b32_e32 v1, v27
	s_and_b32 s15, s73, 0xfe
	s_mov_b32 s14, 0
	s_branch .LBB43_61
.LBB43_60:                              ;   in Loop: Header=BB43_61 Depth=2
	s_or_b32 exec_lo, exec_lo, s9
	s_waitcnt vmcnt(0)
	v_cmp_o_f64_e32 vcc_lo, v[21:22], v[21:22]
	v_ashrrev_i32_e32 v4, 31, v22
	v_add_nc_u32_e32 v3, s55, v3
	s_delay_alu instid0(VALU_DEP_2) | instskip(SKIP_1) | instid1(VALU_DEP_2)
	v_or_b32_e32 v12, 0x80000000, v4
	v_xor_b32_e32 v4, v4, v21
	v_xor_b32_e32 v12, v12, v22
	s_delay_alu instid0(VALU_DEP_2) | instskip(NEXT) | instid1(VALU_DEP_2)
	v_cndmask_b32_e32 v21, -1, v4, vcc_lo
	v_cndmask_b32_e32 v22, -1, v12, vcc_lo
	s_delay_alu instid0(VALU_DEP_1) | instskip(SKIP_2) | instid1(VALU_DEP_3)
	v_lshrrev_b64 v[36:37], s15, v[21:22]
	v_and_b32_e32 v21, s46, v21
	v_and_b32_e32 v22, s47, v22
	;; [unrolled: 1-line block ×3, first 2 shown]
	s_delay_alu instid0(VALU_DEP_2) | instskip(NEXT) | instid1(VALU_DEP_2)
	v_cmp_eq_u64_e32 vcc_lo, s[44:45], v[21:22]
	v_cmp_eq_u64_e64 s9, 0, v[12:13]
	v_cmp_eq_u64_e64 s10, 1, v[12:13]
	v_cmp_eq_u64_e64 s11, 2, v[12:13]
	v_cmp_eq_u64_e64 s12, 3, v[12:13]
	s_delay_alu instid0(VALU_DEP_4) | instskip(NEXT) | instid1(SALU_CYCLE_1)
	s_and_b32 s9, vcc_lo, s9
	v_cndmask_b32_e64 v4, 0, 1, s9
	s_delay_alu instid0(VALU_DEP_4) | instskip(NEXT) | instid1(SALU_CYCLE_1)
	s_and_b32 s9, vcc_lo, s10
	v_cndmask_b32_e64 v12, 0, 1, s9
	s_and_b32 s9, vcc_lo, s11
	s_delay_alu instid0(SALU_CYCLE_1)
	v_cndmask_b32_e64 v21, 0, 1, s9
	s_and_b32 s9, vcc_lo, s12
	v_cmp_ne_u32_e32 vcc_lo, 0, v4
	v_cndmask_b32_e64 v22, 0, 1, s9
	v_cmp_ne_u32_e64 s9, 0, v12
	v_cmp_ne_u32_e64 s10, 0, v21
	v_cmp_le_i32_e64 s12, s36, v1
	s_bcnt1_i32_b32 s16, vcc_lo
	v_cmp_ne_u32_e64 s11, 0, v22
	s_bcnt1_i32_b32 s9, s9
	s_bcnt1_i32_b32 s10, s10
	v_dual_mov_b32 v22, v20 :: v_dual_mov_b32 v21, v19
	s_delay_alu instid0(VALU_DEP_2)
	s_bcnt1_i32_b32 s11, s11
	v_add_nc_u32_e32 v7, s16, v7
	v_add_nc_u32_e32 v8, s9, v8
	;; [unrolled: 1-line block ×4, first 2 shown]
	s_or_b32 s14, s12, s14
	s_delay_alu instid0(SALU_CYCLE_1)
	s_and_not1_b32 exec_lo, exec_lo, s14
	s_cbranch_execz .LBB43_64
.LBB43_61:                              ;   Parent Loop BB43_17 Depth=1
                                        ; =>  This Inner Loop Header: Depth=2
	v_mov_b32_e32 v19, 0
	v_dual_mov_b32 v20, 0 :: v_dual_add_nc_u32 v1, s51, v1
	s_mov_b32 s9, exec_lo
	s_delay_alu instid0(VALU_DEP_1)
	v_cmpx_gt_u32_e64 s36, v1
	s_cbranch_execz .LBB43_60
; %bb.62:                               ;   in Loop: Header=BB43_61 Depth=2
	v_ashrrev_i32_e32 v4, 31, v3
	s_delay_alu instid0(VALU_DEP_1) | instskip(NEXT) | instid1(VALU_DEP_1)
	v_lshlrev_b64 v[19:20], 3, v[3:4]
	v_add_co_u32 v19, vcc_lo, s49, v19
	s_delay_alu instid0(VALU_DEP_2)
	v_add_co_ci_u32_e32 v20, vcc_lo, s50, v20, vcc_lo
	global_load_b64 v[19:20], v[19:20], off
	s_branch .LBB43_60
.LBB43_63:                              ;   in Loop: Header=BB43_17 Depth=1
                                        ; implicit-def: $vgpr10
	s_cbranch_execnz .LBB43_66
	s_branch .LBB43_75
.LBB43_64:                              ;   in Loop: Header=BB43_17 Depth=1
	s_or_b32 exec_lo, exec_lo, s14
.LBB43_65:                              ;   in Loop: Header=BB43_17 Depth=1
	s_delay_alu instid0(SALU_CYCLE_1)
	s_or_b32 exec_lo, exec_lo, s13
	s_branch .LBB43_75
.LBB43_66:                              ;   in Loop: Header=BB43_17 Depth=1
	s_mul_hi_u32 s9, s78, s63
	v_dual_mov_b32 v7, 0 :: v_dual_mov_b32 v8, 0
	s_mul_i32 s9, s9, s53
	v_dual_mov_b32 v9, 0 :: v_dual_mov_b32 v10, 0
	s_sub_i32 s9, s78, s9
	s_mov_b32 s81, 0
	s_sub_i32 s10, s9, s53
	s_cmp_ge_u32 s9, s53
	s_mov_b32 s80, exec_lo
	s_cselect_b32 s9, s10, s9
	s_delay_alu instid0(SALU_CYCLE_1) | instskip(SKIP_2) | instid1(SALU_CYCLE_1)
	s_sub_i32 s10, s9, s53
	s_cmp_ge_u32 s9, s53
	s_cselect_b32 s9, s10, s9
	s_sub_i32 s79, s78, s9
	s_delay_alu instid0(SALU_CYCLE_1)
	v_cmpx_gt_u32_e64 s79, v24
	s_cbranch_execz .LBB43_70
; %bb.67:                               ;   in Loop: Header=BB43_17 Depth=1
	v_mov_b32_e32 v1, v34
	v_mov_b32_e32 v3, v24
	s_and_b32 s82, s73, 0xfe
	s_mov_b32 s83, 0
	s_mov_b32 s84, 0
	;; [unrolled: 1-line block ×4, first 2 shown]
.LBB43_68:                              ;   Parent Loop BB43_17 Depth=1
                                        ; =>  This Inner Loop Header: Depth=2
	ds_load_b128 v[7:10], v1
	s_waitcnt vmcnt(0)
	ds_load_b128 v[19:22], v1 offset:16
	s_waitcnt lgkmcnt(1)
	v_cmp_o_f64_e64 s10, v[7:8], v[7:8]
	s_waitcnt lgkmcnt(0)
	v_cmp_o_f64_e64 s12, v[21:22], v[21:22]
	v_cmp_o_f64_e64 s9, v[9:10], v[9:10]
	;; [unrolled: 1-line block ×3, first 2 shown]
	v_ashrrev_i32_e32 v4, 31, v8
	v_ashrrev_i32_e32 v38, 31, v22
	;; [unrolled: 1-line block ×4, first 2 shown]
	s_delay_alu instid0(VALU_DEP_4) | instskip(NEXT) | instid1(VALU_DEP_4)
	v_or_b32_e32 v40, 0x80000000, v4
	v_or_b32_e32 v44, 0x80000000, v38
	s_delay_alu instid0(VALU_DEP_4) | instskip(NEXT) | instid1(VALU_DEP_4)
	v_or_b32_e32 v42, 0x80000000, v12
	v_or_b32_e32 v43, 0x80000000, v36
	v_xor_b32_e32 v4, v4, v7
	v_xor_b32_e32 v40, v40, v8
	;; [unrolled: 1-line block ×8, first 2 shown]
	v_cndmask_b32_e64 v8, -1, v40, s10
	v_cndmask_b32_e64 v22, -1, v7, s12
	;; [unrolled: 1-line block ×7, first 2 shown]
	v_dual_mov_b32 v37, v13 :: v_dual_and_b32 v42, s46, v7
	v_and_b32_e32 v43, s47, v8
	v_lshrrev_b64 v[7:8], s82, v[7:8]
	v_cndmask_b32_e64 v21, -1, v38, s12
	v_dual_mov_b32 v39, v13 :: v_dual_and_b32 v44, s46, v9
	v_lshrrev_b64 v[8:9], s82, v[9:10]
	v_and_b32_e32 v45, s47, v10
	v_lshrrev_b64 v[9:10], s82, v[19:20]
	v_dual_mov_b32 v41, v13 :: v_dual_and_b32 v46, s46, v19
	v_and_b32_e32 v47, s47, v20
	v_lshrrev_b64 v[19:20], s82, v[21:22]
	v_and_b32_e32 v12, 3, v7
	v_and_b32_e32 v36, 3, v8
	;; [unrolled: 1-line block ×3, first 2 shown]
	v_cmp_eq_u64_e64 s9, s[44:45], v[42:43]
	v_and_b32_e32 v49, s47, v22
	v_cmp_eq_u64_e64 s13, 0, v[12:13]
	v_and_b32_e32 v48, s46, v21
	v_and_b32_e32 v40, 3, v19
	v_cmp_eq_u64_e64 s10, s[44:45], v[44:45]
	v_cmp_eq_u64_e64 s14, 0, v[36:37]
	;; [unrolled: 1-line block ×6, first 2 shown]
	s_and_b32 s13, s9, s13
	v_cmp_eq_u64_e64 s17, 1, v[12:13]
	v_cndmask_b32_e64 v4, 0, 1, s13
	s_and_b32 s13, s10, s14
	v_cmp_eq_u64_e64 s18, 1, v[36:37]
	v_cndmask_b32_e64 v7, 0, 1, s13
	s_and_b32 s13, s11, s15
	v_cmp_eq_u64_e64 s19, 1, v[38:39]
	v_cndmask_b32_e64 v8, 0, 1, s13
	s_and_b32 s13, s12, s16
	v_cmp_eq_u64_e64 s20, 1, v[40:41]
	v_cndmask_b32_e64 v9, 0, 1, s13
	s_and_b32 s13, s9, s17
	v_cmp_eq_u64_e64 s21, 2, v[12:13]
	v_cmp_eq_u64_e64 s25, 3, v[12:13]
	v_cndmask_b32_e64 v10, 0, 1, s13
	s_and_b32 s13, s10, s18
	v_cmp_eq_u64_e64 s22, 2, v[36:37]
	v_cmp_eq_u64_e64 s26, 3, v[36:37]
	v_cndmask_b32_e64 v12, 0, 1, s13
	;; [unrolled: 4-line block ×4, first 2 shown]
	s_and_b32 s13, s9, s21
	s_and_b32 s9, s9, s25
	v_cndmask_b32_e64 v21, 0, 1, s13
	s_and_b32 s13, s10, s22
	v_cndmask_b32_e64 v38, 0, 1, s9
	s_and_b32 s9, s10, s26
	v_cndmask_b32_e64 v22, 0, 1, s13
	s_and_b32 s13, s11, s23
	v_cndmask_b32_e64 v39, 0, 1, s9
	s_and_b32 s9, s11, s27
	v_cndmask_b32_e64 v36, 0, 1, s13
	s_and_b32 s13, s12, s24
	v_cndmask_b32_e64 v40, 0, 1, s9
	s_and_b32 s9, s12, s28
	v_cndmask_b32_e64 v37, 0, 1, s13
	v_cndmask_b32_e64 v41, 0, 1, s9
	v_cmp_ne_u32_e64 s9, 0, v4
	v_cmp_ne_u32_e64 s13, 0, v10
	v_cmp_ne_u32_e64 s10, 0, v7
	v_cmp_ne_u32_e64 s14, 0, v12
	v_cmp_ne_u32_e64 s15, 0, v19
	v_cmp_ne_u32_e64 s17, 0, v21
	v_cmp_ne_u32_e64 s21, 0, v38
	s_bcnt1_i32_b32 s9, s9
	s_bcnt1_i32_b32 s13, s13
	v_cmp_ne_u32_e64 s16, 0, v20
	v_cmp_ne_u32_e64 s18, 0, v22
	;; [unrolled: 1-line block ×3, first 2 shown]
	s_bcnt1_i32_b32 s10, s10
	s_bcnt1_i32_b32 s14, s14
	s_add_i32 s9, s9, s86
	s_add_i32 s13, s13, s85
	v_cmp_ne_u32_e64 s11, 0, v8
	v_cmp_ne_u32_e64 s19, 0, v36
	;; [unrolled: 1-line block ×3, first 2 shown]
	s_bcnt1_i32_b32 s15, s15
	s_add_i32 s9, s9, s10
	s_add_i32 s10, s13, s14
	s_bcnt1_i32_b32 s17, s17
	s_bcnt1_i32_b32 s21, s21
	v_cmp_ne_u32_e64 s12, 0, v9
	v_cmp_ne_u32_e64 s20, 0, v37
	;; [unrolled: 1-line block ×3, first 2 shown]
	s_bcnt1_i32_b32 s16, s16
	s_add_i32 s10, s10, s15
	s_bcnt1_i32_b32 s18, s18
	s_bcnt1_i32_b32 s22, s22
	s_add_i32 s17, s17, s84
	s_add_i32 s21, s21, s83
	;; [unrolled: 1-line block ×3, first 2 shown]
	s_delay_alu instid0(SALU_CYCLE_1)
	v_dual_mov_b32 v8, s85 :: v_dual_add_nc_u32 v3, s53, v3
	s_bcnt1_i32_b32 s11, s11
	s_bcnt1_i32_b32 s19, s19
	;; [unrolled: 1-line block ×3, first 2 shown]
	s_add_i32 s13, s17, s18
	s_add_i32 s14, s21, s22
	s_bcnt1_i32_b32 s12, s12
	s_bcnt1_i32_b32 s20, s20
	;; [unrolled: 1-line block ×3, first 2 shown]
	s_add_i32 s9, s9, s11
	s_add_i32 s11, s13, s19
	;; [unrolled: 1-line block ×3, first 2 shown]
	v_cmp_le_i32_e32 vcc_lo, s79, v3
	s_add_i32 s86, s9, s12
	s_add_i32 s84, s11, s20
	;; [unrolled: 1-line block ×3, first 2 shown]
	s_delay_alu instid0(SALU_CYCLE_1) | instskip(SKIP_3) | instid1(SALU_CYCLE_1)
	v_dual_mov_b32 v10, s83 :: v_dual_add_nc_u32 v1, s68, v1
	v_mov_b32_e32 v7, s86
	v_mov_b32_e32 v9, s84
	s_or_b32 s81, vcc_lo, s81
	s_and_not1_b32 exec_lo, exec_lo, s81
	s_cbranch_execnz .LBB43_68
; %bb.69:                               ;   in Loop: Header=BB43_17 Depth=1
	s_or_b32 exec_lo, exec_lo, s81
.LBB43_70:                              ;   in Loop: Header=BB43_17 Depth=1
	s_delay_alu instid0(SALU_CYCLE_1) | instskip(SKIP_2) | instid1(VALU_DEP_1)
	s_or_b32 exec_lo, exec_lo, s80
	v_add_nc_u32_e32 v1, s79, v0
	s_mov_b32 s14, exec_lo
	v_cmpx_gt_i32_e64 s78, v1
	s_cbranch_execz .LBB43_74
; %bb.71:                               ;   in Loop: Header=BB43_17 Depth=1
	v_lshlrev_b32_e32 v3, 3, v1
	s_and_b32 s16, s73, 0xfe
	s_mov_b32 s15, 0
.LBB43_72:                              ;   Parent Loop BB43_17 Depth=1
                                        ; =>  This Inner Loop Header: Depth=2
	ds_load_b64 v[19:20], v3
	v_add_nc_u32_e32 v3, s69, v3
	s_waitcnt lgkmcnt(0)
	v_cmp_o_f64_e32 vcc_lo, v[19:20], v[19:20]
	v_ashrrev_i32_e32 v4, 31, v20
	s_delay_alu instid0(VALU_DEP_1) | instskip(SKIP_1) | instid1(VALU_DEP_2)
	v_or_b32_e32 v12, 0x80000000, v4
	v_xor_b32_e32 v4, v4, v19
	v_xor_b32_e32 v12, v12, v20
	s_delay_alu instid0(VALU_DEP_1) | instskip(NEXT) | instid1(VALU_DEP_3)
	v_dual_cndmask_b32 v20, -1, v12 :: v_dual_add_nc_u32 v1, s51, v1
	v_cndmask_b32_e32 v19, -1, v4, vcc_lo
	s_delay_alu instid0(VALU_DEP_2) | instskip(SKIP_1) | instid1(VALU_DEP_3)
	v_cmp_le_i32_e64 s9, s78, v1
	s_waitcnt vmcnt(0)
	v_and_b32_e32 v22, s47, v20
	s_delay_alu instid0(VALU_DEP_3) | instskip(SKIP_1) | instid1(VALU_DEP_2)
	v_and_b32_e32 v21, s46, v19
	v_lshrrev_b64 v[19:20], s16, v[19:20]
	v_cmp_eq_u64_e32 vcc_lo, s[44:45], v[21:22]
	s_delay_alu instid0(VALU_DEP_2) | instskip(NEXT) | instid1(VALU_DEP_1)
	v_and_b32_e32 v12, 3, v19
	v_cmp_eq_u64_e64 s10, 0, v[12:13]
	v_cmp_eq_u64_e64 s11, 1, v[12:13]
	;; [unrolled: 1-line block ×4, first 2 shown]
	s_delay_alu instid0(VALU_DEP_4) | instskip(NEXT) | instid1(SALU_CYCLE_1)
	s_and_b32 s10, vcc_lo, s10
	v_cndmask_b32_e64 v4, 0, 1, s10
	s_delay_alu instid0(VALU_DEP_4) | instskip(NEXT) | instid1(SALU_CYCLE_1)
	s_and_b32 s10, vcc_lo, s11
	v_cndmask_b32_e64 v12, 0, 1, s10
	s_and_b32 s10, vcc_lo, s12
	s_delay_alu instid0(SALU_CYCLE_1)
	v_cndmask_b32_e64 v19, 0, 1, s10
	s_and_b32 s10, vcc_lo, s13
	v_cmp_ne_u32_e32 vcc_lo, 0, v4
	v_cndmask_b32_e64 v20, 0, 1, s10
	v_cmp_ne_u32_e64 s10, 0, v12
	v_cmp_ne_u32_e64 s11, 0, v19
	s_bcnt1_i32_b32 s13, vcc_lo
	s_delay_alu instid0(VALU_DEP_3) | instskip(NEXT) | instid1(VALU_DEP_3)
	v_cmp_ne_u32_e64 s12, 0, v20
	s_bcnt1_i32_b32 s10, s10
	s_delay_alu instid0(VALU_DEP_2)
	s_bcnt1_i32_b32 s11, s11
	v_add_nc_u32_e32 v7, s13, v7
	v_add_nc_u32_e32 v8, s10, v8
	s_bcnt1_i32_b32 s12, s12
	v_add_nc_u32_e32 v9, s11, v9
	v_add_nc_u32_e32 v10, s12, v10
	s_or_b32 s15, s9, s15
	s_delay_alu instid0(SALU_CYCLE_1)
	s_and_not1_b32 exec_lo, exec_lo, s15
	s_cbranch_execnz .LBB43_72
; %bb.73:                               ;   in Loop: Header=BB43_17 Depth=1
	s_or_b32 exec_lo, exec_lo, s15
.LBB43_74:                              ;   in Loop: Header=BB43_17 Depth=1
	s_delay_alu instid0(SALU_CYCLE_1)
	s_or_b32 exec_lo, exec_lo, s14
.LBB43_75:                              ;   in Loop: Header=BB43_17 Depth=1
	s_lshl_b32 s9, s76, 7
	s_and_saveexec_b32 s10, s4
	s_cbranch_execz .LBB43_77
; %bb.76:                               ;   in Loop: Header=BB43_17 Depth=1
	v_or_b32_e32 v1, s9, v28
	s_delay_alu instid0(VALU_DEP_1)
	v_lshlrev_b32_e32 v1, 2, v1
	ds_store_b128 v1, v[7:10] offset:3072
.LBB43_77:                              ;   in Loop: Header=BB43_17 Depth=1
	s_or_b32 exec_lo, exec_lo, s10
	s_waitcnt vmcnt(0) lgkmcnt(0)
	s_barrier
	buffer_gl0_inv
	s_and_saveexec_b32 s10, s54
	s_cbranch_execz .LBB43_87
; %bb.78:                               ;   in Loop: Header=BB43_17 Depth=1
	v_mov_b32_e32 v1, 0
	s_and_not1_b32 vcc_lo, exec_lo, s58
	s_cbranch_vccnz .LBB43_86
; %bb.79:                               ;   in Loop: Header=BB43_17 Depth=1
	v_mov_b32_e32 v1, 0
	s_and_not1_b32 vcc_lo, exec_lo, s60
	s_mov_b32 s11, 0
	s_cbranch_vccnz .LBB43_83
; %bb.80:                               ;   in Loop: Header=BB43_17 Depth=1
	v_lshl_add_u32 v3, s76, 9, v35
	v_mov_b32_e32 v1, 0
	.p2align	6
.LBB43_81:                              ;   Parent Loop BB43_17 Depth=1
                                        ; =>  This Inner Loop Header: Depth=2
	ds_load_2addr_b32 v[7:8], v3 offset1:4
	ds_load_2addr_b32 v[9:10], v3 offset0:8 offset1:12
	ds_load_2addr_b32 v[19:20], v3 offset0:16 offset1:20
	ds_load_2addr_b32 v[21:22], v3 offset0:24 offset1:28
	v_add_nc_u32_e32 v3, 0x80, v3
	s_add_i32 s11, s11, 8
	s_delay_alu instid0(SALU_CYCLE_1) | instskip(SKIP_3) | instid1(VALU_DEP_1)
	s_cmp_eq_u32 s61, s11
	s_waitcnt lgkmcnt(3)
	v_add3_u32 v1, v7, v1, v8
	s_waitcnt lgkmcnt(2)
	v_add3_u32 v1, v9, v1, v10
	s_waitcnt lgkmcnt(1)
	s_delay_alu instid0(VALU_DEP_1) | instskip(SKIP_1) | instid1(VALU_DEP_1)
	v_add3_u32 v1, v19, v1, v20
	s_waitcnt lgkmcnt(0)
	v_add3_u32 v1, v21, v1, v22
	s_cbranch_scc0 .LBB43_81
; %bb.82:                               ;   in Loop: Header=BB43_17 Depth=1
	s_mov_b32 s11, s61
.LBB43_83:                              ;   in Loop: Header=BB43_17 Depth=1
	s_and_not1_b32 vcc_lo, exec_lo, s62
	s_cbranch_vccnz .LBB43_86
; %bb.84:                               ;   in Loop: Header=BB43_17 Depth=1
	s_lshl_b32 s12, s76, 9
	s_lshl_b32 s11, s11, 4
	s_delay_alu instid0(SALU_CYCLE_1)
	v_add3_u32 v3, s12, s11, v35
	s_mov_b32 s11, s59
.LBB43_85:                              ;   Parent Loop BB43_17 Depth=1
                                        ; =>  This Inner Loop Header: Depth=2
	ds_load_b32 v4, v3
	v_add_nc_u32_e32 v3, 16, v3
	s_add_i32 s11, s11, -1
	s_delay_alu instid0(SALU_CYCLE_1)
	s_cmp_lg_u32 s11, 0
	s_waitcnt lgkmcnt(0)
	v_add_nc_u32_e32 v1, v4, v1
	s_cbranch_scc1 .LBB43_85
.LBB43_86:                              ;   in Loop: Header=BB43_17 Depth=1
	v_add_lshl_u32 v3, s9, v23, 2
	ds_store_b32 v3, v1 offset:3072
.LBB43_87:                              ;   in Loop: Header=BB43_17 Depth=1
	s_or_b32 exec_lo, exec_lo, s10
	s_lshl_b32 s9, s9, 2
	s_waitcnt lgkmcnt(0)
	v_mov_b32_e32 v1, s9
	s_barrier
	buffer_gl0_inv
	s_and_b32 s22, s73, 0xfe
	s_delay_alu instid0(SALU_CYCLE_1)
	s_lshl_b64 s[10:11], 3, s22
	ds_load_b128 v[7:10], v1 offset:3072
	s_not_b64 s[12:13], s[10:11]
	s_waitcnt lgkmcnt(0)
	v_readfirstlane_b32 s20, v7
	v_readfirstlane_b32 s27, v8
	v_readfirstlane_b32 s21, v9
	v_readfirstlane_b32 s18, v10
	s_delay_alu instid0(VALU_DEP_4) | instskip(SKIP_3) | instid1(SALU_CYCLE_1)
	s_cmp_eq_u32 s20, 1
	s_cselect_b32 s9, -1, 0
	s_cmp_eq_u32 s37, 1
	s_cselect_b32 s14, -1, 0
	s_and_b32 s15, s9, s14
	s_mov_b32 s14, -1
	s_and_b32 vcc_lo, exec_lo, s15
	s_cbranch_vccz .LBB43_99
; %bb.88:                               ;   in Loop: Header=BB43_17 Depth=1
	ds_load_b32 v1, v13 offset:4096
	s_waitcnt lgkmcnt(0)
	s_barrier
	buffer_gl0_inv
	v_readfirstlane_b32 s16, v1
	s_and_saveexec_b32 s9, s0
	s_cbranch_execz .LBB43_90
; %bb.89:                               ;   in Loop: Header=BB43_17 Depth=1
	v_mov_b32_e32 v12, v13
	ds_store_b64 v26, v[12:13]
.LBB43_90:                              ;   in Loop: Header=BB43_17 Depth=1
	s_or_b32 exec_lo, exec_lo, s9
	s_and_b64 s[44:45], s[44:45], s[12:13]
	s_or_b64 s[46:47], s[46:47], s[10:11]
	s_cmp_lt_i32 s16, 1
	s_waitcnt lgkmcnt(0)
	s_barrier
	buffer_gl0_inv
	s_cbranch_scc0 .LBB43_100
; %bb.91:                               ;   in Loop: Header=BB43_17 Depth=1
	s_mov_b32 s9, 0
                                        ; implicit-def: $vgpr5_vgpr6
	s_and_saveexec_b32 s17, s8
	s_cbranch_execz .LBB43_102
; %bb.92:                               ;   in Loop: Header=BB43_17 Depth=1
	v_mov_b32_e32 v7, v11
	v_mov_b32_e32 v9, v0
	s_mov_b32 s23, 0
                                        ; implicit-def: $sgpr19
	s_branch .LBB43_94
.LBB43_93:                              ;   in Loop: Header=BB43_94 Depth=2
	s_or_b32 exec_lo, exec_lo, s9
	s_waitcnt vmcnt(0) lgkmcnt(0)
	s_barrier
	buffer_gl0_inv
	ds_load_b128 v[3:6], v13 offset:3072
	v_add_nc_u32_e32 v9, s51, v9
	v_add_nc_u32_e32 v7, s55, v7
	s_waitcnt lgkmcnt(0)
	s_barrier
	buffer_gl0_inv
	v_cmp_le_i32_e64 s9, s66, v9
	v_cmp_neq_f64_e32 vcc_lo, 0, v[3:4]
	s_delay_alu instid0(VALU_DEP_2) | instskip(NEXT) | instid1(SALU_CYCLE_1)
	s_or_b32 s9, s9, vcc_lo
	s_and_b32 s9, exec_lo, s9
	s_delay_alu instid0(SALU_CYCLE_1) | instskip(SKIP_2) | instid1(SALU_CYCLE_1)
	s_or_b32 s23, s9, s23
	s_and_not1_b32 s9, s19, exec_lo
	s_and_b32 s19, vcc_lo, exec_lo
	s_or_b32 s19, s9, s19
	s_and_not1_b32 exec_lo, exec_lo, s23
	s_cbranch_execz .LBB43_101
.LBB43_94:                              ;   Parent Loop BB43_17 Depth=1
                                        ; =>  This Inner Loop Header: Depth=2
	v_mov_b32_e32 v3, 0
	v_mov_b32_e32 v4, 0
	v_cmp_gt_i32_e32 vcc_lo, s36, v9
	s_and_saveexec_b32 s24, vcc_lo
	s_cbranch_execz .LBB43_96
; %bb.95:                               ;   in Loop: Header=BB43_94 Depth=2
	v_ashrrev_i32_e32 v8, 31, v7
	s_delay_alu instid0(VALU_DEP_1) | instskip(NEXT) | instid1(VALU_DEP_1)
	v_lshlrev_b64 v[3:4], 3, v[7:8]
	v_add_co_u32 v3, s9, s49, v3
	s_delay_alu instid0(VALU_DEP_1)
	v_add_co_ci_u32_e64 v4, s9, s50, v4, s9
	global_load_b64 v[3:4], v[3:4], off
.LBB43_96:                              ;   in Loop: Header=BB43_94 Depth=2
	s_or_b32 exec_lo, exec_lo, s24
	s_and_saveexec_b32 s9, vcc_lo
	s_cbranch_execz .LBB43_93
; %bb.97:                               ;   in Loop: Header=BB43_94 Depth=2
	s_waitcnt vmcnt(0)
	v_cmp_o_f64_e32 vcc_lo, v[3:4], v[3:4]
	v_ashrrev_i32_e32 v1, 31, v4
	s_delay_alu instid0(VALU_DEP_1) | instskip(SKIP_1) | instid1(VALU_DEP_2)
	v_or_b32_e32 v5, 0x80000000, v1
	v_xor_b32_e32 v1, v1, v3
	v_xor_b32_e32 v5, v5, v4
	s_delay_alu instid0(VALU_DEP_1) | instskip(NEXT) | instid1(VALU_DEP_3)
	v_cndmask_b32_e32 v5, -1, v5, vcc_lo
	v_cndmask_b32_e32 v1, -1, v1, vcc_lo
	s_delay_alu instid0(VALU_DEP_2) | instskip(NEXT) | instid1(VALU_DEP_2)
	v_and_b32_e32 v6, s47, v5
	v_and_b32_e32 v5, s46, v1
	s_delay_alu instid0(VALU_DEP_1)
	v_cmp_eq_u64_e32 vcc_lo, s[44:45], v[5:6]
	s_and_b32 exec_lo, exec_lo, vcc_lo
	s_cbranch_execz .LBB43_93
; %bb.98:                               ;   in Loop: Header=BB43_94 Depth=2
	v_mov_b32_e32 v1, v13
	ds_store_b128 v13, v[1:4] offset:3072
	s_branch .LBB43_93
.LBB43_99:                              ;   in Loop: Header=BB43_17 Depth=1
	s_mov_b32 s9, -1
                                        ; implicit-def: $sgpr17
                                        ; implicit-def: $sgpr23
                                        ; implicit-def: $sgpr19
	s_branch .LBB43_113
.LBB43_100:                             ;   in Loop: Header=BB43_17 Depth=1
	s_mov_b32 s17, -1
	s_mov_b32 s9, 0
                                        ; implicit-def: $sgpr19
                                        ; implicit-def: $vgpr5_vgpr6
	s_mov_b32 s23, s17
	s_cbranch_execnz .LBB43_103
	s_branch .LBB43_113
.LBB43_101:                             ;   in Loop: Header=BB43_17 Depth=1
	s_or_b32 exec_lo, exec_lo, s23
	s_delay_alu instid0(SALU_CYCLE_1)
	s_and_b32 s9, s19, exec_lo
.LBB43_102:                             ;   in Loop: Header=BB43_17 Depth=1
	s_or_b32 exec_lo, exec_lo, s17
	s_mov_b32 s19, -1
	s_mov_b32 s17, 0
	s_delay_alu instid0(SALU_CYCLE_1)
	s_mov_b32 s23, s17
	s_branch .LBB43_113
.LBB43_103:                             ;   in Loop: Header=BB43_17 Depth=1
	s_add_i32 s19, s16, s56
                                        ; implicit-def: $vgpr5_vgpr6
	s_delay_alu instid0(SALU_CYCLE_1) | instskip(NEXT) | instid1(SALU_CYCLE_1)
	s_abs_i32 s9, s19
	s_mul_hi_u32 s17, s9, s65
	s_delay_alu instid0(SALU_CYCLE_1) | instskip(NEXT) | instid1(SALU_CYCLE_1)
	s_mul_i32 s17, s17, s51
	s_sub_i32 s9, s9, s17
	s_ashr_i32 s17, s19, 31
	s_sub_i32 s23, s9, s51
	s_cmp_ge_u32 s9, s51
	s_cselect_b32 s9, s23, s9
	s_delay_alu instid0(SALU_CYCLE_1) | instskip(SKIP_2) | instid1(SALU_CYCLE_1)
	s_sub_i32 s23, s9, s51
	s_cmp_ge_u32 s9, s51
	s_cselect_b32 s9, s23, s9
	s_xor_b32 s9, s9, s17
	s_delay_alu instid0(SALU_CYCLE_1)
	s_sub_i32 s9, s17, s9
	s_mov_b32 s17, exec_lo
	s_add_i32 s19, s19, s9
	s_mov_b32 s9, 0
	v_cmpx_gt_i32_e64 s19, v0
	s_cbranch_execz .LBB43_112
; %bb.104:                              ;   in Loop: Header=BB43_17 Depth=1
	v_dual_mov_b32 v7, v25 :: v_dual_mov_b32 v8, v0
	s_mov_b32 s24, 0
                                        ; implicit-def: $sgpr23
	s_set_inst_prefetch_distance 0x1
	s_branch .LBB43_106
	.p2align	6
.LBB43_105:                             ;   in Loop: Header=BB43_106 Depth=2
	s_or_b32 exec_lo, exec_lo, s9
	s_waitcnt lgkmcnt(0)
	s_barrier
	buffer_gl0_inv
	ds_load_b128 v[3:6], v13 offset:3072
	v_add_nc_u32_e32 v8, s51, v8
	v_add_nc_u32_e32 v7, s69, v7
	s_waitcnt lgkmcnt(0)
	s_barrier
	buffer_gl0_inv
	v_cmp_le_i32_e64 s9, s19, v8
	v_cmp_neq_f64_e32 vcc_lo, 0, v[3:4]
	s_delay_alu instid0(VALU_DEP_2) | instskip(NEXT) | instid1(SALU_CYCLE_1)
	s_or_b32 s9, s9, vcc_lo
	s_and_b32 s9, exec_lo, s9
	s_delay_alu instid0(SALU_CYCLE_1) | instskip(SKIP_2) | instid1(SALU_CYCLE_1)
	s_or_b32 s24, s9, s24
	s_and_not1_b32 s9, s23, exec_lo
	s_and_b32 s23, vcc_lo, exec_lo
	s_or_b32 s23, s9, s23
	s_and_not1_b32 exec_lo, exec_lo, s24
	s_cbranch_execz .LBB43_111
.LBB43_106:                             ;   Parent Loop BB43_17 Depth=1
                                        ; =>  This Inner Loop Header: Depth=2
	v_mov_b32_e32 v3, 0
	v_mov_b32_e32 v4, 0
	v_cmp_gt_i32_e32 vcc_lo, s16, v8
	s_and_saveexec_b32 s9, vcc_lo
	s_cbranch_execz .LBB43_108
; %bb.107:                              ;   in Loop: Header=BB43_106 Depth=2
	ds_load_b64 v[3:4], v7
.LBB43_108:                             ;   in Loop: Header=BB43_106 Depth=2
	s_or_b32 exec_lo, exec_lo, s9
	s_and_saveexec_b32 s9, vcc_lo
	s_cbranch_execz .LBB43_105
; %bb.109:                              ;   in Loop: Header=BB43_106 Depth=2
	s_waitcnt lgkmcnt(0)
	v_cmp_o_f64_e32 vcc_lo, v[3:4], v[3:4]
	v_ashrrev_i32_e32 v1, 31, v4
	s_delay_alu instid0(VALU_DEP_1) | instskip(SKIP_1) | instid1(VALU_DEP_2)
	v_or_b32_e32 v5, 0x80000000, v1
	v_xor_b32_e32 v1, v1, v3
	v_xor_b32_e32 v5, v5, v4
	s_delay_alu instid0(VALU_DEP_1) | instskip(NEXT) | instid1(VALU_DEP_3)
	v_cndmask_b32_e32 v5, -1, v5, vcc_lo
	v_cndmask_b32_e32 v1, -1, v1, vcc_lo
	s_delay_alu instid0(VALU_DEP_2) | instskip(NEXT) | instid1(VALU_DEP_2)
	v_and_b32_e32 v6, s47, v5
	v_and_b32_e32 v5, s46, v1
	s_delay_alu instid0(VALU_DEP_1)
	v_cmp_eq_u64_e32 vcc_lo, s[44:45], v[5:6]
	s_and_b32 exec_lo, exec_lo, vcc_lo
	s_cbranch_execz .LBB43_105
; %bb.110:                              ;   in Loop: Header=BB43_106 Depth=2
	v_mov_b32_e32 v1, v13
	ds_store_b128 v13, v[1:4] offset:3072
	s_branch .LBB43_105
.LBB43_111:                             ;   in Loop: Header=BB43_17 Depth=1
	s_set_inst_prefetch_distance 0x2
	s_or_b32 exec_lo, exec_lo, s24
	s_delay_alu instid0(SALU_CYCLE_1)
	s_and_b32 s9, s23, exec_lo
.LBB43_112:                             ;   in Loop: Header=BB43_17 Depth=1
	s_or_b32 exec_lo, exec_lo, s17
	s_mov_b32 s23, -1
	s_mov_b32 s17, 0
	s_mov_b32 s19, 0
.LBB43_113:                             ;   in Loop: Header=BB43_17 Depth=1
	s_and_not1_b32 s16, s74, exec_lo
	s_and_b32 s17, s17, exec_lo
	s_and_b32 s19, s19, exec_lo
	s_or_b32 s74, s16, s17
	s_and_not1_b32 s16, s77, exec_lo
	s_and_b32 s17, s23, exec_lo
	s_and_not1_b32 s23, s75, exec_lo
	s_or_b32 s77, s16, s17
	s_or_b32 s75, s23, s19
	s_and_saveexec_b32 s19, s9
	s_cbranch_execz .LBB43_16
; %bb.114:                              ;   in Loop: Header=BB43_17 Depth=1
	s_xor_b32 s9, s15, -1
	s_mov_b32 s23, 0
	s_and_not1_b32 vcc_lo, exec_lo, s9
	s_mov_b32 s28, 1
	s_cbranch_vccnz .LBB43_125
; %bb.115:                              ;   in Loop: Header=BB43_17 Depth=1
	s_cmp_gt_i32 s37, s20
	s_mov_b32 s23, -1
                                        ; implicit-def: $sgpr9
                                        ; implicit-def: $sgpr14_sgpr15
                                        ; implicit-def: $sgpr16_sgpr17
	s_cbranch_scc1 .LBB43_121
; %bb.116:                              ;   in Loop: Header=BB43_17 Depth=1
	ds_load_b32 v1, v13 offset:4096
	s_waitcnt lgkmcnt(0)
	v_cmp_ne_u32_e32 vcc_lo, 0, v1
	s_cbranch_vccnz .LBB43_120
; %bb.117:                              ;   in Loop: Header=BB43_17 Depth=1
	s_and_saveexec_b32 s9, s2
	s_cbranch_execz .LBB43_119
; %bb.118:                              ;   in Loop: Header=BB43_17 Depth=1
	v_mov_b32_e32 v1, s20
	ds_store_b32 v13, v1 offset:4100
.LBB43_119:                             ;   in Loop: Header=BB43_17 Depth=1
	s_or_b32 exec_lo, exec_lo, s9
	s_waitcnt lgkmcnt(0)
	s_barrier
	buffer_gl0_inv
.LBB43_120:                             ;   in Loop: Header=BB43_17 Depth=1
	s_and_b64 s[14:15], s[44:45], s[12:13]
	s_or_b64 s[16:17], s[46:47], s[10:11]
	s_mov_b32 s23, 0
	s_mov_b32 s9, 8
.LBB43_121:                             ;   in Loop: Header=BB43_17 Depth=1
	s_and_not1_b32 vcc_lo, exec_lo, s23
	s_cbranch_vccnz .LBB43_123
; %bb.122:                              ;   in Loop: Header=BB43_17 Depth=1
	s_sub_i32 s37, s37, s20
	s_mov_b32 s23, -1
	s_mov_b32 s9, 0
	s_mov_b64 s[14:15], s[44:45]
	s_mov_b64 s[16:17], s[46:47]
.LBB43_123:                             ;   in Loop: Header=BB43_17 Depth=1
	s_delay_alu instid0(SALU_CYCLE_1)
	s_mov_b64 s[46:47], s[16:17]
	s_mov_b64 s[44:45], s[14:15]
	s_mov_b32 s28, s37
	s_and_b32 vcc_lo, exec_lo, s23
	s_mov_b32 s20, -1
	s_cbranch_vccnz .LBB43_126
.LBB43_124:                             ;   in Loop: Header=BB43_17 Depth=1
	s_mov_b32 s15, -1
                                        ; implicit-def: $sgpr23
                                        ; implicit-def: $sgpr25
                                        ; implicit-def: $sgpr24
	s_delay_alu instid0(SALU_CYCLE_1) | instskip(NEXT) | instid1(SALU_CYCLE_1)
	s_and_saveexec_b32 s10, s15
	s_xor_b32 s10, exec_lo, s10
	s_cbranch_execz .LBB43_15
	s_branch .LBB43_249
.LBB43_125:                             ;   in Loop: Header=BB43_17 Depth=1
	s_mov_b32 s9, 1
	s_and_b32 vcc_lo, exec_lo, s23
	s_mov_b32 s20, -1
	s_cbranch_vccz .LBB43_124
.LBB43_126:                             ;   in Loop: Header=BB43_17 Depth=1
	s_cmp_eq_u32 s27, 1
	s_mov_b32 s16, -1
	s_cselect_b32 s9, -1, 0
	s_cmp_eq_u32 s28, 1
	s_cselect_b32 s14, -1, 0
	s_delay_alu instid0(SALU_CYCLE_1) | instskip(NEXT) | instid1(SALU_CYCLE_1)
	s_and_b32 s14, s9, s14
	s_and_b32 vcc_lo, exec_lo, s14
	s_cbranch_vccz .LBB43_138
; %bb.127:                              ;   in Loop: Header=BB43_17 Depth=1
	ds_load_b32 v1, v13 offset:4096
	s_waitcnt lgkmcnt(0)
	s_barrier
	buffer_gl0_inv
	v_readfirstlane_b32 s15, v1
	s_and_saveexec_b32 s9, s0
	s_cbranch_execz .LBB43_129
; %bb.128:                              ;   in Loop: Header=BB43_17 Depth=1
	v_mov_b32_e32 v12, v13
	ds_store_b64 v26, v[12:13]
.LBB43_129:                             ;   in Loop: Header=BB43_17 Depth=1
	s_or_b32 exec_lo, exec_lo, s9
	s_lshl_b64 s[16:17], 1, s22
	s_and_b64 s[24:25], s[44:45], s[12:13]
	s_or_b64 s[46:47], s[46:47], s[10:11]
	s_or_b64 s[44:45], s[24:25], s[16:17]
	s_cmp_gt_i32 s15, 0
	s_waitcnt lgkmcnt(0)
	s_barrier
	buffer_gl0_inv
	s_cbranch_scc1 .LBB43_139
; %bb.130:                              ;   in Loop: Header=BB43_17 Depth=1
	s_mov_b32 s16, 0
                                        ; implicit-def: $vgpr5_vgpr6
	s_and_saveexec_b32 s17, s8
	s_cbranch_execz .LBB43_141
; %bb.131:                              ;   in Loop: Header=BB43_17 Depth=1
	v_mov_b32_e32 v7, v11
	v_mov_b32_e32 v9, v0
	s_mov_b32 s23, 0
                                        ; implicit-def: $sgpr16
	s_branch .LBB43_133
.LBB43_132:                             ;   in Loop: Header=BB43_133 Depth=2
	s_or_b32 exec_lo, exec_lo, s9
	s_waitcnt vmcnt(0) lgkmcnt(0)
	s_barrier
	buffer_gl0_inv
	ds_load_b128 v[3:6], v13 offset:3072
	v_add_nc_u32_e32 v9, s51, v9
	v_add_nc_u32_e32 v7, s55, v7
	s_waitcnt lgkmcnt(0)
	s_barrier
	buffer_gl0_inv
	v_cmp_le_i32_e64 s9, s66, v9
	v_cmp_neq_f64_e32 vcc_lo, 0, v[3:4]
	s_delay_alu instid0(VALU_DEP_2) | instskip(NEXT) | instid1(SALU_CYCLE_1)
	s_or_b32 s9, s9, vcc_lo
	s_and_b32 s9, exec_lo, s9
	s_delay_alu instid0(SALU_CYCLE_1) | instskip(SKIP_2) | instid1(SALU_CYCLE_1)
	s_or_b32 s23, s9, s23
	s_and_not1_b32 s9, s16, exec_lo
	s_and_b32 s16, vcc_lo, exec_lo
	s_or_b32 s16, s9, s16
	s_and_not1_b32 exec_lo, exec_lo, s23
	s_cbranch_execz .LBB43_140
.LBB43_133:                             ;   Parent Loop BB43_17 Depth=1
                                        ; =>  This Inner Loop Header: Depth=2
	v_mov_b32_e32 v3, 0
	v_mov_b32_e32 v4, 0
	v_cmp_gt_i32_e32 vcc_lo, s36, v9
	s_and_saveexec_b32 s24, vcc_lo
	s_cbranch_execz .LBB43_135
; %bb.134:                              ;   in Loop: Header=BB43_133 Depth=2
	v_ashrrev_i32_e32 v8, 31, v7
	s_delay_alu instid0(VALU_DEP_1) | instskip(NEXT) | instid1(VALU_DEP_1)
	v_lshlrev_b64 v[3:4], 3, v[7:8]
	v_add_co_u32 v3, s9, s49, v3
	s_delay_alu instid0(VALU_DEP_1)
	v_add_co_ci_u32_e64 v4, s9, s50, v4, s9
	global_load_b64 v[3:4], v[3:4], off
.LBB43_135:                             ;   in Loop: Header=BB43_133 Depth=2
	s_or_b32 exec_lo, exec_lo, s24
	s_and_saveexec_b32 s9, vcc_lo
	s_cbranch_execz .LBB43_132
; %bb.136:                              ;   in Loop: Header=BB43_133 Depth=2
	s_waitcnt vmcnt(0)
	v_cmp_o_f64_e32 vcc_lo, v[3:4], v[3:4]
	v_ashrrev_i32_e32 v1, 31, v4
	s_delay_alu instid0(VALU_DEP_1) | instskip(SKIP_1) | instid1(VALU_DEP_2)
	v_or_b32_e32 v5, 0x80000000, v1
	v_xor_b32_e32 v1, v1, v3
	v_xor_b32_e32 v5, v5, v4
	s_delay_alu instid0(VALU_DEP_1) | instskip(NEXT) | instid1(VALU_DEP_3)
	v_cndmask_b32_e32 v5, -1, v5, vcc_lo
	v_cndmask_b32_e32 v1, -1, v1, vcc_lo
	s_delay_alu instid0(VALU_DEP_2) | instskip(NEXT) | instid1(VALU_DEP_2)
	v_and_b32_e32 v6, s47, v5
	v_and_b32_e32 v5, s46, v1
	s_delay_alu instid0(VALU_DEP_1)
	v_cmp_eq_u64_e32 vcc_lo, s[44:45], v[5:6]
	s_and_b32 exec_lo, exec_lo, vcc_lo
	s_cbranch_execz .LBB43_132
; %bb.137:                              ;   in Loop: Header=BB43_133 Depth=2
	v_mov_b32_e32 v1, v13
	ds_store_b128 v13, v[1:4] offset:3072
	s_branch .LBB43_132
.LBB43_138:                             ;   in Loop: Header=BB43_17 Depth=1
                                        ; implicit-def: $sgpr24
                                        ; implicit-def: $sgpr25
                                        ; implicit-def: $sgpr23
	s_branch .LBB43_152
.LBB43_139:                             ;   in Loop: Header=BB43_17 Depth=1
	s_mov_b32 s24, -1
	s_mov_b32 s16, 0
                                        ; implicit-def: $sgpr23
                                        ; implicit-def: $vgpr5_vgpr6
	s_mov_b32 s25, s24
	s_cbranch_execnz .LBB43_142
	s_branch .LBB43_152
.LBB43_140:                             ;   in Loop: Header=BB43_17 Depth=1
	s_or_b32 exec_lo, exec_lo, s23
	s_delay_alu instid0(SALU_CYCLE_1)
	s_and_b32 s16, s16, exec_lo
.LBB43_141:                             ;   in Loop: Header=BB43_17 Depth=1
	s_or_b32 exec_lo, exec_lo, s17
	s_mov_b32 s23, -1
	s_mov_b32 s24, 0
	s_delay_alu instid0(SALU_CYCLE_1)
	s_mov_b32 s25, s24
	s_branch .LBB43_152
.LBB43_142:                             ;   in Loop: Header=BB43_17 Depth=1
	s_add_i32 s23, s15, s56
                                        ; implicit-def: $vgpr5_vgpr6
	s_delay_alu instid0(SALU_CYCLE_1) | instskip(NEXT) | instid1(SALU_CYCLE_1)
	s_abs_i32 s9, s23
	s_mul_hi_u32 s16, s9, s65
	s_delay_alu instid0(SALU_CYCLE_1) | instskip(NEXT) | instid1(SALU_CYCLE_1)
	s_mul_i32 s16, s16, s51
	s_sub_i32 s9, s9, s16
	s_ashr_i32 s16, s23, 31
	s_sub_i32 s17, s9, s51
	s_cmp_ge_u32 s9, s51
	s_cselect_b32 s9, s17, s9
	s_delay_alu instid0(SALU_CYCLE_1) | instskip(SKIP_4) | instid1(SALU_CYCLE_1)
	s_sub_i32 s17, s9, s51
	s_cmp_ge_u32 s9, s51
	s_cselect_b32 s9, s17, s9
	s_mov_b32 s17, exec_lo
	s_xor_b32 s9, s9, s16
	s_sub_i32 s9, s16, s9
	s_mov_b32 s16, 0
	s_add_i32 s23, s23, s9
	s_delay_alu instid0(SALU_CYCLE_1)
	v_cmpx_gt_i32_e64 s23, v0
	s_cbranch_execz .LBB43_151
; %bb.143:                              ;   in Loop: Header=BB43_17 Depth=1
	v_dual_mov_b32 v7, v25 :: v_dual_mov_b32 v8, v0
	s_mov_b32 s24, 0
                                        ; implicit-def: $sgpr16
	s_set_inst_prefetch_distance 0x1
	s_branch .LBB43_145
	.p2align	6
.LBB43_144:                             ;   in Loop: Header=BB43_145 Depth=2
	s_or_b32 exec_lo, exec_lo, s9
	s_waitcnt lgkmcnt(0)
	s_barrier
	buffer_gl0_inv
	ds_load_b128 v[3:6], v13 offset:3072
	v_add_nc_u32_e32 v8, s51, v8
	v_add_nc_u32_e32 v7, s69, v7
	s_waitcnt lgkmcnt(0)
	s_barrier
	buffer_gl0_inv
	v_cmp_le_i32_e64 s9, s23, v8
	v_cmp_neq_f64_e32 vcc_lo, 0, v[3:4]
	s_delay_alu instid0(VALU_DEP_2) | instskip(NEXT) | instid1(SALU_CYCLE_1)
	s_or_b32 s9, s9, vcc_lo
	s_and_b32 s9, exec_lo, s9
	s_delay_alu instid0(SALU_CYCLE_1) | instskip(SKIP_2) | instid1(SALU_CYCLE_1)
	s_or_b32 s24, s9, s24
	s_and_not1_b32 s9, s16, exec_lo
	s_and_b32 s16, vcc_lo, exec_lo
	s_or_b32 s16, s9, s16
	s_and_not1_b32 exec_lo, exec_lo, s24
	s_cbranch_execz .LBB43_150
.LBB43_145:                             ;   Parent Loop BB43_17 Depth=1
                                        ; =>  This Inner Loop Header: Depth=2
	v_mov_b32_e32 v3, 0
	v_mov_b32_e32 v4, 0
	v_cmp_gt_i32_e32 vcc_lo, s15, v8
	s_and_saveexec_b32 s9, vcc_lo
	s_cbranch_execz .LBB43_147
; %bb.146:                              ;   in Loop: Header=BB43_145 Depth=2
	ds_load_b64 v[3:4], v7
.LBB43_147:                             ;   in Loop: Header=BB43_145 Depth=2
	s_or_b32 exec_lo, exec_lo, s9
	s_and_saveexec_b32 s9, vcc_lo
	s_cbranch_execz .LBB43_144
; %bb.148:                              ;   in Loop: Header=BB43_145 Depth=2
	s_waitcnt lgkmcnt(0)
	v_cmp_o_f64_e32 vcc_lo, v[3:4], v[3:4]
	v_ashrrev_i32_e32 v1, 31, v4
	s_delay_alu instid0(VALU_DEP_1) | instskip(SKIP_1) | instid1(VALU_DEP_2)
	v_or_b32_e32 v5, 0x80000000, v1
	v_xor_b32_e32 v1, v1, v3
	v_xor_b32_e32 v5, v5, v4
	s_delay_alu instid0(VALU_DEP_1) | instskip(NEXT) | instid1(VALU_DEP_3)
	v_cndmask_b32_e32 v5, -1, v5, vcc_lo
	v_cndmask_b32_e32 v1, -1, v1, vcc_lo
	s_delay_alu instid0(VALU_DEP_2) | instskip(NEXT) | instid1(VALU_DEP_2)
	v_and_b32_e32 v6, s47, v5
	v_and_b32_e32 v5, s46, v1
	s_delay_alu instid0(VALU_DEP_1)
	v_cmp_eq_u64_e32 vcc_lo, s[44:45], v[5:6]
	s_and_b32 exec_lo, exec_lo, vcc_lo
	s_cbranch_execz .LBB43_144
; %bb.149:                              ;   in Loop: Header=BB43_145 Depth=2
	v_mov_b32_e32 v1, v13
	ds_store_b128 v13, v[1:4] offset:3072
	s_branch .LBB43_144
.LBB43_150:                             ;   in Loop: Header=BB43_17 Depth=1
	s_set_inst_prefetch_distance 0x2
	s_or_b32 exec_lo, exec_lo, s24
	s_delay_alu instid0(SALU_CYCLE_1)
	s_and_b32 s16, s16, exec_lo
.LBB43_151:                             ;   in Loop: Header=BB43_17 Depth=1
	s_or_b32 exec_lo, exec_lo, s17
	s_mov_b32 s25, -1
	s_mov_b32 s24, 0
	s_mov_b32 s23, 0
.LBB43_152:                             ;   in Loop: Header=BB43_17 Depth=1
	s_mov_b32 s15, 0
                                        ; implicit-def: $sgpr9
	s_and_saveexec_b32 s26, s16
	s_cbranch_execz .LBB43_248
; %bb.153:                              ;   in Loop: Header=BB43_17 Depth=1
	s_xor_b32 s9, s14, -1
	s_mov_b32 s37, 0
	s_and_not1_b32 vcc_lo, exec_lo, s9
	s_mov_b32 s79, 1
	s_cbranch_vccnz .LBB43_164
; %bb.154:                              ;   in Loop: Header=BB43_17 Depth=1
	s_cmp_gt_i32 s28, s27
	s_mov_b32 s37, -1
                                        ; implicit-def: $sgpr9
                                        ; implicit-def: $sgpr14_sgpr15
                                        ; implicit-def: $sgpr16_sgpr17
	s_cbranch_scc1 .LBB43_160
; %bb.155:                              ;   in Loop: Header=BB43_17 Depth=1
	ds_load_b32 v1, v13 offset:4096
	s_waitcnt lgkmcnt(0)
	v_cmp_ne_u32_e32 vcc_lo, 0, v1
	s_cbranch_vccnz .LBB43_159
; %bb.156:                              ;   in Loop: Header=BB43_17 Depth=1
	s_and_saveexec_b32 s9, s2
	s_cbranch_execz .LBB43_158
; %bb.157:                              ;   in Loop: Header=BB43_17 Depth=1
	v_mov_b32_e32 v1, s27
	ds_store_b32 v13, v1 offset:4100
.LBB43_158:                             ;   in Loop: Header=BB43_17 Depth=1
	s_or_b32 exec_lo, exec_lo, s9
	s_waitcnt lgkmcnt(0)
	s_barrier
	buffer_gl0_inv
.LBB43_159:                             ;   in Loop: Header=BB43_17 Depth=1
	s_lshl_b64 s[14:15], 1, s22
	s_and_b64 s[16:17], s[44:45], s[12:13]
	s_mov_b32 s37, 0
	s_or_b64 s[14:15], s[16:17], s[14:15]
	s_or_b64 s[16:17], s[46:47], s[10:11]
	s_mov_b32 s9, 8
.LBB43_160:                             ;   in Loop: Header=BB43_17 Depth=1
	s_and_not1_b32 vcc_lo, exec_lo, s37
	s_cbranch_vccnz .LBB43_162
; %bb.161:                              ;   in Loop: Header=BB43_17 Depth=1
	s_sub_i32 s28, s28, s27
	s_mov_b32 s37, -1
	s_mov_b32 s9, 0
	s_mov_b64 s[14:15], s[44:45]
	s_mov_b64 s[16:17], s[46:47]
.LBB43_162:                             ;   in Loop: Header=BB43_17 Depth=1
	s_delay_alu instid0(SALU_CYCLE_1)
	s_mov_b64 s[46:47], s[16:17]
	s_mov_b64 s[44:45], s[14:15]
	s_mov_b32 s79, s28
	s_and_not1_b32 vcc_lo, exec_lo, s37
	s_mov_b32 s15, -1
	s_cbranch_vccz .LBB43_165
.LBB43_163:                             ;   in Loop: Header=BB43_17 Depth=1
                                        ; implicit-def: $sgpr28
                                        ; implicit-def: $sgpr37
                                        ; implicit-def: $sgpr27
	s_branch .LBB43_247
.LBB43_164:                             ;   in Loop: Header=BB43_17 Depth=1
	s_mov_b32 s9, 1
	s_and_not1_b32 vcc_lo, exec_lo, s37
	s_mov_b32 s15, -1
	s_cbranch_vccnz .LBB43_163
.LBB43_165:                             ;   in Loop: Header=BB43_17 Depth=1
	s_cmp_eq_u32 s21, 1
	s_mov_b32 s16, -1
	s_cselect_b32 s9, -1, 0
	s_cmp_eq_u32 s79, 1
	s_cselect_b32 s14, -1, 0
	s_delay_alu instid0(SALU_CYCLE_1) | instskip(NEXT) | instid1(SALU_CYCLE_1)
	s_and_b32 s14, s9, s14
	s_and_b32 vcc_lo, exec_lo, s14
	s_cbranch_vccz .LBB43_177
; %bb.166:                              ;   in Loop: Header=BB43_17 Depth=1
	ds_load_b32 v1, v13 offset:4096
	s_waitcnt lgkmcnt(0)
	s_barrier
	buffer_gl0_inv
	v_readfirstlane_b32 s15, v1
	s_and_saveexec_b32 s9, s0
	s_cbranch_execz .LBB43_168
; %bb.167:                              ;   in Loop: Header=BB43_17 Depth=1
	v_mov_b32_e32 v12, v13
	ds_store_b64 v26, v[12:13]
.LBB43_168:                             ;   in Loop: Header=BB43_17 Depth=1
	s_or_b32 exec_lo, exec_lo, s9
	s_lshl_b64 s[16:17], 2, s22
	s_and_b64 s[44:45], s[44:45], s[12:13]
	s_or_b64 s[46:47], s[46:47], s[10:11]
	s_or_b64 s[44:45], s[44:45], s[16:17]
	s_cmp_gt_i32 s15, 0
	s_waitcnt lgkmcnt(0)
	s_barrier
	buffer_gl0_inv
	s_cbranch_scc1 .LBB43_178
; %bb.169:                              ;   in Loop: Header=BB43_17 Depth=1
	s_mov_b32 s16, 0
                                        ; implicit-def: $vgpr5_vgpr6
	s_and_saveexec_b32 s17, s8
	s_cbranch_execz .LBB43_180
; %bb.170:                              ;   in Loop: Header=BB43_17 Depth=1
	v_mov_b32_e32 v7, v11
	v_mov_b32_e32 v9, v0
	s_mov_b32 s27, 0
                                        ; implicit-def: $sgpr16
	s_branch .LBB43_172
.LBB43_171:                             ;   in Loop: Header=BB43_172 Depth=2
	s_or_b32 exec_lo, exec_lo, s9
	s_waitcnt vmcnt(0) lgkmcnt(0)
	s_barrier
	buffer_gl0_inv
	ds_load_b128 v[3:6], v13 offset:3072
	v_add_nc_u32_e32 v9, s51, v9
	v_add_nc_u32_e32 v7, s55, v7
	s_waitcnt lgkmcnt(0)
	s_barrier
	buffer_gl0_inv
	v_cmp_le_i32_e64 s9, s66, v9
	v_cmp_neq_f64_e32 vcc_lo, 0, v[3:4]
	s_delay_alu instid0(VALU_DEP_2) | instskip(NEXT) | instid1(SALU_CYCLE_1)
	s_or_b32 s9, s9, vcc_lo
	s_and_b32 s9, exec_lo, s9
	s_delay_alu instid0(SALU_CYCLE_1) | instskip(SKIP_2) | instid1(SALU_CYCLE_1)
	s_or_b32 s27, s9, s27
	s_and_not1_b32 s9, s16, exec_lo
	s_and_b32 s16, vcc_lo, exec_lo
	s_or_b32 s16, s9, s16
	s_and_not1_b32 exec_lo, exec_lo, s27
	s_cbranch_execz .LBB43_179
.LBB43_172:                             ;   Parent Loop BB43_17 Depth=1
                                        ; =>  This Inner Loop Header: Depth=2
	v_mov_b32_e32 v3, 0
	v_mov_b32_e32 v4, 0
	v_cmp_gt_i32_e32 vcc_lo, s36, v9
	s_and_saveexec_b32 s28, vcc_lo
	s_cbranch_execz .LBB43_174
; %bb.173:                              ;   in Loop: Header=BB43_172 Depth=2
	v_ashrrev_i32_e32 v8, 31, v7
	s_delay_alu instid0(VALU_DEP_1) | instskip(NEXT) | instid1(VALU_DEP_1)
	v_lshlrev_b64 v[3:4], 3, v[7:8]
	v_add_co_u32 v3, s9, s49, v3
	s_delay_alu instid0(VALU_DEP_1)
	v_add_co_ci_u32_e64 v4, s9, s50, v4, s9
	global_load_b64 v[3:4], v[3:4], off
.LBB43_174:                             ;   in Loop: Header=BB43_172 Depth=2
	s_or_b32 exec_lo, exec_lo, s28
	s_and_saveexec_b32 s9, vcc_lo
	s_cbranch_execz .LBB43_171
; %bb.175:                              ;   in Loop: Header=BB43_172 Depth=2
	s_waitcnt vmcnt(0)
	v_cmp_o_f64_e32 vcc_lo, v[3:4], v[3:4]
	v_ashrrev_i32_e32 v1, 31, v4
	s_delay_alu instid0(VALU_DEP_1) | instskip(SKIP_1) | instid1(VALU_DEP_2)
	v_or_b32_e32 v5, 0x80000000, v1
	v_xor_b32_e32 v1, v1, v3
	v_xor_b32_e32 v5, v5, v4
	s_delay_alu instid0(VALU_DEP_1) | instskip(NEXT) | instid1(VALU_DEP_3)
	v_cndmask_b32_e32 v5, -1, v5, vcc_lo
	v_cndmask_b32_e32 v1, -1, v1, vcc_lo
	s_delay_alu instid0(VALU_DEP_2) | instskip(NEXT) | instid1(VALU_DEP_2)
	v_and_b32_e32 v6, s47, v5
	v_and_b32_e32 v5, s46, v1
	s_delay_alu instid0(VALU_DEP_1)
	v_cmp_eq_u64_e32 vcc_lo, s[44:45], v[5:6]
	s_and_b32 exec_lo, exec_lo, vcc_lo
	s_cbranch_execz .LBB43_171
; %bb.176:                              ;   in Loop: Header=BB43_172 Depth=2
	v_mov_b32_e32 v1, v13
	ds_store_b128 v13, v[1:4] offset:3072
	s_branch .LBB43_171
.LBB43_177:                             ;   in Loop: Header=BB43_17 Depth=1
                                        ; implicit-def: $sgpr27
                                        ; implicit-def: $sgpr37
                                        ; implicit-def: $sgpr28
	s_branch .LBB43_191
.LBB43_178:                             ;   in Loop: Header=BB43_17 Depth=1
	s_mov_b32 s27, -1
	s_mov_b32 s16, 0
                                        ; implicit-def: $sgpr28
                                        ; implicit-def: $vgpr5_vgpr6
	s_mov_b32 s37, s27
	s_cbranch_execnz .LBB43_181
	s_branch .LBB43_191
.LBB43_179:                             ;   in Loop: Header=BB43_17 Depth=1
	s_or_b32 exec_lo, exec_lo, s27
	s_delay_alu instid0(SALU_CYCLE_1)
	s_and_b32 s16, s16, exec_lo
.LBB43_180:                             ;   in Loop: Header=BB43_17 Depth=1
	s_or_b32 exec_lo, exec_lo, s17
	s_mov_b32 s28, -1
	s_mov_b32 s27, 0
	s_delay_alu instid0(SALU_CYCLE_1)
	s_mov_b32 s37, s27
	s_branch .LBB43_191
.LBB43_181:                             ;   in Loop: Header=BB43_17 Depth=1
	s_add_i32 s27, s15, s56
                                        ; implicit-def: $vgpr5_vgpr6
	s_delay_alu instid0(SALU_CYCLE_1) | instskip(NEXT) | instid1(SALU_CYCLE_1)
	s_abs_i32 s9, s27
	s_mul_hi_u32 s16, s9, s65
	s_delay_alu instid0(SALU_CYCLE_1) | instskip(NEXT) | instid1(SALU_CYCLE_1)
	s_mul_i32 s16, s16, s51
	s_sub_i32 s9, s9, s16
	s_ashr_i32 s16, s27, 31
	s_sub_i32 s17, s9, s51
	s_cmp_ge_u32 s9, s51
	s_cselect_b32 s9, s17, s9
	s_delay_alu instid0(SALU_CYCLE_1) | instskip(SKIP_4) | instid1(SALU_CYCLE_1)
	s_sub_i32 s17, s9, s51
	s_cmp_ge_u32 s9, s51
	s_cselect_b32 s9, s17, s9
	s_mov_b32 s17, exec_lo
	s_xor_b32 s9, s9, s16
	s_sub_i32 s9, s16, s9
	s_mov_b32 s16, 0
	s_add_i32 s27, s27, s9
	s_delay_alu instid0(SALU_CYCLE_1)
	v_cmpx_gt_i32_e64 s27, v0
	s_cbranch_execz .LBB43_190
; %bb.182:                              ;   in Loop: Header=BB43_17 Depth=1
	v_dual_mov_b32 v7, v25 :: v_dual_mov_b32 v8, v0
	s_mov_b32 s28, 0
                                        ; implicit-def: $sgpr16
	s_set_inst_prefetch_distance 0x1
	s_branch .LBB43_184
	.p2align	6
.LBB43_183:                             ;   in Loop: Header=BB43_184 Depth=2
	s_or_b32 exec_lo, exec_lo, s9
	s_waitcnt lgkmcnt(0)
	s_barrier
	buffer_gl0_inv
	ds_load_b128 v[3:6], v13 offset:3072
	v_add_nc_u32_e32 v8, s51, v8
	v_add_nc_u32_e32 v7, s69, v7
	s_waitcnt lgkmcnt(0)
	s_barrier
	buffer_gl0_inv
	v_cmp_le_i32_e64 s9, s27, v8
	v_cmp_neq_f64_e32 vcc_lo, 0, v[3:4]
	s_delay_alu instid0(VALU_DEP_2) | instskip(NEXT) | instid1(SALU_CYCLE_1)
	s_or_b32 s9, s9, vcc_lo
	s_and_b32 s9, exec_lo, s9
	s_delay_alu instid0(SALU_CYCLE_1) | instskip(SKIP_2) | instid1(SALU_CYCLE_1)
	s_or_b32 s28, s9, s28
	s_and_not1_b32 s9, s16, exec_lo
	s_and_b32 s16, vcc_lo, exec_lo
	s_or_b32 s16, s9, s16
	s_and_not1_b32 exec_lo, exec_lo, s28
	s_cbranch_execz .LBB43_189
.LBB43_184:                             ;   Parent Loop BB43_17 Depth=1
                                        ; =>  This Inner Loop Header: Depth=2
	v_mov_b32_e32 v3, 0
	v_mov_b32_e32 v4, 0
	v_cmp_gt_i32_e32 vcc_lo, s15, v8
	s_and_saveexec_b32 s9, vcc_lo
	s_cbranch_execz .LBB43_186
; %bb.185:                              ;   in Loop: Header=BB43_184 Depth=2
	ds_load_b64 v[3:4], v7
.LBB43_186:                             ;   in Loop: Header=BB43_184 Depth=2
	s_or_b32 exec_lo, exec_lo, s9
	s_and_saveexec_b32 s9, vcc_lo
	s_cbranch_execz .LBB43_183
; %bb.187:                              ;   in Loop: Header=BB43_184 Depth=2
	s_waitcnt lgkmcnt(0)
	v_cmp_o_f64_e32 vcc_lo, v[3:4], v[3:4]
	v_ashrrev_i32_e32 v1, 31, v4
	s_delay_alu instid0(VALU_DEP_1) | instskip(SKIP_1) | instid1(VALU_DEP_2)
	v_or_b32_e32 v5, 0x80000000, v1
	v_xor_b32_e32 v1, v1, v3
	v_xor_b32_e32 v5, v5, v4
	s_delay_alu instid0(VALU_DEP_1) | instskip(NEXT) | instid1(VALU_DEP_3)
	v_cndmask_b32_e32 v5, -1, v5, vcc_lo
	v_cndmask_b32_e32 v1, -1, v1, vcc_lo
	s_delay_alu instid0(VALU_DEP_2) | instskip(NEXT) | instid1(VALU_DEP_2)
	v_and_b32_e32 v6, s47, v5
	v_and_b32_e32 v5, s46, v1
	s_delay_alu instid0(VALU_DEP_1)
	v_cmp_eq_u64_e32 vcc_lo, s[44:45], v[5:6]
	s_and_b32 exec_lo, exec_lo, vcc_lo
	s_cbranch_execz .LBB43_183
; %bb.188:                              ;   in Loop: Header=BB43_184 Depth=2
	v_mov_b32_e32 v1, v13
	ds_store_b128 v13, v[1:4] offset:3072
	s_branch .LBB43_183
.LBB43_189:                             ;   in Loop: Header=BB43_17 Depth=1
	s_set_inst_prefetch_distance 0x2
	s_or_b32 exec_lo, exec_lo, s28
	s_delay_alu instid0(SALU_CYCLE_1)
	s_and_b32 s16, s16, exec_lo
.LBB43_190:                             ;   in Loop: Header=BB43_17 Depth=1
	s_or_b32 exec_lo, exec_lo, s17
	s_mov_b32 s37, -1
	s_mov_b32 s27, 0
	s_mov_b32 s28, 0
.LBB43_191:                             ;   in Loop: Header=BB43_17 Depth=1
	s_mov_b32 s15, 0
                                        ; implicit-def: $sgpr9
	s_and_saveexec_b32 s78, s16
	s_cbranch_execz .LBB43_246
; %bb.192:                              ;   in Loop: Header=BB43_17 Depth=1
	s_xor_b32 s9, s14, -1
	s_mov_b32 s80, 0
	s_and_not1_b32 vcc_lo, exec_lo, s9
	s_mov_b32 s14, 1
	s_cbranch_vccnz .LBB43_203
; %bb.193:                              ;   in Loop: Header=BB43_17 Depth=1
	s_cmp_gt_i32 s79, s21
	s_mov_b32 s80, -1
                                        ; implicit-def: $sgpr9
                                        ; implicit-def: $sgpr14_sgpr15
                                        ; implicit-def: $sgpr16_sgpr17
	s_cbranch_scc1 .LBB43_199
; %bb.194:                              ;   in Loop: Header=BB43_17 Depth=1
	ds_load_b32 v1, v13 offset:4096
	s_waitcnt lgkmcnt(0)
	v_cmp_ne_u32_e32 vcc_lo, 0, v1
	s_cbranch_vccnz .LBB43_198
; %bb.195:                              ;   in Loop: Header=BB43_17 Depth=1
	s_and_saveexec_b32 s9, s2
	s_cbranch_execz .LBB43_197
; %bb.196:                              ;   in Loop: Header=BB43_17 Depth=1
	v_mov_b32_e32 v1, s21
	ds_store_b32 v13, v1 offset:4100
.LBB43_197:                             ;   in Loop: Header=BB43_17 Depth=1
	s_or_b32 exec_lo, exec_lo, s9
	s_waitcnt lgkmcnt(0)
	s_barrier
	buffer_gl0_inv
.LBB43_198:                             ;   in Loop: Header=BB43_17 Depth=1
	s_lshl_b64 s[14:15], 2, s22
	s_and_b64 s[12:13], s[44:45], s[12:13]
	s_or_b64 s[16:17], s[46:47], s[10:11]
	s_or_b64 s[14:15], s[12:13], s[14:15]
	s_mov_b32 s80, 0
	s_mov_b32 s9, 8
.LBB43_199:                             ;   in Loop: Header=BB43_17 Depth=1
	s_and_not1_b32 vcc_lo, exec_lo, s80
	s_cbranch_vccnz .LBB43_201
; %bb.200:                              ;   in Loop: Header=BB43_17 Depth=1
	s_sub_i32 s79, s79, s21
	s_mov_b32 s80, -1
	s_mov_b32 s9, 0
	s_mov_b64 s[14:15], s[44:45]
	s_mov_b64 s[16:17], s[46:47]
.LBB43_201:                             ;   in Loop: Header=BB43_17 Depth=1
	s_delay_alu instid0(SALU_CYCLE_1)
	s_mov_b64 s[46:47], s[16:17]
	s_mov_b64 s[44:45], s[14:15]
	s_mov_b32 s14, s79
	s_and_not1_b32 vcc_lo, exec_lo, s80
	s_mov_b32 s13, -1
	s_cbranch_vccz .LBB43_204
.LBB43_202:                             ;   in Loop: Header=BB43_17 Depth=1
                                        ; implicit-def: $sgpr15
                                        ; implicit-def: $sgpr17
                                        ; implicit-def: $sgpr16
	s_branch .LBB43_245
.LBB43_203:                             ;   in Loop: Header=BB43_17 Depth=1
	s_mov_b32 s9, 1
	s_and_not1_b32 vcc_lo, exec_lo, s80
	s_mov_b32 s13, -1
	s_cbranch_vccnz .LBB43_202
.LBB43_204:                             ;   in Loop: Header=BB43_17 Depth=1
	s_cmp_eq_u32 s18, 1
	s_mov_b32 s21, -1
	s_cselect_b32 s9, -1, 0
	s_cmp_eq_u32 s14, 1
	s_cselect_b32 s12, -1, 0
	s_delay_alu instid0(SALU_CYCLE_1) | instskip(NEXT) | instid1(SALU_CYCLE_1)
	s_and_b32 s12, s9, s12
	s_and_b32 vcc_lo, exec_lo, s12
	s_cbranch_vccz .LBB43_216
; %bb.205:                              ;   in Loop: Header=BB43_17 Depth=1
	ds_load_b32 v1, v13 offset:4096
	s_waitcnt lgkmcnt(0)
	s_barrier
	buffer_gl0_inv
	v_readfirstlane_b32 s13, v1
	s_and_saveexec_b32 s9, s0
	s_cbranch_execz .LBB43_207
; %bb.206:                              ;   in Loop: Header=BB43_17 Depth=1
	v_mov_b32_e32 v12, v13
	ds_store_b64 v26, v[12:13]
.LBB43_207:                             ;   in Loop: Header=BB43_17 Depth=1
	s_or_b32 exec_lo, exec_lo, s9
	s_or_b64 s[44:45], s[44:45], s[10:11]
	s_or_b64 s[46:47], s[46:47], s[10:11]
	s_cmp_gt_i32 s13, 0
	s_waitcnt lgkmcnt(0)
	s_barrier
	buffer_gl0_inv
	s_cbranch_scc1 .LBB43_217
; %bb.208:                              ;   in Loop: Header=BB43_17 Depth=1
	s_mov_b32 s21, 0
                                        ; implicit-def: $vgpr5_vgpr6
	s_and_saveexec_b32 s15, s8
	s_cbranch_execz .LBB43_219
; %bb.209:                              ;   in Loop: Header=BB43_17 Depth=1
	v_mov_b32_e32 v7, v11
	v_mov_b32_e32 v9, v0
	s_mov_b32 s17, 0
                                        ; implicit-def: $sgpr16
	s_branch .LBB43_211
.LBB43_210:                             ;   in Loop: Header=BB43_211 Depth=2
	s_or_b32 exec_lo, exec_lo, s9
	s_waitcnt vmcnt(0) lgkmcnt(0)
	s_barrier
	buffer_gl0_inv
	ds_load_b128 v[3:6], v13 offset:3072
	v_add_nc_u32_e32 v9, s51, v9
	v_add_nc_u32_e32 v7, s55, v7
	s_waitcnt lgkmcnt(0)
	s_barrier
	buffer_gl0_inv
	v_cmp_le_i32_e64 s9, s66, v9
	v_cmp_neq_f64_e32 vcc_lo, 0, v[3:4]
	s_delay_alu instid0(VALU_DEP_2) | instskip(NEXT) | instid1(SALU_CYCLE_1)
	s_or_b32 s9, s9, vcc_lo
	s_and_b32 s9, exec_lo, s9
	s_delay_alu instid0(SALU_CYCLE_1) | instskip(SKIP_2) | instid1(SALU_CYCLE_1)
	s_or_b32 s17, s9, s17
	s_and_not1_b32 s9, s16, exec_lo
	s_and_b32 s16, vcc_lo, exec_lo
	s_or_b32 s16, s9, s16
	s_and_not1_b32 exec_lo, exec_lo, s17
	s_cbranch_execz .LBB43_218
.LBB43_211:                             ;   Parent Loop BB43_17 Depth=1
                                        ; =>  This Inner Loop Header: Depth=2
	v_mov_b32_e32 v3, 0
	v_mov_b32_e32 v4, 0
	v_cmp_gt_i32_e32 vcc_lo, s36, v9
	s_and_saveexec_b32 s21, vcc_lo
	s_cbranch_execz .LBB43_213
; %bb.212:                              ;   in Loop: Header=BB43_211 Depth=2
	v_ashrrev_i32_e32 v8, 31, v7
	s_delay_alu instid0(VALU_DEP_1) | instskip(NEXT) | instid1(VALU_DEP_1)
	v_lshlrev_b64 v[3:4], 3, v[7:8]
	v_add_co_u32 v3, s9, s49, v3
	s_delay_alu instid0(VALU_DEP_1)
	v_add_co_ci_u32_e64 v4, s9, s50, v4, s9
	global_load_b64 v[3:4], v[3:4], off
.LBB43_213:                             ;   in Loop: Header=BB43_211 Depth=2
	s_or_b32 exec_lo, exec_lo, s21
	s_and_saveexec_b32 s9, vcc_lo
	s_cbranch_execz .LBB43_210
; %bb.214:                              ;   in Loop: Header=BB43_211 Depth=2
	s_waitcnt vmcnt(0)
	v_cmp_o_f64_e32 vcc_lo, v[3:4], v[3:4]
	v_ashrrev_i32_e32 v1, 31, v4
	s_delay_alu instid0(VALU_DEP_1) | instskip(SKIP_1) | instid1(VALU_DEP_2)
	v_or_b32_e32 v5, 0x80000000, v1
	v_xor_b32_e32 v1, v1, v3
	v_xor_b32_e32 v5, v5, v4
	s_delay_alu instid0(VALU_DEP_1) | instskip(NEXT) | instid1(VALU_DEP_3)
	v_cndmask_b32_e32 v5, -1, v5, vcc_lo
	v_cndmask_b32_e32 v1, -1, v1, vcc_lo
	s_delay_alu instid0(VALU_DEP_2) | instskip(NEXT) | instid1(VALU_DEP_2)
	v_and_b32_e32 v6, s47, v5
	v_and_b32_e32 v5, s46, v1
	s_delay_alu instid0(VALU_DEP_1)
	v_cmp_eq_u64_e32 vcc_lo, s[44:45], v[5:6]
	s_and_b32 exec_lo, exec_lo, vcc_lo
	s_cbranch_execz .LBB43_210
; %bb.215:                              ;   in Loop: Header=BB43_211 Depth=2
	v_mov_b32_e32 v1, v13
	ds_store_b128 v13, v[1:4] offset:3072
	s_branch .LBB43_210
.LBB43_216:                             ;   in Loop: Header=BB43_17 Depth=1
                                        ; implicit-def: $sgpr15
                                        ; implicit-def: $sgpr17
                                        ; implicit-def: $sgpr16
	s_branch .LBB43_230
.LBB43_217:                             ;   in Loop: Header=BB43_17 Depth=1
	s_mov_b32 s15, -1
	s_mov_b32 s21, 0
                                        ; implicit-def: $sgpr16
                                        ; implicit-def: $vgpr5_vgpr6
	s_mov_b32 s17, s15
	s_cbranch_execnz .LBB43_220
	s_branch .LBB43_230
.LBB43_218:                             ;   in Loop: Header=BB43_17 Depth=1
	s_or_b32 exec_lo, exec_lo, s17
	s_delay_alu instid0(SALU_CYCLE_1)
	s_and_b32 s21, s16, exec_lo
.LBB43_219:                             ;   in Loop: Header=BB43_17 Depth=1
	s_or_b32 exec_lo, exec_lo, s15
	s_mov_b32 s16, -1
	s_mov_b32 s15, 0
	s_delay_alu instid0(SALU_CYCLE_1)
	s_mov_b32 s17, s15
	s_branch .LBB43_230
.LBB43_220:                             ;   in Loop: Header=BB43_17 Depth=1
	s_add_i32 s16, s13, s56
	s_mov_b32 s21, 0
	s_abs_i32 s9, s16
                                        ; implicit-def: $vgpr5_vgpr6
	s_delay_alu instid0(SALU_CYCLE_1) | instskip(NEXT) | instid1(SALU_CYCLE_1)
	s_mul_hi_u32 s15, s9, s65
	s_mul_i32 s15, s15, s51
	s_delay_alu instid0(SALU_CYCLE_1) | instskip(SKIP_4) | instid1(SALU_CYCLE_1)
	s_sub_i32 s9, s9, s15
	s_ashr_i32 s15, s16, 31
	s_sub_i32 s17, s9, s51
	s_cmp_ge_u32 s9, s51
	s_cselect_b32 s9, s17, s9
	s_sub_i32 s17, s9, s51
	s_cmp_ge_u32 s9, s51
	s_cselect_b32 s9, s17, s9
	s_delay_alu instid0(SALU_CYCLE_1) | instskip(NEXT) | instid1(SALU_CYCLE_1)
	s_xor_b32 s9, s9, s15
	s_sub_i32 s9, s15, s9
	s_mov_b32 s15, exec_lo
	s_add_i32 s16, s16, s9
	s_delay_alu instid0(SALU_CYCLE_1)
	v_cmpx_gt_i32_e64 s16, v0
	s_cbranch_execz .LBB43_229
; %bb.221:                              ;   in Loop: Header=BB43_17 Depth=1
	v_dual_mov_b32 v7, v25 :: v_dual_mov_b32 v8, v0
                                        ; implicit-def: $sgpr17
	s_set_inst_prefetch_distance 0x1
	s_branch .LBB43_223
	.p2align	6
.LBB43_222:                             ;   in Loop: Header=BB43_223 Depth=2
	s_or_b32 exec_lo, exec_lo, s9
	s_waitcnt lgkmcnt(0)
	s_barrier
	buffer_gl0_inv
	ds_load_b128 v[3:6], v13 offset:3072
	v_add_nc_u32_e32 v8, s51, v8
	v_add_nc_u32_e32 v7, s69, v7
	s_waitcnt lgkmcnt(0)
	s_barrier
	buffer_gl0_inv
	v_cmp_le_i32_e64 s9, s16, v8
	v_cmp_neq_f64_e32 vcc_lo, 0, v[3:4]
	s_delay_alu instid0(VALU_DEP_2) | instskip(NEXT) | instid1(SALU_CYCLE_1)
	s_or_b32 s9, s9, vcc_lo
	s_and_b32 s9, exec_lo, s9
	s_delay_alu instid0(SALU_CYCLE_1) | instskip(SKIP_2) | instid1(SALU_CYCLE_1)
	s_or_b32 s21, s9, s21
	s_and_not1_b32 s9, s17, exec_lo
	s_and_b32 s17, vcc_lo, exec_lo
	s_or_b32 s17, s9, s17
	s_and_not1_b32 exec_lo, exec_lo, s21
	s_cbranch_execz .LBB43_228
.LBB43_223:                             ;   Parent Loop BB43_17 Depth=1
                                        ; =>  This Inner Loop Header: Depth=2
	v_mov_b32_e32 v3, 0
	v_mov_b32_e32 v4, 0
	v_cmp_gt_i32_e32 vcc_lo, s13, v8
	s_and_saveexec_b32 s9, vcc_lo
	s_cbranch_execz .LBB43_225
; %bb.224:                              ;   in Loop: Header=BB43_223 Depth=2
	ds_load_b64 v[3:4], v7
.LBB43_225:                             ;   in Loop: Header=BB43_223 Depth=2
	s_or_b32 exec_lo, exec_lo, s9
	s_and_saveexec_b32 s9, vcc_lo
	s_cbranch_execz .LBB43_222
; %bb.226:                              ;   in Loop: Header=BB43_223 Depth=2
	s_waitcnt lgkmcnt(0)
	v_cmp_o_f64_e32 vcc_lo, v[3:4], v[3:4]
	v_ashrrev_i32_e32 v1, 31, v4
	s_delay_alu instid0(VALU_DEP_1) | instskip(SKIP_1) | instid1(VALU_DEP_2)
	v_or_b32_e32 v5, 0x80000000, v1
	v_xor_b32_e32 v1, v1, v3
	v_xor_b32_e32 v5, v5, v4
	s_delay_alu instid0(VALU_DEP_1) | instskip(NEXT) | instid1(VALU_DEP_3)
	v_cndmask_b32_e32 v5, -1, v5, vcc_lo
	v_cndmask_b32_e32 v1, -1, v1, vcc_lo
	s_delay_alu instid0(VALU_DEP_2) | instskip(NEXT) | instid1(VALU_DEP_2)
	v_and_b32_e32 v6, s47, v5
	v_and_b32_e32 v5, s46, v1
	s_delay_alu instid0(VALU_DEP_1)
	v_cmp_eq_u64_e32 vcc_lo, s[44:45], v[5:6]
	s_and_b32 exec_lo, exec_lo, vcc_lo
	s_cbranch_execz .LBB43_222
; %bb.227:                              ;   in Loop: Header=BB43_223 Depth=2
	v_mov_b32_e32 v1, v13
	ds_store_b128 v13, v[1:4] offset:3072
	s_branch .LBB43_222
.LBB43_228:                             ;   in Loop: Header=BB43_17 Depth=1
	s_set_inst_prefetch_distance 0x2
	s_or_b32 exec_lo, exec_lo, s21
	s_delay_alu instid0(SALU_CYCLE_1)
	s_and_b32 s21, s17, exec_lo
.LBB43_229:                             ;   in Loop: Header=BB43_17 Depth=1
	s_or_b32 exec_lo, exec_lo, s15
	s_mov_b32 s17, -1
	s_mov_b32 s15, 0
	s_mov_b32 s16, 0
.LBB43_230:                             ;   in Loop: Header=BB43_17 Depth=1
	s_mov_b32 s13, 0
                                        ; implicit-def: $sgpr9
	s_and_saveexec_b32 s22, s21
	s_cbranch_execz .LBB43_244
; %bb.231:                              ;   in Loop: Header=BB43_17 Depth=1
	s_xor_b32 s9, s12, -1
	s_delay_alu instid0(SALU_CYCLE_1)
	s_and_not1_b32 vcc_lo, exec_lo, s9
	s_mov_b32 s9, 1
	s_cbranch_vccnz .LBB43_238
; %bb.232:                              ;   in Loop: Header=BB43_17 Depth=1
	s_cmp_gt_i32 s14, s18
	s_cbranch_scc1 .LBB43_239
; %bb.233:                              ;   in Loop: Header=BB43_17 Depth=1
	ds_load_b32 v1, v13 offset:4096
	s_waitcnt lgkmcnt(0)
	v_cmp_ne_u32_e32 vcc_lo, 0, v1
	s_cbranch_vccnz .LBB43_237
; %bb.234:                              ;   in Loop: Header=BB43_17 Depth=1
	s_and_saveexec_b32 s9, s2
	s_cbranch_execz .LBB43_236
; %bb.235:                              ;   in Loop: Header=BB43_17 Depth=1
	v_mov_b32_e32 v1, s18
	ds_store_b32 v13, v1 offset:4100
.LBB43_236:                             ;   in Loop: Header=BB43_17 Depth=1
	s_or_b32 exec_lo, exec_lo, s9
	s_waitcnt lgkmcnt(0)
	s_barrier
	buffer_gl0_inv
.LBB43_237:                             ;   in Loop: Header=BB43_17 Depth=1
	s_or_b64 s[12:13], s[44:45], s[10:11]
	s_or_b64 s[10:11], s[46:47], s[10:11]
	s_mov_b32 s21, 0
	s_mov_b32 s9, 8
	s_branch .LBB43_240
.LBB43_238:                             ;   in Loop: Header=BB43_17 Depth=1
	s_mov_b32 s14, 1
	s_branch .LBB43_243
.LBB43_239:                             ;   in Loop: Header=BB43_17 Depth=1
	s_mov_b32 s21, -1
                                        ; implicit-def: $sgpr9
                                        ; implicit-def: $sgpr12_sgpr13
                                        ; implicit-def: $sgpr10_sgpr11
.LBB43_240:                             ;   in Loop: Header=BB43_17 Depth=1
	s_delay_alu instid0(SALU_CYCLE_1)
	s_and_not1_b32 vcc_lo, exec_lo, s21
	s_cbranch_vccnz .LBB43_242
; %bb.241:                              ;   in Loop: Header=BB43_17 Depth=1
	s_sub_i32 s14, s14, s18
	s_mov_b32 s9, 8
	s_mov_b64 s[12:13], s[44:45]
	s_mov_b64 s[10:11], s[46:47]
.LBB43_242:                             ;   in Loop: Header=BB43_17 Depth=1
	s_mov_b64 s[44:45], s[12:13]
	s_mov_b64 s[46:47], s[10:11]
.LBB43_243:                             ;   in Loop: Header=BB43_17 Depth=1
	s_mov_b32 s13, exec_lo
.LBB43_244:                             ;   in Loop: Header=BB43_17 Depth=1
	s_or_b32 exec_lo, exec_lo, s22
.LBB43_245:                             ;   in Loop: Header=BB43_17 Depth=1
	s_delay_alu instid0(SALU_CYCLE_1)
	s_and_not1_b32 s10, s27, exec_lo
	s_and_b32 s11, s15, exec_lo
	s_and_not1_b32 s12, s28, exec_lo
	s_or_b32 s27, s10, s11
	s_and_not1_b32 s10, s37, exec_lo
	s_and_b32 s11, s17, exec_lo
	s_and_b32 s15, s16, exec_lo
	s_or_b32 s37, s10, s11
	s_or_b32 s28, s12, s15
	s_and_b32 s15, s13, exec_lo
	s_mov_b32 s79, s14
.LBB43_246:                             ;   in Loop: Header=BB43_17 Depth=1
	s_or_b32 exec_lo, exec_lo, s78
.LBB43_247:                             ;   in Loop: Header=BB43_17 Depth=1
	s_delay_alu instid0(SALU_CYCLE_1)
	s_and_not1_b32 s10, s24, exec_lo
	s_and_b32 s11, s27, exec_lo
	s_and_not1_b32 s12, s23, exec_lo
	s_or_b32 s24, s10, s11
	s_and_not1_b32 s10, s25, exec_lo
	s_and_b32 s11, s37, exec_lo
	s_and_b32 s13, s28, exec_lo
	s_or_b32 s25, s10, s11
	s_or_b32 s23, s12, s13
	s_and_b32 s15, s15, exec_lo
	s_mov_b32 s28, s79
.LBB43_248:                             ;   in Loop: Header=BB43_17 Depth=1
	s_or_b32 exec_lo, exec_lo, s26
	s_and_saveexec_b32 s10, s15
	s_delay_alu instid0(SALU_CYCLE_1)
	s_xor_b32 s10, exec_lo, s10
	s_cbranch_execz .LBB43_15
.LBB43_249:                             ;   in Loop: Header=BB43_17 Depth=1
	s_and_b32 s9, s9, -9
	s_delay_alu instid0(SALU_CYCLE_1)
	s_cmp_eq_u32 s9, 0
	s_cbranch_scc1 .LBB43_13
; %bb.250:                              ;   in Loop: Header=BB43_17 Depth=1
	s_mov_b32 s9, -1
	s_mov_b32 s11, -1
                                        ; implicit-def: $sgpr46_sgpr47
                                        ; implicit-def: $sgpr28
                                        ; implicit-def: $sgpr73
                                        ; implicit-def: $sgpr76
	s_branch .LBB43_14
.LBB43_251:
	s_or_b32 exec_lo, exec_lo, s52
	s_xor_b32 s3, s72, -1
	s_xor_b32 s1, s70, -1
	;; [unrolled: 1-line block ×3, first 2 shown]
	s_mov_b32 s0, 0
	s_and_saveexec_b32 s5, s1
	s_delay_alu instid0(SALU_CYCLE_1)
	s_xor_b32 s1, exec_lo, s5
	s_cbranch_execz .LBB43_272
; %bb.252:
	s_and_saveexec_b32 s0, s3
	s_delay_alu instid0(SALU_CYCLE_1)
	s_xor_b32 s3, exec_lo, s0
	s_cbranch_execz .LBB43_270
; %bb.253:
	s_and_saveexec_b32 s0, s4
	s_delay_alu instid0(SALU_CYCLE_1)
	s_xor_b32 s0, exec_lo, s0
; %bb.254:
	v_lshrrev_b32_e32 v1, 31, v4
	s_delay_alu instid0(VALU_DEP_1) | instskip(NEXT) | instid1(VALU_DEP_1)
	v_add_co_u32 v1, s4, v1, -1
	v_add_co_ci_u32_e64 v2, null, 0, -1, s4
	s_delay_alu instid0(VALU_DEP_2) | instskip(NEXT) | instid1(VALU_DEP_2)
	v_xor_b32_e32 v5, v1, v3
	v_or_b32_e32 v2, 0x80000000, v2
	s_delay_alu instid0(VALU_DEP_1)
	v_xor_b32_e32 v6, v2, v4
; %bb.255:
	s_or_b32 exec_lo, exec_lo, s0
	s_and_saveexec_b32 s0, s2
	s_cbranch_execz .LBB43_257
; %bb.256:
	v_dual_mov_b32 v1, 0 :: v_dual_mov_b32 v2, s36
	ds_store_b32 v1, v2 offset:4108
.LBB43_257:
	s_or_b32 exec_lo, exec_lo, s0
	v_mov_b32_e32 v1, 0
	s_waitcnt lgkmcnt(0)
	s_barrier
	buffer_gl0_inv
	s_mov_b32 s4, exec_lo
	ds_load_b32 v1, v1 offset:4108
	s_waitcnt lgkmcnt(0)
	v_min_i32_e32 v1, s36, v1
	s_delay_alu instid0(VALU_DEP_1)
	v_cmpx_lt_i32_e64 v0, v1
	s_cbranch_execz .LBB43_267
; %bb.258:
	v_cmp_u_f64_e32 vcc_lo, v[5:6], v[5:6]
	s_mov_b32 s5, 0
                                        ; implicit-def: $sgpr6
                                        ; implicit-def: $sgpr9
                                        ; implicit-def: $sgpr8
	s_xor_b32 s7, vcc_lo, -1
	s_set_inst_prefetch_distance 0x1
	s_branch .LBB43_260
	.p2align	6
.LBB43_259:                             ;   in Loop: Header=BB43_260 Depth=1
	s_or_b32 exec_lo, exec_lo, s0
	s_delay_alu instid0(SALU_CYCLE_1) | instskip(NEXT) | instid1(SALU_CYCLE_1)
	s_and_b32 s0, exec_lo, s9
	s_or_b32 s5, s0, s5
	s_and_not1_b32 s0, s6, exec_lo
	s_and_b32 s6, s8, exec_lo
	s_delay_alu instid0(SALU_CYCLE_1)
	s_or_b32 s6, s0, s6
	s_and_not1_b32 exec_lo, exec_lo, s5
	s_cbranch_execz .LBB43_262
.LBB43_260:                             ; =>This Inner Loop Header: Depth=1
	v_ashrrev_i32_e32 v12, 31, v11
	s_or_b32 s8, s8, exec_lo
	s_or_b32 s9, s9, exec_lo
	s_delay_alu instid0(VALU_DEP_1) | instskip(NEXT) | instid1(VALU_DEP_1)
	v_lshlrev_b64 v[2:3], 3, v[11:12]
	v_add_co_u32 v2, vcc_lo, s49, v2
	s_delay_alu instid0(VALU_DEP_2)
	v_add_co_ci_u32_e32 v3, vcc_lo, s50, v3, vcc_lo
	global_load_b64 v[2:3], v[2:3], off
	s_waitcnt vmcnt(0)
	v_cmp_o_f64_e32 vcc_lo, v[2:3], v[2:3]
	v_cmp_neq_f64_e64 s0, v[2:3], v[5:6]
	v_mov_b32_e32 v2, v0
                                        ; implicit-def: $vgpr0
	s_or_b32 s10, vcc_lo, s7
	s_delay_alu instid0(VALU_DEP_2) | instid1(SALU_CYCLE_1)
	s_and_b32 s10, s0, s10
	s_delay_alu instid0(SALU_CYCLE_1)
	s_and_saveexec_b32 s0, s10
	s_cbranch_execz .LBB43_259
; %bb.261:                              ;   in Loop: Header=BB43_260 Depth=1
	v_add_nc_u32_e32 v0, s51, v2
	s_and_not1_b32 s9, s9, exec_lo
	v_add_nc_u32_e32 v11, s55, v11
	s_and_not1_b32 s8, s8, exec_lo
	s_delay_alu instid0(VALU_DEP_2) | instskip(SKIP_1) | instid1(SALU_CYCLE_1)
	v_cmp_ge_i32_e32 vcc_lo, v0, v1
	s_and_b32 s10, vcc_lo, exec_lo
	s_or_b32 s9, s9, s10
	s_branch .LBB43_259
.LBB43_262:
	s_set_inst_prefetch_distance 0x2
	s_or_b32 exec_lo, exec_lo, s5
	s_and_saveexec_b32 s0, s6
	s_delay_alu instid0(SALU_CYCLE_1)
	s_xor_b32 s0, exec_lo, s0
	s_cbranch_execz .LBB43_267
; %bb.263:
	s_mov_b32 s5, exec_lo
	s_brev_b32 s0, -2
.LBB43_264:                             ; =>This Inner Loop Header: Depth=1
	s_ctz_i32_b32 s6, s5
	s_delay_alu instid0(SALU_CYCLE_1) | instskip(SKIP_1) | instid1(SALU_CYCLE_1)
	v_readlane_b32 s7, v2, s6
	s_lshl_b32 s6, 1, s6
	s_and_not1_b32 s5, s5, s6
	s_delay_alu instid0(VALU_DEP_1)
	s_min_i32 s0, s0, s7
	s_cmp_lg_u32 s5, 0
	s_cbranch_scc1 .LBB43_264
; %bb.265:
	v_mbcnt_lo_u32_b32 v0, exec_lo, 0
	s_mov_b32 s5, exec_lo
	s_delay_alu instid0(VALU_DEP_1)
	v_cmpx_eq_u32_e32 0, v0
	s_xor_b32 s5, exec_lo, s5
	s_cbranch_execz .LBB43_267
; %bb.266:
	v_dual_mov_b32 v0, 0 :: v_dual_mov_b32 v1, s0
	ds_min_i32 v0, v1 offset:4108
.LBB43_267:
	s_or_b32 exec_lo, exec_lo, s4
	s_waitcnt lgkmcnt(0)
	s_barrier
	buffer_gl0_inv
	s_and_saveexec_b32 s0, s2
	s_cbranch_execz .LBB43_269
; %bb.268:
	v_mov_b32_e32 v2, 0
	s_mul_i32 s2, s30, s38
	s_delay_alu instid0(SALU_CYCLE_1)
	s_add_i32 s4, s2, s29
	s_mul_i32 s2, s48, s33
	ds_load_b32 v0, v2 offset:4108
	s_ashr_i32 s5, s4, 31
	s_add_i32 s6, s2, s31
	s_lshl_b64 s[4:5], s[4:5], 3
	s_delay_alu instid0(SALU_CYCLE_1) | instskip(SKIP_2) | instid1(SALU_CYCLE_1)
	s_add_u32 s4, s40, s4
	s_addc_u32 s5, s41, s5
	s_ashr_i32 s7, s6, 31
	s_lshl_b64 s[6:7], s[6:7], 3
	s_delay_alu instid0(SALU_CYCLE_1)
	s_add_u32 s6, s34, s6
	s_addc_u32 s7, s35, s7
	s_waitcnt lgkmcnt(0)
	v_ashrrev_i32_e32 v1, 31, v0
	s_clause 0x1
	global_store_b64 v2, v[0:1], s[6:7]
	global_store_b64 v2, v[5:6], s[4:5]
.LBB43_269:
	s_or_b32 exec_lo, exec_lo, s0
.LBB43_270:
	s_or_saveexec_b32 s0, s3
	s_mov_b32 s2, 0
	s_xor_b32 exec_lo, exec_lo, s0
	s_cbranch_execnz .LBB43_278
.LBB43_271:
	s_or_b32 exec_lo, exec_lo, s0
	s_delay_alu instid0(SALU_CYCLE_1)
	s_and_b32 s0, s2, exec_lo
.LBB43_272:
	s_and_not1_saveexec_b32 s1, s1
	s_cbranch_execnz .LBB43_276
; %bb.273:
	s_or_b32 exec_lo, exec_lo, s1
	s_and_saveexec_b32 s1, s0
.LBB43_274:
	; divergent unreachable
.LBB43_275:
	s_nop 0
	s_sendmsg sendmsg(MSG_DEALLOC_VGPRS)
	s_endpgm
.LBB43_276:
	s_cbranch_execnz .LBB43_280
; %bb.277:
	s_or_b32 s0, s0, exec_lo
	s_or_b32 exec_lo, exec_lo, s1
	s_and_saveexec_b32 s1, s0
	s_cbranch_execnz .LBB43_274
	s_branch .LBB43_275
.LBB43_278:
	s_cbranch_execnz .LBB43_282
; %bb.279:
	s_mov_b32 s2, exec_lo
	s_branch .LBB43_271
.LBB43_280:
	s_trap 2
	s_sendmsg_rtn_b32 s0, sendmsg(MSG_RTN_GET_DOORBELL)
	s_mov_b32 ttmp2, m0
	s_waitcnt lgkmcnt(0)
	s_and_b32 s0, s0, 0x3ff
	s_delay_alu instid0(SALU_CYCLE_1) | instskip(NEXT) | instid1(SALU_CYCLE_1)
	s_bitset1_b32 s0, 10
	s_mov_b32 m0, s0
	s_sendmsg sendmsg(MSG_INTERRUPT)
	s_mov_b32 m0, ttmp2
.LBB43_281:                             ; =>This Inner Loop Header: Depth=1
	s_sethalt 5
	s_branch .LBB43_281
.LBB43_282:
	s_trap 2
	s_sendmsg_rtn_b32 s0, sendmsg(MSG_RTN_GET_DOORBELL)
	s_mov_b32 ttmp2, m0
	s_waitcnt lgkmcnt(0)
	s_and_b32 s0, s0, 0x3ff
	s_delay_alu instid0(SALU_CYCLE_1) | instskip(NEXT) | instid1(SALU_CYCLE_1)
	s_bitset1_b32 s0, 10
	s_mov_b32 m0, s0
	s_sendmsg sendmsg(MSG_INTERRUPT)
	s_mov_b32 m0, ttmp2
.LBB43_283:                             ; =>This Inner Loop Header: Depth=1
	s_sethalt 5
	s_branch .LBB43_283
	.section	.rodata,"a",@progbits
	.p2align	6, 0x0
	.amdhsa_kernel _ZN2at6native12_GLOBAL__N_114gatherKthValueIdiLin1EEEvNS_4cuda6detail10TensorInfoIKT_T0_EES8_S8_S8_S8_NS5_IS6_S8_EENS5_IlS8_EE
		.amdhsa_group_segment_fixed_size 4112
		.amdhsa_private_segment_fixed_size 0
		.amdhsa_kernarg_size 920
		.amdhsa_user_sgpr_count 13
		.amdhsa_user_sgpr_dispatch_ptr 0
		.amdhsa_user_sgpr_queue_ptr 0
		.amdhsa_user_sgpr_kernarg_segment_ptr 1
		.amdhsa_user_sgpr_dispatch_id 0
		.amdhsa_user_sgpr_private_segment_size 0
		.amdhsa_wavefront_size32 1
		.amdhsa_uses_dynamic_stack 0
		.amdhsa_enable_private_segment 0
		.amdhsa_system_sgpr_workgroup_id_x 1
		.amdhsa_system_sgpr_workgroup_id_y 1
		.amdhsa_system_sgpr_workgroup_id_z 1
		.amdhsa_system_sgpr_workgroup_info 0
		.amdhsa_system_vgpr_workitem_id 0
		.amdhsa_next_free_vgpr 50
		.amdhsa_next_free_sgpr 87
		.amdhsa_reserve_vcc 1
		.amdhsa_float_round_mode_32 0
		.amdhsa_float_round_mode_16_64 0
		.amdhsa_float_denorm_mode_32 3
		.amdhsa_float_denorm_mode_16_64 3
		.amdhsa_dx10_clamp 1
		.amdhsa_ieee_mode 1
		.amdhsa_fp16_overflow 0
		.amdhsa_workgroup_processor_mode 1
		.amdhsa_memory_ordered 1
		.amdhsa_forward_progress 0
		.amdhsa_shared_vgpr_count 0
		.amdhsa_exception_fp_ieee_invalid_op 0
		.amdhsa_exception_fp_denorm_src 0
		.amdhsa_exception_fp_ieee_div_zero 0
		.amdhsa_exception_fp_ieee_overflow 0
		.amdhsa_exception_fp_ieee_underflow 0
		.amdhsa_exception_fp_ieee_inexact 0
		.amdhsa_exception_int_div_zero 0
	.end_amdhsa_kernel
	.section	.text._ZN2at6native12_GLOBAL__N_114gatherKthValueIdiLin1EEEvNS_4cuda6detail10TensorInfoIKT_T0_EES8_S8_S8_S8_NS5_IS6_S8_EENS5_IlS8_EE,"axG",@progbits,_ZN2at6native12_GLOBAL__N_114gatherKthValueIdiLin1EEEvNS_4cuda6detail10TensorInfoIKT_T0_EES8_S8_S8_S8_NS5_IS6_S8_EENS5_IlS8_EE,comdat
.Lfunc_end43:
	.size	_ZN2at6native12_GLOBAL__N_114gatherKthValueIdiLin1EEEvNS_4cuda6detail10TensorInfoIKT_T0_EES8_S8_S8_S8_NS5_IS6_S8_EENS5_IlS8_EE, .Lfunc_end43-_ZN2at6native12_GLOBAL__N_114gatherKthValueIdiLin1EEEvNS_4cuda6detail10TensorInfoIKT_T0_EES8_S8_S8_S8_NS5_IS6_S8_EENS5_IlS8_EE
                                        ; -- End function
	.section	.AMDGPU.csdata,"",@progbits
; Kernel info:
; codeLenInByte = 11392
; NumSgprs: 89
; NumVgprs: 50
; ScratchSize: 0
; MemoryBound: 0
; FloatMode: 240
; IeeeMode: 1
; LDSByteSize: 4112 bytes/workgroup (compile time only)
; SGPRBlocks: 11
; VGPRBlocks: 6
; NumSGPRsForWavesPerEU: 89
; NumVGPRsForWavesPerEU: 50
; Occupancy: 16
; WaveLimiterHint : 1
; COMPUTE_PGM_RSRC2:SCRATCH_EN: 0
; COMPUTE_PGM_RSRC2:USER_SGPR: 13
; COMPUTE_PGM_RSRC2:TRAP_HANDLER: 0
; COMPUTE_PGM_RSRC2:TGID_X_EN: 1
; COMPUTE_PGM_RSRC2:TGID_Y_EN: 1
; COMPUTE_PGM_RSRC2:TGID_Z_EN: 1
; COMPUTE_PGM_RSRC2:TIDIG_COMP_CNT: 0
	.section	.text._ZN2at6native12_GLOBAL__N_114gatherKthValueIdlLi1EEEvNS_4cuda6detail10TensorInfoIKT_T0_EES8_S8_S8_S8_NS5_IS6_S8_EENS5_IlS8_EE,"axG",@progbits,_ZN2at6native12_GLOBAL__N_114gatherKthValueIdlLi1EEEvNS_4cuda6detail10TensorInfoIKT_T0_EES8_S8_S8_S8_NS5_IS6_S8_EENS5_IlS8_EE,comdat
	.globl	_ZN2at6native12_GLOBAL__N_114gatherKthValueIdlLi1EEEvNS_4cuda6detail10TensorInfoIKT_T0_EES8_S8_S8_S8_NS5_IS6_S8_EENS5_IlS8_EE ; -- Begin function _ZN2at6native12_GLOBAL__N_114gatherKthValueIdlLi1EEEvNS_4cuda6detail10TensorInfoIKT_T0_EES8_S8_S8_S8_NS5_IS6_S8_EENS5_IlS8_EE
	.p2align	8
	.type	_ZN2at6native12_GLOBAL__N_114gatherKthValueIdlLi1EEEvNS_4cuda6detail10TensorInfoIKT_T0_EES8_S8_S8_S8_NS5_IS6_S8_EENS5_IlS8_EE,@function
_ZN2at6native12_GLOBAL__N_114gatherKthValueIdlLi1EEEvNS_4cuda6detail10TensorInfoIKT_T0_EES8_S8_S8_S8_NS5_IS6_S8_EENS5_IlS8_EE: ; @_ZN2at6native12_GLOBAL__N_114gatherKthValueIdlLi1EEEvNS_4cuda6detail10TensorInfoIKT_T0_EES8_S8_S8_S8_NS5_IS6_S8_EENS5_IlS8_EE
; %bb.0:
	s_clause 0x1
	s_load_b64 s[8:9], s[0:1], 0x500
	s_load_b256 s[36:43], s[0:1], 0x1a0
	s_add_u32 s6, s0, 0x500
	s_addc_u32 s7, s1, 0
	s_mov_b32 s27, 0
	s_waitcnt lgkmcnt(0)
	s_mul_i32 s2, s9, s15
	s_delay_alu instid0(SALU_CYCLE_1) | instskip(NEXT) | instid1(SALU_CYCLE_1)
	s_add_i32 s2, s2, s14
	s_mul_i32 s2, s2, s8
	s_delay_alu instid0(SALU_CYCLE_1) | instskip(NEXT) | instid1(SALU_CYCLE_1)
	s_add_i32 s26, s2, s13
	v_cmp_ge_i64_e64 s2, s[26:27], s[40:41]
	s_delay_alu instid0(VALU_DEP_1)
	s_and_b32 vcc_lo, exec_lo, s2
	s_cbranch_vccnz .LBB44_303
; %bb.1:
	s_clause 0x5
	s_load_b64 s[34:35], s[0:1], 0x430
	s_load_b64 s[28:29], s[0:1], 0x360
	;; [unrolled: 1-line block ×6, first 2 shown]
	v_cmp_eq_u32_e64 s0, 0, v0
	s_delay_alu instid0(VALU_DEP_1)
	s_and_saveexec_b32 s1, s0
	s_cbranch_execz .LBB44_3
; %bb.2:
	v_dual_mov_b32 v1, 0 :: v_dual_mov_b32 v4, s37
	s_delay_alu instid0(VALU_DEP_1)
	v_dual_mov_b32 v3, s36 :: v_dual_mov_b32 v2, v1
	ds_store_b32 v1, v1 offset:5136
	ds_store_b128 v1, v[1:4] offset:5120
.LBB44_3:
	s_or_b32 exec_lo, exec_lo, s1
	v_mad_u64_u32 v[2:3], null, v0, s42, 0
	v_lshlrev_b32_e32 v39, 5, v0
	s_waitcnt lgkmcnt(0)
	s_mul_i32 s1, s5, s26
	s_mul_hi_u32 s5, s4, s26
	s_mul_i32 s4, s4, s26
	s_add_i32 s5, s5, s1
	v_or_b32_e32 v11, 8, v39
	v_dual_mov_b32 v1, v3 :: v_dual_lshlrev_b32 v36, 3, v0
	s_lshl_b64 s[4:5], s[4:5], 3
	v_mbcnt_lo_u32_b32 v35, -1, 0
	s_delay_alu instid0(VALU_DEP_3) | instskip(NEXT) | instid1(VALU_DEP_3)
	v_mad_u64_u32 v[26:27], null, s42, v11, 0
	v_mad_u64_u32 v[3:4], null, v0, s43, v[1:2]
	v_dual_mov_b32 v19, 0 :: v_dual_lshlrev_b32 v20, 2, v0
	v_lshrrev_b32_e32 v6, 3, v0
	s_add_u32 s46, s2, s4
	s_addc_u32 s47, s3, s5
	s_barrier
	buffer_gl0_inv
	s_load_b32 s5, s[6:7], 0xc
	v_lshlrev_b64 v[4:5], 3, v[2:3]
	v_cmp_gt_u32_e32 vcc_lo, 32, v0
	v_cmp_gt_i32_e64 s1, 4, v35
	v_dual_mov_b32 v1, v19 :: v_dual_and_b32 v38, 0x7c, v6
	v_mov_b32_e32 v6, v27
	v_or_b32_e32 v9, 24, v39
	v_or_b32_e32 v10, 16, v39
	s_and_b32 s33, vcc_lo, s1
	v_add_co_u32 v16, vcc_lo, s46, v4
	s_delay_alu instid0(VALU_DEP_3) | instskip(NEXT) | instid1(VALU_DEP_3)
	v_mad_u64_u32 v[22:23], null, s42, v9, 0
	v_mad_u64_u32 v[24:25], null, s42, v10, 0
	v_add_co_ci_u32_e32 v17, vcc_lo, s47, v5, vcc_lo
	v_lshlrev_b64 v[4:5], v35, -1
	v_add_nc_u32_e32 v37, 0xc00, v36
	s_waitcnt lgkmcnt(0)
	s_and_b32 s27, s5, 0xffff
	s_bfe_u32 s9, s5, 0xb0005
	s_delay_alu instid0(VALU_DEP_4)
	v_mov_b32_e32 v5, v25
	s_add_u32 s73, s27, -1
	v_not_b32_e32 v40, v4
	v_mov_b32_e32 v4, v23
	s_addc_u32 s74, 0, -1
	s_add_u32 s75, s73, s36
	s_addc_u32 s25, s74, s37
	s_cmp_lt_u32 s13, s8
	v_mad_u64_u32 v[7:8], null, s43, v9, v[4:5]
	s_cselect_b32 s8, 12, 18
	v_mad_u64_u32 v[8:9], null, s43, v10, v[5:6]
	s_add_u32 s50, s6, s8
	s_addc_u32 s51, s7, 0
	s_add_i32 s6, s9, -1
	s_delay_alu instid0(VALU_DEP_2)
	v_mad_u64_u32 v[4:5], null, s43, v11, v[6:7]
	s_bfe_u32 s76, s27, 0x30005
	s_cmp_gt_u32 s6, 6
	v_add_co_u32 v42, s7, s36, v0
	s_cselect_b32 s77, -1, 0
	s_and_b32 s78, s9, 0x7f8
	v_cmp_lt_i64_e64 s72, 0x180, s[36:37]
	v_cmp_gt_u64_e64 s4, s[36:37], v[0:1]
	v_cmp_gt_i64_e64 s1, s[36:37], v[0:1]
	v_mov_b32_e32 v21, v19
	s_cmp_lg_u32 s76, 0
	v_cmp_gt_u16_e64 s79, s5, 31
	v_dual_mov_b32 v23, v7 :: v_dual_mov_b32 v6, 0
	v_lshlrev_b64 v[27:28], 5, v[2:3]
	s_mul_i32 s5, s43, s27
	s_mul_hi_u32 s6, s42, s27
	v_cmp_eq_u32_e64 s2, 0, v35
	v_cmp_gt_u32_e64 s3, 2, v0
	v_mov_b32_e32 v25, v8
	v_mov_b32_e32 v41, v4
	v_add_co_ci_u32_e64 v43, null, s37, 0, s7
	v_lshl_or_b32 v44, v35, 3, 0xc00
	v_mov_b32_e32 v7, 0
	v_mov_b32_e32 v3, 0x3ff00000
	v_cvt_f32_ubyte0_e32 v45, 0
	s_cselect_b32 s80, -1, 0
	s_add_i32 s7, s6, s5
	s_mul_i32 s6, s42, s27
	s_mov_b32 s49, 0
	s_lshl_b64 s[52:53], s[42:43], 3
	s_lshl_b64 s[54:55], s[42:43], 5
	s_lshl_b64 s[44:45], s[6:7], 3
	s_lshl_b32 s81, s27, 3
	s_mov_b64 s[56:57], 0
	s_mov_b32 s85, 62
	s_mov_b32 s82, 0
	;; [unrolled: 1-line block ×3, first 2 shown]
	s_mov_b64 s[58:59], 0
                                        ; implicit-def: $sgpr83
                                        ; implicit-def: $sgpr86
                                        ; implicit-def: $sgpr84
                                        ; implicit-def: $sgpr89
                                        ; implicit-def: $sgpr90
                                        ; implicit-def: $sgpr88
	s_branch .LBB44_8
.LBB44_4:                               ;   in Loop: Header=BB44_8 Depth=1
	s_xor_b32 s87, s87, 1
	s_add_i32 s8, s85, -2
	s_cmp_eq_u32 s85, 0
	s_mov_b32 s5, 0
	s_cselect_b32 s7, -1, 0
	s_mov_b32 s85, s8
.LBB44_5:                               ;   in Loop: Header=BB44_8 Depth=1
	s_and_not1_b32 s8, s48, exec_lo
	s_and_b32 s5, s5, exec_lo
	s_and_not1_b32 s60, s60, exec_lo
	s_or_b32 s48, s8, s5
	s_and_not1_b32 s21, s21, exec_lo
	s_or_not1_b32 s20, s7, exec_lo
.LBB44_6:                               ;   in Loop: Header=BB44_8 Depth=1
	s_or_b32 exec_lo, exec_lo, s6
	s_delay_alu instid0(SALU_CYCLE_1)
	s_and_not1_b32 s5, s88, exec_lo
	s_and_b32 s6, s48, exec_lo
	s_and_not1_b32 s7, s89, exec_lo
	s_or_b32 s88, s5, s6
	s_and_not1_b32 s5, s90, exec_lo
	s_and_b32 s6, s60, exec_lo
	s_and_b32 s8, s21, exec_lo
	s_or_b32 s90, s5, s6
	s_or_b32 s89, s7, s8
	s_or_not1_b32 s48, s20, exec_lo
.LBB44_7:                               ;   in Loop: Header=BB44_8 Depth=1
	s_or_b32 exec_lo, exec_lo, s22
	s_delay_alu instid0(SALU_CYCLE_1)
	s_and_b32 s5, exec_lo, s48
	v_dual_mov_b32 v4, s56 :: v_dual_mov_b32 v5, s57
	s_or_b32 s82, s5, s82
	s_and_not1_b32 s5, s84, exec_lo
	s_and_b32 s6, s88, exec_lo
	s_and_not1_b32 s7, s83, exec_lo
	s_or_b32 s84, s5, s6
	s_and_not1_b32 s5, s86, exec_lo
	s_and_b32 s6, s90, exec_lo
	s_and_b32 s8, s89, exec_lo
	s_or_b32 s86, s5, s6
	s_or_b32 s83, s7, s8
	s_and_not1_b32 exec_lo, exec_lo, s82
	s_cbranch_execz .LBB44_277
.LBB44_8:                               ; =>This Loop Header: Depth=1
                                        ;     Child Loop BB44_16 Depth 2
                                        ;     Child Loop BB44_35 Depth 2
                                        ;     Child Loop BB44_62 Depth 2
                                        ;     Child Loop BB44_66 Depth 2
                                        ;     Child Loop BB44_48 Depth 2
                                        ;     Child Loop BB44_55 Depth 2
                                        ;     Child Loop BB44_75 Depth 2
                                        ;     Child Loop BB44_80 Depth 2
                                        ;     Child Loop BB44_107 Depth 2
                                        ;     Child Loop BB44_92 Depth 2
                                        ;     Child Loop BB44_154 Depth 2
                                        ;     Child Loop BB44_137 Depth 2
                                        ;     Child Loop BB44_201 Depth 2
                                        ;     Child Loop BB44_184 Depth 2
                                        ;     Child Loop BB44_248 Depth 2
                                        ;     Child Loop BB44_231 Depth 2
	ds_load_b128 v[8:11], v19 offset:5120
	s_waitcnt lgkmcnt(0)
	v_readfirstlane_b32 s61, v9
	v_readfirstlane_b32 s60, v8
	s_delay_alu instid0(VALU_DEP_1) | instskip(NEXT) | instid1(VALU_DEP_1)
	v_cmp_gt_i64_e64 s5, s[60:61], 0
	s_and_b32 vcc_lo, exec_lo, s5
	s_cbranch_vccnz .LBB44_42
; %bb.9:                                ;   in Loop: Header=BB44_8 Depth=1
	s_and_b32 vcc_lo, exec_lo, s72
	s_cbranch_vccz .LBB44_24
; %bb.10:                               ;   in Loop: Header=BB44_8 Depth=1
	v_cmp_gt_i64_e32 vcc_lo, 0x181, v[10:11]
	s_mov_b32 s7, 0
	s_mov_b32 s5, 0
	s_cbranch_vccz .LBB44_29
; %bb.11:                               ;   in Loop: Header=BB44_8 Depth=1
	v_mov_b32_e32 v4, 0
	v_mov_b32_e32 v5, 0
	s_and_saveexec_b32 s5, s4
	s_cbranch_execz .LBB44_13
; %bb.12:                               ;   in Loop: Header=BB44_8 Depth=1
	global_load_b64 v[4:5], v[16:17], off
.LBB44_13:                              ;   in Loop: Header=BB44_8 Depth=1
	s_or_b32 exec_lo, exec_lo, s5
	s_and_saveexec_b32 s8, s4
	s_cbranch_execz .LBB44_25
; %bb.14:                               ;   in Loop: Header=BB44_8 Depth=1
	global_load_u16 v11, v19, s[50:51]
	s_mov_b32 s11, 0
	s_waitcnt vmcnt(0)
	v_readfirstlane_b32 s5, v11
	s_delay_alu instid0(VALU_DEP_1) | instskip(NEXT) | instid1(SALU_CYCLE_1)
	s_and_b32 s5, 0xffff, s5
	v_add_nc_u32_e32 v12, s5, v0
	s_mul_i32 s6, s53, s5
	s_mul_hi_u32 s9, s52, s5
	s_mul_i32 s10, s52, s5
	s_add_i32 s9, s9, s6
	v_mad_u64_u32 v[8:9], null, s52, v12, s[46:47]
	s_delay_alu instid0(VALU_DEP_1) | instskip(NEXT) | instid1(VALU_DEP_1)
	v_mov_b32_e32 v2, v9
	v_mad_u64_u32 v[9:10], null, s53, v12, v[2:3]
	v_dual_mov_b32 v11, v1 :: v_dual_and_b32 v2, 0xffff, v11
	v_mov_b32_e32 v10, v0
	s_branch .LBB44_16
.LBB44_15:                              ;   in Loop: Header=BB44_16 Depth=2
	s_or_b32 exec_lo, exec_lo, s6
	v_add_co_u32 v8, vcc_lo, v8, s10
	v_add_co_ci_u32_e32 v9, vcc_lo, s9, v9, vcc_lo
	s_waitcnt vmcnt(0)
	v_dual_mov_b32 v4, v12 :: v_dual_mov_b32 v5, v13
	s_and_not1_b32 exec_lo, exec_lo, s11
	s_cbranch_execz .LBB44_25
.LBB44_16:                              ;   Parent Loop BB44_8 Depth=1
                                        ; =>  This Inner Loop Header: Depth=2
	s_delay_alu instid0(VALU_DEP_1) | instskip(NEXT) | instid1(VALU_DEP_3)
	v_add_co_u32 v10, vcc_lo, v10, v2
	v_add_co_ci_u32_e32 v11, vcc_lo, 0, v11, vcc_lo
	v_mov_b32_e32 v12, 0
	v_mov_b32_e32 v13, 0
	s_mov_b32 s6, exec_lo
	s_delay_alu instid0(VALU_DEP_3)
	v_cmp_le_i64_e32 vcc_lo, s[36:37], v[10:11]
	v_cmpx_gt_i64_e64 s[36:37], v[10:11]
	s_cbranch_execz .LBB44_18
; %bb.17:                               ;   in Loop: Header=BB44_16 Depth=2
	global_load_b64 v[12:13], v[8:9], off
.LBB44_18:                              ;   in Loop: Header=BB44_16 Depth=2
	s_or_b32 exec_lo, exec_lo, s6
	v_cmp_o_f64_e64 s5, v[4:5], v[4:5]
	s_waitcnt lgkmcnt(0)
	v_ashrrev_i32_e32 v14, 31, v5
	s_delay_alu instid0(VALU_DEP_1) | instskip(SKIP_1) | instid1(VALU_DEP_2)
	v_or_b32_e32 v15, 0x80000000, v14
	v_xor_b32_e32 v14, v14, v4
	v_xor_b32_e32 v15, v15, v5
	s_delay_alu instid0(VALU_DEP_1) | instskip(NEXT) | instid1(VALU_DEP_3)
	v_cndmask_b32_e64 v15, -1, v15, s5
	v_cndmask_b32_e64 v14, -1, v14, s5
	s_delay_alu instid0(VALU_DEP_2) | instskip(NEXT) | instid1(VALU_DEP_2)
	v_and_b32_e32 v15, s59, v15
	v_and_b32_e32 v14, s58, v14
	s_delay_alu instid0(VALU_DEP_1) | instskip(SKIP_1) | instid1(VALU_DEP_2)
	v_cmp_eq_u64_e64 s5, s[56:57], v[14:15]
	v_mov_b32_e32 v14, 0
	s_cmp_lg_u32 s5, 0
	s_cselect_b32 s6, -1, 0
	s_delay_alu instid0(SALU_CYCLE_1) | instskip(NEXT) | instid1(SALU_CYCLE_1)
	s_and_b32 s6, s2, s6
	s_and_saveexec_b32 s12, s6
	s_cbranch_execz .LBB44_22
; %bb.19:                               ;   in Loop: Header=BB44_16 Depth=2
	s_mov_b32 s15, exec_lo
	s_bcnt1_i32_b32 s13, s5
	v_mbcnt_lo_u32_b32 v14, s15, 0
	s_mov_b32 s14, exec_lo
                                        ; implicit-def: $vgpr15
	s_delay_alu instid0(VALU_DEP_1)
	v_cmpx_eq_u32_e32 0, v14
	s_cbranch_execz .LBB44_21
; %bb.20:                               ;   in Loop: Header=BB44_16 Depth=2
	s_bcnt1_i32_b32 s6, s15
	s_delay_alu instid0(SALU_CYCLE_1) | instskip(NEXT) | instid1(SALU_CYCLE_1)
	s_mul_i32 s6, s13, s6
	v_mov_b32_e32 v15, s6
	ds_add_rtn_u32 v15, v19, v15 offset:5136
.LBB44_21:                              ;   in Loop: Header=BB44_16 Depth=2
	s_or_b32 exec_lo, exec_lo, s14
	s_waitcnt lgkmcnt(0)
	v_readfirstlane_b32 s6, v15
	s_delay_alu instid0(VALU_DEP_1)
	v_mad_u32_u24 v14, s13, v14, s6
.LBB44_22:                              ;   in Loop: Header=BB44_16 Depth=2
	s_or_b32 exec_lo, exec_lo, s12
	ds_bpermute_b32 v14, v19, v14
	s_and_b32 s6, exec_lo, vcc_lo
	s_delay_alu instid0(SALU_CYCLE_1)
	s_or_b32 s11, s6, s11
	s_and_saveexec_b32 s6, s5
	s_cbranch_execz .LBB44_15
; %bb.23:                               ;   in Loop: Header=BB44_16 Depth=2
	v_and_b32_e32 v15, s5, v40
	s_delay_alu instid0(VALU_DEP_1) | instskip(NEXT) | instid1(VALU_DEP_1)
	v_bcnt_u32_b32 v15, v15, 0
	v_lshlrev_b32_e32 v15, 3, v15
	s_waitcnt lgkmcnt(0)
	s_delay_alu instid0(VALU_DEP_1)
	v_lshl_add_u32 v14, v14, 3, v15
	ds_store_b64 v14, v[4:5]
	s_branch .LBB44_15
.LBB44_24:                              ;   in Loop: Header=BB44_8 Depth=1
	s_mov_b32 s7, -1
	s_mov_b32 s5, 0
	s_branch .LBB44_28
.LBB44_25:                              ;   in Loop: Header=BB44_8 Depth=1
	s_or_b32 exec_lo, exec_lo, s8
	s_waitcnt vmcnt(0) lgkmcnt(0)
	s_barrier
	buffer_gl0_inv
	s_and_saveexec_b32 s5, s0
	s_cbranch_execz .LBB44_27
; %bb.26:                               ;   in Loop: Header=BB44_8 Depth=1
	ds_load_b32 v4, v19 offset:5136
	s_waitcnt lgkmcnt(0)
	v_ashrrev_i32_e32 v5, 31, v4
	ds_store_b64 v19, v[4:5] offset:5120
.LBB44_27:                              ;   in Loop: Header=BB44_8 Depth=1
	s_or_b32 exec_lo, exec_lo, s5
	s_waitcnt lgkmcnt(0)
	s_mov_b32 s5, -1
	s_barrier
.LBB44_28:                              ;   in Loop: Header=BB44_8 Depth=1
                                        ; implicit-def: $sgpr60_sgpr61
.LBB44_29:                              ;   in Loop: Header=BB44_8 Depth=1
	s_and_b32 vcc_lo, exec_lo, s7
	s_cbranch_vccz .LBB44_40
; %bb.30:                               ;   in Loop: Header=BB44_8 Depth=1
	v_mov_b32_e32 v4, 0
	v_mov_b32_e32 v5, 0
	s_and_saveexec_b32 s5, s1
	s_cbranch_execz .LBB44_32
; %bb.31:                               ;   in Loop: Header=BB44_8 Depth=1
	global_load_b64 v[4:5], v[16:17], off
.LBB44_32:                              ;   in Loop: Header=BB44_8 Depth=1
	s_or_b32 exec_lo, exec_lo, s5
	s_and_saveexec_b32 s6, s1
	s_cbranch_execz .LBB44_37
; %bb.33:                               ;   in Loop: Header=BB44_8 Depth=1
	global_load_u16 v11, v19, s[50:51]
	s_mov_b32 s10, 0
	s_waitcnt vmcnt(0)
	v_readfirstlane_b32 s5, v11
	v_and_b32_e32 v14, 0xffff, v11
	s_delay_alu instid0(VALU_DEP_2) | instskip(NEXT) | instid1(SALU_CYCLE_1)
	s_and_b32 s5, 0xffff, s5
	v_add_nc_u32_e32 v12, s5, v0
	s_mul_i32 s8, s53, s5
	s_mul_hi_u32 s9, s52, s5
	s_lshl_b32 s7, s5, 3
	s_add_i32 s8, s9, s8
	v_mad_u64_u32 v[8:9], null, s52, v12, s[46:47]
	s_mul_i32 s9, s52, s5
	s_delay_alu instid0(VALU_DEP_1) | instskip(NEXT) | instid1(VALU_DEP_1)
	v_mov_b32_e32 v2, v9
	v_mad_u64_u32 v[9:10], null, s53, v12, v[2:3]
	v_dual_mov_b32 v11, v1 :: v_dual_mov_b32 v2, v36
	v_mov_b32_e32 v10, v0
	s_set_inst_prefetch_distance 0x1
	s_branch .LBB44_35
	.p2align	6
.LBB44_34:                              ;   in Loop: Header=BB44_35 Depth=2
	s_or_b32 exec_lo, exec_lo, s11
	s_delay_alu instid0(SALU_CYCLE_1)
	s_and_b32 s5, exec_lo, vcc_lo
	v_add_co_u32 v8, vcc_lo, v8, s9
	ds_store_b64 v2, v[4:5]
	s_waitcnt vmcnt(0)
	v_mov_b32_e32 v4, v12
	v_dual_mov_b32 v5, v13 :: v_dual_add_nc_u32 v2, s7, v2
	v_add_co_ci_u32_e32 v9, vcc_lo, s8, v9, vcc_lo
	s_or_b32 s10, s5, s10
	s_delay_alu instid0(SALU_CYCLE_1)
	s_and_not1_b32 exec_lo, exec_lo, s10
	s_cbranch_execz .LBB44_37
.LBB44_35:                              ;   Parent Loop BB44_8 Depth=1
                                        ; =>  This Inner Loop Header: Depth=2
	s_delay_alu instid0(VALU_DEP_1) | instskip(SKIP_4) | instid1(VALU_DEP_3)
	v_add_co_u32 v10, vcc_lo, v10, v14
	v_add_co_ci_u32_e32 v11, vcc_lo, 0, v11, vcc_lo
	v_mov_b32_e32 v12, 0
	v_mov_b32_e32 v13, 0
	s_mov_b32 s11, exec_lo
	v_cmp_le_i64_e32 vcc_lo, s[36:37], v[10:11]
	v_cmpx_gt_i64_e64 s[36:37], v[10:11]
	s_cbranch_execz .LBB44_34
; %bb.36:                               ;   in Loop: Header=BB44_35 Depth=2
	global_load_b64 v[12:13], v[8:9], off
	s_branch .LBB44_34
.LBB44_37:                              ;   in Loop: Header=BB44_8 Depth=1
	s_set_inst_prefetch_distance 0x2
	s_or_b32 exec_lo, exec_lo, s6
	s_waitcnt vmcnt(0) lgkmcnt(0)
	s_barrier
	buffer_gl0_inv
	s_and_saveexec_b32 s5, s0
	s_cbranch_execz .LBB44_39
; %bb.38:                               ;   in Loop: Header=BB44_8 Depth=1
	v_dual_mov_b32 v4, s36 :: v_dual_mov_b32 v5, s37
	ds_store_b64 v19, v[4:5] offset:5120
.LBB44_39:                              ;   in Loop: Header=BB44_8 Depth=1
	s_or_b32 exec_lo, exec_lo, s5
	s_mov_b32 s5, -1
	s_waitcnt lgkmcnt(0)
	s_barrier
                                        ; implicit-def: $sgpr60_sgpr61
.LBB44_40:                              ;   in Loop: Header=BB44_8 Depth=1
	s_and_b32 vcc_lo, exec_lo, s5
	s_cbranch_vccz .LBB44_42
; %bb.41:                               ;   in Loop: Header=BB44_8 Depth=1
	buffer_gl0_inv
	ds_load_b64 v[4:5], v19 offset:5120
	s_waitcnt lgkmcnt(0)
	v_readfirstlane_b32 s60, v4
.LBB44_42:                              ;   in Loop: Header=BB44_8 Depth=1
	s_delay_alu instid0(VALU_DEP_1)
	s_cmp_lt_i32 s60, 1
	s_cbranch_scc0 .LBB44_57
; %bb.43:                               ;   in Loop: Header=BB44_8 Depth=1
	global_load_u16 v2, v19, s[50:51]
	s_mov_b32 s6, s49
	s_mov_b32 s7, s37
	s_waitcnt vmcnt(0)
	v_readfirstlane_b32 s5, v2
	s_delay_alu instid0(VALU_DEP_1) | instskip(NEXT) | instid1(SALU_CYCLE_1)
	s_and_b32 s48, s5, 0xffff
	s_lshl_b32 s61, s48, 2
	s_cmp_lg_u64 s[6:7], 0
	s_cbranch_scc0 .LBB44_77
; %bb.44:                               ;   in Loop: Header=BB44_8 Depth=1
	v_cvt_f32_u32_e32 v2, s61
	s_sub_u32 s7, 0, s61
	s_subb_u32 s8, 0, 0
	s_delay_alu instid0(VALU_DEP_1) | instskip(NEXT) | instid1(VALU_DEP_1)
	v_fmac_f32_e32 v2, 0x4f800000, v45
	v_rcp_f32_e32 v2, v2
	s_waitcnt_depctr 0xfff
	v_mul_f32_e32 v2, 0x5f7ffffc, v2
	s_delay_alu instid0(VALU_DEP_1) | instskip(NEXT) | instid1(VALU_DEP_1)
	v_mul_f32_e32 v4, 0x2f800000, v2
	v_trunc_f32_e32 v4, v4
	s_delay_alu instid0(VALU_DEP_1) | instskip(SKIP_1) | instid1(VALU_DEP_2)
	v_fmac_f32_e32 v2, 0xcf800000, v4
	v_cvt_u32_f32_e32 v4, v4
	v_cvt_u32_f32_e32 v2, v2
	s_delay_alu instid0(VALU_DEP_2) | instskip(NEXT) | instid1(VALU_DEP_2)
	v_readfirstlane_b32 s5, v4
	v_readfirstlane_b32 s6, v2
	s_delay_alu instid0(VALU_DEP_2) | instskip(NEXT) | instid1(VALU_DEP_1)
	s_mul_i32 s9, s7, s5
	s_mul_hi_u32 s11, s7, s6
	s_mul_i32 s10, s8, s6
	s_add_i32 s9, s11, s9
	s_mul_i32 s12, s7, s6
	s_add_i32 s9, s9, s10
	s_mul_hi_u32 s11, s6, s12
	s_mul_hi_u32 s13, s5, s12
	s_mul_i32 s10, s5, s12
	s_mul_hi_u32 s12, s6, s9
	s_mul_i32 s6, s6, s9
	s_mul_hi_u32 s14, s5, s9
	s_add_u32 s6, s11, s6
	s_addc_u32 s11, 0, s12
	s_add_u32 s6, s6, s10
	s_mul_i32 s9, s5, s9
	s_addc_u32 s6, s11, s13
	s_addc_u32 s10, s14, 0
	s_add_u32 s6, s6, s9
	s_addc_u32 s9, 0, s10
	v_add_co_u32 v2, s6, v2, s6
	s_delay_alu instid0(VALU_DEP_1) | instskip(SKIP_1) | instid1(VALU_DEP_1)
	s_cmp_lg_u32 s6, 0
	s_addc_u32 s5, s5, s9
	v_readfirstlane_b32 s6, v2
	s_mul_i32 s9, s7, s5
	s_delay_alu instid0(VALU_DEP_1)
	s_mul_hi_u32 s10, s7, s6
	s_mul_i32 s8, s8, s6
	s_add_i32 s9, s10, s9
	s_mul_i32 s7, s7, s6
	s_add_i32 s9, s9, s8
	s_mul_hi_u32 s10, s5, s7
	s_mul_i32 s11, s5, s7
	s_mul_hi_u32 s7, s6, s7
	s_mul_hi_u32 s12, s6, s9
	s_mul_i32 s6, s6, s9
	s_mul_hi_u32 s8, s5, s9
	s_add_u32 s6, s7, s6
	s_addc_u32 s7, 0, s12
	s_add_u32 s6, s6, s11
	s_mul_i32 s9, s5, s9
	s_addc_u32 s6, s7, s10
	s_addc_u32 s7, s8, 0
	s_add_u32 s6, s6, s9
	s_addc_u32 s7, 0, s7
	v_add_co_u32 v2, s6, v2, s6
	s_delay_alu instid0(VALU_DEP_1) | instskip(SKIP_2) | instid1(VALU_DEP_1)
	s_cmp_lg_u32 s6, 0
	s_addc_u32 s5, s5, s7
	s_ashr_i32 s6, s37, 31
	v_readfirstlane_b32 s10, v2
	s_add_u32 s8, s36, s6
	s_mov_b32 s7, s6
	s_addc_u32 s9, s37, s6
	s_delay_alu instid0(SALU_CYCLE_1) | instskip(NEXT) | instid1(SALU_CYCLE_1)
	s_xor_b64 s[8:9], s[8:9], s[6:7]
	s_mul_i32 s11, s8, s5
	s_mul_hi_u32 s12, s8, s10
	s_mul_hi_u32 s7, s8, s5
	;; [unrolled: 1-line block ×3, first 2 shown]
	s_mul_i32 s10, s9, s10
	s_add_u32 s11, s12, s11
	s_addc_u32 s7, 0, s7
	s_mul_hi_u32 s13, s9, s5
	s_add_u32 s10, s11, s10
	s_mul_i32 s5, s9, s5
	s_addc_u32 s7, s7, s14
	s_addc_u32 s10, s13, 0
	s_add_u32 s5, s7, s5
	s_addc_u32 s7, 0, s10
	s_mul_hi_u32 s10, s61, s5
	s_mul_i32 s5, s61, s5
	s_mul_i32 s7, s61, s7
	v_sub_co_u32 v2, s5, s8, s5
	s_add_i32 s10, s10, s7
	s_cmp_lg_u32 s5, 0
	s_delay_alu instid0(VALU_DEP_1) | instskip(SKIP_2) | instid1(VALU_DEP_1)
	v_sub_co_u32 v4, s5, v2, s61
	s_subb_u32 s7, s9, s10
	s_cmp_lg_u32 s5, 0
	v_cmp_le_u32_e32 vcc_lo, s61, v4
	v_sub_co_u32 v5, s5, v4, s61
	s_subb_u32 s8, s7, 0
	s_cmp_lg_u32 s5, 0
	v_cndmask_b32_e64 v8, 0, -1, vcc_lo
	s_subb_u32 s5, s8, 0
	s_cmp_eq_u32 s8, 0
	v_mov_b32_e32 v10, s5
	s_cselect_b32 vcc_lo, -1, 0
	s_cmp_eq_u32 s7, 0
	v_cndmask_b32_e32 v8, -1, v8, vcc_lo
	v_cmp_le_u32_e32 vcc_lo, s61, v2
	s_cselect_b32 s5, -1, 0
	v_cndmask_b32_e64 v9, 0, -1, vcc_lo
	s_delay_alu instid0(VALU_DEP_3) | instskip(NEXT) | instid1(VALU_DEP_2)
	v_cmp_ne_u32_e32 vcc_lo, 0, v8
	v_cndmask_b32_e64 v8, -1, v9, s5
	v_cndmask_b32_e32 v9, s8, v10, vcc_lo
	v_cndmask_b32_e32 v4, v4, v5, vcc_lo
	s_delay_alu instid0(VALU_DEP_3) | instskip(NEXT) | instid1(VALU_DEP_2)
	v_cmp_ne_u32_e32 vcc_lo, 0, v8
	v_cndmask_b32_e32 v2, v2, v4, vcc_lo
	s_delay_alu instid0(VALU_DEP_4) | instskip(NEXT) | instid1(VALU_DEP_2)
	v_cndmask_b32_e32 v5, s7, v9, vcc_lo
	v_xor_b32_e32 v2, s6, v2
	s_delay_alu instid0(VALU_DEP_2) | instskip(NEXT) | instid1(VALU_DEP_2)
	v_xor_b32_e32 v5, s6, v5
	v_sub_co_u32 v4, vcc_lo, v2, s6
	s_delay_alu instid0(VALU_DEP_2)
	v_subrev_co_ci_u32_e32 v5, vcc_lo, s6, v5, vcc_lo
	s_cbranch_execnz .LBB44_46
.LBB44_45:                              ;   in Loop: Header=BB44_8 Depth=1
	v_cvt_f32_u32_e32 v2, s61
	s_sub_i32 s5, 0, s61
	s_delay_alu instid0(VALU_DEP_1) | instskip(SKIP_2) | instid1(VALU_DEP_1)
	v_rcp_iflag_f32_e32 v2, v2
	s_waitcnt_depctr 0xfff
	v_mul_f32_e32 v2, 0x4f7ffffe, v2
	v_cvt_u32_f32_e32 v2, v2
	s_delay_alu instid0(VALU_DEP_1) | instskip(NEXT) | instid1(VALU_DEP_1)
	v_mul_lo_u32 v4, s5, v2
	v_mul_hi_u32 v4, v2, v4
	s_delay_alu instid0(VALU_DEP_1) | instskip(NEXT) | instid1(VALU_DEP_1)
	v_add_nc_u32_e32 v2, v2, v4
	v_mul_hi_u32 v2, s36, v2
	s_delay_alu instid0(VALU_DEP_1) | instskip(NEXT) | instid1(VALU_DEP_1)
	v_mul_lo_u32 v2, v2, s61
	v_sub_nc_u32_e32 v2, s36, v2
	s_delay_alu instid0(VALU_DEP_1) | instskip(SKIP_1) | instid1(VALU_DEP_2)
	v_subrev_nc_u32_e32 v4, s61, v2
	v_cmp_le_u32_e32 vcc_lo, s61, v2
	v_cndmask_b32_e32 v2, v2, v4, vcc_lo
	s_delay_alu instid0(VALU_DEP_1) | instskip(SKIP_1) | instid1(VALU_DEP_2)
	v_subrev_nc_u32_e32 v4, s61, v2
	v_cmp_le_u32_e32 vcc_lo, s61, v2
	v_cndmask_b32_e32 v18, v2, v4, vcc_lo
	s_delay_alu instid0(VALU_DEP_1)
	v_dual_mov_b32 v4, v18 :: v_dual_mov_b32 v5, v19
.LBB44_46:                              ;   in Loop: Header=BB44_8 Depth=1
	v_mov_b32_e32 v8, 0
	v_mov_b32_e32 v9, 0
	s_delay_alu instid0(VALU_DEP_3) | instskip(NEXT) | instid1(VALU_DEP_4)
	v_sub_co_u32 v29, vcc_lo, s36, v4
	v_sub_co_ci_u32_e32 v30, vcc_lo, s37, v5, vcc_lo
	s_delay_alu instid0(VALU_DEP_3)
	v_dual_mov_b32 v11, v9 :: v_dual_mov_b32 v10, v8
	v_dual_mov_b32 v13, v9 :: v_dual_mov_b32 v12, v8
	;; [unrolled: 1-line block ×3, first 2 shown]
	s_mov_b64 s[62:63], 0
	s_mov_b32 s91, exec_lo
	v_cmpx_gt_i64_e64 v[29:30], v[20:21]
	s_cbranch_execz .LBB44_50
; %bb.47:                               ;   in Loop: Header=BB44_8 Depth=1
	v_dual_mov_b32 v32, v21 :: v_dual_mov_b32 v31, v20
	s_mul_i32 s5, s55, s48
	s_mul_hi_u32 s6, s54, s48
	s_and_b32 s92, s85, 0xfe
	s_add_i32 s93, s6, s5
	s_mul_i32 s94, s54, s48
	s_mov_b32 s95, 0
	s_mov_b64 s[64:65], s[46:47]
	s_mov_b64 s[66:67], 0
	;; [unrolled: 1-line block ×4, first 2 shown]
.LBB44_48:                              ;   Parent Loop BB44_8 Depth=1
                                        ; =>  This Inner Loop Header: Depth=2
	v_add_co_u32 v8, vcc_lo, s64, v27
	v_add_co_ci_u32_e32 v9, vcc_lo, s65, v28, vcc_lo
	v_add_co_u32 v10, vcc_lo, s64, v26
	v_add_co_ci_u32_e32 v11, vcc_lo, s65, v41, vcc_lo
	;; [unrolled: 2-line block ×4, first 2 shown]
	s_clause 0x3
	global_load_b64 v[8:9], v[8:9], off
	global_load_b64 v[10:11], v[10:11], off
	;; [unrolled: 1-line block ×4, first 2 shown]
	v_add_co_u32 v31, vcc_lo, v31, s61
	v_add_co_ci_u32_e32 v32, vcc_lo, 0, v32, vcc_lo
	s_delay_alu instid0(VALU_DEP_1)
	v_cmp_ge_i64_e32 vcc_lo, v[31:32], v[29:30]
	s_waitcnt vmcnt(3)
	v_cmp_o_f64_e64 s6, v[8:9], v[8:9]
	s_waitcnt vmcnt(2)
	v_cmp_o_f64_e64 s5, v[10:11], v[10:11]
	;; [unrolled: 2-line block ×4, first 2 shown]
	v_ashrrev_i32_e32 v2, 31, v9
	v_ashrrev_i32_e32 v46, 31, v15
	;; [unrolled: 1-line block ×4, first 2 shown]
	s_delay_alu instid0(VALU_DEP_4) | instskip(NEXT) | instid1(VALU_DEP_4)
	v_or_b32_e32 v48, 0x80000000, v2
	v_or_b32_e32 v52, 0x80000000, v46
	s_delay_alu instid0(VALU_DEP_4) | instskip(NEXT) | instid1(VALU_DEP_4)
	v_or_b32_e32 v50, 0x80000000, v18
	v_or_b32_e32 v51, 0x80000000, v33
	v_xor_b32_e32 v2, v2, v8
	v_xor_b32_e32 v48, v48, v9
	;; [unrolled: 1-line block ×8, first 2 shown]
	v_cndmask_b32_e64 v9, -1, v48, s6
	v_cndmask_b32_e64 v11, -1, v50, s5
	;; [unrolled: 1-line block ×7, first 2 shown]
	v_dual_mov_b32 v34, v19 :: v_dual_and_b32 v51, s59, v9
	s_delay_alu instid0(VALU_DEP_4)
	v_dual_mov_b32 v47, v19 :: v_dual_and_b32 v50, s58, v8
	v_lshrrev_b64 v[8:9], s92, v[8:9]
	v_cndmask_b32_e64 v14, -1, v46, s8
	v_dual_mov_b32 v49, v19 :: v_dual_and_b32 v52, s58, v10
	v_lshrrev_b64 v[9:10], s92, v[10:11]
	v_and_b32_e32 v53, s59, v11
	v_lshrrev_b64 v[10:11], s92, v[12:13]
	v_and_b32_e32 v54, s58, v12
	;; [unrolled: 2-line block ×3, first 2 shown]
	v_and_b32_e32 v33, 3, v9
	v_and_b32_e32 v55, s59, v13
	;; [unrolled: 1-line block ×3, first 2 shown]
	v_cmp_eq_u64_e64 s5, s[56:57], v[50:51]
	v_cmp_eq_u64_e64 s9, 0, v[18:19]
	v_and_b32_e32 v57, s59, v15
	v_and_b32_e32 v56, s58, v14
	;; [unrolled: 1-line block ×3, first 2 shown]
	v_cmp_eq_u64_e64 s6, s[56:57], v[52:53]
	v_cmp_eq_u64_e64 s10, 0, v[33:34]
	v_cmp_eq_u64_e64 s7, s[56:57], v[54:55]
	v_cmp_eq_u64_e64 s11, 0, v[46:47]
	v_cmp_eq_u64_e64 s8, s[56:57], v[56:57]
	v_cmp_eq_u64_e64 s12, 0, v[48:49]
	s_and_b32 s9, s5, s9
	v_cmp_eq_u64_e64 s13, 1, v[18:19]
	v_cndmask_b32_e64 v2, 0, 1, s9
	s_and_b32 s9, s6, s10
	v_cmp_eq_u64_e64 s14, 1, v[33:34]
	v_cndmask_b32_e64 v8, 0, 1, s9
	;; [unrolled: 3-line block ×3, first 2 shown]
	s_and_b32 s9, s8, s12
	v_cmp_ne_u32_e64 s10, 0, v8
	v_cndmask_b32_e64 v10, 0, 1, s9
	v_cmp_ne_u32_e64 s9, 0, v2
	v_cmp_ne_u32_e64 s11, 0, v9
	v_cmp_eq_u64_e64 s16, 1, v[48:49]
	s_bcnt1_i32_b32 s10, s10
	v_cmp_ne_u32_e64 s12, 0, v10
	s_bcnt1_i32_b32 s9, s9
	s_bcnt1_i32_b32 s11, s11
	s_add_i32 s9, s10, s9
	v_cmp_eq_u64_e64 s17, 2, v[18:19]
	s_bcnt1_i32_b32 s12, s12
	s_add_i32 s9, s9, s11
	v_cmp_eq_u64_e64 s18, 2, v[33:34]
	s_add_i32 s9, s9, s12
	v_cmp_eq_u64_e64 s19, 2, v[46:47]
	s_add_u32 s70, s70, s9
	s_addc_u32 s71, s71, 0
	s_and_b32 s9, s5, s13
	v_cmp_eq_u64_e64 s20, 2, v[48:49]
	v_cndmask_b32_e64 v2, 0, 1, s9
	s_and_b32 s9, s6, s14
	v_cmp_eq_u64_e64 s21, 3, v[18:19]
	v_cndmask_b32_e64 v10, 0, 1, s9
	;; [unrolled: 3-line block ×3, first 2 shown]
	s_and_b32 s9, s8, s16
	v_cmp_ne_u32_e64 s10, 0, v10
	v_cndmask_b32_e64 v12, 0, 1, s9
	v_cmp_ne_u32_e64 s9, 0, v2
	v_cmp_ne_u32_e64 s11, 0, v11
	v_cmp_eq_u64_e64 s23, 3, v[46:47]
	s_bcnt1_i32_b32 s10, s10
	v_cmp_ne_u32_e64 s12, 0, v12
	s_bcnt1_i32_b32 s9, s9
	s_bcnt1_i32_b32 s11, s11
	s_add_i32 s9, s10, s9
	v_cmp_eq_u64_e64 s24, 3, v[48:49]
	s_bcnt1_i32_b32 s12, s12
	s_add_i32 s9, s9, s11
	v_mov_b32_e32 v8, s70
	s_add_i32 s9, s9, s12
	v_mov_b32_e32 v9, s71
	s_add_u32 s68, s68, s9
	s_addc_u32 s69, s69, 0
	s_and_b32 s9, s5, s17
	s_delay_alu instid0(SALU_CYCLE_1) | instskip(SKIP_1) | instid1(SALU_CYCLE_1)
	v_cndmask_b32_e64 v2, 0, 1, s9
	s_and_b32 s9, s6, s18
	v_cndmask_b32_e64 v10, 0, 1, s9
	s_and_b32 s9, s7, s19
	s_delay_alu instid0(SALU_CYCLE_1) | instskip(SKIP_1) | instid1(VALU_DEP_2)
	v_cndmask_b32_e64 v11, 0, 1, s9
	s_and_b32 s9, s8, s20
	v_cmp_ne_u32_e64 s10, 0, v10
	v_cndmask_b32_e64 v12, 0, 1, s9
	v_cmp_ne_u32_e64 s9, 0, v2
	v_cmp_ne_u32_e64 s11, 0, v11
	s_delay_alu instid0(VALU_DEP_4) | instskip(NEXT) | instid1(VALU_DEP_3)
	s_bcnt1_i32_b32 s10, s10
	v_cmp_ne_u32_e64 s12, 0, v12
	s_delay_alu instid0(VALU_DEP_3) | instskip(NEXT) | instid1(VALU_DEP_2)
	s_bcnt1_i32_b32 s9, s9
	s_bcnt1_i32_b32 s11, s11
	s_add_i32 s9, s10, s9
	s_delay_alu instid0(VALU_DEP_1) | instskip(SKIP_1) | instid1(SALU_CYCLE_1)
	s_bcnt1_i32_b32 s12, s12
	s_add_i32 s9, s9, s11
	s_add_i32 s9, s9, s12
	s_delay_alu instid0(SALU_CYCLE_1) | instskip(SKIP_2) | instid1(SALU_CYCLE_1)
	s_add_u32 s66, s66, s9
	s_addc_u32 s67, s67, 0
	s_and_b32 s5, s5, s21
	v_cndmask_b32_e64 v2, 0, 1, s5
	s_and_b32 s5, s6, s22
	s_delay_alu instid0(SALU_CYCLE_1) | instskip(SKIP_1) | instid1(SALU_CYCLE_1)
	v_cndmask_b32_e64 v10, 0, 1, s5
	s_and_b32 s5, s7, s23
	v_cndmask_b32_e64 v11, 0, 1, s5
	s_and_b32 s5, s8, s24
	s_delay_alu instid0(VALU_DEP_2) | instskip(SKIP_4) | instid1(VALU_DEP_4)
	v_cmp_ne_u32_e64 s6, 0, v10
	v_cndmask_b32_e64 v12, 0, 1, s5
	v_cmp_ne_u32_e64 s5, 0, v2
	v_cmp_ne_u32_e64 s7, 0, v11
	v_dual_mov_b32 v10, s68 :: v_dual_mov_b32 v11, s69
	v_cmp_ne_u32_e64 s8, 0, v12
	s_delay_alu instid0(VALU_DEP_4)
	s_bcnt1_i32_b32 s5, s5
	s_bcnt1_i32_b32 s6, s6
	;; [unrolled: 1-line block ×3, first 2 shown]
	s_add_i32 s5, s6, s5
	s_bcnt1_i32_b32 s6, s8
	s_add_i32 s5, s5, s7
	v_mov_b32_e32 v12, s66
	s_add_i32 s5, s5, s6
	v_mov_b32_e32 v13, s67
	s_add_u32 s62, s62, s5
	s_addc_u32 s63, s63, 0
	s_delay_alu instid0(SALU_CYCLE_1) | instskip(SKIP_3) | instid1(SALU_CYCLE_1)
	v_dual_mov_b32 v14, s62 :: v_dual_mov_b32 v15, s63
	s_add_u32 s64, s64, s94
	s_addc_u32 s65, s65, s93
	s_or_b32 s95, vcc_lo, s95
	s_and_not1_b32 exec_lo, exec_lo, s95
	s_cbranch_execnz .LBB44_48
; %bb.49:                               ;   in Loop: Header=BB44_8 Depth=1
	s_or_b32 exec_lo, exec_lo, s95
.LBB44_50:                              ;   in Loop: Header=BB44_8 Depth=1
	s_delay_alu instid0(SALU_CYCLE_1) | instskip(SKIP_4) | instid1(VALU_DEP_3)
	s_or_b32 exec_lo, exec_lo, s91
	v_add_co_u32 v29, vcc_lo, v29, v0
	v_add_co_ci_u32_e32 v30, vcc_lo, 0, v30, vcc_lo
	v_mov_b32_e32 v33, 0
	v_mov_b32_e32 v34, 0
	v_cmp_gt_i64_e32 vcc_lo, s[36:37], v[29:30]
	s_and_saveexec_b32 s6, vcc_lo
	s_cbranch_execz .LBB44_52
; %bb.51:                               ;   in Loop: Header=BB44_8 Depth=1
	v_mul_lo_u32 v2, v30, s42
	v_mul_lo_u32 v18, v29, s43
	v_mad_u64_u32 v[31:32], null, v29, s42, 0
	s_delay_alu instid0(VALU_DEP_1) | instskip(NEXT) | instid1(VALU_DEP_1)
	v_add3_u32 v32, v32, v18, v2
	v_lshlrev_b64 v[31:32], 3, v[31:32]
	s_delay_alu instid0(VALU_DEP_1) | instskip(NEXT) | instid1(VALU_DEP_1)
	v_add_co_u32 v31, s5, s46, v31
	v_add_co_ci_u32_e64 v32, s5, s47, v32, s5
	global_load_b64 v[33:34], v[31:32], off
.LBB44_52:                              ;   in Loop: Header=BB44_8 Depth=1
	s_or_b32 exec_lo, exec_lo, s6
	s_and_saveexec_b32 s9, vcc_lo
	s_cbranch_execz .LBB44_59
; %bb.53:                               ;   in Loop: Header=BB44_8 Depth=1
	v_add_co_u32 v2, vcc_lo, v42, s48
	v_add_co_ci_u32_e32 v18, vcc_lo, 0, v43, vcc_lo
	s_mul_i32 s5, s53, s48
	s_delay_alu instid0(VALU_DEP_2) | instskip(NEXT) | instid1(VALU_DEP_2)
	v_sub_co_u32 v2, vcc_lo, v2, v4
	v_sub_co_ci_u32_e32 v4, vcc_lo, v18, v5, vcc_lo
	s_mul_hi_u32 s6, s52, s48
	s_delay_alu instid0(VALU_DEP_2) | instskip(SKIP_1) | instid1(VALU_DEP_2)
	v_mul_lo_u32 v31, s53, v2
	s_and_b32 s10, s85, 0xfe
	v_mul_lo_u32 v18, s52, v4
	v_mad_u64_u32 v[4:5], null, s52, v2, s[46:47]
	s_add_i32 s11, s6, s5
	s_mul_i32 s12, s52, s48
	s_mov_b32 s13, 0
	s_delay_alu instid0(VALU_DEP_1)
	v_add3_u32 v5, v31, v5, v18
	s_branch .LBB44_55
.LBB44_54:                              ;   in Loop: Header=BB44_55 Depth=2
	s_or_b32 exec_lo, exec_lo, s6
	s_waitcnt vmcnt(0)
	v_cmp_o_f64_e64 s5, v[33:34], v[33:34]
	v_ashrrev_i32_e32 v2, 31, v34
	s_and_b32 s7, exec_lo, vcc_lo
	s_delay_alu instid0(SALU_CYCLE_1) | instskip(NEXT) | instid1(VALU_DEP_1)
	s_or_b32 s13, s7, s13
	v_or_b32_e32 v18, 0x80000000, v2
	v_xor_b32_e32 v2, v2, v33
	s_delay_alu instid0(VALU_DEP_2) | instskip(NEXT) | instid1(VALU_DEP_1)
	v_xor_b32_e32 v18, v18, v34
	v_cndmask_b32_e64 v34, -1, v18, s5
	s_delay_alu instid0(VALU_DEP_3) | instskip(NEXT) | instid1(VALU_DEP_1)
	v_cndmask_b32_e64 v33, -1, v2, s5
	v_lshrrev_b64 v[46:47], s10, v[33:34]
	v_and_b32_e32 v34, s59, v34
	v_and_b32_e32 v33, s58, v33
	s_delay_alu instid0(VALU_DEP_3) | instskip(NEXT) | instid1(VALU_DEP_2)
	v_and_b32_e32 v18, 3, v46
	v_cmp_eq_u64_e64 s5, s[56:57], v[33:34]
	s_delay_alu instid0(VALU_DEP_2) | instskip(SKIP_3) | instid1(VALU_DEP_4)
	v_cmp_eq_u64_e64 s6, 0, v[18:19]
	v_cmp_eq_u64_e32 vcc_lo, 1, v[18:19]
	v_cmp_eq_u64_e64 s7, 2, v[18:19]
	v_cmp_eq_u64_e64 s8, 3, v[18:19]
	s_and_b32 s6, s5, s6
	s_delay_alu instid0(SALU_CYCLE_1) | instskip(SKIP_1) | instid1(SALU_CYCLE_1)
	v_cndmask_b32_e64 v2, 0, 1, s6
	s_and_b32 s6, s5, vcc_lo
	v_cndmask_b32_e64 v18, 0, 1, s6
	s_and_b32 s6, s5, s7
	s_delay_alu instid0(VALU_DEP_2)
	v_cmp_ne_u32_e32 vcc_lo, 0, v2
	v_cndmask_b32_e64 v33, 0, 1, s6
	s_and_b32 s5, s5, s8
	v_add_co_u32 v4, s8, v4, s12
	v_cndmask_b32_e64 v34, 0, 1, s5
	v_cmp_ne_u32_e64 s5, 0, v18
	v_add_co_ci_u32_e64 v5, s8, s11, v5, s8
	s_bcnt1_i32_b32 s8, vcc_lo
	v_cmp_ne_u32_e64 s6, 0, v33
	v_add_co_u32 v8, vcc_lo, v8, s8
	s_bcnt1_i32_b32 s5, s5
	v_cmp_ne_u32_e64 s7, 0, v34
	v_add_co_ci_u32_e32 v9, vcc_lo, 0, v9, vcc_lo
	v_add_co_u32 v10, vcc_lo, v10, s5
	s_bcnt1_i32_b32 s6, s6
	v_add_co_ci_u32_e32 v11, vcc_lo, 0, v11, vcc_lo
	v_add_co_u32 v12, vcc_lo, v12, s6
	s_bcnt1_i32_b32 s7, s7
	v_add_co_ci_u32_e32 v13, vcc_lo, 0, v13, vcc_lo
	v_add_co_u32 v14, vcc_lo, v14, s7
	v_dual_mov_b32 v34, v32 :: v_dual_mov_b32 v33, v31
	v_add_co_ci_u32_e32 v15, vcc_lo, 0, v15, vcc_lo
	s_and_not1_b32 exec_lo, exec_lo, s13
	s_cbranch_execz .LBB44_58
.LBB44_55:                              ;   Parent Loop BB44_8 Depth=1
                                        ; =>  This Inner Loop Header: Depth=2
	v_add_co_u32 v29, vcc_lo, v29, s48
	v_add_co_ci_u32_e32 v30, vcc_lo, 0, v30, vcc_lo
	v_mov_b32_e32 v31, 0
	v_mov_b32_e32 v32, 0
	s_mov_b32 s6, exec_lo
	s_delay_alu instid0(VALU_DEP_3)
	v_cmp_le_i64_e32 vcc_lo, s[36:37], v[29:30]
	v_cmpx_gt_i64_e64 s[36:37], v[29:30]
	s_cbranch_execz .LBB44_54
; %bb.56:                               ;   in Loop: Header=BB44_55 Depth=2
	global_load_b64 v[31:32], v[4:5], off
	s_branch .LBB44_54
.LBB44_57:                              ;   in Loop: Header=BB44_8 Depth=1
                                        ; implicit-def: $vgpr14_vgpr15
                                        ; implicit-def: $vgpr10_vgpr11
	s_cbranch_execnz .LBB44_60
	s_branch .LBB44_69
.LBB44_58:                              ;   in Loop: Header=BB44_8 Depth=1
	s_or_b32 exec_lo, exec_lo, s13
.LBB44_59:                              ;   in Loop: Header=BB44_8 Depth=1
	s_delay_alu instid0(SALU_CYCLE_1)
	s_or_b32 exec_lo, exec_lo, s9
	s_branch .LBB44_69
.LBB44_60:                              ;   in Loop: Header=BB44_8 Depth=1
	global_load_u16 v2, v19, s[50:51]
	v_mov_b32_e32 v8, 0
	s_mov_b64 s[62:63], 0
	s_mov_b32 s70, exec_lo
	v_mov_b32_e32 v9, 0
	s_delay_alu instid0(VALU_DEP_1)
	v_mov_b32_e32 v15, v9
	v_dual_mov_b32 v11, v9 :: v_dual_mov_b32 v10, v8
	v_dual_mov_b32 v13, v9 :: v_dual_mov_b32 v12, v8
	v_mov_b32_e32 v14, v8
	s_waitcnt vmcnt(0)
	v_readfirstlane_b32 s5, v2
	v_and_b32_e32 v2, 0xffff, v2
	s_delay_alu instid0(VALU_DEP_2) | instskip(NEXT) | instid1(SALU_CYCLE_1)
	s_and_b32 s5, 0xffff, s5
	s_lshl_b32 s61, s5, 2
	s_delay_alu instid0(SALU_CYCLE_1) | instskip(SKIP_1) | instid1(VALU_DEP_1)
	v_cvt_f32_u32_e32 v4, s61
	s_sub_i32 s6, 0, s61
	v_rcp_iflag_f32_e32 v4, v4
	s_waitcnt_depctr 0xfff
	v_mul_f32_e32 v4, 0x4f7ffffe, v4
	s_delay_alu instid0(VALU_DEP_1) | instskip(NEXT) | instid1(VALU_DEP_1)
	v_cvt_u32_f32_e32 v4, v4
	v_readfirstlane_b32 s5, v4
	s_delay_alu instid0(VALU_DEP_1) | instskip(NEXT) | instid1(SALU_CYCLE_1)
	s_mul_i32 s6, s6, s5
	s_mul_hi_u32 s6, s5, s6
	s_delay_alu instid0(SALU_CYCLE_1) | instskip(NEXT) | instid1(SALU_CYCLE_1)
	s_add_i32 s5, s5, s6
	s_mul_hi_u32 s5, s60, s5
	s_delay_alu instid0(SALU_CYCLE_1) | instskip(NEXT) | instid1(SALU_CYCLE_1)
	s_mul_i32 s5, s5, s61
	s_sub_i32 s5, s60, s5
	s_delay_alu instid0(SALU_CYCLE_1) | instskip(SKIP_2) | instid1(SALU_CYCLE_1)
	s_sub_i32 s6, s5, s61
	s_cmp_ge_u32 s5, s61
	s_cselect_b32 s5, s6, s5
	s_sub_i32 s6, s5, s61
	s_cmp_ge_u32 s5, s61
	s_cselect_b32 s5, s6, s5
	s_delay_alu instid0(SALU_CYCLE_1) | instskip(NEXT) | instid1(SALU_CYCLE_1)
	s_sub_i32 s48, s60, s5
	v_cmpx_gt_u32_e64 s48, v20
	s_cbranch_execz .LBB44_64
; %bb.61:                               ;   in Loop: Header=BB44_8 Depth=1
	v_dual_mov_b32 v30, v39 :: v_dual_lshlrev_b32 v29, 5, v2
	v_dual_mov_b32 v4, v20 :: v_dual_mov_b32 v5, v21
	s_and_b32 s71, s85, 0xfe
	s_mov_b32 s91, 0
	s_mov_b64 s[64:65], 0
	s_mov_b64 s[66:67], 0
	;; [unrolled: 1-line block ×3, first 2 shown]
.LBB44_62:                              ;   Parent Loop BB44_8 Depth=1
                                        ; =>  This Inner Loop Header: Depth=2
	ds_load_b128 v[8:11], v30
	ds_load_b128 v[12:15], v30 offset:16
	v_dual_mov_b32 v47, v19 :: v_dual_add_nc_u32 v30, v30, v29
	v_add_co_u32 v4, vcc_lo, v4, s61
	v_add_co_ci_u32_e32 v5, vcc_lo, 0, v5, vcc_lo
	s_delay_alu instid0(VALU_DEP_1)
	v_cmp_le_u64_e32 vcc_lo, s[48:49], v[4:5]
	s_waitcnt lgkmcnt(1)
	v_cmp_o_f64_e64 s6, v[8:9], v[8:9]
	s_waitcnt lgkmcnt(0)
	v_cmp_o_f64_e64 s8, v[14:15], v[14:15]
	v_cmp_o_f64_e64 s5, v[10:11], v[10:11]
	;; [unrolled: 1-line block ×3, first 2 shown]
	v_ashrrev_i32_e32 v18, 31, v9
	v_ashrrev_i32_e32 v46, 31, v15
	;; [unrolled: 1-line block ×4, first 2 shown]
	s_delay_alu instid0(VALU_DEP_4) | instskip(NEXT) | instid1(VALU_DEP_4)
	v_or_b32_e32 v48, 0x80000000, v18
	v_or_b32_e32 v51, 0x80000000, v46
	s_delay_alu instid0(VALU_DEP_4) | instskip(NEXT) | instid1(VALU_DEP_4)
	v_or_b32_e32 v49, 0x80000000, v31
	v_or_b32_e32 v50, 0x80000000, v33
	v_xor_b32_e32 v18, v18, v8
	v_xor_b32_e32 v48, v48, v9
	;; [unrolled: 1-line block ×8, first 2 shown]
	v_cndmask_b32_e64 v9, -1, v48, s6
	v_cndmask_b32_e64 v15, -1, v8, s8
	;; [unrolled: 1-line block ×7, first 2 shown]
	v_dual_mov_b32 v32, v19 :: v_dual_and_b32 v49, s59, v9
	v_and_b32_e32 v48, s58, v8
	v_lshrrev_b64 v[8:9], s71, v[8:9]
	v_cndmask_b32_e64 v14, -1, v46, s8
	v_and_b32_e32 v50, s58, v10
	v_lshrrev_b64 v[9:10], s71, v[10:11]
	v_dual_mov_b32 v34, v19 :: v_dual_and_b32 v51, s59, v11
	v_lshrrev_b64 v[10:11], s71, v[12:13]
	v_and_b32_e32 v52, s58, v12
	v_lshrrev_b64 v[11:12], s71, v[14:15]
	v_and_b32_e32 v18, 3, v8
	v_and_b32_e32 v31, 3, v9
	;; [unrolled: 1-line block ×4, first 2 shown]
	v_cmp_eq_u64_e64 s5, s[56:57], v[48:49]
	v_cmp_eq_u64_e64 s9, 0, v[18:19]
	v_and_b32_e32 v55, s59, v15
	v_and_b32_e32 v54, s58, v14
	v_and_b32_e32 v46, 3, v11
	v_cmp_eq_u64_e64 s6, s[56:57], v[50:51]
	v_cmp_eq_u64_e64 s10, 0, v[31:32]
	;; [unrolled: 1-line block ×6, first 2 shown]
	s_and_b32 s9, s5, s9
	v_cmp_eq_u64_e64 s13, 1, v[18:19]
	v_cndmask_b32_e64 v8, 0, 1, s9
	s_and_b32 s9, s6, s10
	v_cmp_eq_u64_e64 s14, 1, v[31:32]
	v_cndmask_b32_e64 v9, 0, 1, s9
	;; [unrolled: 3-line block ×3, first 2 shown]
	s_and_b32 s9, s8, s12
	v_cmp_ne_u32_e64 s10, 0, v9
	v_cndmask_b32_e64 v11, 0, 1, s9
	v_cmp_ne_u32_e64 s9, 0, v8
	v_cmp_ne_u32_e64 s11, 0, v10
	v_cmp_eq_u64_e64 s16, 1, v[46:47]
	s_bcnt1_i32_b32 s10, s10
	v_cmp_ne_u32_e64 s12, 0, v11
	s_bcnt1_i32_b32 s9, s9
	s_bcnt1_i32_b32 s11, s11
	s_add_i32 s9, s10, s9
	v_cmp_eq_u64_e64 s17, 2, v[18:19]
	s_bcnt1_i32_b32 s12, s12
	s_add_i32 s9, s9, s11
	v_cmp_eq_u64_e64 s18, 2, v[31:32]
	s_add_i32 s9, s9, s12
	v_cmp_eq_u64_e64 s19, 2, v[33:34]
	s_add_u32 s68, s68, s9
	s_addc_u32 s69, s69, 0
	s_and_b32 s9, s5, s13
	v_cmp_eq_u64_e64 s20, 2, v[46:47]
	v_cndmask_b32_e64 v8, 0, 1, s9
	s_and_b32 s9, s6, s14
	v_cmp_eq_u64_e64 s21, 3, v[18:19]
	v_cndmask_b32_e64 v9, 0, 1, s9
	;; [unrolled: 3-line block ×3, first 2 shown]
	s_and_b32 s9, s8, s16
	v_cmp_ne_u32_e64 s10, 0, v9
	v_cndmask_b32_e64 v11, 0, 1, s9
	v_cmp_ne_u32_e64 s9, 0, v8
	v_cmp_ne_u32_e64 s11, 0, v10
	v_cmp_eq_u64_e64 s24, 3, v[46:47]
	s_bcnt1_i32_b32 s10, s10
	v_cmp_ne_u32_e64 s12, 0, v11
	s_bcnt1_i32_b32 s9, s9
	s_bcnt1_i32_b32 s11, s11
	s_add_i32 s9, s10, s9
	s_delay_alu instid0(VALU_DEP_1) | instskip(SKIP_1) | instid1(SALU_CYCLE_1)
	s_bcnt1_i32_b32 s12, s12
	s_add_i32 s9, s9, s11
	s_add_i32 s9, s9, s12
	s_delay_alu instid0(SALU_CYCLE_1) | instskip(SKIP_2) | instid1(SALU_CYCLE_1)
	s_add_u32 s66, s66, s9
	s_addc_u32 s67, s67, 0
	s_and_b32 s9, s5, s17
	v_cndmask_b32_e64 v8, 0, 1, s9
	s_and_b32 s9, s6, s18
	s_delay_alu instid0(SALU_CYCLE_1) | instskip(SKIP_1) | instid1(SALU_CYCLE_1)
	v_cndmask_b32_e64 v9, 0, 1, s9
	s_and_b32 s9, s7, s19
	v_cndmask_b32_e64 v10, 0, 1, s9
	s_and_b32 s9, s8, s20
	s_delay_alu instid0(VALU_DEP_2) | instskip(SKIP_3) | instid1(VALU_DEP_4)
	v_cmp_ne_u32_e64 s10, 0, v9
	v_cndmask_b32_e64 v11, 0, 1, s9
	v_cmp_ne_u32_e64 s9, 0, v8
	v_cmp_ne_u32_e64 s11, 0, v10
	s_bcnt1_i32_b32 s10, s10
	s_delay_alu instid0(VALU_DEP_3) | instskip(NEXT) | instid1(VALU_DEP_3)
	v_cmp_ne_u32_e64 s12, 0, v11
	s_bcnt1_i32_b32 s9, s9
	s_delay_alu instid0(VALU_DEP_2) | instskip(SKIP_1) | instid1(VALU_DEP_1)
	s_bcnt1_i32_b32 s11, s11
	s_add_i32 s9, s10, s9
	s_bcnt1_i32_b32 s12, s12
	s_add_i32 s9, s9, s11
	s_delay_alu instid0(SALU_CYCLE_1) | instskip(NEXT) | instid1(SALU_CYCLE_1)
	s_add_i32 s9, s9, s12
	s_add_u32 s64, s64, s9
	s_addc_u32 s65, s65, 0
	v_mov_b32_e32 v12, s64
	v_cmp_eq_u64_e64 s22, 3, v[31:32]
	s_and_b32 s5, s5, s21
	v_mov_b32_e32 v13, s65
	v_cndmask_b32_e64 v8, 0, 1, s5
	s_delay_alu instid0(VALU_DEP_3) | instskip(NEXT) | instid1(SALU_CYCLE_1)
	s_and_b32 s5, s6, s22
	v_cndmask_b32_e64 v9, 0, 1, s5
	s_and_b32 s5, s7, s23
	s_delay_alu instid0(SALU_CYCLE_1) | instskip(SKIP_1) | instid1(VALU_DEP_2)
	v_cndmask_b32_e64 v10, 0, 1, s5
	s_and_b32 s5, s8, s24
	v_cmp_ne_u32_e64 s6, 0, v9
	v_cndmask_b32_e64 v11, 0, 1, s5
	v_cmp_ne_u32_e64 s5, 0, v8
	v_cmp_ne_u32_e64 s7, 0, v10
	v_mov_b32_e32 v8, s68
	s_bcnt1_i32_b32 s6, s6
	v_cmp_ne_u32_e64 s8, 0, v11
	s_bcnt1_i32_b32 s5, s5
	s_bcnt1_i32_b32 s7, s7
	s_add_i32 s5, s6, s5
	v_mov_b32_e32 v10, s66
	s_bcnt1_i32_b32 s6, s8
	s_add_i32 s5, s5, s7
	v_mov_b32_e32 v9, s69
	s_add_i32 s5, s5, s6
	v_mov_b32_e32 v11, s67
	s_add_u32 s62, s62, s5
	s_addc_u32 s63, s63, 0
	s_delay_alu instid0(SALU_CYCLE_1) | instskip(SKIP_1) | instid1(SALU_CYCLE_1)
	v_dual_mov_b32 v14, s62 :: v_dual_mov_b32 v15, s63
	s_or_b32 s91, vcc_lo, s91
	s_and_not1_b32 exec_lo, exec_lo, s91
	s_cbranch_execnz .LBB44_62
; %bb.63:                               ;   in Loop: Header=BB44_8 Depth=1
	s_or_b32 exec_lo, exec_lo, s91
.LBB44_64:                              ;   in Loop: Header=BB44_8 Depth=1
	s_delay_alu instid0(SALU_CYCLE_1) | instskip(SKIP_2) | instid1(VALU_DEP_1)
	s_or_b32 exec_lo, exec_lo, s70
	v_add_nc_u32_e32 v18, s48, v0
	s_mov_b32 s12, exec_lo
	v_cmpx_gt_u32_e64 s60, v18
	s_cbranch_execz .LBB44_68
; %bb.65:                               ;   in Loop: Header=BB44_8 Depth=1
	v_dual_mov_b32 v4, v18 :: v_dual_lshlrev_b32 v29, 3, v18
	v_dual_mov_b32 v5, v19 :: v_dual_lshlrev_b32 v30, 3, v2
	s_mov_b32 s11, 0
	s_and_b32 s10, s60, 0x7fffffff
	s_and_b32 s14, s85, 0xfe
	s_mov_b32 s13, s11
.LBB44_66:                              ;   Parent Loop BB44_8 Depth=1
                                        ; =>  This Inner Loop Header: Depth=2
	ds_load_b64 v[31:32], v29
	v_add_co_u32 v4, s5, v4, v2
	s_delay_alu instid0(VALU_DEP_1) | instskip(NEXT) | instid1(VALU_DEP_1)
	v_add_co_ci_u32_e64 v5, s5, 0, v5, s5
	v_cmp_le_u64_e64 s5, s[10:11], v[4:5]
	s_waitcnt lgkmcnt(0)
	v_cmp_o_f64_e32 vcc_lo, v[31:32], v[31:32]
	v_ashrrev_i32_e32 v18, 31, v32
	s_delay_alu instid0(VALU_DEP_1) | instskip(SKIP_1) | instid1(VALU_DEP_2)
	v_or_b32_e32 v33, 0x80000000, v18
	v_xor_b32_e32 v18, v18, v31
	v_xor_b32_e32 v33, v33, v32
	s_delay_alu instid0(VALU_DEP_1) | instskip(NEXT) | instid1(VALU_DEP_1)
	v_dual_cndmask_b32 v32, -1, v33 :: v_dual_add_nc_u32 v29, v29, v30
	v_dual_cndmask_b32 v31, -1, v18 :: v_dual_and_b32 v34, s59, v32
	s_delay_alu instid0(VALU_DEP_1) | instskip(SKIP_1) | instid1(VALU_DEP_2)
	v_and_b32_e32 v33, s58, v31
	v_lshrrev_b64 v[31:32], s14, v[31:32]
	v_cmp_eq_u64_e32 vcc_lo, s[56:57], v[33:34]
	s_delay_alu instid0(VALU_DEP_2) | instskip(NEXT) | instid1(VALU_DEP_1)
	v_and_b32_e32 v18, 3, v31
	v_cmp_eq_u64_e64 s6, 0, v[18:19]
	v_cmp_eq_u64_e64 s7, 1, v[18:19]
	;; [unrolled: 1-line block ×4, first 2 shown]
	s_delay_alu instid0(VALU_DEP_4) | instskip(NEXT) | instid1(SALU_CYCLE_1)
	s_and_b32 s6, vcc_lo, s6
	v_cndmask_b32_e64 v18, 0, 1, s6
	s_delay_alu instid0(VALU_DEP_4) | instskip(NEXT) | instid1(SALU_CYCLE_1)
	s_and_b32 s6, vcc_lo, s7
	v_cndmask_b32_e64 v31, 0, 1, s6
	s_and_b32 s6, vcc_lo, s8
	s_delay_alu instid0(SALU_CYCLE_1)
	v_cndmask_b32_e64 v32, 0, 1, s6
	s_and_b32 s6, vcc_lo, s9
	v_cmp_ne_u32_e32 vcc_lo, 0, v18
	v_cndmask_b32_e64 v33, 0, 1, s6
	v_cmp_ne_u32_e64 s6, 0, v31
	v_cmp_ne_u32_e64 s7, 0, v32
	s_bcnt1_i32_b32 s9, vcc_lo
	s_delay_alu instid0(VALU_DEP_3)
	v_cmp_ne_u32_e64 s8, 0, v33
	v_add_co_u32 v8, vcc_lo, v8, s9
	s_bcnt1_i32_b32 s6, s6
	v_add_co_ci_u32_e32 v9, vcc_lo, 0, v9, vcc_lo
	v_add_co_u32 v10, vcc_lo, v10, s6
	s_bcnt1_i32_b32 s7, s7
	v_add_co_ci_u32_e32 v11, vcc_lo, 0, v11, vcc_lo
	v_add_co_u32 v12, vcc_lo, v12, s7
	s_bcnt1_i32_b32 s8, s8
	v_add_co_ci_u32_e32 v13, vcc_lo, 0, v13, vcc_lo
	v_add_co_u32 v14, vcc_lo, v14, s8
	v_add_co_ci_u32_e32 v15, vcc_lo, 0, v15, vcc_lo
	s_or_b32 s13, s5, s13
	s_delay_alu instid0(SALU_CYCLE_1)
	s_and_not1_b32 exec_lo, exec_lo, s13
	s_cbranch_execnz .LBB44_66
; %bb.67:                               ;   in Loop: Header=BB44_8 Depth=1
	s_or_b32 exec_lo, exec_lo, s13
.LBB44_68:                              ;   in Loop: Header=BB44_8 Depth=1
	s_delay_alu instid0(SALU_CYCLE_1)
	s_or_b32 exec_lo, exec_lo, s12
.LBB44_69:                              ;   in Loop: Header=BB44_8 Depth=1
	s_lshl_b32 s5, s87, 7
	s_and_saveexec_b32 s6, s2
	s_cbranch_execz .LBB44_71
; %bb.70:                               ;   in Loop: Header=BB44_8 Depth=1
	v_or_b32_e32 v2, s5, v38
	s_delay_alu instid0(VALU_DEP_1)
	v_lshlrev_b32_e32 v2, 3, v2
	ds_store_b128 v2, v[8:11] offset:3072
	ds_store_b128 v2, v[12:15] offset:3088
.LBB44_71:                              ;   in Loop: Header=BB44_8 Depth=1
	s_or_b32 exec_lo, exec_lo, s6
	s_waitcnt vmcnt(0) lgkmcnt(0)
	s_barrier
	buffer_gl0_inv
	s_and_saveexec_b32 s6, s33
	s_cbranch_execz .LBB44_82
; %bb.72:                               ;   in Loop: Header=BB44_8 Depth=1
	v_mov_b32_e32 v4, 0
	v_mov_b32_e32 v5, 0
	s_and_not1_b32 vcc_lo, exec_lo, s79
	s_cbranch_vccnz .LBB44_81
; %bb.73:                               ;   in Loop: Header=BB44_8 Depth=1
	v_mov_b32_e32 v4, 0
	v_mov_b32_e32 v5, 0
	s_and_not1_b32 vcc_lo, exec_lo, s77
	s_cbranch_vccnz .LBB44_78
; %bb.74:                               ;   in Loop: Header=BB44_8 Depth=1
	v_lshl_add_u32 v2, s87, 10, v44
	s_mov_b32 s7, 0
	s_set_inst_prefetch_distance 0x1
	.p2align	6
.LBB44_75:                              ;   Parent Loop BB44_8 Depth=1
                                        ; =>  This Inner Loop Header: Depth=2
	ds_load_2addr_b64 v[8:11], v2 offset1:4
	ds_load_2addr_b64 v[12:15], v2 offset0:8 offset1:12
	ds_load_2addr_b64 v[29:32], v2 offset0:16 offset1:20
	s_add_i32 s7, s7, 8
	s_delay_alu instid0(SALU_CYCLE_1) | instskip(SKIP_3) | instid1(VALU_DEP_2)
	s_cmp_eq_u32 s78, s7
	s_waitcnt lgkmcnt(2)
	v_add_co_u32 v4, vcc_lo, v8, v4
	v_add_co_ci_u32_e32 v5, vcc_lo, v9, v5, vcc_lo
	v_add_co_u32 v4, vcc_lo, v10, v4
	s_delay_alu instid0(VALU_DEP_2)
	v_add_co_ci_u32_e32 v5, vcc_lo, v11, v5, vcc_lo
	ds_load_2addr_b64 v[8:11], v2 offset0:24 offset1:28
	s_waitcnt lgkmcnt(2)
	v_add_co_u32 v4, vcc_lo, v12, v4
	v_add_co_ci_u32_e32 v5, vcc_lo, v13, v5, vcc_lo
	v_add_nc_u32_e32 v2, 0x100, v2
	s_delay_alu instid0(VALU_DEP_3) | instskip(NEXT) | instid1(VALU_DEP_3)
	v_add_co_u32 v4, vcc_lo, v14, v4
	v_add_co_ci_u32_e32 v5, vcc_lo, v15, v5, vcc_lo
	s_waitcnt lgkmcnt(1)
	s_delay_alu instid0(VALU_DEP_2) | instskip(NEXT) | instid1(VALU_DEP_2)
	v_add_co_u32 v4, vcc_lo, v29, v4
	v_add_co_ci_u32_e32 v5, vcc_lo, v30, v5, vcc_lo
	s_delay_alu instid0(VALU_DEP_2) | instskip(NEXT) | instid1(VALU_DEP_2)
	v_add_co_u32 v4, vcc_lo, v31, v4
	v_add_co_ci_u32_e32 v5, vcc_lo, v32, v5, vcc_lo
	s_waitcnt lgkmcnt(0)
	s_delay_alu instid0(VALU_DEP_2) | instskip(NEXT) | instid1(VALU_DEP_2)
	v_add_co_u32 v4, vcc_lo, v8, v4
	v_add_co_ci_u32_e32 v5, vcc_lo, v9, v5, vcc_lo
	s_delay_alu instid0(VALU_DEP_2) | instskip(NEXT) | instid1(VALU_DEP_2)
	v_add_co_u32 v4, vcc_lo, v10, v4
	v_add_co_ci_u32_e32 v5, vcc_lo, v11, v5, vcc_lo
	s_cbranch_scc0 .LBB44_75
; %bb.76:                               ;   in Loop: Header=BB44_8 Depth=1
	s_set_inst_prefetch_distance 0x2
	s_mov_b32 s7, s78
	s_and_not1_b32 vcc_lo, exec_lo, s80
	s_cbranch_vccz .LBB44_79
	s_branch .LBB44_81
.LBB44_77:                              ;   in Loop: Header=BB44_8 Depth=1
                                        ; implicit-def: $vgpr4_vgpr5
	s_branch .LBB44_45
.LBB44_78:                              ;   in Loop: Header=BB44_8 Depth=1
	s_mov_b32 s7, 0
	s_and_not1_b32 vcc_lo, exec_lo, s80
	s_cbranch_vccnz .LBB44_81
.LBB44_79:                              ;   in Loop: Header=BB44_8 Depth=1
	s_lshl_b32 s8, s87, 10
	s_lshl_b32 s7, s7, 5
	s_delay_alu instid0(SALU_CYCLE_1)
	v_add3_u32 v2, s8, s7, v44
	s_mov_b32 s7, s76
.LBB44_80:                              ;   Parent Loop BB44_8 Depth=1
                                        ; =>  This Inner Loop Header: Depth=2
	ds_load_b64 v[8:9], v2
	v_add_nc_u32_e32 v2, 32, v2
	s_add_i32 s7, s7, -1
	s_delay_alu instid0(SALU_CYCLE_1)
	s_cmp_lg_u32 s7, 0
	s_waitcnt lgkmcnt(0)
	v_add_co_u32 v4, vcc_lo, v8, v4
	v_add_co_ci_u32_e32 v5, vcc_lo, v9, v5, vcc_lo
	s_cbranch_scc1 .LBB44_80
.LBB44_81:                              ;   in Loop: Header=BB44_8 Depth=1
	v_add_lshl_u32 v2, s5, v35, 3
	ds_store_b64 v2, v[4:5] offset:3072
.LBB44_82:                              ;   in Loop: Header=BB44_8 Depth=1
	s_or_b32 exec_lo, exec_lo, s6
	s_lshl_b32 s5, s5, 3
	s_waitcnt lgkmcnt(0)
	v_mov_b32_e32 v2, s5
	s_barrier
	buffer_gl0_inv
	s_and_b32 s23, s85, 0xfe
	s_mov_b32 s48, -1
	ds_load_b128 v[8:11], v2 offset:3072
	ds_load_b128 v[12:15], v2 offset:3088
	s_lshl_b64 s[8:9], 3, s23
	s_delay_alu instid0(SALU_CYCLE_1)
	s_not_b64 s[12:13], s[8:9]
	s_waitcnt lgkmcnt(1)
	v_readfirstlane_b32 s17, v9
	v_readfirstlane_b32 s16, v8
	;; [unrolled: 1-line block ×4, first 2 shown]
	s_waitcnt lgkmcnt(0)
	v_readfirstlane_b32 s10, v12
	v_readfirstlane_b32 s11, v13
	s_cmp_eq_u64 s[16:17], 1
	v_readfirstlane_b32 s6, v14
	s_cselect_b32 s5, -1, 0
	s_cmp_eq_u64 s[38:39], 1
	s_cselect_b32 s7, -1, 0
	s_delay_alu instid0(SALU_CYCLE_1)
	s_and_b32 s60, s5, s7
	v_readfirstlane_b32 s7, v15
	s_and_b32 vcc_lo, exec_lo, s60
	s_cbranch_vccz .LBB44_97
; %bb.83:                               ;   in Loop: Header=BB44_8 Depth=1
	ds_load_b64 v[4:5], v19 offset:5120
	s_waitcnt lgkmcnt(0)
	s_barrier
	buffer_gl0_inv
	v_readfirstlane_b32 s18, v4
	v_readfirstlane_b32 s19, v5
	s_and_saveexec_b32 s5, s3
	s_cbranch_execz .LBB44_85
; %bb.84:                               ;   in Loop: Header=BB44_8 Depth=1
	v_mov_b32_e32 v18, v19
	ds_store_b64 v37, v[18:19]
.LBB44_85:                              ;   in Loop: Header=BB44_8 Depth=1
	s_or_b32 exec_lo, exec_lo, s5
	s_delay_alu instid0(VALU_DEP_1)
	v_cmp_lt_i64_e64 s5, s[18:19], 1
	s_and_b64 s[56:57], s[56:57], s[12:13]
	s_or_b64 s[58:59], s[58:59], s[8:9]
	s_waitcnt lgkmcnt(0)
	s_barrier
	buffer_gl0_inv
	s_and_b32 vcc_lo, exec_lo, s5
	s_cbranch_vccz .LBB44_98
; %bb.86:                               ;   in Loop: Header=BB44_8 Depth=1
	s_mov_b32 s24, s49
	s_delay_alu instid0(SALU_CYCLE_1)
	s_cmp_lg_u64 s[24:25], 0
	s_cbranch_scc0 .LBB44_143
; %bb.87:                               ;   in Loop: Header=BB44_8 Depth=1
	v_cvt_f32_u32_e32 v2, s27
	s_sub_u32 s21, 0, s27
	s_subb_u32 s22, 0, 0
	s_delay_alu instid0(VALU_DEP_1) | instskip(NEXT) | instid1(VALU_DEP_1)
	v_fmac_f32_e32 v2, 0x4f800000, v45
	v_rcp_f32_e32 v2, v2
	s_waitcnt_depctr 0xfff
	v_mul_f32_e32 v2, 0x5f7ffffc, v2
	s_delay_alu instid0(VALU_DEP_1) | instskip(NEXT) | instid1(VALU_DEP_1)
	v_mul_f32_e32 v4, 0x2f800000, v2
	v_trunc_f32_e32 v4, v4
	s_delay_alu instid0(VALU_DEP_1) | instskip(SKIP_1) | instid1(VALU_DEP_2)
	v_fmac_f32_e32 v2, 0xcf800000, v4
	v_cvt_u32_f32_e32 v4, v4
	v_cvt_u32_f32_e32 v2, v2
	s_delay_alu instid0(VALU_DEP_2) | instskip(NEXT) | instid1(VALU_DEP_2)
	v_readfirstlane_b32 s5, v4
	v_readfirstlane_b32 s20, v2
	s_delay_alu instid0(VALU_DEP_2) | instskip(NEXT) | instid1(VALU_DEP_1)
	s_mul_i32 s24, s21, s5
	s_mul_hi_u32 s62, s21, s20
	s_mul_i32 s61, s22, s20
	s_add_i32 s24, s62, s24
	s_mul_i32 s63, s21, s20
	s_add_i32 s24, s24, s61
	s_mul_hi_u32 s62, s20, s63
	s_mul_hi_u32 s64, s5, s63
	s_mul_i32 s61, s5, s63
	s_mul_hi_u32 s63, s20, s24
	s_mul_i32 s20, s20, s24
	s_mul_hi_u32 s65, s5, s24
	s_add_u32 s20, s62, s20
	s_addc_u32 s62, 0, s63
	s_add_u32 s20, s20, s61
	s_mul_i32 s24, s5, s24
	s_addc_u32 s20, s62, s64
	s_addc_u32 s61, s65, 0
	s_add_u32 s20, s20, s24
	s_addc_u32 s24, 0, s61
	v_add_co_u32 v2, s20, v2, s20
	s_delay_alu instid0(VALU_DEP_1) | instskip(SKIP_1) | instid1(VALU_DEP_1)
	s_cmp_lg_u32 s20, 0
	s_addc_u32 s5, s5, s24
	v_readfirstlane_b32 s20, v2
	s_mul_i32 s24, s21, s5
	s_delay_alu instid0(VALU_DEP_1)
	s_mul_hi_u32 s61, s21, s20
	s_mul_i32 s22, s22, s20
	s_add_i32 s24, s61, s24
	s_mul_i32 s21, s21, s20
	s_add_i32 s24, s24, s22
	s_mul_hi_u32 s61, s5, s21
	s_mul_i32 s62, s5, s21
	s_mul_hi_u32 s21, s20, s21
	s_mul_hi_u32 s63, s20, s24
	s_mul_i32 s20, s20, s24
	s_mul_hi_u32 s22, s5, s24
	s_add_u32 s20, s21, s20
	s_addc_u32 s21, 0, s63
	s_add_u32 s20, s20, s62
	s_mul_i32 s24, s5, s24
	s_addc_u32 s20, s21, s61
	s_addc_u32 s21, s22, 0
	s_add_u32 s20, s20, s24
	s_addc_u32 s21, 0, s21
	v_add_co_u32 v2, s20, v2, s20
	s_delay_alu instid0(VALU_DEP_1) | instskip(SKIP_2) | instid1(VALU_DEP_1)
	s_cmp_lg_u32 s20, 0
	s_addc_u32 s5, s5, s21
	s_ashr_i32 s20, s25, 31
	v_readfirstlane_b32 s22, v2
	s_add_u32 s62, s75, s20
	s_mov_b32 s21, s20
	s_addc_u32 s63, s25, s20
	s_delay_alu instid0(SALU_CYCLE_1) | instskip(NEXT) | instid1(SALU_CYCLE_1)
	s_xor_b64 s[62:63], s[62:63], s[20:21]
	s_mul_i32 s24, s62, s5
	s_mul_hi_u32 s61, s62, s22
	s_mul_hi_u32 s21, s62, s5
	;; [unrolled: 1-line block ×3, first 2 shown]
	s_mul_i32 s22, s63, s22
	s_add_u32 s24, s61, s24
	s_addc_u32 s21, 0, s21
	s_mul_hi_u32 s64, s63, s5
	s_add_u32 s22, s24, s22
	s_mul_i32 s5, s63, s5
	s_addc_u32 s21, s21, s65
	s_addc_u32 s22, s64, 0
	s_add_u32 s5, s21, s5
	s_addc_u32 s21, 0, s22
	s_mul_hi_u32 s22, s27, s5
	s_mul_i32 s5, s27, s5
	s_mul_i32 s21, s27, s21
	v_sub_co_u32 v2, s5, s62, s5
	s_add_i32 s22, s22, s21
	s_cmp_lg_u32 s5, 0
	s_delay_alu instid0(VALU_DEP_1) | instskip(SKIP_2) | instid1(VALU_DEP_1)
	v_sub_co_u32 v4, s5, v2, s27
	s_subb_u32 s21, s63, s22
	s_cmp_lg_u32 s5, 0
	v_cmp_le_u32_e32 vcc_lo, s27, v4
	v_sub_co_u32 v5, s5, v4, s27
	s_subb_u32 s22, s21, 0
	s_cmp_lg_u32 s5, 0
	v_cndmask_b32_e64 v6, 0, -1, vcc_lo
	s_subb_u32 s5, s22, 0
	s_cmp_eq_u32 s22, 0
	v_mov_b32_e32 v8, s5
	s_cselect_b32 vcc_lo, -1, 0
	s_cmp_eq_u32 s21, 0
	v_cndmask_b32_e32 v6, -1, v6, vcc_lo
	v_cmp_le_u32_e32 vcc_lo, s27, v2
	s_cselect_b32 s5, -1, 0
	v_cndmask_b32_e64 v7, 0, -1, vcc_lo
	s_delay_alu instid0(VALU_DEP_3) | instskip(NEXT) | instid1(VALU_DEP_2)
	v_cmp_ne_u32_e32 vcc_lo, 0, v6
	v_cndmask_b32_e64 v6, -1, v7, s5
	v_cndmask_b32_e32 v7, s22, v8, vcc_lo
	v_cndmask_b32_e32 v4, v4, v5, vcc_lo
	s_delay_alu instid0(VALU_DEP_3) | instskip(NEXT) | instid1(VALU_DEP_2)
	v_cmp_ne_u32_e32 vcc_lo, 0, v6
	v_cndmask_b32_e32 v2, v2, v4, vcc_lo
	s_delay_alu instid0(VALU_DEP_4) | instskip(NEXT) | instid1(VALU_DEP_2)
	v_cndmask_b32_e32 v5, s21, v7, vcc_lo
	v_xor_b32_e32 v2, s20, v2
	s_delay_alu instid0(VALU_DEP_2) | instskip(NEXT) | instid1(VALU_DEP_2)
	v_xor_b32_e32 v5, s20, v5
	v_sub_co_u32 v4, vcc_lo, v2, s20
	s_delay_alu instid0(VALU_DEP_2)
	v_subrev_co_ci_u32_e32 v5, vcc_lo, s20, v5, vcc_lo
	s_cbranch_execnz .LBB44_89
.LBB44_88:                              ;   in Loop: Header=BB44_8 Depth=1
	v_cvt_f32_u32_e32 v2, s27
	s_sub_i32 s5, 0, s27
	s_delay_alu instid0(VALU_DEP_1) | instskip(SKIP_2) | instid1(VALU_DEP_1)
	v_rcp_iflag_f32_e32 v2, v2
	s_waitcnt_depctr 0xfff
	v_mul_f32_e32 v2, 0x4f7ffffe, v2
	v_cvt_u32_f32_e32 v2, v2
	s_delay_alu instid0(VALU_DEP_1) | instskip(NEXT) | instid1(VALU_DEP_1)
	v_mul_lo_u32 v4, s5, v2
	v_mul_hi_u32 v4, v2, v4
	s_delay_alu instid0(VALU_DEP_1) | instskip(NEXT) | instid1(VALU_DEP_1)
	v_add_nc_u32_e32 v2, v2, v4
	v_mul_hi_u32 v2, s75, v2
	s_delay_alu instid0(VALU_DEP_1) | instskip(NEXT) | instid1(VALU_DEP_1)
	v_mul_lo_u32 v2, v2, s27
	v_sub_nc_u32_e32 v2, s75, v2
	s_delay_alu instid0(VALU_DEP_1) | instskip(SKIP_1) | instid1(VALU_DEP_2)
	v_subrev_nc_u32_e32 v4, s27, v2
	v_cmp_le_u32_e32 vcc_lo, s27, v2
	v_cndmask_b32_e32 v2, v2, v4, vcc_lo
	s_delay_alu instid0(VALU_DEP_1) | instskip(SKIP_1) | instid1(VALU_DEP_2)
	v_subrev_nc_u32_e32 v4, s27, v2
	v_cmp_le_u32_e32 vcc_lo, s27, v2
	v_cndmask_b32_e32 v18, v2, v4, vcc_lo
	s_delay_alu instid0(VALU_DEP_1)
	v_dual_mov_b32 v4, v18 :: v_dual_mov_b32 v5, v19
.LBB44_89:                              ;   in Loop: Header=BB44_8 Depth=1
	s_delay_alu instid0(VALU_DEP_1) | instskip(NEXT) | instid1(VALU_DEP_2)
	v_sub_co_u32 v8, vcc_lo, s75, v4
	v_sub_co_ci_u32_e32 v9, vcc_lo, s25, v5, vcc_lo
	s_mov_b32 s5, 0
	s_mov_b32 s20, exec_lo
                                        ; implicit-def: $vgpr6_vgpr7
	s_delay_alu instid0(VALU_DEP_1)
	v_cmpx_gt_i64_e64 v[8:9], v[0:1]
	s_cbranch_execz .LBB44_100
; %bb.90:                               ;   in Loop: Header=BB44_8 Depth=1
	v_dual_mov_b32 v10, v16 :: v_dual_mov_b32 v11, v17
	v_dual_mov_b32 v13, v1 :: v_dual_mov_b32 v12, v0
	s_mov_b32 s22, 0
                                        ; implicit-def: $sgpr21
	s_branch .LBB44_92
.LBB44_91:                              ;   in Loop: Header=BB44_92 Depth=2
	s_or_b32 exec_lo, exec_lo, s5
	s_waitcnt vmcnt(0) lgkmcnt(0)
	s_barrier
	buffer_gl0_inv
	ds_load_b128 v[4:7], v19 offset:3072
	v_add_co_u32 v12, s5, v12, s27
	s_delay_alu instid0(VALU_DEP_1)
	v_add_co_ci_u32_e64 v13, s5, 0, v13, s5
	s_waitcnt lgkmcnt(0)
	s_barrier
	buffer_gl0_inv
	v_cmp_ge_i64_e64 s5, v[12:13], v[8:9]
	v_cmp_neq_f64_e32 vcc_lo, 0, v[4:5]
	s_delay_alu instid0(VALU_DEP_2) | instskip(NEXT) | instid1(SALU_CYCLE_1)
	s_or_b32 s5, vcc_lo, s5
	s_and_b32 s24, exec_lo, s5
	v_add_co_u32 v10, s5, v10, s44
	s_delay_alu instid0(VALU_DEP_1) | instskip(SKIP_3) | instid1(SALU_CYCLE_1)
	v_add_co_ci_u32_e64 v11, s5, s45, v11, s5
	s_or_b32 s22, s24, s22
	s_and_not1_b32 s5, s21, exec_lo
	s_and_b32 s21, vcc_lo, exec_lo
	s_or_b32 s21, s5, s21
	s_and_not1_b32 exec_lo, exec_lo, s22
	s_cbranch_execz .LBB44_99
.LBB44_92:                              ;   Parent Loop BB44_8 Depth=1
                                        ; =>  This Inner Loop Header: Depth=2
	s_delay_alu instid0(VALU_DEP_1)
	v_cmp_gt_i64_e32 vcc_lo, s[36:37], v[12:13]
	v_mov_b32_e32 v4, 0
	v_mov_b32_e32 v5, 0
	s_and_saveexec_b32 s5, vcc_lo
	s_cbranch_execz .LBB44_94
; %bb.93:                               ;   in Loop: Header=BB44_92 Depth=2
	global_load_b64 v[4:5], v[10:11], off
.LBB44_94:                              ;   in Loop: Header=BB44_92 Depth=2
	s_or_b32 exec_lo, exec_lo, s5
	s_and_saveexec_b32 s5, vcc_lo
	s_cbranch_execz .LBB44_91
; %bb.95:                               ;   in Loop: Header=BB44_92 Depth=2
	s_waitcnt vmcnt(0)
	v_cmp_o_f64_e32 vcc_lo, v[4:5], v[4:5]
	v_ashrrev_i32_e32 v2, 31, v5
	s_delay_alu instid0(VALU_DEP_1) | instskip(SKIP_1) | instid1(VALU_DEP_2)
	v_or_b32_e32 v6, 0x80000000, v2
	v_xor_b32_e32 v2, v2, v4
	v_xor_b32_e32 v6, v6, v5
	s_delay_alu instid0(VALU_DEP_1) | instskip(NEXT) | instid1(VALU_DEP_3)
	v_cndmask_b32_e32 v6, -1, v6, vcc_lo
	v_cndmask_b32_e32 v2, -1, v2, vcc_lo
	s_delay_alu instid0(VALU_DEP_2) | instskip(NEXT) | instid1(VALU_DEP_2)
	v_and_b32_e32 v7, s59, v6
	v_and_b32_e32 v6, s58, v2
	s_delay_alu instid0(VALU_DEP_1)
	v_cmp_eq_u64_e32 vcc_lo, s[56:57], v[6:7]
	s_and_b32 exec_lo, exec_lo, vcc_lo
	s_cbranch_execz .LBB44_91
; %bb.96:                               ;   in Loop: Header=BB44_92 Depth=2
	v_mov_b32_e32 v2, v19
	ds_store_b128 v19, v[2:5] offset:3072
	s_branch .LBB44_91
.LBB44_97:                              ;   in Loop: Header=BB44_8 Depth=1
	s_mov_b32 s5, -1
                                        ; implicit-def: $sgpr20
                                        ; implicit-def: $sgpr22
                                        ; implicit-def: $sgpr21
	s_branch .LBB44_114
.LBB44_98:                              ;   in Loop: Header=BB44_8 Depth=1
	s_mov_b32 s20, -1
	s_mov_b32 s5, 0
                                        ; implicit-def: $sgpr21
                                        ; implicit-def: $vgpr6_vgpr7
	s_mov_b32 s22, s20
	s_cbranch_execnz .LBB44_101
	s_branch .LBB44_114
.LBB44_99:                              ;   in Loop: Header=BB44_8 Depth=1
	s_or_b32 exec_lo, exec_lo, s22
	s_delay_alu instid0(SALU_CYCLE_1)
	s_and_b32 s5, s21, exec_lo
.LBB44_100:                             ;   in Loop: Header=BB44_8 Depth=1
	s_or_b32 exec_lo, exec_lo, s20
	s_mov_b32 s21, -1
	s_mov_b32 s20, 0
	s_delay_alu instid0(SALU_CYCLE_1)
	s_mov_b32 s22, s20
	s_branch .LBB44_114
.LBB44_101:                             ;   in Loop: Header=BB44_8 Depth=1
	s_add_u32 s22, s73, s18
	s_addc_u32 s21, s74, s19
	s_mov_b32 s20, s49
	s_delay_alu instid0(SALU_CYCLE_1)
	s_cmp_lg_u64 s[20:21], 0
	s_cbranch_scc0 .LBB44_144
; %bb.102:                              ;   in Loop: Header=BB44_8 Depth=1
	v_cvt_f32_u32_e32 v2, s27
	s_sub_u32 s24, 0, s27
	s_subb_u32 s61, 0, 0
	s_delay_alu instid0(VALU_DEP_1) | instskip(NEXT) | instid1(VALU_DEP_1)
	v_fmac_f32_e32 v2, 0x4f800000, v45
	v_rcp_f32_e32 v2, v2
	s_waitcnt_depctr 0xfff
	v_mul_f32_e32 v2, 0x5f7ffffc, v2
	s_delay_alu instid0(VALU_DEP_1) | instskip(NEXT) | instid1(VALU_DEP_1)
	v_mul_f32_e32 v4, 0x2f800000, v2
	v_trunc_f32_e32 v4, v4
	s_delay_alu instid0(VALU_DEP_1) | instskip(SKIP_1) | instid1(VALU_DEP_2)
	v_fmac_f32_e32 v2, 0xcf800000, v4
	v_cvt_u32_f32_e32 v4, v4
	v_cvt_u32_f32_e32 v2, v2
	s_delay_alu instid0(VALU_DEP_2) | instskip(NEXT) | instid1(VALU_DEP_2)
	v_readfirstlane_b32 s5, v4
	v_readfirstlane_b32 s20, v2
	s_delay_alu instid0(VALU_DEP_2) | instskip(NEXT) | instid1(VALU_DEP_1)
	s_mul_i32 s62, s24, s5
	s_mul_hi_u32 s64, s24, s20
	s_mul_i32 s63, s61, s20
	s_add_i32 s62, s64, s62
	s_mul_i32 s65, s24, s20
	s_add_i32 s62, s62, s63
	s_mul_hi_u32 s64, s20, s65
	s_mul_hi_u32 s66, s5, s65
	s_mul_i32 s63, s5, s65
	s_mul_hi_u32 s65, s20, s62
	s_mul_i32 s20, s20, s62
	s_mul_hi_u32 s67, s5, s62
	s_add_u32 s20, s64, s20
	s_addc_u32 s64, 0, s65
	s_add_u32 s20, s20, s63
	s_mul_i32 s62, s5, s62
	s_addc_u32 s20, s64, s66
	s_addc_u32 s63, s67, 0
	s_add_u32 s20, s20, s62
	s_addc_u32 s62, 0, s63
	v_add_co_u32 v2, s20, v2, s20
	s_delay_alu instid0(VALU_DEP_1) | instskip(SKIP_1) | instid1(VALU_DEP_1)
	s_cmp_lg_u32 s20, 0
	s_addc_u32 s5, s5, s62
	v_readfirstlane_b32 s20, v2
	s_mul_i32 s62, s24, s5
	s_delay_alu instid0(VALU_DEP_1)
	s_mul_hi_u32 s63, s24, s20
	s_mul_i32 s61, s61, s20
	s_add_i32 s62, s63, s62
	s_mul_i32 s24, s24, s20
	s_add_i32 s62, s62, s61
	s_mul_hi_u32 s63, s5, s24
	s_mul_i32 s64, s5, s24
	s_mul_hi_u32 s24, s20, s24
	s_mul_hi_u32 s65, s20, s62
	s_mul_i32 s20, s20, s62
	s_mul_hi_u32 s61, s5, s62
	s_add_u32 s20, s24, s20
	s_addc_u32 s24, 0, s65
	s_add_u32 s20, s20, s64
	s_mul_i32 s62, s5, s62
	s_addc_u32 s20, s24, s63
	s_addc_u32 s24, s61, 0
	s_add_u32 s20, s20, s62
	s_addc_u32 s24, 0, s24
	v_add_co_u32 v2, s20, v2, s20
	s_delay_alu instid0(VALU_DEP_1) | instskip(SKIP_2) | instid1(VALU_DEP_1)
	s_cmp_lg_u32 s20, 0
	s_addc_u32 s5, s5, s24
	s_ashr_i32 s62, s21, 31
	v_readfirstlane_b32 s20, v2
	s_add_u32 s64, s22, s62
	s_mov_b32 s63, s62
	s_addc_u32 s65, s21, s62
	s_delay_alu instid0(SALU_CYCLE_1) | instskip(NEXT) | instid1(SALU_CYCLE_1)
	s_xor_b64 s[64:65], s[64:65], s[62:63]
	s_mul_i32 s61, s64, s5
	s_mul_hi_u32 s63, s64, s20
	s_mul_hi_u32 s24, s64, s5
	;; [unrolled: 1-line block ×3, first 2 shown]
	s_mul_i32 s20, s65, s20
	s_add_u32 s61, s63, s61
	s_addc_u32 s24, 0, s24
	s_mul_hi_u32 s66, s65, s5
	s_add_u32 s20, s61, s20
	s_mul_i32 s5, s65, s5
	s_addc_u32 s20, s24, s67
	s_addc_u32 s24, s66, 0
	s_add_u32 s5, s20, s5
	s_addc_u32 s20, 0, s24
	s_mul_hi_u32 s24, s27, s5
	s_mul_i32 s5, s27, s5
	s_mul_i32 s20, s27, s20
	v_sub_co_u32 v2, s5, s64, s5
	s_add_i32 s24, s24, s20
	s_cmp_lg_u32 s5, 0
	s_delay_alu instid0(VALU_DEP_1) | instskip(SKIP_2) | instid1(VALU_DEP_1)
	v_sub_co_u32 v4, s5, v2, s27
	s_subb_u32 s20, s65, s24
	s_cmp_lg_u32 s5, 0
	v_cmp_le_u32_e32 vcc_lo, s27, v4
	v_sub_co_u32 v5, s5, v4, s27
	s_subb_u32 s24, s20, 0
	s_cmp_lg_u32 s5, 0
	v_cndmask_b32_e64 v6, 0, -1, vcc_lo
	s_subb_u32 s5, s24, 0
	s_cmp_eq_u32 s24, 0
	v_mov_b32_e32 v8, s5
	s_cselect_b32 vcc_lo, -1, 0
	s_cmp_eq_u32 s20, 0
	v_cndmask_b32_e32 v6, -1, v6, vcc_lo
	v_cmp_le_u32_e32 vcc_lo, s27, v2
	s_cselect_b32 s5, -1, 0
	v_cndmask_b32_e64 v7, 0, -1, vcc_lo
	s_delay_alu instid0(VALU_DEP_3) | instskip(NEXT) | instid1(VALU_DEP_2)
	v_cmp_ne_u32_e32 vcc_lo, 0, v6
	v_cndmask_b32_e64 v6, -1, v7, s5
	v_cndmask_b32_e32 v7, s24, v8, vcc_lo
	v_cndmask_b32_e32 v4, v4, v5, vcc_lo
	s_delay_alu instid0(VALU_DEP_3) | instskip(NEXT) | instid1(VALU_DEP_2)
	v_cmp_ne_u32_e32 vcc_lo, 0, v6
	v_cndmask_b32_e32 v2, v2, v4, vcc_lo
	s_delay_alu instid0(VALU_DEP_4) | instskip(NEXT) | instid1(VALU_DEP_2)
	v_cndmask_b32_e32 v5, s20, v7, vcc_lo
	v_xor_b32_e32 v2, s62, v2
	s_delay_alu instid0(VALU_DEP_2) | instskip(NEXT) | instid1(VALU_DEP_2)
	v_xor_b32_e32 v5, s62, v5
	v_sub_co_u32 v4, vcc_lo, v2, s62
	s_delay_alu instid0(VALU_DEP_2)
	v_subrev_co_ci_u32_e32 v5, vcc_lo, s62, v5, vcc_lo
	s_cbranch_execnz .LBB44_104
.LBB44_103:                             ;   in Loop: Header=BB44_8 Depth=1
	v_cvt_f32_u32_e32 v2, s27
	s_sub_i32 s5, 0, s27
	s_delay_alu instid0(VALU_DEP_1) | instskip(SKIP_2) | instid1(VALU_DEP_1)
	v_rcp_iflag_f32_e32 v2, v2
	s_waitcnt_depctr 0xfff
	v_mul_f32_e32 v2, 0x4f7ffffe, v2
	v_cvt_u32_f32_e32 v2, v2
	s_delay_alu instid0(VALU_DEP_1) | instskip(NEXT) | instid1(VALU_DEP_1)
	v_mul_lo_u32 v4, s5, v2
	v_mul_hi_u32 v4, v2, v4
	s_delay_alu instid0(VALU_DEP_1) | instskip(NEXT) | instid1(VALU_DEP_1)
	v_add_nc_u32_e32 v2, v2, v4
	v_mul_hi_u32 v2, s22, v2
	s_delay_alu instid0(VALU_DEP_1) | instskip(NEXT) | instid1(VALU_DEP_1)
	v_mul_lo_u32 v2, v2, s27
	v_sub_nc_u32_e32 v2, s22, v2
	s_delay_alu instid0(VALU_DEP_1) | instskip(SKIP_1) | instid1(VALU_DEP_2)
	v_subrev_nc_u32_e32 v4, s27, v2
	v_cmp_le_u32_e32 vcc_lo, s27, v2
	v_cndmask_b32_e32 v2, v2, v4, vcc_lo
	s_delay_alu instid0(VALU_DEP_1) | instskip(SKIP_1) | instid1(VALU_DEP_2)
	v_subrev_nc_u32_e32 v4, s27, v2
	v_cmp_le_u32_e32 vcc_lo, s27, v2
	v_cndmask_b32_e32 v18, v2, v4, vcc_lo
	s_delay_alu instid0(VALU_DEP_1)
	v_dual_mov_b32 v4, v18 :: v_dual_mov_b32 v5, v19
.LBB44_104:                             ;   in Loop: Header=BB44_8 Depth=1
	s_delay_alu instid0(VALU_DEP_1) | instskip(NEXT) | instid1(VALU_DEP_2)
	v_sub_co_u32 v8, vcc_lo, s22, v4
	v_sub_co_ci_u32_e32 v9, vcc_lo, s21, v5, vcc_lo
	s_mov_b32 s5, 0
	s_mov_b32 s20, exec_lo
                                        ; implicit-def: $vgpr6_vgpr7
	s_delay_alu instid0(VALU_DEP_1)
	v_cmpx_gt_i64_e64 v[8:9], v[0:1]
	s_cbranch_execz .LBB44_113
; %bb.105:                              ;   in Loop: Header=BB44_8 Depth=1
	v_dual_mov_b32 v12, v36 :: v_dual_mov_b32 v11, v1
	v_mov_b32_e32 v10, v0
	s_mov_b32 s22, 0
                                        ; implicit-def: $sgpr21
	s_set_inst_prefetch_distance 0x1
	s_branch .LBB44_107
	.p2align	6
.LBB44_106:                             ;   in Loop: Header=BB44_107 Depth=2
	s_or_b32 exec_lo, exec_lo, s5
	s_waitcnt lgkmcnt(0)
	s_barrier
	buffer_gl0_inv
	ds_load_b128 v[4:7], v19 offset:3072
	v_add_co_u32 v10, s5, v10, s27
	s_delay_alu instid0(VALU_DEP_1) | instskip(SKIP_3) | instid1(VALU_DEP_2)
	v_add_co_ci_u32_e64 v11, s5, 0, v11, s5
	v_add_nc_u32_e32 v12, s81, v12
	s_waitcnt lgkmcnt(0)
	s_barrier
	v_cmp_ge_i64_e64 s5, v[10:11], v[8:9]
	buffer_gl0_inv
	v_cmp_neq_f64_e32 vcc_lo, 0, v[4:5]
	s_or_b32 s5, vcc_lo, s5
	s_delay_alu instid0(SALU_CYCLE_1) | instskip(NEXT) | instid1(SALU_CYCLE_1)
	s_and_b32 s5, exec_lo, s5
	s_or_b32 s22, s5, s22
	s_and_not1_b32 s5, s21, exec_lo
	s_and_b32 s21, vcc_lo, exec_lo
	s_delay_alu instid0(SALU_CYCLE_1)
	s_or_b32 s21, s5, s21
	s_and_not1_b32 exec_lo, exec_lo, s22
	s_cbranch_execz .LBB44_112
.LBB44_107:                             ;   Parent Loop BB44_8 Depth=1
                                        ; =>  This Inner Loop Header: Depth=2
	s_delay_alu instid0(VALU_DEP_1)
	v_cmp_gt_i64_e32 vcc_lo, s[18:19], v[10:11]
	v_mov_b32_e32 v4, 0
	v_mov_b32_e32 v5, 0
	s_and_saveexec_b32 s5, vcc_lo
	s_cbranch_execz .LBB44_109
; %bb.108:                              ;   in Loop: Header=BB44_107 Depth=2
	ds_load_b64 v[4:5], v12
.LBB44_109:                             ;   in Loop: Header=BB44_107 Depth=2
	s_or_b32 exec_lo, exec_lo, s5
	s_and_saveexec_b32 s5, vcc_lo
	s_cbranch_execz .LBB44_106
; %bb.110:                              ;   in Loop: Header=BB44_107 Depth=2
	s_waitcnt lgkmcnt(0)
	v_cmp_o_f64_e32 vcc_lo, v[4:5], v[4:5]
	v_ashrrev_i32_e32 v2, 31, v5
	s_delay_alu instid0(VALU_DEP_1) | instskip(SKIP_1) | instid1(VALU_DEP_2)
	v_or_b32_e32 v6, 0x80000000, v2
	v_xor_b32_e32 v2, v2, v4
	v_xor_b32_e32 v6, v6, v5
	s_delay_alu instid0(VALU_DEP_1) | instskip(NEXT) | instid1(VALU_DEP_3)
	v_cndmask_b32_e32 v6, -1, v6, vcc_lo
	v_cndmask_b32_e32 v2, -1, v2, vcc_lo
	s_delay_alu instid0(VALU_DEP_2) | instskip(NEXT) | instid1(VALU_DEP_2)
	v_and_b32_e32 v7, s59, v6
	v_and_b32_e32 v6, s58, v2
	s_delay_alu instid0(VALU_DEP_1)
	v_cmp_eq_u64_e32 vcc_lo, s[56:57], v[6:7]
	s_and_b32 exec_lo, exec_lo, vcc_lo
	s_cbranch_execz .LBB44_106
; %bb.111:                              ;   in Loop: Header=BB44_107 Depth=2
	v_mov_b32_e32 v2, v19
	ds_store_b128 v19, v[2:5] offset:3072
	s_branch .LBB44_106
.LBB44_112:                             ;   in Loop: Header=BB44_8 Depth=1
	s_set_inst_prefetch_distance 0x2
	s_or_b32 exec_lo, exec_lo, s22
	s_delay_alu instid0(SALU_CYCLE_1)
	s_and_b32 s5, s21, exec_lo
.LBB44_113:                             ;   in Loop: Header=BB44_8 Depth=1
	s_or_b32 exec_lo, exec_lo, s20
	s_mov_b32 s22, -1
	s_mov_b32 s20, 0
	s_mov_b32 s21, 0
.LBB44_114:                             ;   in Loop: Header=BB44_8 Depth=1
	s_and_not1_b32 s18, s88, exec_lo
	s_and_b32 s19, s20, exec_lo
	s_and_not1_b32 s20, s89, exec_lo
	s_or_b32 s88, s18, s19
	s_and_not1_b32 s18, s90, exec_lo
	s_and_b32 s19, s22, exec_lo
	s_and_b32 s21, s21, exec_lo
	s_or_b32 s90, s18, s19
	s_or_b32 s89, s20, s21
	s_and_saveexec_b32 s22, s5
	s_cbranch_execz .LBB44_7
; %bb.115:                              ;   in Loop: Header=BB44_8 Depth=1
	s_xor_b32 s5, s60, -1
	s_delay_alu instid0(SALU_CYCLE_1)
	s_and_not1_b32 vcc_lo, exec_lo, s5
	s_mov_b32 s5, 1
	s_cbranch_vccnz .LBB44_126
; %bb.116:                              ;   in Loop: Header=BB44_8 Depth=1
	v_cmp_gt_i64_e64 s5, s[38:39], s[16:17]
	s_mov_b32 s24, -1
                                        ; implicit-def: $sgpr18_sgpr19
                                        ; implicit-def: $sgpr20_sgpr21
	s_delay_alu instid0(VALU_DEP_1)
	s_and_b32 vcc_lo, exec_lo, s5
                                        ; implicit-def: $sgpr5
	s_cbranch_vccnz .LBB44_122
; %bb.117:                              ;   in Loop: Header=BB44_8 Depth=1
	ds_load_b64 v[4:5], v19 offset:5120
	s_waitcnt lgkmcnt(0)
	v_cmp_ne_u64_e32 vcc_lo, 0, v[4:5]
	s_cbranch_vccnz .LBB44_121
; %bb.118:                              ;   in Loop: Header=BB44_8 Depth=1
	s_and_saveexec_b32 s5, s0
	s_cbranch_execz .LBB44_120
; %bb.119:                              ;   in Loop: Header=BB44_8 Depth=1
	v_dual_mov_b32 v4, s16 :: v_dual_mov_b32 v5, s17
	ds_store_b64 v19, v[4:5] offset:5128
.LBB44_120:                             ;   in Loop: Header=BB44_8 Depth=1
	s_or_b32 exec_lo, exec_lo, s5
	s_waitcnt lgkmcnt(0)
	s_barrier
	buffer_gl0_inv
.LBB44_121:                             ;   in Loop: Header=BB44_8 Depth=1
	s_and_b64 s[18:19], s[56:57], s[12:13]
	s_or_b64 s[20:21], s[58:59], s[8:9]
	s_mov_b32 s24, 0
	s_mov_b32 s5, 8
.LBB44_122:                             ;   in Loop: Header=BB44_8 Depth=1
	s_and_not1_b32 vcc_lo, exec_lo, s24
	s_cbranch_vccnz .LBB44_124
; %bb.123:                              ;   in Loop: Header=BB44_8 Depth=1
	s_sub_u32 s38, s38, s16
	s_subb_u32 s39, s39, s17
	s_mov_b32 s24, -1
	s_mov_b32 s5, 0
	s_mov_b64 s[18:19], s[56:57]
	s_mov_b64 s[20:21], s[58:59]
.LBB44_124:                             ;   in Loop: Header=BB44_8 Depth=1
	s_delay_alu instid0(SALU_CYCLE_1)
	s_mov_b64 s[58:59], s[20:21]
	s_mov_b64 s[56:57], s[18:19]
	s_and_b32 vcc_lo, exec_lo, s24
	s_mov_b32 s20, -1
	s_cbranch_vccnz .LBB44_127
.LBB44_125:                             ;   in Loop: Header=BB44_8 Depth=1
	s_mov_b32 s16, -1
                                        ; implicit-def: $sgpr21
                                        ; implicit-def: $sgpr60
                                        ; implicit-def: $sgpr48
	s_delay_alu instid0(SALU_CYCLE_1) | instskip(NEXT) | instid1(SALU_CYCLE_1)
	s_and_saveexec_b32 s6, s16
	s_xor_b32 s6, exec_lo, s6
	s_cbranch_execz .LBB44_6
	s_branch .LBB44_273
.LBB44_126:                             ;   in Loop: Header=BB44_8 Depth=1
	s_mov_b64 s[38:39], 1
	s_mov_b32 s20, -1
	s_branch .LBB44_125
.LBB44_127:                             ;   in Loop: Header=BB44_8 Depth=1
	s_cmp_eq_u64 s[14:15], 1
	s_mov_b32 s18, -1
	s_cselect_b32 s5, -1, 0
	s_cmp_eq_u64 s[38:39], 1
	s_cselect_b32 s16, -1, 0
	s_delay_alu instid0(SALU_CYCLE_1) | instskip(NEXT) | instid1(SALU_CYCLE_1)
	s_and_b32 s62, s5, s16
	s_and_b32 vcc_lo, exec_lo, s62
	s_cbranch_vccz .LBB44_142
; %bb.128:                              ;   in Loop: Header=BB44_8 Depth=1
	ds_load_b64 v[4:5], v19 offset:5120
	s_waitcnt lgkmcnt(0)
	s_barrier
	buffer_gl0_inv
	v_readfirstlane_b32 s16, v4
	v_readfirstlane_b32 s17, v5
	s_and_saveexec_b32 s5, s3
	s_cbranch_execz .LBB44_130
; %bb.129:                              ;   in Loop: Header=BB44_8 Depth=1
	v_mov_b32_e32 v18, v19
	ds_store_b64 v37, v[18:19]
.LBB44_130:                             ;   in Loop: Header=BB44_8 Depth=1
	s_or_b32 exec_lo, exec_lo, s5
	s_delay_alu instid0(VALU_DEP_1)
	v_cmp_gt_i64_e64 s5, s[16:17], 0
	s_lshl_b64 s[18:19], 1, s23
	s_and_b64 s[56:57], s[56:57], s[12:13]
	s_or_b64 s[58:59], s[58:59], s[8:9]
	s_or_b64 s[56:57], s[56:57], s[18:19]
	s_waitcnt lgkmcnt(0)
	s_and_b32 vcc_lo, exec_lo, s5
	s_barrier
	buffer_gl0_inv
	s_cbranch_vccnz .LBB44_145
; %bb.131:                              ;   in Loop: Header=BB44_8 Depth=1
	s_mov_b32 s24, s49
	s_delay_alu instid0(SALU_CYCLE_1)
	s_cmp_lg_u64 s[24:25], 0
	s_cbranch_scc0 .LBB44_190
; %bb.132:                              ;   in Loop: Header=BB44_8 Depth=1
	v_cvt_f32_u32_e32 v2, s27
	s_sub_u32 s19, 0, s27
	s_subb_u32 s21, 0, 0
	s_delay_alu instid0(VALU_DEP_1) | instskip(NEXT) | instid1(VALU_DEP_1)
	v_fmac_f32_e32 v2, 0x4f800000, v45
	v_rcp_f32_e32 v2, v2
	s_waitcnt_depctr 0xfff
	v_mul_f32_e32 v2, 0x5f7ffffc, v2
	s_delay_alu instid0(VALU_DEP_1) | instskip(NEXT) | instid1(VALU_DEP_1)
	v_mul_f32_e32 v4, 0x2f800000, v2
	v_trunc_f32_e32 v4, v4
	s_delay_alu instid0(VALU_DEP_1) | instskip(SKIP_1) | instid1(VALU_DEP_2)
	v_fmac_f32_e32 v2, 0xcf800000, v4
	v_cvt_u32_f32_e32 v4, v4
	v_cvt_u32_f32_e32 v2, v2
	s_delay_alu instid0(VALU_DEP_2) | instskip(NEXT) | instid1(VALU_DEP_2)
	v_readfirstlane_b32 s5, v4
	v_readfirstlane_b32 s18, v2
	s_delay_alu instid0(VALU_DEP_2) | instskip(NEXT) | instid1(VALU_DEP_1)
	s_mul_i32 s24, s19, s5
	s_mul_hi_u32 s60, s19, s18
	s_mul_i32 s48, s21, s18
	s_add_i32 s24, s60, s24
	s_mul_i32 s61, s19, s18
	s_add_i32 s24, s24, s48
	s_mul_hi_u32 s60, s18, s61
	s_mul_hi_u32 s63, s5, s61
	s_mul_i32 s48, s5, s61
	s_mul_hi_u32 s61, s18, s24
	s_mul_i32 s18, s18, s24
	s_mul_hi_u32 s64, s5, s24
	s_add_u32 s18, s60, s18
	s_addc_u32 s60, 0, s61
	s_add_u32 s18, s18, s48
	s_mul_i32 s24, s5, s24
	s_addc_u32 s18, s60, s63
	s_addc_u32 s48, s64, 0
	s_add_u32 s18, s18, s24
	s_addc_u32 s24, 0, s48
	v_add_co_u32 v2, s18, v2, s18
	s_delay_alu instid0(VALU_DEP_1) | instskip(SKIP_1) | instid1(VALU_DEP_1)
	s_cmp_lg_u32 s18, 0
	s_addc_u32 s5, s5, s24
	v_readfirstlane_b32 s18, v2
	s_mul_i32 s24, s19, s5
	s_delay_alu instid0(VALU_DEP_1)
	s_mul_hi_u32 s48, s19, s18
	s_mul_i32 s21, s21, s18
	s_add_i32 s24, s48, s24
	s_mul_i32 s19, s19, s18
	s_add_i32 s24, s24, s21
	s_mul_hi_u32 s48, s5, s19
	s_mul_i32 s60, s5, s19
	s_mul_hi_u32 s19, s18, s19
	s_mul_hi_u32 s61, s18, s24
	s_mul_i32 s18, s18, s24
	s_mul_hi_u32 s21, s5, s24
	s_add_u32 s18, s19, s18
	s_addc_u32 s19, 0, s61
	s_add_u32 s18, s18, s60
	s_mul_i32 s24, s5, s24
	s_addc_u32 s18, s19, s48
	s_addc_u32 s19, s21, 0
	s_add_u32 s18, s18, s24
	s_addc_u32 s19, 0, s19
	v_add_co_u32 v2, s18, v2, s18
	s_delay_alu instid0(VALU_DEP_1) | instskip(SKIP_2) | instid1(VALU_DEP_1)
	s_cmp_lg_u32 s18, 0
	s_addc_u32 s5, s5, s19
	s_ashr_i32 s18, s25, 31
	v_readfirstlane_b32 s21, v2
	s_add_u32 s60, s75, s18
	s_mov_b32 s19, s18
	s_addc_u32 s61, s25, s18
	s_delay_alu instid0(SALU_CYCLE_1) | instskip(NEXT) | instid1(SALU_CYCLE_1)
	s_xor_b64 s[60:61], s[60:61], s[18:19]
	s_mul_i32 s24, s60, s5
	s_mul_hi_u32 s48, s60, s21
	s_mul_hi_u32 s19, s60, s5
	;; [unrolled: 1-line block ×3, first 2 shown]
	s_mul_i32 s21, s61, s21
	s_add_u32 s24, s48, s24
	s_addc_u32 s19, 0, s19
	s_mul_hi_u32 s63, s61, s5
	s_add_u32 s21, s24, s21
	s_mul_i32 s5, s61, s5
	s_addc_u32 s19, s19, s64
	s_addc_u32 s21, s63, 0
	s_add_u32 s5, s19, s5
	s_addc_u32 s19, 0, s21
	s_mul_hi_u32 s21, s27, s5
	s_mul_i32 s5, s27, s5
	s_mul_i32 s19, s27, s19
	v_sub_co_u32 v2, s5, s60, s5
	s_add_i32 s21, s21, s19
	s_cmp_lg_u32 s5, 0
	s_delay_alu instid0(VALU_DEP_1) | instskip(SKIP_2) | instid1(VALU_DEP_1)
	v_sub_co_u32 v4, s5, v2, s27
	s_subb_u32 s19, s61, s21
	s_cmp_lg_u32 s5, 0
	v_cmp_le_u32_e32 vcc_lo, s27, v4
	v_sub_co_u32 v5, s5, v4, s27
	s_subb_u32 s21, s19, 0
	s_cmp_lg_u32 s5, 0
	v_cndmask_b32_e64 v6, 0, -1, vcc_lo
	s_subb_u32 s5, s21, 0
	s_cmp_eq_u32 s21, 0
	v_mov_b32_e32 v8, s5
	s_cselect_b32 vcc_lo, -1, 0
	s_cmp_eq_u32 s19, 0
	v_cndmask_b32_e32 v6, -1, v6, vcc_lo
	v_cmp_le_u32_e32 vcc_lo, s27, v2
	s_cselect_b32 s5, -1, 0
	v_cndmask_b32_e64 v7, 0, -1, vcc_lo
	s_delay_alu instid0(VALU_DEP_3) | instskip(NEXT) | instid1(VALU_DEP_2)
	v_cmp_ne_u32_e32 vcc_lo, 0, v6
	v_cndmask_b32_e64 v6, -1, v7, s5
	v_cndmask_b32_e32 v7, s21, v8, vcc_lo
	v_cndmask_b32_e32 v4, v4, v5, vcc_lo
	s_delay_alu instid0(VALU_DEP_3) | instskip(NEXT) | instid1(VALU_DEP_2)
	v_cmp_ne_u32_e32 vcc_lo, 0, v6
	v_cndmask_b32_e32 v2, v2, v4, vcc_lo
	s_delay_alu instid0(VALU_DEP_4) | instskip(NEXT) | instid1(VALU_DEP_2)
	v_cndmask_b32_e32 v5, s19, v7, vcc_lo
	v_xor_b32_e32 v2, s18, v2
	s_delay_alu instid0(VALU_DEP_2) | instskip(NEXT) | instid1(VALU_DEP_2)
	v_xor_b32_e32 v5, s18, v5
	v_sub_co_u32 v4, vcc_lo, v2, s18
	s_delay_alu instid0(VALU_DEP_2)
	v_subrev_co_ci_u32_e32 v5, vcc_lo, s18, v5, vcc_lo
	s_cbranch_execnz .LBB44_134
.LBB44_133:                             ;   in Loop: Header=BB44_8 Depth=1
	v_cvt_f32_u32_e32 v2, s27
	s_sub_i32 s5, 0, s27
	s_delay_alu instid0(VALU_DEP_1) | instskip(SKIP_2) | instid1(VALU_DEP_1)
	v_rcp_iflag_f32_e32 v2, v2
	s_waitcnt_depctr 0xfff
	v_mul_f32_e32 v2, 0x4f7ffffe, v2
	v_cvt_u32_f32_e32 v2, v2
	s_delay_alu instid0(VALU_DEP_1) | instskip(NEXT) | instid1(VALU_DEP_1)
	v_mul_lo_u32 v4, s5, v2
	v_mul_hi_u32 v4, v2, v4
	s_delay_alu instid0(VALU_DEP_1) | instskip(NEXT) | instid1(VALU_DEP_1)
	v_add_nc_u32_e32 v2, v2, v4
	v_mul_hi_u32 v2, s75, v2
	s_delay_alu instid0(VALU_DEP_1) | instskip(NEXT) | instid1(VALU_DEP_1)
	v_mul_lo_u32 v2, v2, s27
	v_sub_nc_u32_e32 v2, s75, v2
	s_delay_alu instid0(VALU_DEP_1) | instskip(SKIP_1) | instid1(VALU_DEP_2)
	v_subrev_nc_u32_e32 v4, s27, v2
	v_cmp_le_u32_e32 vcc_lo, s27, v2
	v_cndmask_b32_e32 v2, v2, v4, vcc_lo
	s_delay_alu instid0(VALU_DEP_1) | instskip(SKIP_1) | instid1(VALU_DEP_2)
	v_subrev_nc_u32_e32 v4, s27, v2
	v_cmp_le_u32_e32 vcc_lo, s27, v2
	v_cndmask_b32_e32 v18, v2, v4, vcc_lo
	s_delay_alu instid0(VALU_DEP_1)
	v_dual_mov_b32 v4, v18 :: v_dual_mov_b32 v5, v19
.LBB44_134:                             ;   in Loop: Header=BB44_8 Depth=1
	s_delay_alu instid0(VALU_DEP_1) | instskip(NEXT) | instid1(VALU_DEP_2)
	v_sub_co_u32 v8, vcc_lo, s75, v4
	v_sub_co_ci_u32_e32 v9, vcc_lo, s25, v5, vcc_lo
	s_mov_b32 s18, 0
	s_mov_b32 s19, exec_lo
                                        ; implicit-def: $vgpr6_vgpr7
	s_delay_alu instid0(VALU_DEP_1)
	v_cmpx_gt_i64_e64 v[8:9], v[0:1]
	s_cbranch_execz .LBB44_147
; %bb.135:                              ;   in Loop: Header=BB44_8 Depth=1
	v_dual_mov_b32 v10, v16 :: v_dual_mov_b32 v11, v17
	v_dual_mov_b32 v13, v1 :: v_dual_mov_b32 v12, v0
	s_mov_b32 s21, 0
                                        ; implicit-def: $sgpr18
	s_branch .LBB44_137
.LBB44_136:                             ;   in Loop: Header=BB44_137 Depth=2
	s_or_b32 exec_lo, exec_lo, s5
	s_waitcnt vmcnt(0) lgkmcnt(0)
	s_barrier
	buffer_gl0_inv
	ds_load_b128 v[4:7], v19 offset:3072
	v_add_co_u32 v12, s5, v12, s27
	s_delay_alu instid0(VALU_DEP_1)
	v_add_co_ci_u32_e64 v13, s5, 0, v13, s5
	s_waitcnt lgkmcnt(0)
	s_barrier
	buffer_gl0_inv
	v_cmp_ge_i64_e64 s5, v[12:13], v[8:9]
	v_cmp_neq_f64_e32 vcc_lo, 0, v[4:5]
	s_delay_alu instid0(VALU_DEP_2) | instskip(NEXT) | instid1(SALU_CYCLE_1)
	s_or_b32 s5, vcc_lo, s5
	s_and_b32 s24, exec_lo, s5
	v_add_co_u32 v10, s5, v10, s44
	s_delay_alu instid0(VALU_DEP_1) | instskip(SKIP_3) | instid1(SALU_CYCLE_1)
	v_add_co_ci_u32_e64 v11, s5, s45, v11, s5
	s_or_b32 s21, s24, s21
	s_and_not1_b32 s5, s18, exec_lo
	s_and_b32 s18, vcc_lo, exec_lo
	s_or_b32 s18, s5, s18
	s_and_not1_b32 exec_lo, exec_lo, s21
	s_cbranch_execz .LBB44_146
.LBB44_137:                             ;   Parent Loop BB44_8 Depth=1
                                        ; =>  This Inner Loop Header: Depth=2
	s_delay_alu instid0(VALU_DEP_1)
	v_cmp_gt_i64_e32 vcc_lo, s[36:37], v[12:13]
	v_mov_b32_e32 v4, 0
	v_mov_b32_e32 v5, 0
	s_and_saveexec_b32 s5, vcc_lo
	s_cbranch_execz .LBB44_139
; %bb.138:                              ;   in Loop: Header=BB44_137 Depth=2
	global_load_b64 v[4:5], v[10:11], off
.LBB44_139:                             ;   in Loop: Header=BB44_137 Depth=2
	s_or_b32 exec_lo, exec_lo, s5
	s_and_saveexec_b32 s5, vcc_lo
	s_cbranch_execz .LBB44_136
; %bb.140:                              ;   in Loop: Header=BB44_137 Depth=2
	s_waitcnt vmcnt(0)
	v_cmp_o_f64_e32 vcc_lo, v[4:5], v[4:5]
	v_ashrrev_i32_e32 v2, 31, v5
	s_delay_alu instid0(VALU_DEP_1) | instskip(SKIP_1) | instid1(VALU_DEP_2)
	v_or_b32_e32 v6, 0x80000000, v2
	v_xor_b32_e32 v2, v2, v4
	v_xor_b32_e32 v6, v6, v5
	s_delay_alu instid0(VALU_DEP_1) | instskip(NEXT) | instid1(VALU_DEP_3)
	v_cndmask_b32_e32 v6, -1, v6, vcc_lo
	v_cndmask_b32_e32 v2, -1, v2, vcc_lo
	s_delay_alu instid0(VALU_DEP_2) | instskip(NEXT) | instid1(VALU_DEP_2)
	v_and_b32_e32 v7, s59, v6
	v_and_b32_e32 v6, s58, v2
	s_delay_alu instid0(VALU_DEP_1)
	v_cmp_eq_u64_e32 vcc_lo, s[56:57], v[6:7]
	s_and_b32 exec_lo, exec_lo, vcc_lo
	s_cbranch_execz .LBB44_136
; %bb.141:                              ;   in Loop: Header=BB44_137 Depth=2
	v_mov_b32_e32 v2, v19
	ds_store_b128 v19, v[2:5] offset:3072
	s_branch .LBB44_136
.LBB44_142:                             ;   in Loop: Header=BB44_8 Depth=1
                                        ; implicit-def: $sgpr48
                                        ; implicit-def: $sgpr60
                                        ; implicit-def: $sgpr21
	s_branch .LBB44_161
.LBB44_143:                             ;   in Loop: Header=BB44_8 Depth=1
                                        ; implicit-def: $vgpr4_vgpr5
	s_branch .LBB44_88
.LBB44_144:                             ;   in Loop: Header=BB44_8 Depth=1
                                        ; implicit-def: $vgpr4_vgpr5
	s_branch .LBB44_103
.LBB44_145:                             ;   in Loop: Header=BB44_8 Depth=1
	s_mov_b32 s48, -1
	s_mov_b32 s18, 0
                                        ; implicit-def: $sgpr21
                                        ; implicit-def: $vgpr6_vgpr7
	s_mov_b32 s60, s48
	s_cbranch_execnz .LBB44_148
	s_branch .LBB44_161
.LBB44_146:                             ;   in Loop: Header=BB44_8 Depth=1
	s_or_b32 exec_lo, exec_lo, s21
	s_delay_alu instid0(SALU_CYCLE_1)
	s_and_b32 s18, s18, exec_lo
.LBB44_147:                             ;   in Loop: Header=BB44_8 Depth=1
	s_or_b32 exec_lo, exec_lo, s19
	s_mov_b32 s21, -1
	s_mov_b32 s48, 0
	s_delay_alu instid0(SALU_CYCLE_1)
	s_mov_b32 s60, s48
	s_branch .LBB44_161
.LBB44_148:                             ;   in Loop: Header=BB44_8 Depth=1
	s_add_u32 s21, s73, s16
	s_addc_u32 s19, s74, s17
	s_mov_b32 s18, s49
	s_delay_alu instid0(SALU_CYCLE_1)
	s_cmp_lg_u64 s[18:19], 0
	s_cbranch_scc0 .LBB44_191
; %bb.149:                              ;   in Loop: Header=BB44_8 Depth=1
	v_cvt_f32_u32_e32 v2, s27
	s_sub_u32 s24, 0, s27
	s_subb_u32 s48, 0, 0
	s_delay_alu instid0(VALU_DEP_1) | instskip(NEXT) | instid1(VALU_DEP_1)
	v_fmac_f32_e32 v2, 0x4f800000, v45
	v_rcp_f32_e32 v2, v2
	s_waitcnt_depctr 0xfff
	v_mul_f32_e32 v2, 0x5f7ffffc, v2
	s_delay_alu instid0(VALU_DEP_1) | instskip(NEXT) | instid1(VALU_DEP_1)
	v_mul_f32_e32 v4, 0x2f800000, v2
	v_trunc_f32_e32 v4, v4
	s_delay_alu instid0(VALU_DEP_1) | instskip(SKIP_1) | instid1(VALU_DEP_2)
	v_fmac_f32_e32 v2, 0xcf800000, v4
	v_cvt_u32_f32_e32 v4, v4
	v_cvt_u32_f32_e32 v2, v2
	s_delay_alu instid0(VALU_DEP_2) | instskip(NEXT) | instid1(VALU_DEP_2)
	v_readfirstlane_b32 s5, v4
	v_readfirstlane_b32 s18, v2
	s_delay_alu instid0(VALU_DEP_2) | instskip(NEXT) | instid1(VALU_DEP_1)
	s_mul_i32 s60, s24, s5
	s_mul_hi_u32 s63, s24, s18
	s_mul_i32 s61, s48, s18
	s_add_i32 s60, s63, s60
	s_mul_i32 s64, s24, s18
	s_add_i32 s60, s60, s61
	s_mul_hi_u32 s63, s18, s64
	s_mul_hi_u32 s65, s5, s64
	s_mul_i32 s61, s5, s64
	s_mul_hi_u32 s64, s18, s60
	s_mul_i32 s18, s18, s60
	s_mul_hi_u32 s66, s5, s60
	s_add_u32 s18, s63, s18
	s_addc_u32 s63, 0, s64
	s_add_u32 s18, s18, s61
	s_mul_i32 s60, s5, s60
	s_addc_u32 s18, s63, s65
	s_addc_u32 s61, s66, 0
	s_add_u32 s18, s18, s60
	s_addc_u32 s60, 0, s61
	v_add_co_u32 v2, s18, v2, s18
	s_delay_alu instid0(VALU_DEP_1) | instskip(SKIP_1) | instid1(VALU_DEP_1)
	s_cmp_lg_u32 s18, 0
	s_addc_u32 s5, s5, s60
	v_readfirstlane_b32 s18, v2
	s_mul_i32 s60, s24, s5
	s_delay_alu instid0(VALU_DEP_1)
	s_mul_hi_u32 s61, s24, s18
	s_mul_i32 s48, s48, s18
	s_add_i32 s60, s61, s60
	s_mul_i32 s24, s24, s18
	s_add_i32 s60, s60, s48
	s_mul_hi_u32 s61, s5, s24
	s_mul_i32 s63, s5, s24
	s_mul_hi_u32 s24, s18, s24
	s_mul_hi_u32 s64, s18, s60
	s_mul_i32 s18, s18, s60
	s_mul_hi_u32 s48, s5, s60
	s_add_u32 s18, s24, s18
	s_addc_u32 s24, 0, s64
	s_add_u32 s18, s18, s63
	s_mul_i32 s60, s5, s60
	s_addc_u32 s18, s24, s61
	s_addc_u32 s24, s48, 0
	s_add_u32 s18, s18, s60
	s_addc_u32 s24, 0, s24
	v_add_co_u32 v2, s18, v2, s18
	s_delay_alu instid0(VALU_DEP_1) | instskip(SKIP_2) | instid1(VALU_DEP_1)
	s_cmp_lg_u32 s18, 0
	s_addc_u32 s5, s5, s24
	s_ashr_i32 s60, s19, 31
	v_readfirstlane_b32 s18, v2
	s_add_u32 s64, s21, s60
	s_mov_b32 s61, s60
	s_addc_u32 s65, s19, s60
	s_delay_alu instid0(SALU_CYCLE_1) | instskip(NEXT) | instid1(SALU_CYCLE_1)
	s_xor_b64 s[64:65], s[64:65], s[60:61]
	s_mul_i32 s48, s64, s5
	s_mul_hi_u32 s61, s64, s18
	s_mul_hi_u32 s24, s64, s5
	;; [unrolled: 1-line block ×3, first 2 shown]
	s_mul_i32 s18, s65, s18
	s_add_u32 s48, s61, s48
	s_addc_u32 s24, 0, s24
	s_mul_hi_u32 s63, s65, s5
	s_add_u32 s18, s48, s18
	s_mul_i32 s5, s65, s5
	s_addc_u32 s18, s24, s66
	s_addc_u32 s24, s63, 0
	s_add_u32 s5, s18, s5
	s_addc_u32 s18, 0, s24
	s_mul_hi_u32 s24, s27, s5
	s_mul_i32 s5, s27, s5
	s_mul_i32 s18, s27, s18
	v_sub_co_u32 v2, s5, s64, s5
	s_add_i32 s24, s24, s18
	s_cmp_lg_u32 s5, 0
	s_delay_alu instid0(VALU_DEP_1) | instskip(SKIP_2) | instid1(VALU_DEP_1)
	v_sub_co_u32 v4, s5, v2, s27
	s_subb_u32 s18, s65, s24
	s_cmp_lg_u32 s5, 0
	v_cmp_le_u32_e32 vcc_lo, s27, v4
	v_sub_co_u32 v5, s5, v4, s27
	s_subb_u32 s24, s18, 0
	s_cmp_lg_u32 s5, 0
	v_cndmask_b32_e64 v6, 0, -1, vcc_lo
	s_subb_u32 s5, s24, 0
	s_cmp_eq_u32 s24, 0
	v_mov_b32_e32 v8, s5
	s_cselect_b32 vcc_lo, -1, 0
	s_cmp_eq_u32 s18, 0
	v_cndmask_b32_e32 v6, -1, v6, vcc_lo
	v_cmp_le_u32_e32 vcc_lo, s27, v2
	s_cselect_b32 s5, -1, 0
	v_cndmask_b32_e64 v7, 0, -1, vcc_lo
	s_delay_alu instid0(VALU_DEP_3) | instskip(NEXT) | instid1(VALU_DEP_2)
	v_cmp_ne_u32_e32 vcc_lo, 0, v6
	v_cndmask_b32_e64 v6, -1, v7, s5
	v_cndmask_b32_e32 v7, s24, v8, vcc_lo
	v_cndmask_b32_e32 v4, v4, v5, vcc_lo
	s_delay_alu instid0(VALU_DEP_3) | instskip(NEXT) | instid1(VALU_DEP_2)
	v_cmp_ne_u32_e32 vcc_lo, 0, v6
	v_cndmask_b32_e32 v2, v2, v4, vcc_lo
	s_delay_alu instid0(VALU_DEP_4) | instskip(NEXT) | instid1(VALU_DEP_2)
	v_cndmask_b32_e32 v5, s18, v7, vcc_lo
	v_xor_b32_e32 v2, s60, v2
	s_delay_alu instid0(VALU_DEP_2) | instskip(NEXT) | instid1(VALU_DEP_2)
	v_xor_b32_e32 v5, s60, v5
	v_sub_co_u32 v4, vcc_lo, v2, s60
	s_delay_alu instid0(VALU_DEP_2)
	v_subrev_co_ci_u32_e32 v5, vcc_lo, s60, v5, vcc_lo
	s_cbranch_execnz .LBB44_151
.LBB44_150:                             ;   in Loop: Header=BB44_8 Depth=1
	v_cvt_f32_u32_e32 v2, s27
	s_sub_i32 s5, 0, s27
	s_delay_alu instid0(VALU_DEP_1) | instskip(SKIP_2) | instid1(VALU_DEP_1)
	v_rcp_iflag_f32_e32 v2, v2
	s_waitcnt_depctr 0xfff
	v_mul_f32_e32 v2, 0x4f7ffffe, v2
	v_cvt_u32_f32_e32 v2, v2
	s_delay_alu instid0(VALU_DEP_1) | instskip(NEXT) | instid1(VALU_DEP_1)
	v_mul_lo_u32 v4, s5, v2
	v_mul_hi_u32 v4, v2, v4
	s_delay_alu instid0(VALU_DEP_1) | instskip(NEXT) | instid1(VALU_DEP_1)
	v_add_nc_u32_e32 v2, v2, v4
	v_mul_hi_u32 v2, s21, v2
	s_delay_alu instid0(VALU_DEP_1) | instskip(NEXT) | instid1(VALU_DEP_1)
	v_mul_lo_u32 v2, v2, s27
	v_sub_nc_u32_e32 v2, s21, v2
	s_delay_alu instid0(VALU_DEP_1) | instskip(SKIP_1) | instid1(VALU_DEP_2)
	v_subrev_nc_u32_e32 v4, s27, v2
	v_cmp_le_u32_e32 vcc_lo, s27, v2
	v_cndmask_b32_e32 v2, v2, v4, vcc_lo
	s_delay_alu instid0(VALU_DEP_1) | instskip(SKIP_1) | instid1(VALU_DEP_2)
	v_subrev_nc_u32_e32 v4, s27, v2
	v_cmp_le_u32_e32 vcc_lo, s27, v2
	v_cndmask_b32_e32 v18, v2, v4, vcc_lo
	s_delay_alu instid0(VALU_DEP_1)
	v_dual_mov_b32 v4, v18 :: v_dual_mov_b32 v5, v19
.LBB44_151:                             ;   in Loop: Header=BB44_8 Depth=1
	s_delay_alu instid0(VALU_DEP_1) | instskip(NEXT) | instid1(VALU_DEP_2)
	v_sub_co_u32 v8, vcc_lo, s21, v4
	v_sub_co_ci_u32_e32 v9, vcc_lo, s19, v5, vcc_lo
	s_mov_b32 s18, 0
	s_mov_b32 s19, exec_lo
                                        ; implicit-def: $vgpr6_vgpr7
	s_delay_alu instid0(VALU_DEP_1)
	v_cmpx_gt_i64_e64 v[8:9], v[0:1]
	s_cbranch_execz .LBB44_160
; %bb.152:                              ;   in Loop: Header=BB44_8 Depth=1
	v_dual_mov_b32 v12, v36 :: v_dual_mov_b32 v11, v1
	v_mov_b32_e32 v10, v0
	s_mov_b32 s21, 0
                                        ; implicit-def: $sgpr18
	s_set_inst_prefetch_distance 0x1
	s_branch .LBB44_154
	.p2align	6
.LBB44_153:                             ;   in Loop: Header=BB44_154 Depth=2
	s_or_b32 exec_lo, exec_lo, s5
	s_waitcnt lgkmcnt(0)
	s_barrier
	buffer_gl0_inv
	ds_load_b128 v[4:7], v19 offset:3072
	v_add_co_u32 v10, s5, v10, s27
	s_delay_alu instid0(VALU_DEP_1) | instskip(SKIP_3) | instid1(VALU_DEP_2)
	v_add_co_ci_u32_e64 v11, s5, 0, v11, s5
	v_add_nc_u32_e32 v12, s81, v12
	s_waitcnt lgkmcnt(0)
	s_barrier
	v_cmp_ge_i64_e64 s5, v[10:11], v[8:9]
	buffer_gl0_inv
	v_cmp_neq_f64_e32 vcc_lo, 0, v[4:5]
	s_or_b32 s5, vcc_lo, s5
	s_delay_alu instid0(SALU_CYCLE_1) | instskip(NEXT) | instid1(SALU_CYCLE_1)
	s_and_b32 s5, exec_lo, s5
	s_or_b32 s21, s5, s21
	s_and_not1_b32 s5, s18, exec_lo
	s_and_b32 s18, vcc_lo, exec_lo
	s_delay_alu instid0(SALU_CYCLE_1)
	s_or_b32 s18, s5, s18
	s_and_not1_b32 exec_lo, exec_lo, s21
	s_cbranch_execz .LBB44_159
.LBB44_154:                             ;   Parent Loop BB44_8 Depth=1
                                        ; =>  This Inner Loop Header: Depth=2
	s_delay_alu instid0(VALU_DEP_1)
	v_cmp_gt_i64_e32 vcc_lo, s[16:17], v[10:11]
	v_mov_b32_e32 v4, 0
	v_mov_b32_e32 v5, 0
	s_and_saveexec_b32 s5, vcc_lo
	s_cbranch_execz .LBB44_156
; %bb.155:                              ;   in Loop: Header=BB44_154 Depth=2
	ds_load_b64 v[4:5], v12
.LBB44_156:                             ;   in Loop: Header=BB44_154 Depth=2
	s_or_b32 exec_lo, exec_lo, s5
	s_and_saveexec_b32 s5, vcc_lo
	s_cbranch_execz .LBB44_153
; %bb.157:                              ;   in Loop: Header=BB44_154 Depth=2
	s_waitcnt lgkmcnt(0)
	v_cmp_o_f64_e32 vcc_lo, v[4:5], v[4:5]
	v_ashrrev_i32_e32 v2, 31, v5
	s_delay_alu instid0(VALU_DEP_1) | instskip(SKIP_1) | instid1(VALU_DEP_2)
	v_or_b32_e32 v6, 0x80000000, v2
	v_xor_b32_e32 v2, v2, v4
	v_xor_b32_e32 v6, v6, v5
	s_delay_alu instid0(VALU_DEP_1) | instskip(NEXT) | instid1(VALU_DEP_3)
	v_cndmask_b32_e32 v6, -1, v6, vcc_lo
	v_cndmask_b32_e32 v2, -1, v2, vcc_lo
	s_delay_alu instid0(VALU_DEP_2) | instskip(NEXT) | instid1(VALU_DEP_2)
	v_and_b32_e32 v7, s59, v6
	v_and_b32_e32 v6, s58, v2
	s_delay_alu instid0(VALU_DEP_1)
	v_cmp_eq_u64_e32 vcc_lo, s[56:57], v[6:7]
	s_and_b32 exec_lo, exec_lo, vcc_lo
	s_cbranch_execz .LBB44_153
; %bb.158:                              ;   in Loop: Header=BB44_154 Depth=2
	v_mov_b32_e32 v2, v19
	ds_store_b128 v19, v[2:5] offset:3072
	s_branch .LBB44_153
.LBB44_159:                             ;   in Loop: Header=BB44_8 Depth=1
	s_set_inst_prefetch_distance 0x2
	s_or_b32 exec_lo, exec_lo, s21
	s_delay_alu instid0(SALU_CYCLE_1)
	s_and_b32 s18, s18, exec_lo
.LBB44_160:                             ;   in Loop: Header=BB44_8 Depth=1
	s_or_b32 exec_lo, exec_lo, s19
	s_mov_b32 s60, -1
	s_mov_b32 s48, 0
	s_mov_b32 s21, 0
.LBB44_161:                             ;   in Loop: Header=BB44_8 Depth=1
	s_mov_b32 s16, 0
                                        ; implicit-def: $sgpr5
	s_and_saveexec_b32 s61, s18
	s_cbranch_execz .LBB44_272
; %bb.162:                              ;   in Loop: Header=BB44_8 Depth=1
	s_xor_b32 s5, s62, -1
	s_delay_alu instid0(SALU_CYCLE_1)
	s_and_not1_b32 vcc_lo, exec_lo, s5
	s_mov_b32 s5, 1
	s_cbranch_vccnz .LBB44_173
; %bb.163:                              ;   in Loop: Header=BB44_8 Depth=1
	v_cmp_gt_i64_e64 s5, s[38:39], s[14:15]
	s_mov_b32 s24, -1
                                        ; implicit-def: $sgpr16_sgpr17
                                        ; implicit-def: $sgpr18_sgpr19
	s_delay_alu instid0(VALU_DEP_1)
	s_and_b32 vcc_lo, exec_lo, s5
                                        ; implicit-def: $sgpr5
	s_cbranch_vccnz .LBB44_169
; %bb.164:                              ;   in Loop: Header=BB44_8 Depth=1
	ds_load_b64 v[4:5], v19 offset:5120
	s_waitcnt lgkmcnt(0)
	v_cmp_ne_u64_e32 vcc_lo, 0, v[4:5]
	s_cbranch_vccnz .LBB44_168
; %bb.165:                              ;   in Loop: Header=BB44_8 Depth=1
	s_and_saveexec_b32 s5, s0
	s_cbranch_execz .LBB44_167
; %bb.166:                              ;   in Loop: Header=BB44_8 Depth=1
	v_dual_mov_b32 v4, s14 :: v_dual_mov_b32 v5, s15
	ds_store_b64 v19, v[4:5] offset:5128
.LBB44_167:                             ;   in Loop: Header=BB44_8 Depth=1
	s_or_b32 exec_lo, exec_lo, s5
	s_waitcnt lgkmcnt(0)
	s_barrier
	buffer_gl0_inv
.LBB44_168:                             ;   in Loop: Header=BB44_8 Depth=1
	s_lshl_b64 s[16:17], 1, s23
	s_and_b64 s[18:19], s[56:57], s[12:13]
	s_mov_b32 s24, 0
	s_or_b64 s[16:17], s[18:19], s[16:17]
	s_or_b64 s[18:19], s[58:59], s[8:9]
	s_mov_b32 s5, 8
.LBB44_169:                             ;   in Loop: Header=BB44_8 Depth=1
	s_and_not1_b32 vcc_lo, exec_lo, s24
	s_cbranch_vccnz .LBB44_171
; %bb.170:                              ;   in Loop: Header=BB44_8 Depth=1
	s_sub_u32 s38, s38, s14
	s_subb_u32 s39, s39, s15
	s_mov_b32 s24, -1
	s_mov_b32 s5, 0
	s_mov_b64 s[16:17], s[56:57]
	s_mov_b64 s[18:19], s[58:59]
.LBB44_171:                             ;   in Loop: Header=BB44_8 Depth=1
	s_delay_alu instid0(SALU_CYCLE_1)
	s_mov_b64 s[58:59], s[18:19]
	s_mov_b64 s[56:57], s[16:17]
	s_and_not1_b32 vcc_lo, exec_lo, s24
	s_mov_b32 s14, -1
	s_cbranch_vccz .LBB44_174
.LBB44_172:                             ;   in Loop: Header=BB44_8 Depth=1
                                        ; implicit-def: $sgpr19
                                        ; implicit-def: $sgpr62
                                        ; implicit-def: $sgpr18
	s_branch .LBB44_271
.LBB44_173:                             ;   in Loop: Header=BB44_8 Depth=1
	s_mov_b64 s[38:39], 1
	s_mov_b32 s14, -1
	s_cbranch_execnz .LBB44_172
.LBB44_174:                             ;   in Loop: Header=BB44_8 Depth=1
	s_cmp_eq_u64 s[10:11], 1
	s_mov_b32 s16, -1
	s_cselect_b32 s5, -1, 0
	s_cmp_eq_u64 s[38:39], 1
	s_cselect_b32 s14, -1, 0
	s_delay_alu instid0(SALU_CYCLE_1) | instskip(NEXT) | instid1(SALU_CYCLE_1)
	s_and_b32 s64, s5, s14
	s_and_b32 vcc_lo, exec_lo, s64
	s_cbranch_vccz .LBB44_189
; %bb.175:                              ;   in Loop: Header=BB44_8 Depth=1
	ds_load_b64 v[4:5], v19 offset:5120
	s_waitcnt lgkmcnt(0)
	s_barrier
	buffer_gl0_inv
	v_readfirstlane_b32 s14, v4
	v_readfirstlane_b32 s15, v5
	s_and_saveexec_b32 s5, s3
	s_cbranch_execz .LBB44_177
; %bb.176:                              ;   in Loop: Header=BB44_8 Depth=1
	v_mov_b32_e32 v18, v19
	ds_store_b64 v37, v[18:19]
.LBB44_177:                             ;   in Loop: Header=BB44_8 Depth=1
	s_or_b32 exec_lo, exec_lo, s5
	s_delay_alu instid0(VALU_DEP_1)
	v_cmp_gt_i64_e64 s5, s[14:15], 0
	s_lshl_b64 s[16:17], 2, s23
	s_and_b64 s[18:19], s[56:57], s[12:13]
	s_or_b64 s[58:59], s[58:59], s[8:9]
	s_or_b64 s[56:57], s[18:19], s[16:17]
	s_waitcnt lgkmcnt(0)
	s_and_b32 vcc_lo, exec_lo, s5
	s_barrier
	buffer_gl0_inv
	s_cbranch_vccnz .LBB44_192
; %bb.178:                              ;   in Loop: Header=BB44_8 Depth=1
	s_mov_b32 s24, s49
	s_delay_alu instid0(SALU_CYCLE_1)
	s_cmp_lg_u64 s[24:25], 0
	s_cbranch_scc0 .LBB44_237
; %bb.179:                              ;   in Loop: Header=BB44_8 Depth=1
	v_cvt_f32_u32_e32 v2, s27
	s_sub_u32 s17, 0, s27
	s_subb_u32 s18, 0, 0
	s_delay_alu instid0(VALU_DEP_1) | instskip(NEXT) | instid1(VALU_DEP_1)
	v_fmac_f32_e32 v2, 0x4f800000, v45
	v_rcp_f32_e32 v2, v2
	s_waitcnt_depctr 0xfff
	v_mul_f32_e32 v2, 0x5f7ffffc, v2
	s_delay_alu instid0(VALU_DEP_1) | instskip(NEXT) | instid1(VALU_DEP_1)
	v_mul_f32_e32 v4, 0x2f800000, v2
	v_trunc_f32_e32 v4, v4
	s_delay_alu instid0(VALU_DEP_1) | instskip(SKIP_1) | instid1(VALU_DEP_2)
	v_fmac_f32_e32 v2, 0xcf800000, v4
	v_cvt_u32_f32_e32 v4, v4
	v_cvt_u32_f32_e32 v2, v2
	s_delay_alu instid0(VALU_DEP_2) | instskip(NEXT) | instid1(VALU_DEP_2)
	v_readfirstlane_b32 s5, v4
	v_readfirstlane_b32 s16, v2
	s_delay_alu instid0(VALU_DEP_2) | instskip(NEXT) | instid1(VALU_DEP_1)
	s_mul_i32 s19, s17, s5
	s_mul_hi_u32 s62, s17, s16
	s_mul_i32 s24, s18, s16
	s_add_i32 s19, s62, s19
	s_mul_i32 s63, s17, s16
	s_add_i32 s19, s19, s24
	s_mul_hi_u32 s62, s16, s63
	s_mul_hi_u32 s65, s5, s63
	s_mul_i32 s24, s5, s63
	s_mul_hi_u32 s63, s16, s19
	s_mul_i32 s16, s16, s19
	s_mul_hi_u32 s66, s5, s19
	s_add_u32 s16, s62, s16
	s_addc_u32 s62, 0, s63
	s_add_u32 s16, s16, s24
	s_mul_i32 s19, s5, s19
	s_addc_u32 s16, s62, s65
	s_addc_u32 s24, s66, 0
	s_add_u32 s16, s16, s19
	s_addc_u32 s19, 0, s24
	v_add_co_u32 v2, s16, v2, s16
	s_delay_alu instid0(VALU_DEP_1) | instskip(SKIP_1) | instid1(VALU_DEP_1)
	s_cmp_lg_u32 s16, 0
	s_addc_u32 s5, s5, s19
	v_readfirstlane_b32 s16, v2
	s_mul_i32 s19, s17, s5
	s_delay_alu instid0(VALU_DEP_1)
	s_mul_hi_u32 s24, s17, s16
	s_mul_i32 s18, s18, s16
	s_add_i32 s19, s24, s19
	s_mul_i32 s17, s17, s16
	s_add_i32 s19, s19, s18
	s_mul_hi_u32 s24, s5, s17
	s_mul_i32 s62, s5, s17
	s_mul_hi_u32 s17, s16, s17
	s_mul_hi_u32 s63, s16, s19
	s_mul_i32 s16, s16, s19
	s_mul_hi_u32 s18, s5, s19
	s_add_u32 s16, s17, s16
	s_addc_u32 s17, 0, s63
	s_add_u32 s16, s16, s62
	s_mul_i32 s19, s5, s19
	s_addc_u32 s16, s17, s24
	s_addc_u32 s17, s18, 0
	s_add_u32 s16, s16, s19
	s_addc_u32 s17, 0, s17
	v_add_co_u32 v2, s16, v2, s16
	s_delay_alu instid0(VALU_DEP_1) | instskip(SKIP_2) | instid1(VALU_DEP_1)
	s_cmp_lg_u32 s16, 0
	s_addc_u32 s5, s5, s17
	s_ashr_i32 s16, s25, 31
	v_readfirstlane_b32 s24, v2
	s_add_u32 s18, s75, s16
	s_mov_b32 s17, s16
	s_addc_u32 s19, s25, s16
	s_delay_alu instid0(SALU_CYCLE_1) | instskip(NEXT) | instid1(SALU_CYCLE_1)
	s_xor_b64 s[18:19], s[18:19], s[16:17]
	s_mul_i32 s62, s18, s5
	s_mul_hi_u32 s63, s18, s24
	s_mul_hi_u32 s17, s18, s5
	;; [unrolled: 1-line block ×3, first 2 shown]
	s_mul_i32 s24, s19, s24
	s_add_u32 s62, s63, s62
	s_addc_u32 s17, 0, s17
	s_mul_hi_u32 s65, s19, s5
	s_add_u32 s24, s62, s24
	s_mul_i32 s5, s19, s5
	s_addc_u32 s17, s17, s66
	s_addc_u32 s24, s65, 0
	s_add_u32 s5, s17, s5
	s_addc_u32 s17, 0, s24
	s_mul_hi_u32 s24, s27, s5
	s_mul_i32 s5, s27, s5
	s_mul_i32 s17, s27, s17
	v_sub_co_u32 v2, s5, s18, s5
	s_add_i32 s24, s24, s17
	s_cmp_lg_u32 s5, 0
	s_delay_alu instid0(VALU_DEP_1) | instskip(SKIP_2) | instid1(VALU_DEP_1)
	v_sub_co_u32 v4, s5, v2, s27
	s_subb_u32 s17, s19, s24
	s_cmp_lg_u32 s5, 0
	v_cmp_le_u32_e32 vcc_lo, s27, v4
	v_sub_co_u32 v5, s5, v4, s27
	s_subb_u32 s18, s17, 0
	s_cmp_lg_u32 s5, 0
	v_cndmask_b32_e64 v6, 0, -1, vcc_lo
	s_subb_u32 s5, s18, 0
	s_cmp_eq_u32 s18, 0
	v_mov_b32_e32 v8, s5
	s_cselect_b32 vcc_lo, -1, 0
	s_cmp_eq_u32 s17, 0
	v_cndmask_b32_e32 v6, -1, v6, vcc_lo
	v_cmp_le_u32_e32 vcc_lo, s27, v2
	s_cselect_b32 s5, -1, 0
	v_cndmask_b32_e64 v7, 0, -1, vcc_lo
	s_delay_alu instid0(VALU_DEP_3) | instskip(NEXT) | instid1(VALU_DEP_2)
	v_cmp_ne_u32_e32 vcc_lo, 0, v6
	v_cndmask_b32_e64 v6, -1, v7, s5
	v_cndmask_b32_e32 v7, s18, v8, vcc_lo
	v_cndmask_b32_e32 v4, v4, v5, vcc_lo
	s_delay_alu instid0(VALU_DEP_3) | instskip(NEXT) | instid1(VALU_DEP_2)
	v_cmp_ne_u32_e32 vcc_lo, 0, v6
	v_cndmask_b32_e32 v2, v2, v4, vcc_lo
	s_delay_alu instid0(VALU_DEP_4) | instskip(NEXT) | instid1(VALU_DEP_2)
	v_cndmask_b32_e32 v5, s17, v7, vcc_lo
	v_xor_b32_e32 v2, s16, v2
	s_delay_alu instid0(VALU_DEP_2) | instskip(NEXT) | instid1(VALU_DEP_2)
	v_xor_b32_e32 v5, s16, v5
	v_sub_co_u32 v4, vcc_lo, v2, s16
	s_delay_alu instid0(VALU_DEP_2)
	v_subrev_co_ci_u32_e32 v5, vcc_lo, s16, v5, vcc_lo
	s_cbranch_execnz .LBB44_181
.LBB44_180:                             ;   in Loop: Header=BB44_8 Depth=1
	v_cvt_f32_u32_e32 v2, s27
	s_sub_i32 s5, 0, s27
	s_delay_alu instid0(VALU_DEP_1) | instskip(SKIP_2) | instid1(VALU_DEP_1)
	v_rcp_iflag_f32_e32 v2, v2
	s_waitcnt_depctr 0xfff
	v_mul_f32_e32 v2, 0x4f7ffffe, v2
	v_cvt_u32_f32_e32 v2, v2
	s_delay_alu instid0(VALU_DEP_1) | instskip(NEXT) | instid1(VALU_DEP_1)
	v_mul_lo_u32 v4, s5, v2
	v_mul_hi_u32 v4, v2, v4
	s_delay_alu instid0(VALU_DEP_1) | instskip(NEXT) | instid1(VALU_DEP_1)
	v_add_nc_u32_e32 v2, v2, v4
	v_mul_hi_u32 v2, s75, v2
	s_delay_alu instid0(VALU_DEP_1) | instskip(NEXT) | instid1(VALU_DEP_1)
	v_mul_lo_u32 v2, v2, s27
	v_sub_nc_u32_e32 v2, s75, v2
	s_delay_alu instid0(VALU_DEP_1) | instskip(SKIP_1) | instid1(VALU_DEP_2)
	v_subrev_nc_u32_e32 v4, s27, v2
	v_cmp_le_u32_e32 vcc_lo, s27, v2
	v_cndmask_b32_e32 v2, v2, v4, vcc_lo
	s_delay_alu instid0(VALU_DEP_1) | instskip(SKIP_1) | instid1(VALU_DEP_2)
	v_subrev_nc_u32_e32 v4, s27, v2
	v_cmp_le_u32_e32 vcc_lo, s27, v2
	v_cndmask_b32_e32 v18, v2, v4, vcc_lo
	s_delay_alu instid0(VALU_DEP_1)
	v_dual_mov_b32 v4, v18 :: v_dual_mov_b32 v5, v19
.LBB44_181:                             ;   in Loop: Header=BB44_8 Depth=1
	s_delay_alu instid0(VALU_DEP_1) | instskip(NEXT) | instid1(VALU_DEP_2)
	v_sub_co_u32 v8, vcc_lo, s75, v4
	v_sub_co_ci_u32_e32 v9, vcc_lo, s25, v5, vcc_lo
	s_mov_b32 s16, 0
	s_mov_b32 s17, exec_lo
                                        ; implicit-def: $vgpr6_vgpr7
	s_delay_alu instid0(VALU_DEP_1)
	v_cmpx_gt_i64_e64 v[8:9], v[0:1]
	s_cbranch_execz .LBB44_194
; %bb.182:                              ;   in Loop: Header=BB44_8 Depth=1
	v_dual_mov_b32 v10, v16 :: v_dual_mov_b32 v11, v17
	v_dual_mov_b32 v13, v1 :: v_dual_mov_b32 v12, v0
	s_mov_b32 s18, 0
                                        ; implicit-def: $sgpr16
	s_branch .LBB44_184
.LBB44_183:                             ;   in Loop: Header=BB44_184 Depth=2
	s_or_b32 exec_lo, exec_lo, s5
	s_waitcnt vmcnt(0) lgkmcnt(0)
	s_barrier
	buffer_gl0_inv
	ds_load_b128 v[4:7], v19 offset:3072
	v_add_co_u32 v12, s5, v12, s27
	s_delay_alu instid0(VALU_DEP_1)
	v_add_co_ci_u32_e64 v13, s5, 0, v13, s5
	s_waitcnt lgkmcnt(0)
	s_barrier
	buffer_gl0_inv
	v_cmp_ge_i64_e64 s5, v[12:13], v[8:9]
	v_cmp_neq_f64_e32 vcc_lo, 0, v[4:5]
	s_delay_alu instid0(VALU_DEP_2) | instskip(NEXT) | instid1(SALU_CYCLE_1)
	s_or_b32 s5, vcc_lo, s5
	s_and_b32 s19, exec_lo, s5
	v_add_co_u32 v10, s5, v10, s44
	s_delay_alu instid0(VALU_DEP_1) | instskip(SKIP_3) | instid1(SALU_CYCLE_1)
	v_add_co_ci_u32_e64 v11, s5, s45, v11, s5
	s_or_b32 s18, s19, s18
	s_and_not1_b32 s5, s16, exec_lo
	s_and_b32 s16, vcc_lo, exec_lo
	s_or_b32 s16, s5, s16
	s_and_not1_b32 exec_lo, exec_lo, s18
	s_cbranch_execz .LBB44_193
.LBB44_184:                             ;   Parent Loop BB44_8 Depth=1
                                        ; =>  This Inner Loop Header: Depth=2
	s_delay_alu instid0(VALU_DEP_1)
	v_cmp_gt_i64_e32 vcc_lo, s[36:37], v[12:13]
	v_mov_b32_e32 v4, 0
	v_mov_b32_e32 v5, 0
	s_and_saveexec_b32 s5, vcc_lo
	s_cbranch_execz .LBB44_186
; %bb.185:                              ;   in Loop: Header=BB44_184 Depth=2
	global_load_b64 v[4:5], v[10:11], off
.LBB44_186:                             ;   in Loop: Header=BB44_184 Depth=2
	s_or_b32 exec_lo, exec_lo, s5
	s_and_saveexec_b32 s5, vcc_lo
	s_cbranch_execz .LBB44_183
; %bb.187:                              ;   in Loop: Header=BB44_184 Depth=2
	s_waitcnt vmcnt(0)
	v_cmp_o_f64_e32 vcc_lo, v[4:5], v[4:5]
	v_ashrrev_i32_e32 v2, 31, v5
	s_delay_alu instid0(VALU_DEP_1) | instskip(SKIP_1) | instid1(VALU_DEP_2)
	v_or_b32_e32 v6, 0x80000000, v2
	v_xor_b32_e32 v2, v2, v4
	v_xor_b32_e32 v6, v6, v5
	s_delay_alu instid0(VALU_DEP_1) | instskip(NEXT) | instid1(VALU_DEP_3)
	v_cndmask_b32_e32 v6, -1, v6, vcc_lo
	v_cndmask_b32_e32 v2, -1, v2, vcc_lo
	s_delay_alu instid0(VALU_DEP_2) | instskip(NEXT) | instid1(VALU_DEP_2)
	v_and_b32_e32 v7, s59, v6
	v_and_b32_e32 v6, s58, v2
	s_delay_alu instid0(VALU_DEP_1)
	v_cmp_eq_u64_e32 vcc_lo, s[56:57], v[6:7]
	s_and_b32 exec_lo, exec_lo, vcc_lo
	s_cbranch_execz .LBB44_183
; %bb.188:                              ;   in Loop: Header=BB44_184 Depth=2
	v_mov_b32_e32 v2, v19
	ds_store_b128 v19, v[2:5] offset:3072
	s_branch .LBB44_183
.LBB44_189:                             ;   in Loop: Header=BB44_8 Depth=1
                                        ; implicit-def: $sgpr18
                                        ; implicit-def: $sgpr62
                                        ; implicit-def: $sgpr19
	s_branch .LBB44_208
.LBB44_190:                             ;   in Loop: Header=BB44_8 Depth=1
                                        ; implicit-def: $vgpr4_vgpr5
	s_branch .LBB44_133
.LBB44_191:                             ;   in Loop: Header=BB44_8 Depth=1
                                        ; implicit-def: $vgpr4_vgpr5
	s_branch .LBB44_150
.LBB44_192:                             ;   in Loop: Header=BB44_8 Depth=1
	s_mov_b32 s18, -1
	s_mov_b32 s16, 0
                                        ; implicit-def: $sgpr19
                                        ; implicit-def: $vgpr6_vgpr7
	s_mov_b32 s62, s18
	s_cbranch_execnz .LBB44_195
	s_branch .LBB44_208
.LBB44_193:                             ;   in Loop: Header=BB44_8 Depth=1
	s_or_b32 exec_lo, exec_lo, s18
	s_delay_alu instid0(SALU_CYCLE_1)
	s_and_b32 s16, s16, exec_lo
.LBB44_194:                             ;   in Loop: Header=BB44_8 Depth=1
	s_or_b32 exec_lo, exec_lo, s17
	s_mov_b32 s19, -1
	s_mov_b32 s18, 0
	s_delay_alu instid0(SALU_CYCLE_1)
	s_mov_b32 s62, s18
	s_branch .LBB44_208
.LBB44_195:                             ;   in Loop: Header=BB44_8 Depth=1
	s_add_u32 s18, s73, s14
	s_addc_u32 s17, s74, s15
	s_mov_b32 s16, s49
	s_delay_alu instid0(SALU_CYCLE_1)
	s_cmp_lg_u64 s[16:17], 0
	s_cbranch_scc0 .LBB44_238
; %bb.196:                              ;   in Loop: Header=BB44_8 Depth=1
	v_cvt_f32_u32_e32 v2, s27
	s_sub_u32 s19, 0, s27
	s_subb_u32 s24, 0, 0
	s_delay_alu instid0(VALU_DEP_1) | instskip(NEXT) | instid1(VALU_DEP_1)
	v_fmac_f32_e32 v2, 0x4f800000, v45
	v_rcp_f32_e32 v2, v2
	s_waitcnt_depctr 0xfff
	v_mul_f32_e32 v2, 0x5f7ffffc, v2
	s_delay_alu instid0(VALU_DEP_1) | instskip(NEXT) | instid1(VALU_DEP_1)
	v_mul_f32_e32 v4, 0x2f800000, v2
	v_trunc_f32_e32 v4, v4
	s_delay_alu instid0(VALU_DEP_1) | instskip(SKIP_1) | instid1(VALU_DEP_2)
	v_fmac_f32_e32 v2, 0xcf800000, v4
	v_cvt_u32_f32_e32 v4, v4
	v_cvt_u32_f32_e32 v2, v2
	s_delay_alu instid0(VALU_DEP_2) | instskip(NEXT) | instid1(VALU_DEP_2)
	v_readfirstlane_b32 s5, v4
	v_readfirstlane_b32 s16, v2
	s_delay_alu instid0(VALU_DEP_2) | instskip(NEXT) | instid1(VALU_DEP_1)
	s_mul_i32 s62, s19, s5
	s_mul_hi_u32 s65, s19, s16
	s_mul_i32 s63, s24, s16
	s_add_i32 s62, s65, s62
	s_mul_i32 s66, s19, s16
	s_add_i32 s62, s62, s63
	s_mul_hi_u32 s65, s16, s66
	s_mul_hi_u32 s67, s5, s66
	s_mul_i32 s63, s5, s66
	s_mul_hi_u32 s66, s16, s62
	s_mul_i32 s16, s16, s62
	s_mul_hi_u32 s68, s5, s62
	s_add_u32 s16, s65, s16
	s_addc_u32 s65, 0, s66
	s_add_u32 s16, s16, s63
	s_mul_i32 s62, s5, s62
	s_addc_u32 s16, s65, s67
	s_addc_u32 s63, s68, 0
	s_add_u32 s16, s16, s62
	s_addc_u32 s62, 0, s63
	v_add_co_u32 v2, s16, v2, s16
	s_delay_alu instid0(VALU_DEP_1) | instskip(SKIP_1) | instid1(VALU_DEP_1)
	s_cmp_lg_u32 s16, 0
	s_addc_u32 s5, s5, s62
	v_readfirstlane_b32 s16, v2
	s_mul_i32 s62, s19, s5
	s_delay_alu instid0(VALU_DEP_1)
	s_mul_hi_u32 s63, s19, s16
	s_mul_i32 s24, s24, s16
	s_add_i32 s62, s63, s62
	s_mul_i32 s19, s19, s16
	s_add_i32 s62, s62, s24
	s_mul_hi_u32 s63, s5, s19
	s_mul_i32 s65, s5, s19
	s_mul_hi_u32 s19, s16, s19
	s_mul_hi_u32 s66, s16, s62
	s_mul_i32 s16, s16, s62
	s_mul_hi_u32 s24, s5, s62
	s_add_u32 s16, s19, s16
	s_addc_u32 s19, 0, s66
	s_add_u32 s16, s16, s65
	s_mul_i32 s62, s5, s62
	s_addc_u32 s16, s19, s63
	s_addc_u32 s19, s24, 0
	s_add_u32 s16, s16, s62
	s_addc_u32 s19, 0, s19
	v_add_co_u32 v2, s16, v2, s16
	s_delay_alu instid0(VALU_DEP_1) | instskip(SKIP_2) | instid1(VALU_DEP_1)
	s_cmp_lg_u32 s16, 0
	s_addc_u32 s5, s5, s19
	s_ashr_i32 s62, s17, 31
	v_readfirstlane_b32 s16, v2
	s_add_u32 s66, s18, s62
	s_mov_b32 s63, s62
	s_addc_u32 s67, s17, s62
	s_delay_alu instid0(SALU_CYCLE_1) | instskip(NEXT) | instid1(SALU_CYCLE_1)
	s_xor_b64 s[66:67], s[66:67], s[62:63]
	s_mul_i32 s24, s66, s5
	s_mul_hi_u32 s63, s66, s16
	s_mul_hi_u32 s19, s66, s5
	;; [unrolled: 1-line block ×3, first 2 shown]
	s_mul_i32 s16, s67, s16
	s_add_u32 s24, s63, s24
	s_addc_u32 s19, 0, s19
	s_mul_hi_u32 s65, s67, s5
	s_add_u32 s16, s24, s16
	s_mul_i32 s5, s67, s5
	s_addc_u32 s16, s19, s68
	s_addc_u32 s19, s65, 0
	s_add_u32 s5, s16, s5
	s_addc_u32 s16, 0, s19
	s_mul_hi_u32 s19, s27, s5
	s_mul_i32 s5, s27, s5
	s_mul_i32 s16, s27, s16
	v_sub_co_u32 v2, s5, s66, s5
	s_add_i32 s19, s19, s16
	s_cmp_lg_u32 s5, 0
	s_delay_alu instid0(VALU_DEP_1) | instskip(SKIP_2) | instid1(VALU_DEP_1)
	v_sub_co_u32 v4, s5, v2, s27
	s_subb_u32 s16, s67, s19
	s_cmp_lg_u32 s5, 0
	v_cmp_le_u32_e32 vcc_lo, s27, v4
	v_sub_co_u32 v5, s5, v4, s27
	s_subb_u32 s19, s16, 0
	s_cmp_lg_u32 s5, 0
	v_cndmask_b32_e64 v6, 0, -1, vcc_lo
	s_subb_u32 s5, s19, 0
	s_cmp_eq_u32 s19, 0
	v_mov_b32_e32 v8, s5
	s_cselect_b32 vcc_lo, -1, 0
	s_cmp_eq_u32 s16, 0
	v_cndmask_b32_e32 v6, -1, v6, vcc_lo
	v_cmp_le_u32_e32 vcc_lo, s27, v2
	s_cselect_b32 s5, -1, 0
	v_cndmask_b32_e64 v7, 0, -1, vcc_lo
	s_delay_alu instid0(VALU_DEP_3) | instskip(NEXT) | instid1(VALU_DEP_2)
	v_cmp_ne_u32_e32 vcc_lo, 0, v6
	v_cndmask_b32_e64 v6, -1, v7, s5
	v_cndmask_b32_e32 v7, s19, v8, vcc_lo
	v_cndmask_b32_e32 v4, v4, v5, vcc_lo
	s_delay_alu instid0(VALU_DEP_3) | instskip(NEXT) | instid1(VALU_DEP_2)
	v_cmp_ne_u32_e32 vcc_lo, 0, v6
	v_cndmask_b32_e32 v2, v2, v4, vcc_lo
	s_delay_alu instid0(VALU_DEP_4) | instskip(NEXT) | instid1(VALU_DEP_2)
	v_cndmask_b32_e32 v5, s16, v7, vcc_lo
	v_xor_b32_e32 v2, s62, v2
	s_delay_alu instid0(VALU_DEP_2) | instskip(NEXT) | instid1(VALU_DEP_2)
	v_xor_b32_e32 v5, s62, v5
	v_sub_co_u32 v4, vcc_lo, v2, s62
	s_delay_alu instid0(VALU_DEP_2)
	v_subrev_co_ci_u32_e32 v5, vcc_lo, s62, v5, vcc_lo
	s_cbranch_execnz .LBB44_198
.LBB44_197:                             ;   in Loop: Header=BB44_8 Depth=1
	v_cvt_f32_u32_e32 v2, s27
	s_sub_i32 s5, 0, s27
	s_delay_alu instid0(VALU_DEP_1) | instskip(SKIP_2) | instid1(VALU_DEP_1)
	v_rcp_iflag_f32_e32 v2, v2
	s_waitcnt_depctr 0xfff
	v_mul_f32_e32 v2, 0x4f7ffffe, v2
	v_cvt_u32_f32_e32 v2, v2
	s_delay_alu instid0(VALU_DEP_1) | instskip(NEXT) | instid1(VALU_DEP_1)
	v_mul_lo_u32 v4, s5, v2
	v_mul_hi_u32 v4, v2, v4
	s_delay_alu instid0(VALU_DEP_1) | instskip(NEXT) | instid1(VALU_DEP_1)
	v_add_nc_u32_e32 v2, v2, v4
	v_mul_hi_u32 v2, s18, v2
	s_delay_alu instid0(VALU_DEP_1) | instskip(NEXT) | instid1(VALU_DEP_1)
	v_mul_lo_u32 v2, v2, s27
	v_sub_nc_u32_e32 v2, s18, v2
	s_delay_alu instid0(VALU_DEP_1) | instskip(SKIP_1) | instid1(VALU_DEP_2)
	v_subrev_nc_u32_e32 v4, s27, v2
	v_cmp_le_u32_e32 vcc_lo, s27, v2
	v_cndmask_b32_e32 v2, v2, v4, vcc_lo
	s_delay_alu instid0(VALU_DEP_1) | instskip(SKIP_1) | instid1(VALU_DEP_2)
	v_subrev_nc_u32_e32 v4, s27, v2
	v_cmp_le_u32_e32 vcc_lo, s27, v2
	v_cndmask_b32_e32 v18, v2, v4, vcc_lo
	s_delay_alu instid0(VALU_DEP_1)
	v_dual_mov_b32 v4, v18 :: v_dual_mov_b32 v5, v19
.LBB44_198:                             ;   in Loop: Header=BB44_8 Depth=1
	s_delay_alu instid0(VALU_DEP_1) | instskip(NEXT) | instid1(VALU_DEP_2)
	v_sub_co_u32 v8, vcc_lo, s18, v4
	v_sub_co_ci_u32_e32 v9, vcc_lo, s17, v5, vcc_lo
	s_mov_b32 s16, 0
	s_mov_b32 s17, exec_lo
                                        ; implicit-def: $vgpr6_vgpr7
	s_delay_alu instid0(VALU_DEP_1)
	v_cmpx_gt_i64_e64 v[8:9], v[0:1]
	s_cbranch_execz .LBB44_207
; %bb.199:                              ;   in Loop: Header=BB44_8 Depth=1
	v_dual_mov_b32 v12, v36 :: v_dual_mov_b32 v11, v1
	v_mov_b32_e32 v10, v0
	s_mov_b32 s18, 0
                                        ; implicit-def: $sgpr16
	s_set_inst_prefetch_distance 0x1
	s_branch .LBB44_201
	.p2align	6
.LBB44_200:                             ;   in Loop: Header=BB44_201 Depth=2
	s_or_b32 exec_lo, exec_lo, s5
	s_waitcnt lgkmcnt(0)
	s_barrier
	buffer_gl0_inv
	ds_load_b128 v[4:7], v19 offset:3072
	v_add_co_u32 v10, s5, v10, s27
	s_delay_alu instid0(VALU_DEP_1) | instskip(SKIP_3) | instid1(VALU_DEP_2)
	v_add_co_ci_u32_e64 v11, s5, 0, v11, s5
	v_add_nc_u32_e32 v12, s81, v12
	s_waitcnt lgkmcnt(0)
	s_barrier
	v_cmp_ge_i64_e64 s5, v[10:11], v[8:9]
	buffer_gl0_inv
	v_cmp_neq_f64_e32 vcc_lo, 0, v[4:5]
	s_or_b32 s5, vcc_lo, s5
	s_delay_alu instid0(SALU_CYCLE_1) | instskip(NEXT) | instid1(SALU_CYCLE_1)
	s_and_b32 s5, exec_lo, s5
	s_or_b32 s18, s5, s18
	s_and_not1_b32 s5, s16, exec_lo
	s_and_b32 s16, vcc_lo, exec_lo
	s_delay_alu instid0(SALU_CYCLE_1)
	s_or_b32 s16, s5, s16
	s_and_not1_b32 exec_lo, exec_lo, s18
	s_cbranch_execz .LBB44_206
.LBB44_201:                             ;   Parent Loop BB44_8 Depth=1
                                        ; =>  This Inner Loop Header: Depth=2
	s_delay_alu instid0(VALU_DEP_1)
	v_cmp_gt_i64_e32 vcc_lo, s[14:15], v[10:11]
	v_mov_b32_e32 v4, 0
	v_mov_b32_e32 v5, 0
	s_and_saveexec_b32 s5, vcc_lo
	s_cbranch_execz .LBB44_203
; %bb.202:                              ;   in Loop: Header=BB44_201 Depth=2
	ds_load_b64 v[4:5], v12
.LBB44_203:                             ;   in Loop: Header=BB44_201 Depth=2
	s_or_b32 exec_lo, exec_lo, s5
	s_and_saveexec_b32 s5, vcc_lo
	s_cbranch_execz .LBB44_200
; %bb.204:                              ;   in Loop: Header=BB44_201 Depth=2
	s_waitcnt lgkmcnt(0)
	v_cmp_o_f64_e32 vcc_lo, v[4:5], v[4:5]
	v_ashrrev_i32_e32 v2, 31, v5
	s_delay_alu instid0(VALU_DEP_1) | instskip(SKIP_1) | instid1(VALU_DEP_2)
	v_or_b32_e32 v6, 0x80000000, v2
	v_xor_b32_e32 v2, v2, v4
	v_xor_b32_e32 v6, v6, v5
	s_delay_alu instid0(VALU_DEP_1) | instskip(NEXT) | instid1(VALU_DEP_3)
	v_cndmask_b32_e32 v6, -1, v6, vcc_lo
	v_cndmask_b32_e32 v2, -1, v2, vcc_lo
	s_delay_alu instid0(VALU_DEP_2) | instskip(NEXT) | instid1(VALU_DEP_2)
	v_and_b32_e32 v7, s59, v6
	v_and_b32_e32 v6, s58, v2
	s_delay_alu instid0(VALU_DEP_1)
	v_cmp_eq_u64_e32 vcc_lo, s[56:57], v[6:7]
	s_and_b32 exec_lo, exec_lo, vcc_lo
	s_cbranch_execz .LBB44_200
; %bb.205:                              ;   in Loop: Header=BB44_201 Depth=2
	v_mov_b32_e32 v2, v19
	ds_store_b128 v19, v[2:5] offset:3072
	s_branch .LBB44_200
.LBB44_206:                             ;   in Loop: Header=BB44_8 Depth=1
	s_set_inst_prefetch_distance 0x2
	s_or_b32 exec_lo, exec_lo, s18
	s_delay_alu instid0(SALU_CYCLE_1)
	s_and_b32 s16, s16, exec_lo
.LBB44_207:                             ;   in Loop: Header=BB44_8 Depth=1
	s_or_b32 exec_lo, exec_lo, s17
	s_mov_b32 s62, -1
	s_mov_b32 s18, 0
	s_mov_b32 s19, 0
.LBB44_208:                             ;   in Loop: Header=BB44_8 Depth=1
	s_mov_b32 s14, 0
                                        ; implicit-def: $sgpr5
	s_and_saveexec_b32 s63, s16
	s_cbranch_execz .LBB44_270
; %bb.209:                              ;   in Loop: Header=BB44_8 Depth=1
	s_xor_b32 s5, s64, -1
	s_delay_alu instid0(SALU_CYCLE_1)
	s_and_not1_b32 vcc_lo, exec_lo, s5
	s_mov_b32 s5, 1
	s_cbranch_vccnz .LBB44_220
; %bb.210:                              ;   in Loop: Header=BB44_8 Depth=1
	v_cmp_gt_i64_e64 s5, s[38:39], s[10:11]
	s_mov_b32 s24, -1
                                        ; implicit-def: $sgpr14_sgpr15
                                        ; implicit-def: $sgpr16_sgpr17
	s_delay_alu instid0(VALU_DEP_1)
	s_and_b32 vcc_lo, exec_lo, s5
                                        ; implicit-def: $sgpr5
	s_cbranch_vccnz .LBB44_216
; %bb.211:                              ;   in Loop: Header=BB44_8 Depth=1
	ds_load_b64 v[4:5], v19 offset:5120
	s_waitcnt lgkmcnt(0)
	v_cmp_ne_u64_e32 vcc_lo, 0, v[4:5]
	s_cbranch_vccnz .LBB44_215
; %bb.212:                              ;   in Loop: Header=BB44_8 Depth=1
	s_and_saveexec_b32 s5, s0
	s_cbranch_execz .LBB44_214
; %bb.213:                              ;   in Loop: Header=BB44_8 Depth=1
	v_dual_mov_b32 v4, s10 :: v_dual_mov_b32 v5, s11
	ds_store_b64 v19, v[4:5] offset:5128
.LBB44_214:                             ;   in Loop: Header=BB44_8 Depth=1
	s_or_b32 exec_lo, exec_lo, s5
	s_waitcnt lgkmcnt(0)
	s_barrier
	buffer_gl0_inv
.LBB44_215:                             ;   in Loop: Header=BB44_8 Depth=1
	s_lshl_b64 s[14:15], 2, s23
	s_and_b64 s[12:13], s[56:57], s[12:13]
	s_or_b64 s[16:17], s[58:59], s[8:9]
	s_or_b64 s[14:15], s[12:13], s[14:15]
	s_mov_b32 s24, 0
	s_mov_b32 s5, 8
.LBB44_216:                             ;   in Loop: Header=BB44_8 Depth=1
	s_and_not1_b32 vcc_lo, exec_lo, s24
	s_cbranch_vccnz .LBB44_218
; %bb.217:                              ;   in Loop: Header=BB44_8 Depth=1
	s_sub_u32 s38, s38, s10
	s_subb_u32 s39, s39, s11
	s_mov_b32 s24, -1
	s_mov_b32 s5, 0
	s_mov_b64 s[14:15], s[56:57]
	s_mov_b64 s[16:17], s[58:59]
.LBB44_218:                             ;   in Loop: Header=BB44_8 Depth=1
	s_delay_alu instid0(SALU_CYCLE_1)
	s_mov_b64 s[58:59], s[16:17]
	s_mov_b64 s[56:57], s[14:15]
	s_and_not1_b32 vcc_lo, exec_lo, s24
	s_mov_b32 s13, -1
	s_cbranch_vccz .LBB44_221
.LBB44_219:                             ;   in Loop: Header=BB44_8 Depth=1
                                        ; implicit-def: $sgpr15
                                        ; implicit-def: $sgpr17
                                        ; implicit-def: $sgpr16
	s_branch .LBB44_269
.LBB44_220:                             ;   in Loop: Header=BB44_8 Depth=1
	s_mov_b64 s[38:39], 1
	s_mov_b32 s13, -1
	s_cbranch_execnz .LBB44_219
.LBB44_221:                             ;   in Loop: Header=BB44_8 Depth=1
	s_cmp_eq_u64 s[6:7], 1
	s_mov_b32 s12, -1
	s_cselect_b32 s5, -1, 0
	s_cmp_eq_u64 s[38:39], 1
	s_cselect_b32 s10, -1, 0
	s_delay_alu instid0(SALU_CYCLE_1) | instskip(NEXT) | instid1(SALU_CYCLE_1)
	s_and_b32 s14, s5, s10
	s_and_b32 vcc_lo, exec_lo, s14
	s_cbranch_vccz .LBB44_236
; %bb.222:                              ;   in Loop: Header=BB44_8 Depth=1
	ds_load_b64 v[4:5], v19 offset:5120
	s_waitcnt lgkmcnt(0)
	s_barrier
	buffer_gl0_inv
	v_readfirstlane_b32 s10, v4
	v_readfirstlane_b32 s11, v5
	s_and_saveexec_b32 s5, s3
	s_cbranch_execz .LBB44_224
; %bb.223:                              ;   in Loop: Header=BB44_8 Depth=1
	v_mov_b32_e32 v18, v19
	ds_store_b64 v37, v[18:19]
.LBB44_224:                             ;   in Loop: Header=BB44_8 Depth=1
	s_or_b32 exec_lo, exec_lo, s5
	s_delay_alu instid0(VALU_DEP_1)
	v_cmp_gt_i64_e64 s5, s[10:11], 0
	s_or_b64 s[56:57], s[56:57], s[8:9]
	s_or_b64 s[58:59], s[58:59], s[8:9]
	s_waitcnt lgkmcnt(0)
	s_barrier
	buffer_gl0_inv
	s_and_b32 vcc_lo, exec_lo, s5
	s_cbranch_vccnz .LBB44_239
; %bb.225:                              ;   in Loop: Header=BB44_8 Depth=1
	s_mov_b32 s24, s49
	s_delay_alu instid0(SALU_CYCLE_1)
	s_cmp_lg_u64 s[24:25], 0
	s_cbranch_scc0 .LBB44_275
; %bb.226:                              ;   in Loop: Header=BB44_8 Depth=1
	v_cvt_f32_u32_e32 v2, s27
	s_sub_u32 s13, 0, s27
	s_subb_u32 s15, 0, 0
	s_delay_alu instid0(VALU_DEP_1) | instskip(NEXT) | instid1(VALU_DEP_1)
	v_fmac_f32_e32 v2, 0x4f800000, v45
	v_rcp_f32_e32 v2, v2
	s_waitcnt_depctr 0xfff
	v_mul_f32_e32 v2, 0x5f7ffffc, v2
	s_delay_alu instid0(VALU_DEP_1) | instskip(NEXT) | instid1(VALU_DEP_1)
	v_mul_f32_e32 v4, 0x2f800000, v2
	v_trunc_f32_e32 v4, v4
	s_delay_alu instid0(VALU_DEP_1) | instskip(SKIP_1) | instid1(VALU_DEP_2)
	v_fmac_f32_e32 v2, 0xcf800000, v4
	v_cvt_u32_f32_e32 v4, v4
	v_cvt_u32_f32_e32 v2, v2
	s_delay_alu instid0(VALU_DEP_2) | instskip(NEXT) | instid1(VALU_DEP_2)
	v_readfirstlane_b32 s5, v4
	v_readfirstlane_b32 s12, v2
	s_delay_alu instid0(VALU_DEP_2) | instskip(NEXT) | instid1(VALU_DEP_1)
	s_mul_i32 s16, s13, s5
	s_mul_hi_u32 s23, s13, s12
	s_mul_i32 s17, s15, s12
	s_add_i32 s16, s23, s16
	s_mul_i32 s24, s13, s12
	s_add_i32 s16, s16, s17
	s_mul_hi_u32 s23, s12, s24
	s_mul_hi_u32 s64, s5, s24
	s_mul_i32 s17, s5, s24
	s_mul_hi_u32 s24, s12, s16
	s_mul_i32 s12, s12, s16
	s_mul_hi_u32 s65, s5, s16
	s_add_u32 s12, s23, s12
	s_addc_u32 s23, 0, s24
	s_add_u32 s12, s12, s17
	s_mul_i32 s16, s5, s16
	s_addc_u32 s12, s23, s64
	s_addc_u32 s17, s65, 0
	s_add_u32 s12, s12, s16
	s_addc_u32 s16, 0, s17
	v_add_co_u32 v2, s12, v2, s12
	s_delay_alu instid0(VALU_DEP_1) | instskip(SKIP_1) | instid1(VALU_DEP_1)
	s_cmp_lg_u32 s12, 0
	s_addc_u32 s5, s5, s16
	v_readfirstlane_b32 s12, v2
	s_mul_i32 s16, s13, s5
	s_delay_alu instid0(VALU_DEP_1)
	s_mul_hi_u32 s17, s13, s12
	s_mul_i32 s15, s15, s12
	s_add_i32 s16, s17, s16
	s_mul_i32 s13, s13, s12
	s_add_i32 s16, s16, s15
	s_mul_hi_u32 s17, s5, s13
	s_mul_i32 s23, s5, s13
	s_mul_hi_u32 s13, s12, s13
	s_mul_hi_u32 s24, s12, s16
	s_mul_i32 s12, s12, s16
	s_mul_hi_u32 s15, s5, s16
	s_add_u32 s12, s13, s12
	s_addc_u32 s13, 0, s24
	s_add_u32 s12, s12, s23
	s_mul_i32 s16, s5, s16
	s_addc_u32 s12, s13, s17
	s_addc_u32 s13, s15, 0
	s_add_u32 s12, s12, s16
	s_addc_u32 s13, 0, s13
	v_add_co_u32 v2, s12, v2, s12
	s_delay_alu instid0(VALU_DEP_1) | instskip(SKIP_2) | instid1(VALU_DEP_1)
	s_cmp_lg_u32 s12, 0
	s_addc_u32 s5, s5, s13
	s_ashr_i32 s12, s25, 31
	v_readfirstlane_b32 s15, v2
	s_add_u32 s16, s75, s12
	s_mov_b32 s13, s12
	s_addc_u32 s17, s25, s12
	s_delay_alu instid0(SALU_CYCLE_1) | instskip(NEXT) | instid1(SALU_CYCLE_1)
	s_xor_b64 s[16:17], s[16:17], s[12:13]
	s_mul_i32 s23, s16, s5
	s_mul_hi_u32 s24, s16, s15
	s_mul_hi_u32 s13, s16, s5
	;; [unrolled: 1-line block ×3, first 2 shown]
	s_mul_i32 s15, s17, s15
	s_add_u32 s23, s24, s23
	s_addc_u32 s13, 0, s13
	s_mul_hi_u32 s64, s17, s5
	s_add_u32 s15, s23, s15
	s_mul_i32 s5, s17, s5
	s_addc_u32 s13, s13, s65
	s_addc_u32 s15, s64, 0
	s_add_u32 s5, s13, s5
	s_addc_u32 s13, 0, s15
	s_mul_hi_u32 s15, s27, s5
	s_mul_i32 s5, s27, s5
	s_mul_i32 s13, s27, s13
	v_sub_co_u32 v2, s5, s16, s5
	s_add_i32 s15, s15, s13
	s_cmp_lg_u32 s5, 0
	s_delay_alu instid0(VALU_DEP_1) | instskip(SKIP_2) | instid1(VALU_DEP_1)
	v_sub_co_u32 v4, s5, v2, s27
	s_subb_u32 s13, s17, s15
	s_cmp_lg_u32 s5, 0
	v_cmp_le_u32_e32 vcc_lo, s27, v4
	v_sub_co_u32 v5, s5, v4, s27
	s_subb_u32 s15, s13, 0
	s_cmp_lg_u32 s5, 0
	v_cndmask_b32_e64 v6, 0, -1, vcc_lo
	s_subb_u32 s5, s15, 0
	s_cmp_eq_u32 s15, 0
	v_mov_b32_e32 v8, s5
	s_cselect_b32 vcc_lo, -1, 0
	s_cmp_eq_u32 s13, 0
	v_cndmask_b32_e32 v6, -1, v6, vcc_lo
	v_cmp_le_u32_e32 vcc_lo, s27, v2
	s_cselect_b32 s5, -1, 0
	v_cndmask_b32_e64 v7, 0, -1, vcc_lo
	s_delay_alu instid0(VALU_DEP_3) | instskip(NEXT) | instid1(VALU_DEP_2)
	v_cmp_ne_u32_e32 vcc_lo, 0, v6
	v_cndmask_b32_e64 v6, -1, v7, s5
	v_cndmask_b32_e32 v7, s15, v8, vcc_lo
	v_cndmask_b32_e32 v4, v4, v5, vcc_lo
	s_delay_alu instid0(VALU_DEP_3) | instskip(NEXT) | instid1(VALU_DEP_2)
	v_cmp_ne_u32_e32 vcc_lo, 0, v6
	v_cndmask_b32_e32 v2, v2, v4, vcc_lo
	s_delay_alu instid0(VALU_DEP_4) | instskip(NEXT) | instid1(VALU_DEP_2)
	v_cndmask_b32_e32 v5, s13, v7, vcc_lo
	v_xor_b32_e32 v2, s12, v2
	s_delay_alu instid0(VALU_DEP_2) | instskip(NEXT) | instid1(VALU_DEP_2)
	v_xor_b32_e32 v5, s12, v5
	v_sub_co_u32 v4, vcc_lo, v2, s12
	s_delay_alu instid0(VALU_DEP_2)
	v_subrev_co_ci_u32_e32 v5, vcc_lo, s12, v5, vcc_lo
	s_cbranch_execnz .LBB44_228
.LBB44_227:                             ;   in Loop: Header=BB44_8 Depth=1
	v_cvt_f32_u32_e32 v2, s27
	s_sub_i32 s5, 0, s27
	s_delay_alu instid0(VALU_DEP_1) | instskip(SKIP_2) | instid1(VALU_DEP_1)
	v_rcp_iflag_f32_e32 v2, v2
	s_waitcnt_depctr 0xfff
	v_mul_f32_e32 v2, 0x4f7ffffe, v2
	v_cvt_u32_f32_e32 v2, v2
	s_delay_alu instid0(VALU_DEP_1) | instskip(NEXT) | instid1(VALU_DEP_1)
	v_mul_lo_u32 v4, s5, v2
	v_mul_hi_u32 v4, v2, v4
	s_delay_alu instid0(VALU_DEP_1) | instskip(NEXT) | instid1(VALU_DEP_1)
	v_add_nc_u32_e32 v2, v2, v4
	v_mul_hi_u32 v2, s75, v2
	s_delay_alu instid0(VALU_DEP_1) | instskip(NEXT) | instid1(VALU_DEP_1)
	v_mul_lo_u32 v2, v2, s27
	v_sub_nc_u32_e32 v2, s75, v2
	s_delay_alu instid0(VALU_DEP_1) | instskip(SKIP_1) | instid1(VALU_DEP_2)
	v_subrev_nc_u32_e32 v4, s27, v2
	v_cmp_le_u32_e32 vcc_lo, s27, v2
	v_cndmask_b32_e32 v2, v2, v4, vcc_lo
	s_delay_alu instid0(VALU_DEP_1) | instskip(SKIP_1) | instid1(VALU_DEP_2)
	v_subrev_nc_u32_e32 v4, s27, v2
	v_cmp_le_u32_e32 vcc_lo, s27, v2
	v_cndmask_b32_e32 v18, v2, v4, vcc_lo
	s_delay_alu instid0(VALU_DEP_1)
	v_dual_mov_b32 v4, v18 :: v_dual_mov_b32 v5, v19
.LBB44_228:                             ;   in Loop: Header=BB44_8 Depth=1
	s_delay_alu instid0(VALU_DEP_1) | instskip(NEXT) | instid1(VALU_DEP_2)
	v_sub_co_u32 v8, vcc_lo, s75, v4
	v_sub_co_ci_u32_e32 v9, vcc_lo, s25, v5, vcc_lo
	s_mov_b32 s12, 0
	s_mov_b32 s13, exec_lo
                                        ; implicit-def: $vgpr6_vgpr7
	s_delay_alu instid0(VALU_DEP_1)
	v_cmpx_gt_i64_e64 v[8:9], v[0:1]
	s_cbranch_execz .LBB44_241
; %bb.229:                              ;   in Loop: Header=BB44_8 Depth=1
	v_dual_mov_b32 v10, v16 :: v_dual_mov_b32 v11, v17
	v_dual_mov_b32 v13, v1 :: v_dual_mov_b32 v12, v0
	s_mov_b32 s15, 0
                                        ; implicit-def: $sgpr12
	s_branch .LBB44_231
.LBB44_230:                             ;   in Loop: Header=BB44_231 Depth=2
	s_or_b32 exec_lo, exec_lo, s5
	s_waitcnt vmcnt(0) lgkmcnt(0)
	s_barrier
	buffer_gl0_inv
	ds_load_b128 v[4:7], v19 offset:3072
	v_add_co_u32 v12, s5, v12, s27
	s_delay_alu instid0(VALU_DEP_1)
	v_add_co_ci_u32_e64 v13, s5, 0, v13, s5
	s_waitcnt lgkmcnt(0)
	s_barrier
	buffer_gl0_inv
	v_cmp_ge_i64_e64 s5, v[12:13], v[8:9]
	v_cmp_neq_f64_e32 vcc_lo, 0, v[4:5]
	s_delay_alu instid0(VALU_DEP_2) | instskip(NEXT) | instid1(SALU_CYCLE_1)
	s_or_b32 s5, vcc_lo, s5
	s_and_b32 s16, exec_lo, s5
	v_add_co_u32 v10, s5, v10, s44
	s_delay_alu instid0(VALU_DEP_1) | instskip(SKIP_3) | instid1(SALU_CYCLE_1)
	v_add_co_ci_u32_e64 v11, s5, s45, v11, s5
	s_or_b32 s15, s16, s15
	s_and_not1_b32 s5, s12, exec_lo
	s_and_b32 s12, vcc_lo, exec_lo
	s_or_b32 s12, s5, s12
	s_and_not1_b32 exec_lo, exec_lo, s15
	s_cbranch_execz .LBB44_240
.LBB44_231:                             ;   Parent Loop BB44_8 Depth=1
                                        ; =>  This Inner Loop Header: Depth=2
	s_delay_alu instid0(VALU_DEP_1)
	v_cmp_gt_i64_e32 vcc_lo, s[36:37], v[12:13]
	v_mov_b32_e32 v4, 0
	v_mov_b32_e32 v5, 0
	s_and_saveexec_b32 s5, vcc_lo
	s_cbranch_execz .LBB44_233
; %bb.232:                              ;   in Loop: Header=BB44_231 Depth=2
	global_load_b64 v[4:5], v[10:11], off
.LBB44_233:                             ;   in Loop: Header=BB44_231 Depth=2
	s_or_b32 exec_lo, exec_lo, s5
	s_and_saveexec_b32 s5, vcc_lo
	s_cbranch_execz .LBB44_230
; %bb.234:                              ;   in Loop: Header=BB44_231 Depth=2
	s_waitcnt vmcnt(0)
	v_cmp_o_f64_e32 vcc_lo, v[4:5], v[4:5]
	v_ashrrev_i32_e32 v2, 31, v5
	s_delay_alu instid0(VALU_DEP_1) | instskip(SKIP_1) | instid1(VALU_DEP_2)
	v_or_b32_e32 v6, 0x80000000, v2
	v_xor_b32_e32 v2, v2, v4
	v_xor_b32_e32 v6, v6, v5
	s_delay_alu instid0(VALU_DEP_1) | instskip(NEXT) | instid1(VALU_DEP_3)
	v_cndmask_b32_e32 v6, -1, v6, vcc_lo
	v_cndmask_b32_e32 v2, -1, v2, vcc_lo
	s_delay_alu instid0(VALU_DEP_2) | instskip(NEXT) | instid1(VALU_DEP_2)
	v_and_b32_e32 v7, s59, v6
	v_and_b32_e32 v6, s58, v2
	s_delay_alu instid0(VALU_DEP_1)
	v_cmp_eq_u64_e32 vcc_lo, s[56:57], v[6:7]
	s_and_b32 exec_lo, exec_lo, vcc_lo
	s_cbranch_execz .LBB44_230
; %bb.235:                              ;   in Loop: Header=BB44_231 Depth=2
	v_mov_b32_e32 v2, v19
	ds_store_b128 v19, v[2:5] offset:3072
	s_branch .LBB44_230
.LBB44_236:                             ;   in Loop: Header=BB44_8 Depth=1
                                        ; implicit-def: $sgpr15
                                        ; implicit-def: $sgpr17
                                        ; implicit-def: $sgpr16
	s_branch .LBB44_255
.LBB44_237:                             ;   in Loop: Header=BB44_8 Depth=1
                                        ; implicit-def: $vgpr4_vgpr5
	s_branch .LBB44_180
.LBB44_238:                             ;   in Loop: Header=BB44_8 Depth=1
                                        ; implicit-def: $vgpr4_vgpr5
	s_branch .LBB44_197
.LBB44_239:                             ;   in Loop: Header=BB44_8 Depth=1
	s_mov_b32 s15, -1
	s_mov_b32 s12, 0
                                        ; implicit-def: $sgpr16
                                        ; implicit-def: $vgpr6_vgpr7
	s_mov_b32 s17, s15
	s_cbranch_execnz .LBB44_242
	s_branch .LBB44_255
.LBB44_240:                             ;   in Loop: Header=BB44_8 Depth=1
	s_or_b32 exec_lo, exec_lo, s15
	s_delay_alu instid0(SALU_CYCLE_1)
	s_and_b32 s12, s12, exec_lo
.LBB44_241:                             ;   in Loop: Header=BB44_8 Depth=1
	s_or_b32 exec_lo, exec_lo, s13
	s_mov_b32 s16, -1
	s_mov_b32 s15, 0
	s_delay_alu instid0(SALU_CYCLE_1)
	s_mov_b32 s17, s15
	s_branch .LBB44_255
.LBB44_242:                             ;   in Loop: Header=BB44_8 Depth=1
	s_add_u32 s15, s73, s10
	s_addc_u32 s13, s74, s11
	s_mov_b32 s12, s49
	s_delay_alu instid0(SALU_CYCLE_1)
	s_cmp_lg_u64 s[12:13], 0
	s_cbranch_scc0 .LBB44_276
; %bb.243:                              ;   in Loop: Header=BB44_8 Depth=1
	v_cvt_f32_u32_e32 v2, s27
	s_sub_u32 s16, 0, s27
	s_subb_u32 s17, 0, 0
	s_delay_alu instid0(VALU_DEP_1) | instskip(NEXT) | instid1(VALU_DEP_1)
	v_fmac_f32_e32 v2, 0x4f800000, v45
	v_rcp_f32_e32 v2, v2
	s_waitcnt_depctr 0xfff
	v_mul_f32_e32 v2, 0x5f7ffffc, v2
	s_delay_alu instid0(VALU_DEP_1) | instskip(NEXT) | instid1(VALU_DEP_1)
	v_mul_f32_e32 v4, 0x2f800000, v2
	v_trunc_f32_e32 v4, v4
	s_delay_alu instid0(VALU_DEP_1) | instskip(SKIP_1) | instid1(VALU_DEP_2)
	v_fmac_f32_e32 v2, 0xcf800000, v4
	v_cvt_u32_f32_e32 v4, v4
	v_cvt_u32_f32_e32 v2, v2
	s_delay_alu instid0(VALU_DEP_2) | instskip(NEXT) | instid1(VALU_DEP_2)
	v_readfirstlane_b32 s5, v4
	v_readfirstlane_b32 s12, v2
	s_delay_alu instid0(VALU_DEP_2) | instskip(NEXT) | instid1(VALU_DEP_1)
	s_mul_i32 s23, s16, s5
	s_mul_hi_u32 s64, s16, s12
	s_mul_i32 s24, s17, s12
	s_add_i32 s23, s64, s23
	s_mul_i32 s65, s16, s12
	s_add_i32 s23, s23, s24
	s_mul_hi_u32 s64, s12, s65
	s_mul_hi_u32 s66, s5, s65
	s_mul_i32 s24, s5, s65
	s_mul_hi_u32 s65, s12, s23
	s_mul_i32 s12, s12, s23
	s_mul_hi_u32 s67, s5, s23
	s_add_u32 s12, s64, s12
	s_addc_u32 s64, 0, s65
	s_add_u32 s12, s12, s24
	s_mul_i32 s23, s5, s23
	s_addc_u32 s12, s64, s66
	s_addc_u32 s24, s67, 0
	s_add_u32 s12, s12, s23
	s_addc_u32 s23, 0, s24
	v_add_co_u32 v2, s12, v2, s12
	s_delay_alu instid0(VALU_DEP_1) | instskip(SKIP_1) | instid1(VALU_DEP_1)
	s_cmp_lg_u32 s12, 0
	s_addc_u32 s5, s5, s23
	v_readfirstlane_b32 s12, v2
	s_mul_i32 s23, s16, s5
	s_delay_alu instid0(VALU_DEP_1)
	s_mul_hi_u32 s24, s16, s12
	s_mul_i32 s17, s17, s12
	s_add_i32 s23, s24, s23
	s_mul_i32 s16, s16, s12
	s_add_i32 s23, s23, s17
	s_mul_hi_u32 s24, s5, s16
	s_mul_i32 s64, s5, s16
	s_mul_hi_u32 s16, s12, s16
	s_mul_hi_u32 s65, s12, s23
	s_mul_i32 s12, s12, s23
	s_mul_hi_u32 s17, s5, s23
	s_add_u32 s12, s16, s12
	s_addc_u32 s16, 0, s65
	s_add_u32 s12, s12, s64
	s_mul_i32 s23, s5, s23
	s_addc_u32 s12, s16, s24
	s_addc_u32 s16, s17, 0
	s_add_u32 s12, s12, s23
	s_addc_u32 s16, 0, s16
	v_add_co_u32 v2, s12, v2, s12
	s_delay_alu instid0(VALU_DEP_1) | instskip(SKIP_2) | instid1(VALU_DEP_1)
	s_cmp_lg_u32 s12, 0
	s_addc_u32 s5, s5, s16
	s_ashr_i32 s16, s13, 31
	v_readfirstlane_b32 s12, v2
	s_add_u32 s64, s15, s16
	s_mov_b32 s17, s16
	s_addc_u32 s65, s13, s16
	s_delay_alu instid0(SALU_CYCLE_1) | instskip(NEXT) | instid1(SALU_CYCLE_1)
	s_xor_b64 s[64:65], s[64:65], s[16:17]
	s_mul_i32 s23, s64, s5
	s_mul_hi_u32 s24, s64, s12
	s_mul_hi_u32 s17, s64, s5
	;; [unrolled: 1-line block ×3, first 2 shown]
	s_mul_i32 s12, s65, s12
	s_add_u32 s23, s24, s23
	s_addc_u32 s17, 0, s17
	s_mul_hi_u32 s66, s65, s5
	s_add_u32 s12, s23, s12
	s_mul_i32 s5, s65, s5
	s_addc_u32 s12, s17, s67
	s_addc_u32 s17, s66, 0
	s_add_u32 s5, s12, s5
	s_addc_u32 s12, 0, s17
	s_mul_hi_u32 s17, s27, s5
	s_mul_i32 s5, s27, s5
	s_mul_i32 s12, s27, s12
	v_sub_co_u32 v2, s5, s64, s5
	s_add_i32 s17, s17, s12
	s_cmp_lg_u32 s5, 0
	s_delay_alu instid0(VALU_DEP_1) | instskip(SKIP_2) | instid1(VALU_DEP_1)
	v_sub_co_u32 v4, s5, v2, s27
	s_subb_u32 s12, s65, s17
	s_cmp_lg_u32 s5, 0
	v_cmp_le_u32_e32 vcc_lo, s27, v4
	v_sub_co_u32 v5, s5, v4, s27
	s_subb_u32 s17, s12, 0
	s_cmp_lg_u32 s5, 0
	v_cndmask_b32_e64 v6, 0, -1, vcc_lo
	s_subb_u32 s5, s17, 0
	s_cmp_eq_u32 s17, 0
	v_mov_b32_e32 v8, s5
	s_cselect_b32 vcc_lo, -1, 0
	s_cmp_eq_u32 s12, 0
	v_cndmask_b32_e32 v6, -1, v6, vcc_lo
	v_cmp_le_u32_e32 vcc_lo, s27, v2
	s_cselect_b32 s5, -1, 0
	v_cndmask_b32_e64 v7, 0, -1, vcc_lo
	s_delay_alu instid0(VALU_DEP_3) | instskip(NEXT) | instid1(VALU_DEP_2)
	v_cmp_ne_u32_e32 vcc_lo, 0, v6
	v_cndmask_b32_e64 v6, -1, v7, s5
	v_cndmask_b32_e32 v7, s17, v8, vcc_lo
	v_cndmask_b32_e32 v4, v4, v5, vcc_lo
	s_delay_alu instid0(VALU_DEP_3) | instskip(NEXT) | instid1(VALU_DEP_2)
	v_cmp_ne_u32_e32 vcc_lo, 0, v6
	v_cndmask_b32_e32 v2, v2, v4, vcc_lo
	s_delay_alu instid0(VALU_DEP_4) | instskip(NEXT) | instid1(VALU_DEP_2)
	v_cndmask_b32_e32 v5, s12, v7, vcc_lo
	v_xor_b32_e32 v2, s16, v2
	s_delay_alu instid0(VALU_DEP_2) | instskip(NEXT) | instid1(VALU_DEP_2)
	v_xor_b32_e32 v5, s16, v5
	v_sub_co_u32 v4, vcc_lo, v2, s16
	s_delay_alu instid0(VALU_DEP_2)
	v_subrev_co_ci_u32_e32 v5, vcc_lo, s16, v5, vcc_lo
	s_cbranch_execnz .LBB44_245
.LBB44_244:                             ;   in Loop: Header=BB44_8 Depth=1
	v_cvt_f32_u32_e32 v2, s27
	s_sub_i32 s5, 0, s27
	s_delay_alu instid0(VALU_DEP_1) | instskip(SKIP_2) | instid1(VALU_DEP_1)
	v_rcp_iflag_f32_e32 v2, v2
	s_waitcnt_depctr 0xfff
	v_mul_f32_e32 v2, 0x4f7ffffe, v2
	v_cvt_u32_f32_e32 v2, v2
	s_delay_alu instid0(VALU_DEP_1) | instskip(NEXT) | instid1(VALU_DEP_1)
	v_mul_lo_u32 v4, s5, v2
	v_mul_hi_u32 v4, v2, v4
	s_delay_alu instid0(VALU_DEP_1) | instskip(NEXT) | instid1(VALU_DEP_1)
	v_add_nc_u32_e32 v2, v2, v4
	v_mul_hi_u32 v2, s15, v2
	s_delay_alu instid0(VALU_DEP_1) | instskip(NEXT) | instid1(VALU_DEP_1)
	v_mul_lo_u32 v2, v2, s27
	v_sub_nc_u32_e32 v2, s15, v2
	s_delay_alu instid0(VALU_DEP_1) | instskip(SKIP_1) | instid1(VALU_DEP_2)
	v_subrev_nc_u32_e32 v4, s27, v2
	v_cmp_le_u32_e32 vcc_lo, s27, v2
	v_cndmask_b32_e32 v2, v2, v4, vcc_lo
	s_delay_alu instid0(VALU_DEP_1) | instskip(SKIP_1) | instid1(VALU_DEP_2)
	v_subrev_nc_u32_e32 v4, s27, v2
	v_cmp_le_u32_e32 vcc_lo, s27, v2
	v_cndmask_b32_e32 v18, v2, v4, vcc_lo
	s_delay_alu instid0(VALU_DEP_1)
	v_dual_mov_b32 v4, v18 :: v_dual_mov_b32 v5, v19
.LBB44_245:                             ;   in Loop: Header=BB44_8 Depth=1
	s_delay_alu instid0(VALU_DEP_1) | instskip(NEXT) | instid1(VALU_DEP_2)
	v_sub_co_u32 v8, vcc_lo, s15, v4
	v_sub_co_ci_u32_e32 v9, vcc_lo, s13, v5, vcc_lo
	s_mov_b32 s12, 0
	s_mov_b32 s13, exec_lo
                                        ; implicit-def: $vgpr6_vgpr7
	s_delay_alu instid0(VALU_DEP_1)
	v_cmpx_gt_i64_e64 v[8:9], v[0:1]
	s_cbranch_execz .LBB44_254
; %bb.246:                              ;   in Loop: Header=BB44_8 Depth=1
	v_dual_mov_b32 v12, v36 :: v_dual_mov_b32 v11, v1
	v_mov_b32_e32 v10, v0
	s_mov_b32 s15, 0
                                        ; implicit-def: $sgpr12
	s_set_inst_prefetch_distance 0x1
	s_branch .LBB44_248
	.p2align	6
.LBB44_247:                             ;   in Loop: Header=BB44_248 Depth=2
	s_or_b32 exec_lo, exec_lo, s5
	s_waitcnt lgkmcnt(0)
	s_barrier
	buffer_gl0_inv
	ds_load_b128 v[4:7], v19 offset:3072
	v_add_co_u32 v10, s5, v10, s27
	s_delay_alu instid0(VALU_DEP_1) | instskip(SKIP_3) | instid1(VALU_DEP_2)
	v_add_co_ci_u32_e64 v11, s5, 0, v11, s5
	v_add_nc_u32_e32 v12, s81, v12
	s_waitcnt lgkmcnt(0)
	s_barrier
	v_cmp_ge_i64_e64 s5, v[10:11], v[8:9]
	buffer_gl0_inv
	v_cmp_neq_f64_e32 vcc_lo, 0, v[4:5]
	s_or_b32 s5, vcc_lo, s5
	s_delay_alu instid0(SALU_CYCLE_1) | instskip(NEXT) | instid1(SALU_CYCLE_1)
	s_and_b32 s5, exec_lo, s5
	s_or_b32 s15, s5, s15
	s_and_not1_b32 s5, s12, exec_lo
	s_and_b32 s12, vcc_lo, exec_lo
	s_delay_alu instid0(SALU_CYCLE_1)
	s_or_b32 s12, s5, s12
	s_and_not1_b32 exec_lo, exec_lo, s15
	s_cbranch_execz .LBB44_253
.LBB44_248:                             ;   Parent Loop BB44_8 Depth=1
                                        ; =>  This Inner Loop Header: Depth=2
	s_delay_alu instid0(VALU_DEP_1)
	v_cmp_gt_i64_e32 vcc_lo, s[10:11], v[10:11]
	v_mov_b32_e32 v4, 0
	v_mov_b32_e32 v5, 0
	s_and_saveexec_b32 s5, vcc_lo
	s_cbranch_execz .LBB44_250
; %bb.249:                              ;   in Loop: Header=BB44_248 Depth=2
	ds_load_b64 v[4:5], v12
.LBB44_250:                             ;   in Loop: Header=BB44_248 Depth=2
	s_or_b32 exec_lo, exec_lo, s5
	s_and_saveexec_b32 s5, vcc_lo
	s_cbranch_execz .LBB44_247
; %bb.251:                              ;   in Loop: Header=BB44_248 Depth=2
	s_waitcnt lgkmcnt(0)
	v_cmp_o_f64_e32 vcc_lo, v[4:5], v[4:5]
	v_ashrrev_i32_e32 v2, 31, v5
	s_delay_alu instid0(VALU_DEP_1) | instskip(SKIP_1) | instid1(VALU_DEP_2)
	v_or_b32_e32 v6, 0x80000000, v2
	v_xor_b32_e32 v2, v2, v4
	v_xor_b32_e32 v6, v6, v5
	s_delay_alu instid0(VALU_DEP_1) | instskip(NEXT) | instid1(VALU_DEP_3)
	v_cndmask_b32_e32 v6, -1, v6, vcc_lo
	v_cndmask_b32_e32 v2, -1, v2, vcc_lo
	s_delay_alu instid0(VALU_DEP_2) | instskip(NEXT) | instid1(VALU_DEP_2)
	v_and_b32_e32 v7, s59, v6
	v_and_b32_e32 v6, s58, v2
	s_delay_alu instid0(VALU_DEP_1)
	v_cmp_eq_u64_e32 vcc_lo, s[56:57], v[6:7]
	s_and_b32 exec_lo, exec_lo, vcc_lo
	s_cbranch_execz .LBB44_247
; %bb.252:                              ;   in Loop: Header=BB44_248 Depth=2
	v_mov_b32_e32 v2, v19
	ds_store_b128 v19, v[2:5] offset:3072
	s_branch .LBB44_247
.LBB44_253:                             ;   in Loop: Header=BB44_8 Depth=1
	s_set_inst_prefetch_distance 0x2
	s_or_b32 exec_lo, exec_lo, s15
	s_delay_alu instid0(SALU_CYCLE_1)
	s_and_b32 s12, s12, exec_lo
.LBB44_254:                             ;   in Loop: Header=BB44_8 Depth=1
	s_or_b32 exec_lo, exec_lo, s13
	s_mov_b32 s17, -1
	s_mov_b32 s15, 0
	s_mov_b32 s16, 0
.LBB44_255:                             ;   in Loop: Header=BB44_8 Depth=1
	s_mov_b32 s13, 0
                                        ; implicit-def: $sgpr5
                                        ; implicit-def: $sgpr10_sgpr11
	s_and_saveexec_b32 s23, s12
	s_cbranch_execz .LBB44_268
; %bb.256:                              ;   in Loop: Header=BB44_8 Depth=1
	s_xor_b32 s5, s14, -1
	s_mov_b64 s[10:11], 1
	s_and_not1_b32 vcc_lo, exec_lo, s5
	s_mov_b32 s5, 1
	s_cbranch_vccnz .LBB44_267
; %bb.257:                              ;   in Loop: Header=BB44_8 Depth=1
	v_cmp_gt_i64_e64 s5, s[38:39], s[6:7]
	s_delay_alu instid0(VALU_DEP_1)
	s_and_b32 vcc_lo, exec_lo, s5
	s_cbranch_vccnz .LBB44_263
; %bb.258:                              ;   in Loop: Header=BB44_8 Depth=1
	ds_load_b64 v[4:5], v19 offset:5120
	s_waitcnt lgkmcnt(0)
	v_cmp_ne_u64_e32 vcc_lo, 0, v[4:5]
	s_cbranch_vccnz .LBB44_262
; %bb.259:                              ;   in Loop: Header=BB44_8 Depth=1
	s_and_saveexec_b32 s5, s0
	s_cbranch_execz .LBB44_261
; %bb.260:                              ;   in Loop: Header=BB44_8 Depth=1
	v_dual_mov_b32 v4, s6 :: v_dual_mov_b32 v5, s7
	ds_store_b64 v19, v[4:5] offset:5128
.LBB44_261:                             ;   in Loop: Header=BB44_8 Depth=1
	s_or_b32 exec_lo, exec_lo, s5
	s_waitcnt lgkmcnt(0)
	s_barrier
	buffer_gl0_inv
.LBB44_262:                             ;   in Loop: Header=BB44_8 Depth=1
	s_or_b64 s[12:13], s[56:57], s[8:9]
	s_or_b64 s[8:9], s[58:59], s[8:9]
	s_mov_b32 s10, 0
	s_mov_b32 s5, 8
	s_branch .LBB44_264
.LBB44_263:                             ;   in Loop: Header=BB44_8 Depth=1
	s_mov_b32 s10, -1
                                        ; implicit-def: $sgpr5
                                        ; implicit-def: $sgpr12_sgpr13
                                        ; implicit-def: $sgpr8_sgpr9
.LBB44_264:                             ;   in Loop: Header=BB44_8 Depth=1
	s_delay_alu instid0(SALU_CYCLE_1)
	s_and_not1_b32 vcc_lo, exec_lo, s10
	s_cbranch_vccnz .LBB44_266
; %bb.265:                              ;   in Loop: Header=BB44_8 Depth=1
	s_sub_u32 s38, s38, s6
	s_subb_u32 s39, s39, s7
	s_mov_b32 s5, 8
	s_mov_b64 s[12:13], s[56:57]
	s_mov_b64 s[8:9], s[58:59]
.LBB44_266:                             ;   in Loop: Header=BB44_8 Depth=1
	s_mov_b64 s[10:11], s[38:39]
	s_mov_b64 s[56:57], s[12:13]
	;; [unrolled: 1-line block ×3, first 2 shown]
.LBB44_267:                             ;   in Loop: Header=BB44_8 Depth=1
	s_mov_b32 s13, exec_lo
.LBB44_268:                             ;   in Loop: Header=BB44_8 Depth=1
	s_or_b32 exec_lo, exec_lo, s23
	s_mov_b64 s[38:39], s[10:11]
.LBB44_269:                             ;   in Loop: Header=BB44_8 Depth=1
	s_and_not1_b32 s6, s18, exec_lo
	s_and_b32 s7, s15, exec_lo
	s_and_not1_b32 s8, s19, exec_lo
	s_or_b32 s18, s6, s7
	s_and_not1_b32 s6, s62, exec_lo
	s_and_b32 s7, s17, exec_lo
	s_and_b32 s9, s16, exec_lo
	s_or_b32 s62, s6, s7
	s_or_b32 s19, s8, s9
	s_and_b32 s14, s13, exec_lo
.LBB44_270:                             ;   in Loop: Header=BB44_8 Depth=1
	s_or_b32 exec_lo, exec_lo, s63
.LBB44_271:                             ;   in Loop: Header=BB44_8 Depth=1
	s_delay_alu instid0(SALU_CYCLE_1)
	s_and_not1_b32 s6, s48, exec_lo
	s_and_b32 s7, s18, exec_lo
	s_and_not1_b32 s8, s21, exec_lo
	s_or_b32 s48, s6, s7
	s_and_not1_b32 s6, s60, exec_lo
	s_and_b32 s7, s62, exec_lo
	s_and_b32 s9, s19, exec_lo
	s_or_b32 s60, s6, s7
	s_or_b32 s21, s8, s9
	s_and_b32 s16, s14, exec_lo
.LBB44_272:                             ;   in Loop: Header=BB44_8 Depth=1
	s_or_b32 exec_lo, exec_lo, s61
	s_and_saveexec_b32 s6, s16
	s_delay_alu instid0(SALU_CYCLE_1)
	s_xor_b32 s6, exec_lo, s6
	s_cbranch_execz .LBB44_6
.LBB44_273:                             ;   in Loop: Header=BB44_8 Depth=1
	s_and_b32 s5, s5, -9
	s_delay_alu instid0(SALU_CYCLE_1)
	s_cmp_eq_u32 s5, 0
	s_cbranch_scc1 .LBB44_4
; %bb.274:                              ;   in Loop: Header=BB44_8 Depth=1
	s_mov_b32 s5, -1
	s_mov_b32 s7, -1
                                        ; implicit-def: $sgpr58_sgpr59
                                        ; implicit-def: $sgpr85
                                        ; implicit-def: $sgpr87
	s_branch .LBB44_5
.LBB44_275:                             ;   in Loop: Header=BB44_8 Depth=1
                                        ; implicit-def: $vgpr4_vgpr5
	s_branch .LBB44_227
.LBB44_276:                             ;   in Loop: Header=BB44_8 Depth=1
                                        ; implicit-def: $vgpr4_vgpr5
	s_branch .LBB44_244
.LBB44_277:
	s_or_b32 exec_lo, exec_lo, s82
	s_xor_b32 s5, s86, -1
	s_xor_b32 s2, s83, -1
	s_xor_b32 s4, s84, -1
	s_mov_b32 s3, 0
	s_and_saveexec_b32 s6, s2
	s_delay_alu instid0(SALU_CYCLE_1)
	s_xor_b32 s2, exec_lo, s6
	s_cbranch_execz .LBB44_300
; %bb.278:
	s_and_saveexec_b32 s3, s5
	s_delay_alu instid0(SALU_CYCLE_1)
	s_xor_b32 s3, exec_lo, s3
	s_cbranch_execz .LBB44_298
; %bb.279:
	s_and_saveexec_b32 s5, s4
	s_delay_alu instid0(SALU_CYCLE_1)
	s_xor_b32 s4, exec_lo, s5
; %bb.280:
	v_lshrrev_b32_e32 v2, 31, v5
	s_delay_alu instid0(VALU_DEP_1) | instskip(NEXT) | instid1(VALU_DEP_1)
	v_add_co_u32 v2, s5, v2, -1
	v_add_co_ci_u32_e64 v3, null, 0, -1, s5
	s_delay_alu instid0(VALU_DEP_2) | instskip(NEXT) | instid1(VALU_DEP_2)
	v_xor_b32_e32 v6, v2, v4
	v_or_b32_e32 v3, 0x80000000, v3
	s_delay_alu instid0(VALU_DEP_1)
	v_xor_b32_e32 v7, v3, v5
; %bb.281:
	s_or_b32 exec_lo, exec_lo, s4
	s_and_saveexec_b32 s4, s0
	s_cbranch_execz .LBB44_283
; %bb.282:
	v_dual_mov_b32 v2, 0 :: v_dual_mov_b32 v3, s36
	ds_store_b32 v2, v3 offset:5140
.LBB44_283:
	s_or_b32 exec_lo, exec_lo, s4
	s_waitcnt lgkmcnt(0)
	s_barrier
	buffer_gl0_inv
	s_and_saveexec_b32 s4, s1
	s_cbranch_execz .LBB44_295
; %bb.284:
	v_cmp_u_f64_e32 vcc_lo, v[6:7], v[6:7]
	v_mov_b32_e32 v2, 0
	s_mov_b32 s5, 0
                                        ; implicit-def: $sgpr7
                                        ; implicit-def: $sgpr8
                                        ; implicit-def: $sgpr9
	ds_load_b32 v4, v2 offset:5140
	s_waitcnt lgkmcnt(0)
	v_ashrrev_i32_e32 v5, 31, v4
	s_xor_b32 s6, vcc_lo, -1
	s_set_inst_prefetch_distance 0x1
	s_branch .LBB44_287
	.p2align	6
.LBB44_285:                             ;   in Loop: Header=BB44_287 Depth=1
	s_or_b32 exec_lo, exec_lo, s13
	s_delay_alu instid0(SALU_CYCLE_1)
	s_and_not1_b32 s1, s9, exec_lo
	s_and_b32 s9, s11, exec_lo
	s_and_not1_b32 s8, s8, exec_lo
	s_and_b32 s11, s12, exec_lo
	s_or_b32 s9, s1, s9
	s_or_b32 s8, s8, s11
.LBB44_286:                             ;   in Loop: Header=BB44_287 Depth=1
	s_or_b32 exec_lo, exec_lo, s10
	s_delay_alu instid0(SALU_CYCLE_1) | instskip(NEXT) | instid1(SALU_CYCLE_1)
	s_and_b32 s1, exec_lo, s8
	s_or_b32 s5, s1, s5
	s_and_not1_b32 s1, s7, exec_lo
	s_and_b32 s7, s9, exec_lo
	s_delay_alu instid0(SALU_CYCLE_1)
	s_or_b32 s7, s1, s7
	s_and_not1_b32 exec_lo, exec_lo, s5
	s_cbranch_execz .LBB44_290
.LBB44_287:                             ; =>This Inner Loop Header: Depth=1
	v_dual_mov_b32 v3, v1 :: v_dual_mov_b32 v2, v0
	s_or_b32 s9, s9, exec_lo
	s_or_b32 s8, s8, exec_lo
	s_mov_b32 s10, exec_lo
                                        ; implicit-def: $vgpr0_vgpr1
	s_delay_alu instid0(VALU_DEP_1)
	v_cmpx_lt_i64_e64 v[2:3], v[4:5]
	s_cbranch_execz .LBB44_286
; %bb.288:                              ;   in Loop: Header=BB44_287 Depth=1
	global_load_b64 v[0:1], v[16:17], off
	s_mov_b32 s12, -1
	s_waitcnt vmcnt(0)
	v_cmp_o_f64_e32 vcc_lo, v[0:1], v[0:1]
	v_cmp_neq_f64_e64 s1, v[0:1], v[6:7]
                                        ; implicit-def: $vgpr0_vgpr1
	s_or_b32 s11, vcc_lo, s6
	s_delay_alu instid0(VALU_DEP_1) | instid1(SALU_CYCLE_1)
	s_and_b32 s1, s1, s11
	s_mov_b32 s11, 0
	s_and_saveexec_b32 s13, s1
	s_cbranch_execz .LBB44_285
; %bb.289:                              ;   in Loop: Header=BB44_287 Depth=1
	v_add_co_u32 v0, vcc_lo, v2, s27
	v_add_co_ci_u32_e32 v1, vcc_lo, 0, v3, vcc_lo
	v_add_co_u32 v16, s1, v16, s44
	s_mov_b32 s11, exec_lo
	s_delay_alu instid0(VALU_DEP_2)
	v_cmp_le_i64_e32 vcc_lo, s[36:37], v[0:1]
	v_add_co_ci_u32_e64 v17, s1, s45, v17, s1
	s_or_not1_b32 s12, vcc_lo, exec_lo
	s_branch .LBB44_285
.LBB44_290:
	s_set_inst_prefetch_distance 0x2
	s_or_b32 exec_lo, exec_lo, s5
	s_xor_b32 s1, s7, -1
	s_delay_alu instid0(SALU_CYCLE_1) | instskip(NEXT) | instid1(SALU_CYCLE_1)
	s_and_saveexec_b32 s5, s1
	s_xor_b32 s5, exec_lo, s5
	s_cbranch_execz .LBB44_295
; %bb.291:
	s_mov_b32 s5, exec_lo
	s_brev_b32 s1, -2
.LBB44_292:                             ; =>This Inner Loop Header: Depth=1
	s_ctz_i32_b32 s6, s5
	s_delay_alu instid0(SALU_CYCLE_1) | instskip(SKIP_1) | instid1(SALU_CYCLE_1)
	v_readlane_b32 s7, v2, s6
	s_lshl_b32 s6, 1, s6
	s_and_not1_b32 s5, s5, s6
	s_delay_alu instid0(VALU_DEP_1)
	s_min_i32 s1, s1, s7
	s_cmp_lg_u32 s5, 0
	s_cbranch_scc1 .LBB44_292
; %bb.293:
	v_mbcnt_lo_u32_b32 v0, exec_lo, 0
	s_mov_b32 s5, exec_lo
	s_delay_alu instid0(VALU_DEP_1)
	v_cmpx_eq_u32_e32 0, v0
	s_xor_b32 s5, exec_lo, s5
	s_cbranch_execz .LBB44_295
; %bb.294:
	v_dual_mov_b32 v0, 0 :: v_dual_mov_b32 v1, s1
	ds_min_i32 v0, v1 offset:5140
.LBB44_295:
	s_or_b32 exec_lo, exec_lo, s4
	s_waitcnt lgkmcnt(0)
	s_barrier
	buffer_gl0_inv
	s_and_saveexec_b32 s1, s0
	s_cbranch_execz .LBB44_297
; %bb.296:
	v_mov_b32_e32 v2, 0
	s_mul_i32 s0, s41, s26
	s_mul_hi_u32 s5, s40, s26
	s_mul_i32 s4, s40, s26
	s_add_i32 s5, s5, s0
	ds_load_b32 v0, v2 offset:5140
	s_mul_i32 s7, s35, s26
	s_mul_hi_u32 s8, s34, s26
	s_lshl_b64 s[4:5], s[4:5], 3
	s_mul_i32 s6, s34, s26
	s_add_i32 s7, s8, s7
	s_add_u32 s4, s30, s4
	s_addc_u32 s5, s31, s5
	s_lshl_b64 s[6:7], s[6:7], 3
	s_delay_alu instid0(SALU_CYCLE_1)
	s_add_u32 s6, s28, s6
	s_addc_u32 s7, s29, s7
	s_waitcnt lgkmcnt(0)
	v_ashrrev_i32_e32 v1, 31, v0
	s_clause 0x1
	global_store_b64 v2, v[0:1], s[6:7]
	global_store_b64 v2, v[6:7], s[4:5]
.LBB44_297:
	s_or_b32 exec_lo, exec_lo, s1
.LBB44_298:
	s_or_saveexec_b32 s0, s3
	s_mov_b32 s1, 0
	s_xor_b32 exec_lo, exec_lo, s0
	s_cbranch_execnz .LBB44_306
.LBB44_299:
	s_or_b32 exec_lo, exec_lo, s0
	s_delay_alu instid0(SALU_CYCLE_1)
	s_and_b32 s3, s1, exec_lo
.LBB44_300:
	s_and_not1_saveexec_b32 s0, s2
	s_cbranch_execnz .LBB44_304
; %bb.301:
	s_or_b32 exec_lo, exec_lo, s0
	s_and_saveexec_b32 s0, s3
.LBB44_302:
	; divergent unreachable
.LBB44_303:
	s_nop 0
	s_sendmsg sendmsg(MSG_DEALLOC_VGPRS)
	s_endpgm
.LBB44_304:
	s_cbranch_execnz .LBB44_308
; %bb.305:
	s_or_b32 s3, s3, exec_lo
	s_or_b32 exec_lo, exec_lo, s0
	s_and_saveexec_b32 s0, s3
	s_cbranch_execnz .LBB44_302
	s_branch .LBB44_303
.LBB44_306:
	s_cbranch_execnz .LBB44_310
; %bb.307:
	s_mov_b32 s1, exec_lo
	s_branch .LBB44_299
.LBB44_308:
	s_trap 2
	s_sendmsg_rtn_b32 s0, sendmsg(MSG_RTN_GET_DOORBELL)
	s_mov_b32 ttmp2, m0
	s_waitcnt lgkmcnt(0)
	s_and_b32 s0, s0, 0x3ff
	s_delay_alu instid0(SALU_CYCLE_1) | instskip(NEXT) | instid1(SALU_CYCLE_1)
	s_bitset1_b32 s0, 10
	s_mov_b32 m0, s0
	s_sendmsg sendmsg(MSG_INTERRUPT)
	s_mov_b32 m0, ttmp2
.LBB44_309:                             ; =>This Inner Loop Header: Depth=1
	s_sethalt 5
	s_branch .LBB44_309
.LBB44_310:
	s_trap 2
	s_sendmsg_rtn_b32 s0, sendmsg(MSG_RTN_GET_DOORBELL)
	s_mov_b32 ttmp2, m0
	s_waitcnt lgkmcnt(0)
	s_and_b32 s0, s0, 0x3ff
	s_delay_alu instid0(SALU_CYCLE_1) | instskip(NEXT) | instid1(SALU_CYCLE_1)
	s_bitset1_b32 s0, 10
	s_mov_b32 m0, s0
	s_sendmsg sendmsg(MSG_INTERRUPT)
	s_mov_b32 m0, ttmp2
.LBB44_311:                             ; =>This Inner Loop Header: Depth=1
	s_sethalt 5
	s_branch .LBB44_311
	.section	.rodata,"a",@progbits
	.p2align	6, 0x0
	.amdhsa_kernel _ZN2at6native12_GLOBAL__N_114gatherKthValueIdlLi1EEEvNS_4cuda6detail10TensorInfoIKT_T0_EES8_S8_S8_S8_NS5_IS6_S8_EENS5_IlS8_EE
		.amdhsa_group_segment_fixed_size 5144
		.amdhsa_private_segment_fixed_size 0
		.amdhsa_kernarg_size 1536
		.amdhsa_user_sgpr_count 13
		.amdhsa_user_sgpr_dispatch_ptr 0
		.amdhsa_user_sgpr_queue_ptr 0
		.amdhsa_user_sgpr_kernarg_segment_ptr 1
		.amdhsa_user_sgpr_dispatch_id 0
		.amdhsa_user_sgpr_private_segment_size 0
		.amdhsa_wavefront_size32 1
		.amdhsa_uses_dynamic_stack 0
		.amdhsa_enable_private_segment 0
		.amdhsa_system_sgpr_workgroup_id_x 1
		.amdhsa_system_sgpr_workgroup_id_y 1
		.amdhsa_system_sgpr_workgroup_id_z 1
		.amdhsa_system_sgpr_workgroup_info 0
		.amdhsa_system_vgpr_workitem_id 0
		.amdhsa_next_free_vgpr 58
		.amdhsa_next_free_sgpr 96
		.amdhsa_reserve_vcc 1
		.amdhsa_float_round_mode_32 0
		.amdhsa_float_round_mode_16_64 0
		.amdhsa_float_denorm_mode_32 3
		.amdhsa_float_denorm_mode_16_64 3
		.amdhsa_dx10_clamp 1
		.amdhsa_ieee_mode 1
		.amdhsa_fp16_overflow 0
		.amdhsa_workgroup_processor_mode 1
		.amdhsa_memory_ordered 1
		.amdhsa_forward_progress 0
		.amdhsa_shared_vgpr_count 0
		.amdhsa_exception_fp_ieee_invalid_op 0
		.amdhsa_exception_fp_denorm_src 0
		.amdhsa_exception_fp_ieee_div_zero 0
		.amdhsa_exception_fp_ieee_overflow 0
		.amdhsa_exception_fp_ieee_underflow 0
		.amdhsa_exception_fp_ieee_inexact 0
		.amdhsa_exception_int_div_zero 0
	.end_amdhsa_kernel
	.section	.text._ZN2at6native12_GLOBAL__N_114gatherKthValueIdlLi1EEEvNS_4cuda6detail10TensorInfoIKT_T0_EES8_S8_S8_S8_NS5_IS6_S8_EENS5_IlS8_EE,"axG",@progbits,_ZN2at6native12_GLOBAL__N_114gatherKthValueIdlLi1EEEvNS_4cuda6detail10TensorInfoIKT_T0_EES8_S8_S8_S8_NS5_IS6_S8_EENS5_IlS8_EE,comdat
.Lfunc_end44:
	.size	_ZN2at6native12_GLOBAL__N_114gatherKthValueIdlLi1EEEvNS_4cuda6detail10TensorInfoIKT_T0_EES8_S8_S8_S8_NS5_IS6_S8_EENS5_IlS8_EE, .Lfunc_end44-_ZN2at6native12_GLOBAL__N_114gatherKthValueIdlLi1EEEvNS_4cuda6detail10TensorInfoIKT_T0_EES8_S8_S8_S8_NS5_IS6_S8_EENS5_IlS8_EE
                                        ; -- End function
	.section	.AMDGPU.csdata,"",@progbits
; Kernel info:
; codeLenInByte = 17964
; NumSgprs: 98
; NumVgprs: 58
; ScratchSize: 0
; MemoryBound: 0
; FloatMode: 240
; IeeeMode: 1
; LDSByteSize: 5144 bytes/workgroup (compile time only)
; SGPRBlocks: 12
; VGPRBlocks: 7
; NumSGPRsForWavesPerEU: 98
; NumVGPRsForWavesPerEU: 58
; Occupancy: 16
; WaveLimiterHint : 1
; COMPUTE_PGM_RSRC2:SCRATCH_EN: 0
; COMPUTE_PGM_RSRC2:USER_SGPR: 13
; COMPUTE_PGM_RSRC2:TRAP_HANDLER: 0
; COMPUTE_PGM_RSRC2:TGID_X_EN: 1
; COMPUTE_PGM_RSRC2:TGID_Y_EN: 1
; COMPUTE_PGM_RSRC2:TGID_Z_EN: 1
; COMPUTE_PGM_RSRC2:TIDIG_COMP_CNT: 0
	.section	.text._ZN2at6native12_GLOBAL__N_114gatherKthValueIdlLi2EEEvNS_4cuda6detail10TensorInfoIKT_T0_EES8_S8_S8_S8_NS5_IS6_S8_EENS5_IlS8_EE,"axG",@progbits,_ZN2at6native12_GLOBAL__N_114gatherKthValueIdlLi2EEEvNS_4cuda6detail10TensorInfoIKT_T0_EES8_S8_S8_S8_NS5_IS6_S8_EENS5_IlS8_EE,comdat
	.globl	_ZN2at6native12_GLOBAL__N_114gatherKthValueIdlLi2EEEvNS_4cuda6detail10TensorInfoIKT_T0_EES8_S8_S8_S8_NS5_IS6_S8_EENS5_IlS8_EE ; -- Begin function _ZN2at6native12_GLOBAL__N_114gatherKthValueIdlLi2EEEvNS_4cuda6detail10TensorInfoIKT_T0_EES8_S8_S8_S8_NS5_IS6_S8_EENS5_IlS8_EE
	.p2align	8
	.type	_ZN2at6native12_GLOBAL__N_114gatherKthValueIdlLi2EEEvNS_4cuda6detail10TensorInfoIKT_T0_EES8_S8_S8_S8_NS5_IS6_S8_EENS5_IlS8_EE,@function
_ZN2at6native12_GLOBAL__N_114gatherKthValueIdlLi2EEEvNS_4cuda6detail10TensorInfoIKT_T0_EES8_S8_S8_S8_NS5_IS6_S8_EENS5_IlS8_EE: ; @_ZN2at6native12_GLOBAL__N_114gatherKthValueIdlLi2EEEvNS_4cuda6detail10TensorInfoIKT_T0_EES8_S8_S8_S8_NS5_IS6_S8_EENS5_IlS8_EE
; %bb.0:
	s_clause 0x1
	s_load_b64 s[10:11], s[0:1], 0x500
	s_load_b256 s[36:43], s[0:1], 0x1a0
	s_add_u32 s8, s0, 0x500
	s_addc_u32 s9, s1, 0
	s_mov_b32 s27, 0
	s_waitcnt lgkmcnt(0)
	s_mul_i32 s2, s11, s15
	s_delay_alu instid0(SALU_CYCLE_1) | instskip(NEXT) | instid1(SALU_CYCLE_1)
	s_add_i32 s2, s2, s14
	s_mul_i32 s2, s2, s10
	s_delay_alu instid0(SALU_CYCLE_1) | instskip(NEXT) | instid1(SALU_CYCLE_1)
	s_add_i32 s26, s2, s13
	v_cmp_ge_i64_e64 s2, s[26:27], s[40:41]
	s_delay_alu instid0(VALU_DEP_1)
	s_and_b32 vcc_lo, exec_lo, s2
	s_cbranch_vccnz .LBB45_315
; %bb.1:
	s_clause 0x1
	s_load_b64 s[14:15], s[0:1], 0x10
	s_load_b64 s[34:35], s[0:1], 0x1d0
	s_mov_b32 s2, s27
	s_waitcnt lgkmcnt(0)
	s_mov_b32 s3, s15
	s_delay_alu instid0(SALU_CYCLE_1)
	s_cmp_lg_u64 s[2:3], 0
	s_cbranch_scc0 .LBB45_299
; %bb.2:
	s_ashr_i32 s2, s15, 31
	s_delay_alu instid0(SALU_CYCLE_1) | instskip(SKIP_2) | instid1(SALU_CYCLE_1)
	s_add_u32 s4, s14, s2
	s_mov_b32 s3, s2
	s_addc_u32 s5, s15, s2
	s_xor_b64 s[4:5], s[4:5], s[2:3]
	s_delay_alu instid0(SALU_CYCLE_1) | instskip(SKIP_3) | instid1(VALU_DEP_1)
	v_cvt_f32_u32_e32 v1, s4
	v_cvt_f32_u32_e32 v2, s5
	s_sub_u32 s11, 0, s4
	s_subb_u32 s12, 0, s5
	v_fmamk_f32 v1, v2, 0x4f800000, v1
	s_delay_alu instid0(VALU_DEP_1) | instskip(SKIP_2) | instid1(VALU_DEP_1)
	v_rcp_f32_e32 v1, v1
	s_waitcnt_depctr 0xfff
	v_mul_f32_e32 v1, 0x5f7ffffc, v1
	v_mul_f32_e32 v2, 0x2f800000, v1
	s_delay_alu instid0(VALU_DEP_1) | instskip(NEXT) | instid1(VALU_DEP_1)
	v_trunc_f32_e32 v2, v2
	v_fmamk_f32 v1, v2, 0xcf800000, v1
	v_cvt_u32_f32_e32 v2, v2
	s_delay_alu instid0(VALU_DEP_2) | instskip(NEXT) | instid1(VALU_DEP_2)
	v_cvt_u32_f32_e32 v1, v1
	v_readfirstlane_b32 s6, v2
	s_delay_alu instid0(VALU_DEP_2) | instskip(NEXT) | instid1(VALU_DEP_2)
	v_readfirstlane_b32 s7, v1
	s_mul_i32 s16, s11, s6
	s_delay_alu instid0(VALU_DEP_1)
	s_mul_hi_u32 s18, s11, s7
	s_mul_i32 s17, s12, s7
	s_add_i32 s16, s18, s16
	s_mul_i32 s19, s11, s7
	s_add_i32 s16, s16, s17
	s_mul_hi_u32 s18, s7, s19
	s_mul_hi_u32 s20, s6, s19
	s_mul_i32 s17, s6, s19
	s_mul_hi_u32 s19, s7, s16
	s_mul_i32 s7, s7, s16
	s_mul_hi_u32 s21, s6, s16
	s_add_u32 s7, s18, s7
	s_addc_u32 s18, 0, s19
	s_add_u32 s7, s7, s17
	s_mul_i32 s16, s6, s16
	s_addc_u32 s7, s18, s20
	s_addc_u32 s17, s21, 0
	s_add_u32 s7, s7, s16
	s_addc_u32 s16, 0, s17
	v_add_co_u32 v1, s7, v1, s7
	s_delay_alu instid0(VALU_DEP_1) | instskip(SKIP_1) | instid1(VALU_DEP_1)
	s_cmp_lg_u32 s7, 0
	s_addc_u32 s6, s6, s16
	v_readfirstlane_b32 s7, v1
	s_mul_i32 s16, s11, s6
	s_delay_alu instid0(VALU_DEP_1)
	s_mul_hi_u32 s17, s11, s7
	s_mul_i32 s12, s12, s7
	s_add_i32 s16, s17, s16
	s_mul_i32 s11, s11, s7
	s_add_i32 s16, s16, s12
	s_mul_hi_u32 s17, s6, s11
	s_mul_i32 s18, s6, s11
	s_mul_hi_u32 s11, s7, s11
	s_mul_hi_u32 s19, s7, s16
	s_mul_i32 s7, s7, s16
	s_mul_hi_u32 s12, s6, s16
	s_add_u32 s7, s11, s7
	s_addc_u32 s11, 0, s19
	s_add_u32 s7, s7, s18
	s_mul_i32 s16, s6, s16
	s_addc_u32 s7, s11, s17
	s_addc_u32 s11, s12, 0
	s_add_u32 s7, s7, s16
	s_addc_u32 s11, 0, s11
	v_add_co_u32 v1, s7, v1, s7
	s_delay_alu instid0(VALU_DEP_1) | instskip(SKIP_2) | instid1(VALU_DEP_1)
	s_cmp_lg_u32 s7, 0
	s_addc_u32 s11, s6, s11
	s_ashr_i32 s6, 0, 31
	v_readfirstlane_b32 s12, v1
	s_add_u32 s16, s26, s6
	s_mov_b32 s7, s6
	s_addc_u32 s17, 0, s6
	s_delay_alu instid0(SALU_CYCLE_1) | instskip(NEXT) | instid1(SALU_CYCLE_1)
	s_xor_b64 s[16:17], s[16:17], s[6:7]
	s_mul_i32 s19, s16, s11
	s_mul_hi_u32 s20, s16, s12
	s_mul_hi_u32 s18, s16, s11
	s_mul_hi_u32 s22, s17, s12
	s_mul_i32 s12, s17, s12
	s_add_u32 s19, s20, s19
	s_addc_u32 s18, 0, s18
	s_mul_hi_u32 s21, s17, s11
	s_add_u32 s12, s19, s12
	s_mul_i32 s11, s17, s11
	s_addc_u32 s12, s18, s22
	s_addc_u32 s18, s21, 0
	s_add_u32 s11, s12, s11
	s_addc_u32 s12, 0, s18
	s_mul_i32 s21, s4, s11
	s_mul_hi_u32 s18, s4, s11
	s_mul_i32 s20, s4, s12
	v_sub_co_u32 v1, s16, s16, s21
	s_mul_i32 s19, s5, s11
	s_add_i32 s18, s18, s20
	s_delay_alu instid0(SALU_CYCLE_1) | instskip(NEXT) | instid1(VALU_DEP_1)
	s_add_i32 s18, s18, s19
	v_sub_co_u32 v2, s20, v1, s4
	s_sub_i32 s19, s17, s18
	s_cmp_lg_u32 s16, 0
	s_subb_u32 s19, s19, s5
	s_cmp_lg_u32 s20, 0
	v_readfirstlane_b32 s20, v2
	s_subb_u32 s19, s19, 0
	s_delay_alu instid0(SALU_CYCLE_1) | instskip(SKIP_1) | instid1(VALU_DEP_1)
	s_cmp_ge_u32 s19, s5
	s_cselect_b32 s21, -1, 0
	s_cmp_ge_u32 s20, s4
	s_cselect_b32 s20, -1, 0
	s_cmp_eq_u32 s19, s5
	s_cselect_b32 s19, s20, s21
	s_add_u32 s20, s11, 1
	s_addc_u32 s21, s12, 0
	s_add_u32 s22, s11, 2
	s_addc_u32 s23, s12, 0
	s_cmp_lg_u32 s19, 0
	s_cselect_b32 s19, s22, s20
	s_cselect_b32 s20, s23, s21
	s_cmp_lg_u32 s16, 0
	v_readfirstlane_b32 s16, v1
	s_subb_u32 s17, s17, s18
	s_delay_alu instid0(SALU_CYCLE_1) | instskip(SKIP_1) | instid1(VALU_DEP_1)
	s_cmp_ge_u32 s17, s5
	s_cselect_b32 s18, -1, 0
	s_cmp_ge_u32 s16, s4
	s_cselect_b32 s4, -1, 0
	s_cmp_eq_u32 s17, s5
	s_cselect_b32 s4, s4, s18
	s_delay_alu instid0(SALU_CYCLE_1) | instskip(SKIP_3) | instid1(SALU_CYCLE_1)
	s_cmp_lg_u32 s4, 0
	s_cselect_b32 s5, s20, s12
	s_cselect_b32 s4, s19, s11
	s_xor_b64 s[6:7], s[6:7], s[2:3]
	s_xor_b64 s[4:5], s[4:5], s[6:7]
	s_delay_alu instid0(SALU_CYCLE_1)
	s_sub_u32 s16, s4, s6
	s_subb_u32 s17, s5, s7
	s_cbranch_execnz .LBB45_4
.LBB45_3:
	v_cvt_f32_u32_e32 v1, s14
	s_sub_i32 s3, 0, s14
	s_mov_b32 s17, 0
	s_delay_alu instid0(VALU_DEP_1) | instskip(SKIP_2) | instid1(VALU_DEP_1)
	v_rcp_iflag_f32_e32 v1, v1
	s_waitcnt_depctr 0xfff
	v_mul_f32_e32 v1, 0x4f7ffffe, v1
	v_cvt_u32_f32_e32 v1, v1
	s_delay_alu instid0(VALU_DEP_1) | instskip(NEXT) | instid1(VALU_DEP_1)
	v_readfirstlane_b32 s2, v1
	s_mul_i32 s3, s3, s2
	s_delay_alu instid0(SALU_CYCLE_1) | instskip(NEXT) | instid1(SALU_CYCLE_1)
	s_mul_hi_u32 s3, s2, s3
	s_add_i32 s2, s2, s3
	s_delay_alu instid0(SALU_CYCLE_1) | instskip(NEXT) | instid1(SALU_CYCLE_1)
	s_mul_hi_u32 s2, s26, s2
	s_mul_i32 s3, s2, s14
	s_add_i32 s4, s2, 1
	s_sub_i32 s3, s26, s3
	s_delay_alu instid0(SALU_CYCLE_1)
	s_sub_i32 s5, s3, s14
	s_cmp_ge_u32 s3, s14
	s_cselect_b32 s2, s4, s2
	s_cselect_b32 s3, s5, s3
	s_add_i32 s4, s2, 1
	s_cmp_ge_u32 s3, s14
	s_cselect_b32 s16, s4, s2
.LBB45_4:
	s_load_b64 s[40:41], s[0:1], 0x370
	s_mov_b32 s2, 0
	s_mov_b32 s3, s35
	s_delay_alu instid0(SALU_CYCLE_1)
	s_cmp_lg_u64 s[2:3], 0
	s_cbranch_scc0 .LBB45_300
; %bb.5:
	s_ashr_i32 s4, s35, 31
	s_delay_alu instid0(SALU_CYCLE_1) | instskip(SKIP_2) | instid1(SALU_CYCLE_1)
	s_add_u32 s6, s34, s4
	s_mov_b32 s5, s4
	s_addc_u32 s7, s35, s4
	s_xor_b64 s[6:7], s[6:7], s[4:5]
	s_delay_alu instid0(SALU_CYCLE_1) | instskip(SKIP_3) | instid1(VALU_DEP_1)
	v_cvt_f32_u32_e32 v1, s6
	v_cvt_f32_u32_e32 v2, s7
	s_sub_u32 s12, 0, s6
	s_subb_u32 s18, 0, s7
	v_fmamk_f32 v1, v2, 0x4f800000, v1
	s_delay_alu instid0(VALU_DEP_1) | instskip(SKIP_2) | instid1(VALU_DEP_1)
	v_rcp_f32_e32 v1, v1
	s_waitcnt_depctr 0xfff
	v_mul_f32_e32 v1, 0x5f7ffffc, v1
	v_mul_f32_e32 v2, 0x2f800000, v1
	s_delay_alu instid0(VALU_DEP_1) | instskip(NEXT) | instid1(VALU_DEP_1)
	v_trunc_f32_e32 v2, v2
	v_fmamk_f32 v1, v2, 0xcf800000, v1
	v_cvt_u32_f32_e32 v2, v2
	s_delay_alu instid0(VALU_DEP_2) | instskip(NEXT) | instid1(VALU_DEP_2)
	v_cvt_u32_f32_e32 v1, v1
	v_readfirstlane_b32 s3, v2
	s_delay_alu instid0(VALU_DEP_2) | instskip(NEXT) | instid1(VALU_DEP_2)
	v_readfirstlane_b32 s11, v1
	s_mul_i32 s19, s12, s3
	s_delay_alu instid0(VALU_DEP_1)
	s_mul_hi_u32 s21, s12, s11
	s_mul_i32 s20, s18, s11
	s_add_i32 s19, s21, s19
	s_mul_i32 s22, s12, s11
	s_add_i32 s19, s19, s20
	s_mul_hi_u32 s21, s11, s22
	s_mul_hi_u32 s23, s3, s22
	s_mul_i32 s20, s3, s22
	s_mul_hi_u32 s22, s11, s19
	s_mul_i32 s11, s11, s19
	s_mul_hi_u32 s24, s3, s19
	s_add_u32 s11, s21, s11
	s_addc_u32 s21, 0, s22
	s_add_u32 s11, s11, s20
	s_mul_i32 s19, s3, s19
	s_addc_u32 s11, s21, s23
	s_addc_u32 s20, s24, 0
	s_add_u32 s11, s11, s19
	s_addc_u32 s19, 0, s20
	v_add_co_u32 v1, s11, v1, s11
	s_delay_alu instid0(VALU_DEP_1) | instskip(SKIP_1) | instid1(VALU_DEP_1)
	s_cmp_lg_u32 s11, 0
	s_addc_u32 s3, s3, s19
	v_readfirstlane_b32 s11, v1
	s_mul_i32 s19, s12, s3
	s_delay_alu instid0(VALU_DEP_1)
	s_mul_hi_u32 s20, s12, s11
	s_mul_i32 s18, s18, s11
	s_add_i32 s19, s20, s19
	s_mul_i32 s12, s12, s11
	s_add_i32 s19, s19, s18
	s_mul_hi_u32 s20, s3, s12
	s_mul_i32 s21, s3, s12
	s_mul_hi_u32 s12, s11, s12
	s_mul_hi_u32 s22, s11, s19
	s_mul_i32 s11, s11, s19
	s_mul_hi_u32 s18, s3, s19
	s_add_u32 s11, s12, s11
	s_addc_u32 s12, 0, s22
	s_add_u32 s11, s11, s21
	s_mul_i32 s19, s3, s19
	s_addc_u32 s11, s12, s20
	s_addc_u32 s12, s18, 0
	s_add_u32 s11, s11, s19
	s_addc_u32 s12, 0, s12
	v_add_co_u32 v1, s11, v1, s11
	s_delay_alu instid0(VALU_DEP_1) | instskip(SKIP_2) | instid1(VALU_DEP_1)
	s_cmp_lg_u32 s11, 0
	s_addc_u32 s3, s3, s12
	s_ashr_i32 s18, 0, 31
	v_readfirstlane_b32 s11, v1
	s_add_u32 s20, s26, s18
	s_mov_b32 s19, s18
	s_addc_u32 s21, 0, s18
	s_delay_alu instid0(SALU_CYCLE_1) | instskip(NEXT) | instid1(SALU_CYCLE_1)
	s_xor_b64 s[20:21], s[20:21], s[18:19]
	s_mul_i32 s22, s20, s3
	s_mul_hi_u32 s23, s20, s11
	s_mul_hi_u32 s12, s20, s3
	;; [unrolled: 1-line block ×3, first 2 shown]
	s_mul_i32 s11, s21, s11
	s_add_u32 s22, s23, s22
	s_addc_u32 s12, 0, s12
	s_mul_hi_u32 s24, s21, s3
	s_add_u32 s11, s22, s11
	s_mul_i32 s3, s21, s3
	s_addc_u32 s11, s12, s25
	s_addc_u32 s12, s24, 0
	s_add_u32 s3, s11, s3
	s_addc_u32 s11, 0, s12
	s_mul_i32 s24, s6, s3
	s_mul_hi_u32 s12, s6, s3
	s_mul_i32 s23, s6, s11
	v_sub_co_u32 v1, s20, s20, s24
	s_mul_i32 s22, s7, s3
	s_add_i32 s12, s12, s23
	s_delay_alu instid0(SALU_CYCLE_1) | instskip(NEXT) | instid1(VALU_DEP_1)
	s_add_i32 s12, s12, s22
	v_sub_co_u32 v2, s23, v1, s6
	s_sub_i32 s22, s21, s12
	s_cmp_lg_u32 s20, 0
	s_subb_u32 s22, s22, s7
	s_cmp_lg_u32 s23, 0
	v_readfirstlane_b32 s23, v2
	s_subb_u32 s22, s22, 0
	s_delay_alu instid0(SALU_CYCLE_1) | instskip(SKIP_1) | instid1(VALU_DEP_1)
	s_cmp_ge_u32 s22, s7
	s_cselect_b32 s24, -1, 0
	s_cmp_ge_u32 s23, s6
	s_cselect_b32 s23, -1, 0
	s_cmp_eq_u32 s22, s7
	s_cselect_b32 s22, s23, s24
	s_add_u32 s23, s3, 1
	s_addc_u32 s24, s11, 0
	s_add_u32 s25, s3, 2
	s_addc_u32 s27, s11, 0
	s_cmp_lg_u32 s22, 0
	s_cselect_b32 s22, s25, s23
	s_cselect_b32 s23, s27, s24
	s_cmp_lg_u32 s20, 0
	v_readfirstlane_b32 s20, v1
	s_subb_u32 s12, s21, s12
	s_delay_alu instid0(SALU_CYCLE_1) | instskip(SKIP_1) | instid1(VALU_DEP_1)
	s_cmp_ge_u32 s12, s7
	s_cselect_b32 s21, -1, 0
	s_cmp_ge_u32 s20, s6
	s_cselect_b32 s6, -1, 0
	s_cmp_eq_u32 s12, s7
	s_cselect_b32 s6, s6, s21
	s_delay_alu instid0(SALU_CYCLE_1) | instskip(SKIP_3) | instid1(SALU_CYCLE_1)
	s_cmp_lg_u32 s6, 0
	s_cselect_b32 s7, s23, s11
	s_cselect_b32 s6, s22, s3
	s_xor_b64 s[4:5], s[18:19], s[4:5]
	s_xor_b64 s[6:7], s[6:7], s[4:5]
	s_delay_alu instid0(SALU_CYCLE_1)
	s_sub_u32 s48, s6, s4
	s_subb_u32 s49, s7, s5
	s_and_not1_b32 vcc_lo, exec_lo, s2
	s_cbranch_vccnz .LBB45_7
.LBB45_6:
	v_cvt_f32_u32_e32 v1, s34
	s_sub_i32 s3, 0, s34
	s_mov_b32 s49, 0
	s_delay_alu instid0(VALU_DEP_1) | instskip(SKIP_2) | instid1(VALU_DEP_1)
	v_rcp_iflag_f32_e32 v1, v1
	s_waitcnt_depctr 0xfff
	v_mul_f32_e32 v1, 0x4f7ffffe, v1
	v_cvt_u32_f32_e32 v1, v1
	s_delay_alu instid0(VALU_DEP_1) | instskip(NEXT) | instid1(VALU_DEP_1)
	v_readfirstlane_b32 s2, v1
	s_mul_i32 s3, s3, s2
	s_delay_alu instid0(SALU_CYCLE_1) | instskip(NEXT) | instid1(SALU_CYCLE_1)
	s_mul_hi_u32 s3, s2, s3
	s_add_i32 s2, s2, s3
	s_delay_alu instid0(SALU_CYCLE_1) | instskip(NEXT) | instid1(SALU_CYCLE_1)
	s_mul_hi_u32 s2, s26, s2
	s_mul_i32 s3, s2, s34
	s_add_i32 s4, s2, 1
	s_sub_i32 s3, s26, s3
	s_delay_alu instid0(SALU_CYCLE_1)
	s_sub_i32 s5, s3, s34
	s_cmp_ge_u32 s3, s34
	s_cselect_b32 s2, s4, s2
	s_cselect_b32 s3, s5, s3
	s_add_i32 s4, s2, 1
	s_cmp_ge_u32 s3, s34
	s_cselect_b32 s48, s4, s2
.LBB45_7:
	s_mov_b32 s2, 0
	s_waitcnt lgkmcnt(0)
	s_mov_b32 s3, s41
	s_delay_alu instid0(SALU_CYCLE_1)
	s_cmp_lg_u64 s[2:3], 0
	s_cbranch_scc0 .LBB45_301
; %bb.8:
	s_ashr_i32 s4, s41, 31
	s_delay_alu instid0(SALU_CYCLE_1) | instskip(SKIP_2) | instid1(SALU_CYCLE_1)
	s_add_u32 s6, s40, s4
	s_mov_b32 s5, s4
	s_addc_u32 s7, s41, s4
	s_xor_b64 s[6:7], s[6:7], s[4:5]
	s_delay_alu instid0(SALU_CYCLE_1) | instskip(SKIP_3) | instid1(VALU_DEP_1)
	v_cvt_f32_u32_e32 v1, s6
	v_cvt_f32_u32_e32 v2, s7
	s_sub_u32 s12, 0, s6
	s_subb_u32 s18, 0, s7
	v_fmamk_f32 v1, v2, 0x4f800000, v1
	s_delay_alu instid0(VALU_DEP_1) | instskip(SKIP_2) | instid1(VALU_DEP_1)
	v_rcp_f32_e32 v1, v1
	s_waitcnt_depctr 0xfff
	v_mul_f32_e32 v1, 0x5f7ffffc, v1
	v_mul_f32_e32 v2, 0x2f800000, v1
	s_delay_alu instid0(VALU_DEP_1) | instskip(NEXT) | instid1(VALU_DEP_1)
	v_trunc_f32_e32 v2, v2
	v_fmamk_f32 v1, v2, 0xcf800000, v1
	v_cvt_u32_f32_e32 v2, v2
	s_delay_alu instid0(VALU_DEP_2) | instskip(NEXT) | instid1(VALU_DEP_2)
	v_cvt_u32_f32_e32 v1, v1
	v_readfirstlane_b32 s3, v2
	s_delay_alu instid0(VALU_DEP_2) | instskip(NEXT) | instid1(VALU_DEP_2)
	v_readfirstlane_b32 s11, v1
	s_mul_i32 s19, s12, s3
	s_delay_alu instid0(VALU_DEP_1)
	s_mul_hi_u32 s21, s12, s11
	s_mul_i32 s20, s18, s11
	s_add_i32 s19, s21, s19
	s_mul_i32 s22, s12, s11
	s_add_i32 s19, s19, s20
	s_mul_hi_u32 s21, s11, s22
	s_mul_hi_u32 s23, s3, s22
	s_mul_i32 s20, s3, s22
	s_mul_hi_u32 s22, s11, s19
	s_mul_i32 s11, s11, s19
	s_mul_hi_u32 s24, s3, s19
	s_add_u32 s11, s21, s11
	s_addc_u32 s21, 0, s22
	s_add_u32 s11, s11, s20
	s_mul_i32 s19, s3, s19
	s_addc_u32 s11, s21, s23
	s_addc_u32 s20, s24, 0
	s_add_u32 s11, s11, s19
	s_addc_u32 s19, 0, s20
	v_add_co_u32 v1, s11, v1, s11
	s_delay_alu instid0(VALU_DEP_1) | instskip(SKIP_1) | instid1(VALU_DEP_1)
	s_cmp_lg_u32 s11, 0
	s_addc_u32 s3, s3, s19
	v_readfirstlane_b32 s11, v1
	s_mul_i32 s19, s12, s3
	s_delay_alu instid0(VALU_DEP_1)
	s_mul_hi_u32 s20, s12, s11
	s_mul_i32 s18, s18, s11
	s_add_i32 s19, s20, s19
	s_mul_i32 s12, s12, s11
	s_add_i32 s19, s19, s18
	s_mul_hi_u32 s20, s3, s12
	s_mul_i32 s21, s3, s12
	s_mul_hi_u32 s12, s11, s12
	s_mul_hi_u32 s22, s11, s19
	s_mul_i32 s11, s11, s19
	s_mul_hi_u32 s18, s3, s19
	s_add_u32 s11, s12, s11
	s_addc_u32 s12, 0, s22
	s_add_u32 s11, s11, s21
	s_mul_i32 s19, s3, s19
	s_addc_u32 s11, s12, s20
	s_addc_u32 s12, s18, 0
	s_add_u32 s11, s11, s19
	s_addc_u32 s12, 0, s12
	v_add_co_u32 v1, s11, v1, s11
	s_delay_alu instid0(VALU_DEP_1) | instskip(SKIP_2) | instid1(VALU_DEP_1)
	s_cmp_lg_u32 s11, 0
	s_addc_u32 s3, s3, s12
	s_ashr_i32 s18, 0, 31
	v_readfirstlane_b32 s11, v1
	s_add_u32 s20, s26, s18
	s_mov_b32 s19, s18
	s_addc_u32 s21, 0, s18
	s_delay_alu instid0(SALU_CYCLE_1) | instskip(NEXT) | instid1(SALU_CYCLE_1)
	s_xor_b64 s[20:21], s[20:21], s[18:19]
	s_mul_i32 s22, s20, s3
	s_mul_hi_u32 s23, s20, s11
	s_mul_hi_u32 s12, s20, s3
	;; [unrolled: 1-line block ×3, first 2 shown]
	s_mul_i32 s11, s21, s11
	s_add_u32 s22, s23, s22
	s_addc_u32 s12, 0, s12
	s_mul_hi_u32 s24, s21, s3
	s_add_u32 s11, s22, s11
	s_mul_i32 s3, s21, s3
	s_addc_u32 s11, s12, s25
	s_addc_u32 s12, s24, 0
	s_add_u32 s3, s11, s3
	s_addc_u32 s11, 0, s12
	s_mul_i32 s24, s6, s3
	s_mul_hi_u32 s12, s6, s3
	s_mul_i32 s23, s6, s11
	v_sub_co_u32 v1, s20, s20, s24
	s_mul_i32 s22, s7, s3
	s_add_i32 s12, s12, s23
	s_delay_alu instid0(SALU_CYCLE_1) | instskip(NEXT) | instid1(VALU_DEP_1)
	s_add_i32 s12, s12, s22
	v_sub_co_u32 v2, s23, v1, s6
	s_sub_i32 s22, s21, s12
	s_cmp_lg_u32 s20, 0
	s_subb_u32 s22, s22, s7
	s_cmp_lg_u32 s23, 0
	v_readfirstlane_b32 s23, v2
	s_subb_u32 s22, s22, 0
	s_delay_alu instid0(SALU_CYCLE_1) | instskip(SKIP_1) | instid1(VALU_DEP_1)
	s_cmp_ge_u32 s22, s7
	s_cselect_b32 s24, -1, 0
	s_cmp_ge_u32 s23, s6
	s_cselect_b32 s23, -1, 0
	s_cmp_eq_u32 s22, s7
	s_cselect_b32 s22, s23, s24
	s_add_u32 s23, s3, 1
	s_addc_u32 s24, s11, 0
	s_add_u32 s25, s3, 2
	s_addc_u32 s27, s11, 0
	s_cmp_lg_u32 s22, 0
	s_cselect_b32 s22, s25, s23
	s_cselect_b32 s23, s27, s24
	s_cmp_lg_u32 s20, 0
	v_readfirstlane_b32 s20, v1
	s_subb_u32 s12, s21, s12
	s_delay_alu instid0(SALU_CYCLE_1) | instskip(SKIP_1) | instid1(VALU_DEP_1)
	s_cmp_ge_u32 s12, s7
	s_cselect_b32 s21, -1, 0
	s_cmp_ge_u32 s20, s6
	s_cselect_b32 s6, -1, 0
	s_cmp_eq_u32 s12, s7
	s_cselect_b32 s6, s6, s21
	s_delay_alu instid0(SALU_CYCLE_1) | instskip(SKIP_3) | instid1(SALU_CYCLE_1)
	s_cmp_lg_u32 s6, 0
	s_cselect_b32 s7, s23, s11
	s_cselect_b32 s6, s22, s3
	s_xor_b64 s[4:5], s[18:19], s[4:5]
	s_xor_b64 s[6:7], s[6:7], s[4:5]
	s_delay_alu instid0(SALU_CYCLE_1)
	s_sub_u32 s50, s6, s4
	s_subb_u32 s51, s7, s5
	s_load_b64 s[18:19], s[0:1], 0x0
	s_and_not1_b32 vcc_lo, exec_lo, s2
	s_cbranch_vccnz .LBB45_10
.LBB45_9:
	v_cvt_f32_u32_e32 v1, s40
	s_sub_i32 s3, 0, s40
	s_mov_b32 s51, 0
	s_delay_alu instid0(VALU_DEP_1) | instskip(SKIP_2) | instid1(VALU_DEP_1)
	v_rcp_iflag_f32_e32 v1, v1
	s_waitcnt_depctr 0xfff
	v_mul_f32_e32 v1, 0x4f7ffffe, v1
	v_cvt_u32_f32_e32 v1, v1
	s_delay_alu instid0(VALU_DEP_1) | instskip(NEXT) | instid1(VALU_DEP_1)
	v_readfirstlane_b32 s2, v1
	s_mul_i32 s3, s3, s2
	s_delay_alu instid0(SALU_CYCLE_1) | instskip(NEXT) | instid1(SALU_CYCLE_1)
	s_mul_hi_u32 s3, s2, s3
	s_add_i32 s2, s2, s3
	s_delay_alu instid0(SALU_CYCLE_1) | instskip(NEXT) | instid1(SALU_CYCLE_1)
	s_mul_hi_u32 s2, s26, s2
	s_mul_i32 s3, s2, s40
	s_add_i32 s4, s2, 1
	s_sub_i32 s3, s26, s3
	s_delay_alu instid0(SALU_CYCLE_1)
	s_sub_i32 s5, s3, s40
	s_cmp_ge_u32 s3, s40
	s_cselect_b32 s2, s4, s2
	s_cselect_b32 s3, s5, s3
	s_add_i32 s4, s2, 1
	s_cmp_ge_u32 s3, s40
	s_cselect_b32 s50, s4, s2
.LBB45_10:
	s_clause 0x2
	s_load_b64 s[52:53], s[0:1], 0x360
	s_load_b64 s[54:55], s[0:1], 0x1c0
	s_load_b128 s[4:7], s[0:1], 0xd0
	v_cmp_eq_u32_e64 s2, 0, v0
	s_mov_b32 s57, 0
	s_delay_alu instid0(VALU_DEP_1)
	s_and_saveexec_b32 s3, s2
	s_cbranch_execz .LBB45_12
; %bb.11:
	v_dual_mov_b32 v1, 0 :: v_dual_mov_b32 v4, s37
	s_delay_alu instid0(VALU_DEP_1)
	v_dual_mov_b32 v3, s36 :: v_dual_mov_b32 v2, v1
	ds_store_b32 v1, v1 offset:5136
	ds_store_b128 v1, v[1:4] offset:5120
.LBB45_12:
	s_or_b32 exec_lo, exec_lo, s3
	v_mad_u64_u32 v[2:3], null, v0, s42, 0
	s_mul_i32 s3, s16, s15
	s_mul_hi_u32 s11, s16, s14
	s_mul_i32 s12, s16, s14
	s_add_i32 s3, s11, s3
	s_mul_i32 s11, s17, s14
	v_lshlrev_b32_e32 v39, 5, v0
	s_add_i32 s3, s3, s11
	s_sub_u32 s11, s26, s12
	s_subb_u32 s3, 0, s3
	s_waitcnt lgkmcnt(0)
	s_mul_i32 s7, s11, s7
	s_mul_hi_u32 s12, s11, s6
	v_dual_mov_b32 v1, v3 :: v_dual_lshlrev_b32 v36, 3, v0
	v_or_b32_e32 v11, 8, v39
	s_add_i32 s7, s12, s7
	s_mul_i32 s3, s3, s6
	s_mul_i32 s5, s16, s5
	s_mul_hi_u32 s12, s16, s4
	s_add_i32 s7, s7, s3
	s_add_i32 s3, s12, s5
	s_mul_i32 s5, s17, s4
	v_mad_u64_u32 v[3:4], null, v0, s43, v[1:2]
	s_mul_i32 s6, s11, s6
	s_add_i32 s5, s3, s5
	s_mul_i32 s4, s16, s4
	v_mad_u64_u32 v[26:27], null, s42, v11, 0
	s_lshl_b64 s[4:5], s[4:5], 3
	s_lshl_b64 s[6:7], s[6:7], 3
	v_mbcnt_lo_u32_b32 v35, -1, 0
	v_dual_mov_b32 v19, 0 :: v_dual_lshlrev_b32 v20, 2, v0
	v_lshrrev_b32_e32 v6, 3, v0
	s_clause 0x1
	s_load_b128 s[28:31], s[0:1], 0x430
	s_load_b128 s[44:47], s[0:1], 0x290
	s_add_u32 s0, s4, s6
	s_addc_u32 s1, s5, s7
	s_waitcnt lgkmcnt(0)
	s_barrier
	buffer_gl0_inv
	s_load_b32 s5, s[8:9], 0xc
	v_lshlrev_b64 v[4:5], 3, v[2:3]
	s_add_u32 s60, s18, s0
	v_cmp_gt_u32_e32 vcc_lo, 32, v0
	v_cmp_gt_i32_e64 s0, 4, v35
	v_dual_mov_b32 v1, v19 :: v_dual_and_b32 v38, 0x7c, v6
	v_mov_b32_e32 v6, v27
	v_or_b32_e32 v9, 24, v39
	v_or_b32_e32 v10, 16, v39
	s_addc_u32 s61, s19, s1
	s_and_b32 s33, vcc_lo, s0
	v_add_co_u32 v16, vcc_lo, s60, v4
	v_mad_u64_u32 v[22:23], null, s42, v9, 0
	v_mad_u64_u32 v[24:25], null, s42, v10, 0
	v_add_co_ci_u32_e32 v17, vcc_lo, s61, v5, vcc_lo
	v_lshlrev_b64 v[4:5], v35, -1
	v_add_nc_u32_e32 v37, 0xc00, v36
	s_waitcnt lgkmcnt(0)
	s_and_b32 s27, s5, 0xffff
	s_bfe_u32 s6, s5, 0xb0005
	s_delay_alu instid0(VALU_DEP_4)
	v_mov_b32_e32 v5, v25
	s_add_u32 s83, s27, -1
	v_not_b32_e32 v40, v4
	v_mov_b32_e32 v4, v23
	s_addc_u32 s84, 0, -1
	s_add_u32 s85, s83, s36
	s_addc_u32 s25, s84, s37
	s_cmp_lt_u32 s13, s10
	v_mad_u64_u32 v[7:8], null, s43, v9, v[4:5]
	s_cselect_b32 s7, 12, 18
	v_mad_u64_u32 v[8:9], null, s43, v10, v[5:6]
	s_add_u32 s62, s8, s7
	s_addc_u32 s63, s9, 0
	s_add_i32 s7, s6, -1
	s_delay_alu instid0(VALU_DEP_2)
	v_mad_u64_u32 v[4:5], null, s43, v11, v[6:7]
	s_bfe_u32 s86, s27, 0x30005
	s_cmp_gt_u32 s7, 6
	v_add_co_u32 v42, s7, s36, v0
	s_cselect_b32 s87, -1, 0
	s_and_b32 s88, s6, 0x7f8
	v_cmp_lt_i64_e64 s82, 0x180, s[36:37]
	v_cmp_gt_u64_e64 s4, s[36:37], v[0:1]
	v_cmp_gt_i64_e64 s0, s[36:37], v[0:1]
	v_mov_b32_e32 v21, v19
	s_cmp_lg_u32 s86, 0
	v_cmp_gt_u16_e64 s89, s5, 31
	v_dual_mov_b32 v23, v7 :: v_dual_mov_b32 v6, 0
	v_lshlrev_b64 v[27:28], 5, v[2:3]
	s_mul_i32 s5, s43, s27
	s_mul_hi_u32 s6, s42, s27
	v_cmp_eq_u32_e64 s1, 0, v35
	v_cmp_gt_u32_e64 s3, 2, v0
	v_mov_b32_e32 v25, v8
	v_mov_b32_e32 v41, v4
	v_add_co_ci_u32_e64 v43, null, s37, 0, s7
	v_lshl_or_b32 v44, v35, 3, 0xc00
	v_mov_b32_e32 v7, 0
	v_mov_b32_e32 v3, 0x3ff00000
	v_cvt_f32_ubyte0_e32 v45, 0
	s_cselect_b32 s90, -1, 0
	s_add_i32 s7, s6, s5
	s_mul_i32 s6, s42, s27
	s_lshl_b64 s[64:65], s[42:43], 3
	s_lshl_b64 s[66:67], s[42:43], 5
	;; [unrolled: 1-line block ×3, first 2 shown]
	s_lshl_b32 s91, s27, 3
	s_mov_b64 s[68:69], 0
	s_mov_b32 s95, 62
	s_mov_b32 s92, 0
	;; [unrolled: 1-line block ×3, first 2 shown]
	s_mov_b64 s[70:71], 0
                                        ; implicit-def: $sgpr93
                                        ; implicit-def: $sgpr96
                                        ; implicit-def: $sgpr94
                                        ; implicit-def: $sgpr99
                                        ; implicit-def: $sgpr100
                                        ; implicit-def: $sgpr98
	s_branch .LBB45_17
.LBB45_13:                              ;   in Loop: Header=BB45_17 Depth=1
	s_xor_b32 s97, s97, 1
	s_add_i32 s8, s95, -2
	s_cmp_eq_u32 s95, 0
	s_mov_b32 s5, 0
	s_cselect_b32 s7, -1, 0
	s_mov_b32 s95, s8
.LBB45_14:                              ;   in Loop: Header=BB45_17 Depth=1
	s_and_not1_b32 s8, s56, exec_lo
	s_and_b32 s5, s5, exec_lo
	s_and_not1_b32 s72, s72, exec_lo
	s_or_b32 s56, s8, s5
	s_and_not1_b32 s21, s21, exec_lo
	s_or_not1_b32 s20, s7, exec_lo
.LBB45_15:                              ;   in Loop: Header=BB45_17 Depth=1
	s_or_b32 exec_lo, exec_lo, s6
	s_delay_alu instid0(SALU_CYCLE_1)
	s_and_not1_b32 s5, s98, exec_lo
	s_and_b32 s6, s56, exec_lo
	s_and_not1_b32 s7, s99, exec_lo
	s_or_b32 s98, s5, s6
	s_and_not1_b32 s5, s100, exec_lo
	s_and_b32 s6, s72, exec_lo
	s_and_b32 s8, s21, exec_lo
	s_or_b32 s100, s5, s6
	s_or_b32 s99, s7, s8
	s_or_not1_b32 s56, s20, exec_lo
.LBB45_16:                              ;   in Loop: Header=BB45_17 Depth=1
	s_or_b32 exec_lo, exec_lo, s22
	s_delay_alu instid0(SALU_CYCLE_1)
	s_and_b32 s5, exec_lo, s56
	v_dual_mov_b32 v4, s68 :: v_dual_mov_b32 v5, s69
	s_or_b32 s92, s5, s92
	s_and_not1_b32 s5, s94, exec_lo
	s_and_b32 s6, s98, exec_lo
	s_and_not1_b32 s7, s93, exec_lo
	s_or_b32 s94, s5, s6
	s_and_not1_b32 s5, s96, exec_lo
	s_and_b32 s6, s100, exec_lo
	s_and_b32 s8, s99, exec_lo
	s_or_b32 s96, s5, s6
	s_or_b32 s93, s7, s8
	s_and_not1_b32 exec_lo, exec_lo, s92
	s_cbranch_execz .LBB45_286
.LBB45_17:                              ; =>This Loop Header: Depth=1
                                        ;     Child Loop BB45_25 Depth 2
                                        ;     Child Loop BB45_44 Depth 2
                                        ;     Child Loop BB45_71 Depth 2
                                        ;     Child Loop BB45_75 Depth 2
                                        ;     Child Loop BB45_57 Depth 2
                                        ;     Child Loop BB45_64 Depth 2
                                        ;     Child Loop BB45_84 Depth 2
                                        ;     Child Loop BB45_89 Depth 2
                                        ;     Child Loop BB45_116 Depth 2
                                        ;     Child Loop BB45_101 Depth 2
                                        ;     Child Loop BB45_163 Depth 2
                                        ;     Child Loop BB45_146 Depth 2
                                        ;     Child Loop BB45_210 Depth 2
                                        ;     Child Loop BB45_193 Depth 2
                                        ;     Child Loop BB45_257 Depth 2
                                        ;     Child Loop BB45_240 Depth 2
	ds_load_b128 v[8:11], v19 offset:5120
	s_waitcnt lgkmcnt(0)
	v_readfirstlane_b32 s73, v9
	v_readfirstlane_b32 s72, v8
	s_delay_alu instid0(VALU_DEP_1) | instskip(NEXT) | instid1(VALU_DEP_1)
	v_cmp_gt_i64_e64 s5, s[72:73], 0
	s_and_b32 vcc_lo, exec_lo, s5
	s_cbranch_vccnz .LBB45_51
; %bb.18:                               ;   in Loop: Header=BB45_17 Depth=1
	s_and_b32 vcc_lo, exec_lo, s82
	s_cbranch_vccz .LBB45_33
; %bb.19:                               ;   in Loop: Header=BB45_17 Depth=1
	v_cmp_gt_i64_e32 vcc_lo, 0x181, v[10:11]
	s_mov_b32 s7, 0
	s_mov_b32 s5, 0
	s_cbranch_vccz .LBB45_38
; %bb.20:                               ;   in Loop: Header=BB45_17 Depth=1
	v_mov_b32_e32 v4, 0
	v_mov_b32_e32 v5, 0
	s_and_saveexec_b32 s5, s4
	s_cbranch_execz .LBB45_22
; %bb.21:                               ;   in Loop: Header=BB45_17 Depth=1
	global_load_b64 v[4:5], v[16:17], off
.LBB45_22:                              ;   in Loop: Header=BB45_17 Depth=1
	s_or_b32 exec_lo, exec_lo, s5
	s_and_saveexec_b32 s8, s4
	s_cbranch_execz .LBB45_34
; %bb.23:                               ;   in Loop: Header=BB45_17 Depth=1
	global_load_u16 v11, v19, s[62:63]
	s_mov_b32 s11, 0
	s_waitcnt vmcnt(0)
	v_readfirstlane_b32 s5, v11
	s_delay_alu instid0(VALU_DEP_1) | instskip(NEXT) | instid1(SALU_CYCLE_1)
	s_and_b32 s5, 0xffff, s5
	v_add_nc_u32_e32 v12, s5, v0
	s_mul_i32 s6, s65, s5
	s_mul_hi_u32 s9, s64, s5
	s_mul_i32 s10, s64, s5
	s_add_i32 s9, s9, s6
	v_mad_u64_u32 v[8:9], null, s64, v12, s[60:61]
	s_delay_alu instid0(VALU_DEP_1) | instskip(NEXT) | instid1(VALU_DEP_1)
	v_mov_b32_e32 v2, v9
	v_mad_u64_u32 v[9:10], null, s65, v12, v[2:3]
	v_dual_mov_b32 v11, v1 :: v_dual_and_b32 v2, 0xffff, v11
	v_mov_b32_e32 v10, v0
	s_branch .LBB45_25
.LBB45_24:                              ;   in Loop: Header=BB45_25 Depth=2
	s_or_b32 exec_lo, exec_lo, s6
	v_add_co_u32 v8, vcc_lo, v8, s10
	v_add_co_ci_u32_e32 v9, vcc_lo, s9, v9, vcc_lo
	s_waitcnt vmcnt(0)
	v_dual_mov_b32 v4, v12 :: v_dual_mov_b32 v5, v13
	s_and_not1_b32 exec_lo, exec_lo, s11
	s_cbranch_execz .LBB45_34
.LBB45_25:                              ;   Parent Loop BB45_17 Depth=1
                                        ; =>  This Inner Loop Header: Depth=2
	s_delay_alu instid0(VALU_DEP_1) | instskip(NEXT) | instid1(VALU_DEP_3)
	v_add_co_u32 v10, vcc_lo, v10, v2
	v_add_co_ci_u32_e32 v11, vcc_lo, 0, v11, vcc_lo
	v_mov_b32_e32 v12, 0
	v_mov_b32_e32 v13, 0
	s_mov_b32 s6, exec_lo
	s_delay_alu instid0(VALU_DEP_3)
	v_cmp_le_i64_e32 vcc_lo, s[36:37], v[10:11]
	v_cmpx_gt_i64_e64 s[36:37], v[10:11]
	s_cbranch_execz .LBB45_27
; %bb.26:                               ;   in Loop: Header=BB45_25 Depth=2
	global_load_b64 v[12:13], v[8:9], off
.LBB45_27:                              ;   in Loop: Header=BB45_25 Depth=2
	s_or_b32 exec_lo, exec_lo, s6
	v_cmp_o_f64_e64 s5, v[4:5], v[4:5]
	s_waitcnt lgkmcnt(0)
	v_ashrrev_i32_e32 v14, 31, v5
	s_delay_alu instid0(VALU_DEP_1) | instskip(SKIP_1) | instid1(VALU_DEP_2)
	v_or_b32_e32 v15, 0x80000000, v14
	v_xor_b32_e32 v14, v14, v4
	v_xor_b32_e32 v15, v15, v5
	s_delay_alu instid0(VALU_DEP_1) | instskip(NEXT) | instid1(VALU_DEP_3)
	v_cndmask_b32_e64 v15, -1, v15, s5
	v_cndmask_b32_e64 v14, -1, v14, s5
	s_delay_alu instid0(VALU_DEP_2) | instskip(NEXT) | instid1(VALU_DEP_2)
	v_and_b32_e32 v15, s71, v15
	v_and_b32_e32 v14, s70, v14
	s_delay_alu instid0(VALU_DEP_1) | instskip(SKIP_1) | instid1(VALU_DEP_2)
	v_cmp_eq_u64_e64 s5, s[68:69], v[14:15]
	v_mov_b32_e32 v14, 0
	s_cmp_lg_u32 s5, 0
	s_cselect_b32 s6, -1, 0
	s_delay_alu instid0(SALU_CYCLE_1) | instskip(NEXT) | instid1(SALU_CYCLE_1)
	s_and_b32 s6, s1, s6
	s_and_saveexec_b32 s12, s6
	s_cbranch_execz .LBB45_31
; %bb.28:                               ;   in Loop: Header=BB45_25 Depth=2
	s_mov_b32 s15, exec_lo
	s_bcnt1_i32_b32 s13, s5
	v_mbcnt_lo_u32_b32 v14, s15, 0
	s_mov_b32 s14, exec_lo
                                        ; implicit-def: $vgpr15
	s_delay_alu instid0(VALU_DEP_1)
	v_cmpx_eq_u32_e32 0, v14
	s_cbranch_execz .LBB45_30
; %bb.29:                               ;   in Loop: Header=BB45_25 Depth=2
	s_bcnt1_i32_b32 s6, s15
	s_delay_alu instid0(SALU_CYCLE_1) | instskip(NEXT) | instid1(SALU_CYCLE_1)
	s_mul_i32 s6, s13, s6
	v_mov_b32_e32 v15, s6
	ds_add_rtn_u32 v15, v19, v15 offset:5136
.LBB45_30:                              ;   in Loop: Header=BB45_25 Depth=2
	s_or_b32 exec_lo, exec_lo, s14
	s_waitcnt lgkmcnt(0)
	v_readfirstlane_b32 s6, v15
	s_delay_alu instid0(VALU_DEP_1)
	v_mad_u32_u24 v14, s13, v14, s6
.LBB45_31:                              ;   in Loop: Header=BB45_25 Depth=2
	s_or_b32 exec_lo, exec_lo, s12
	ds_bpermute_b32 v14, v19, v14
	s_and_b32 s6, exec_lo, vcc_lo
	s_delay_alu instid0(SALU_CYCLE_1)
	s_or_b32 s11, s6, s11
	s_and_saveexec_b32 s6, s5
	s_cbranch_execz .LBB45_24
; %bb.32:                               ;   in Loop: Header=BB45_25 Depth=2
	v_and_b32_e32 v15, s5, v40
	s_delay_alu instid0(VALU_DEP_1) | instskip(NEXT) | instid1(VALU_DEP_1)
	v_bcnt_u32_b32 v15, v15, 0
	v_lshlrev_b32_e32 v15, 3, v15
	s_waitcnt lgkmcnt(0)
	s_delay_alu instid0(VALU_DEP_1)
	v_lshl_add_u32 v14, v14, 3, v15
	ds_store_b64 v14, v[4:5]
	s_branch .LBB45_24
.LBB45_33:                              ;   in Loop: Header=BB45_17 Depth=1
	s_mov_b32 s7, -1
	s_mov_b32 s5, 0
	s_branch .LBB45_37
.LBB45_34:                              ;   in Loop: Header=BB45_17 Depth=1
	s_or_b32 exec_lo, exec_lo, s8
	s_waitcnt vmcnt(0) lgkmcnt(0)
	s_barrier
	buffer_gl0_inv
	s_and_saveexec_b32 s5, s2
	s_cbranch_execz .LBB45_36
; %bb.35:                               ;   in Loop: Header=BB45_17 Depth=1
	ds_load_b32 v4, v19 offset:5136
	s_waitcnt lgkmcnt(0)
	v_ashrrev_i32_e32 v5, 31, v4
	ds_store_b64 v19, v[4:5] offset:5120
.LBB45_36:                              ;   in Loop: Header=BB45_17 Depth=1
	s_or_b32 exec_lo, exec_lo, s5
	s_waitcnt lgkmcnt(0)
	s_mov_b32 s5, -1
	s_barrier
.LBB45_37:                              ;   in Loop: Header=BB45_17 Depth=1
                                        ; implicit-def: $sgpr72_sgpr73
.LBB45_38:                              ;   in Loop: Header=BB45_17 Depth=1
	s_and_b32 vcc_lo, exec_lo, s7
	s_cbranch_vccz .LBB45_49
; %bb.39:                               ;   in Loop: Header=BB45_17 Depth=1
	v_mov_b32_e32 v4, 0
	v_mov_b32_e32 v5, 0
	s_and_saveexec_b32 s5, s0
	s_cbranch_execz .LBB45_41
; %bb.40:                               ;   in Loop: Header=BB45_17 Depth=1
	global_load_b64 v[4:5], v[16:17], off
.LBB45_41:                              ;   in Loop: Header=BB45_17 Depth=1
	s_or_b32 exec_lo, exec_lo, s5
	s_and_saveexec_b32 s6, s0
	s_cbranch_execz .LBB45_46
; %bb.42:                               ;   in Loop: Header=BB45_17 Depth=1
	global_load_u16 v11, v19, s[62:63]
	s_mov_b32 s10, 0
	s_waitcnt vmcnt(0)
	v_readfirstlane_b32 s5, v11
	v_and_b32_e32 v14, 0xffff, v11
	s_delay_alu instid0(VALU_DEP_2) | instskip(NEXT) | instid1(SALU_CYCLE_1)
	s_and_b32 s5, 0xffff, s5
	v_add_nc_u32_e32 v12, s5, v0
	s_mul_i32 s8, s65, s5
	s_mul_hi_u32 s9, s64, s5
	s_lshl_b32 s7, s5, 3
	s_add_i32 s8, s9, s8
	v_mad_u64_u32 v[8:9], null, s64, v12, s[60:61]
	s_mul_i32 s9, s64, s5
	s_delay_alu instid0(VALU_DEP_1) | instskip(NEXT) | instid1(VALU_DEP_1)
	v_mov_b32_e32 v2, v9
	v_mad_u64_u32 v[9:10], null, s65, v12, v[2:3]
	v_dual_mov_b32 v11, v1 :: v_dual_mov_b32 v2, v36
	v_mov_b32_e32 v10, v0
	s_set_inst_prefetch_distance 0x1
	s_branch .LBB45_44
	.p2align	6
.LBB45_43:                              ;   in Loop: Header=BB45_44 Depth=2
	s_or_b32 exec_lo, exec_lo, s11
	s_delay_alu instid0(SALU_CYCLE_1)
	s_and_b32 s5, exec_lo, vcc_lo
	v_add_co_u32 v8, vcc_lo, v8, s9
	ds_store_b64 v2, v[4:5]
	s_waitcnt vmcnt(0)
	v_mov_b32_e32 v4, v12
	v_dual_mov_b32 v5, v13 :: v_dual_add_nc_u32 v2, s7, v2
	v_add_co_ci_u32_e32 v9, vcc_lo, s8, v9, vcc_lo
	s_or_b32 s10, s5, s10
	s_delay_alu instid0(SALU_CYCLE_1)
	s_and_not1_b32 exec_lo, exec_lo, s10
	s_cbranch_execz .LBB45_46
.LBB45_44:                              ;   Parent Loop BB45_17 Depth=1
                                        ; =>  This Inner Loop Header: Depth=2
	s_delay_alu instid0(VALU_DEP_1) | instskip(SKIP_4) | instid1(VALU_DEP_3)
	v_add_co_u32 v10, vcc_lo, v10, v14
	v_add_co_ci_u32_e32 v11, vcc_lo, 0, v11, vcc_lo
	v_mov_b32_e32 v12, 0
	v_mov_b32_e32 v13, 0
	s_mov_b32 s11, exec_lo
	v_cmp_le_i64_e32 vcc_lo, s[36:37], v[10:11]
	v_cmpx_gt_i64_e64 s[36:37], v[10:11]
	s_cbranch_execz .LBB45_43
; %bb.45:                               ;   in Loop: Header=BB45_44 Depth=2
	global_load_b64 v[12:13], v[8:9], off
	s_branch .LBB45_43
.LBB45_46:                              ;   in Loop: Header=BB45_17 Depth=1
	s_set_inst_prefetch_distance 0x2
	s_or_b32 exec_lo, exec_lo, s6
	s_waitcnt vmcnt(0) lgkmcnt(0)
	s_barrier
	buffer_gl0_inv
	s_and_saveexec_b32 s5, s2
	s_cbranch_execz .LBB45_48
; %bb.47:                               ;   in Loop: Header=BB45_17 Depth=1
	v_dual_mov_b32 v4, s36 :: v_dual_mov_b32 v5, s37
	ds_store_b64 v19, v[4:5] offset:5120
.LBB45_48:                              ;   in Loop: Header=BB45_17 Depth=1
	s_or_b32 exec_lo, exec_lo, s5
	s_mov_b32 s5, -1
	s_waitcnt lgkmcnt(0)
	s_barrier
                                        ; implicit-def: $sgpr72_sgpr73
.LBB45_49:                              ;   in Loop: Header=BB45_17 Depth=1
	s_and_b32 vcc_lo, exec_lo, s5
	s_cbranch_vccz .LBB45_51
; %bb.50:                               ;   in Loop: Header=BB45_17 Depth=1
	buffer_gl0_inv
	ds_load_b64 v[4:5], v19 offset:5120
	s_waitcnt lgkmcnt(0)
	v_readfirstlane_b32 s72, v4
.LBB45_51:                              ;   in Loop: Header=BB45_17 Depth=1
	s_delay_alu instid0(VALU_DEP_1)
	s_cmp_lt_i32 s72, 1
	s_cbranch_scc0 .LBB45_66
; %bb.52:                               ;   in Loop: Header=BB45_17 Depth=1
	global_load_u16 v2, v19, s[62:63]
	s_mov_b32 s6, s57
	s_mov_b32 s7, s37
	s_waitcnt vmcnt(0)
	v_readfirstlane_b32 s5, v2
	s_delay_alu instid0(VALU_DEP_1) | instskip(NEXT) | instid1(SALU_CYCLE_1)
	s_and_b32 s5, 0xffff, s5
	s_lshl_b32 s56, s5, 2
	s_cmp_lg_u64 s[6:7], 0
	s_cbranch_scc0 .LBB45_86
; %bb.53:                               ;   in Loop: Header=BB45_17 Depth=1
	v_cvt_f32_u32_e32 v4, s56
	s_sub_u32 s7, 0, s56
	s_subb_u32 s8, 0, 0
	s_delay_alu instid0(VALU_DEP_1) | instskip(NEXT) | instid1(VALU_DEP_1)
	v_fmac_f32_e32 v4, 0x4f800000, v45
	v_rcp_f32_e32 v4, v4
	s_waitcnt_depctr 0xfff
	v_mul_f32_e32 v4, 0x5f7ffffc, v4
	s_delay_alu instid0(VALU_DEP_1) | instskip(NEXT) | instid1(VALU_DEP_1)
	v_mul_f32_e32 v5, 0x2f800000, v4
	v_trunc_f32_e32 v5, v5
	s_delay_alu instid0(VALU_DEP_1) | instskip(SKIP_1) | instid1(VALU_DEP_2)
	v_fmac_f32_e32 v4, 0xcf800000, v5
	v_cvt_u32_f32_e32 v5, v5
	v_cvt_u32_f32_e32 v4, v4
	s_delay_alu instid0(VALU_DEP_2) | instskip(NEXT) | instid1(VALU_DEP_2)
	v_readfirstlane_b32 s5, v5
	v_readfirstlane_b32 s6, v4
	s_delay_alu instid0(VALU_DEP_2) | instskip(NEXT) | instid1(VALU_DEP_1)
	s_mul_i32 s9, s7, s5
	s_mul_hi_u32 s11, s7, s6
	s_mul_i32 s10, s8, s6
	s_add_i32 s9, s11, s9
	s_mul_i32 s12, s7, s6
	s_add_i32 s9, s9, s10
	s_mul_hi_u32 s11, s6, s12
	s_mul_hi_u32 s13, s5, s12
	s_mul_i32 s10, s5, s12
	s_mul_hi_u32 s12, s6, s9
	s_mul_i32 s6, s6, s9
	s_mul_hi_u32 s14, s5, s9
	s_add_u32 s6, s11, s6
	s_addc_u32 s11, 0, s12
	s_add_u32 s6, s6, s10
	s_mul_i32 s9, s5, s9
	s_addc_u32 s6, s11, s13
	s_addc_u32 s10, s14, 0
	s_add_u32 s6, s6, s9
	s_addc_u32 s9, 0, s10
	v_add_co_u32 v4, s6, v4, s6
	s_delay_alu instid0(VALU_DEP_1) | instskip(SKIP_1) | instid1(VALU_DEP_1)
	s_cmp_lg_u32 s6, 0
	s_addc_u32 s5, s5, s9
	v_readfirstlane_b32 s6, v4
	s_mul_i32 s9, s7, s5
	s_delay_alu instid0(VALU_DEP_1)
	s_mul_hi_u32 s10, s7, s6
	s_mul_i32 s8, s8, s6
	s_add_i32 s9, s10, s9
	s_mul_i32 s7, s7, s6
	s_add_i32 s9, s9, s8
	s_mul_hi_u32 s10, s5, s7
	s_mul_i32 s11, s5, s7
	s_mul_hi_u32 s7, s6, s7
	s_mul_hi_u32 s12, s6, s9
	s_mul_i32 s6, s6, s9
	s_mul_hi_u32 s8, s5, s9
	s_add_u32 s6, s7, s6
	s_addc_u32 s7, 0, s12
	s_add_u32 s6, s6, s11
	s_mul_i32 s9, s5, s9
	s_addc_u32 s6, s7, s10
	s_addc_u32 s7, s8, 0
	s_add_u32 s6, s6, s9
	s_addc_u32 s7, 0, s7
	v_add_co_u32 v4, s6, v4, s6
	s_delay_alu instid0(VALU_DEP_1) | instskip(SKIP_2) | instid1(VALU_DEP_1)
	s_cmp_lg_u32 s6, 0
	s_addc_u32 s5, s5, s7
	s_ashr_i32 s6, s37, 31
	v_readfirstlane_b32 s10, v4
	s_add_u32 s8, s36, s6
	s_mov_b32 s7, s6
	s_addc_u32 s9, s37, s6
	s_delay_alu instid0(SALU_CYCLE_1) | instskip(NEXT) | instid1(SALU_CYCLE_1)
	s_xor_b64 s[8:9], s[8:9], s[6:7]
	s_mul_i32 s11, s8, s5
	s_mul_hi_u32 s12, s8, s10
	s_mul_hi_u32 s7, s8, s5
	;; [unrolled: 1-line block ×3, first 2 shown]
	s_mul_i32 s10, s9, s10
	s_add_u32 s11, s12, s11
	s_addc_u32 s7, 0, s7
	s_mul_hi_u32 s13, s9, s5
	s_add_u32 s10, s11, s10
	s_mul_i32 s5, s9, s5
	s_addc_u32 s7, s7, s14
	s_addc_u32 s10, s13, 0
	s_add_u32 s5, s7, s5
	s_addc_u32 s7, 0, s10
	s_mul_hi_u32 s10, s56, s5
	s_mul_i32 s5, s56, s5
	s_mul_i32 s7, s56, s7
	v_sub_co_u32 v4, s5, s8, s5
	s_add_i32 s10, s10, s7
	s_cmp_lg_u32 s5, 0
	s_delay_alu instid0(VALU_DEP_1) | instskip(SKIP_2) | instid1(VALU_DEP_1)
	v_sub_co_u32 v5, s5, v4, s56
	s_subb_u32 s7, s9, s10
	s_cmp_lg_u32 s5, 0
	v_cmp_le_u32_e32 vcc_lo, s56, v5
	v_sub_co_u32 v8, s5, v5, s56
	s_subb_u32 s8, s7, 0
	s_cmp_lg_u32 s5, 0
	v_cndmask_b32_e64 v9, 0, -1, vcc_lo
	s_subb_u32 s5, s8, 0
	s_cmp_eq_u32 s8, 0
	v_mov_b32_e32 v11, s5
	s_cselect_b32 vcc_lo, -1, 0
	s_cmp_eq_u32 s7, 0
	v_cndmask_b32_e32 v9, -1, v9, vcc_lo
	v_cmp_le_u32_e32 vcc_lo, s56, v4
	s_cselect_b32 s5, -1, 0
	v_cndmask_b32_e64 v10, 0, -1, vcc_lo
	s_delay_alu instid0(VALU_DEP_3) | instskip(NEXT) | instid1(VALU_DEP_2)
	v_cmp_ne_u32_e32 vcc_lo, 0, v9
	v_cndmask_b32_e64 v9, -1, v10, s5
	v_cndmask_b32_e32 v5, v5, v8, vcc_lo
	v_cndmask_b32_e32 v10, s8, v11, vcc_lo
	s_delay_alu instid0(VALU_DEP_3) | instskip(NEXT) | instid1(VALU_DEP_3)
	v_cmp_ne_u32_e32 vcc_lo, 0, v9
	v_cndmask_b32_e32 v4, v4, v5, vcc_lo
	s_delay_alu instid0(VALU_DEP_3) | instskip(NEXT) | instid1(VALU_DEP_2)
	v_cndmask_b32_e32 v8, s7, v10, vcc_lo
	v_xor_b32_e32 v4, s6, v4
	s_delay_alu instid0(VALU_DEP_2) | instskip(NEXT) | instid1(VALU_DEP_2)
	v_xor_b32_e32 v5, s6, v8
	v_sub_co_u32 v4, vcc_lo, v4, s6
	s_delay_alu instid0(VALU_DEP_2)
	v_subrev_co_ci_u32_e32 v5, vcc_lo, s6, v5, vcc_lo
	s_cbranch_execnz .LBB45_55
.LBB45_54:                              ;   in Loop: Header=BB45_17 Depth=1
	v_cvt_f32_u32_e32 v4, s56
	s_sub_i32 s5, 0, s56
	s_delay_alu instid0(VALU_DEP_1) | instskip(SKIP_2) | instid1(VALU_DEP_1)
	v_rcp_iflag_f32_e32 v4, v4
	s_waitcnt_depctr 0xfff
	v_mul_f32_e32 v4, 0x4f7ffffe, v4
	v_cvt_u32_f32_e32 v4, v4
	s_delay_alu instid0(VALU_DEP_1) | instskip(NEXT) | instid1(VALU_DEP_1)
	v_mul_lo_u32 v5, s5, v4
	v_mul_hi_u32 v5, v4, v5
	s_delay_alu instid0(VALU_DEP_1) | instskip(NEXT) | instid1(VALU_DEP_1)
	v_add_nc_u32_e32 v4, v4, v5
	v_mul_hi_u32 v4, s36, v4
	s_delay_alu instid0(VALU_DEP_1) | instskip(NEXT) | instid1(VALU_DEP_1)
	v_mul_lo_u32 v4, v4, s56
	v_sub_nc_u32_e32 v4, s36, v4
	s_delay_alu instid0(VALU_DEP_1) | instskip(SKIP_1) | instid1(VALU_DEP_2)
	v_subrev_nc_u32_e32 v5, s56, v4
	v_cmp_le_u32_e32 vcc_lo, s56, v4
	v_cndmask_b32_e32 v4, v4, v5, vcc_lo
	s_delay_alu instid0(VALU_DEP_1) | instskip(SKIP_1) | instid1(VALU_DEP_2)
	v_subrev_nc_u32_e32 v5, s56, v4
	v_cmp_le_u32_e32 vcc_lo, s56, v4
	v_cndmask_b32_e32 v18, v4, v5, vcc_lo
	s_delay_alu instid0(VALU_DEP_1)
	v_dual_mov_b32 v4, v18 :: v_dual_mov_b32 v5, v19
.LBB45_55:                              ;   in Loop: Header=BB45_17 Depth=1
	v_mov_b32_e32 v8, 0
	v_dual_mov_b32 v9, 0 :: v_dual_and_b32 v2, 0xffff, v2
	s_delay_alu instid0(VALU_DEP_3) | instskip(NEXT) | instid1(VALU_DEP_4)
	v_sub_co_u32 v29, vcc_lo, s36, v4
	v_sub_co_ci_u32_e32 v30, vcc_lo, s37, v5, vcc_lo
	s_delay_alu instid0(VALU_DEP_3)
	v_dual_mov_b32 v11, v9 :: v_dual_mov_b32 v10, v8
	v_dual_mov_b32 v13, v9 :: v_dual_mov_b32 v12, v8
	v_dual_mov_b32 v15, v9 :: v_dual_mov_b32 v14, v8
	s_mov_b64 s[74:75], 0
	s_mov_b32 s73, exec_lo
	v_cmpx_gt_i64_e64 v[29:30], v[20:21]
	s_cbranch_execz .LBB45_59
; %bb.56:                               ;   in Loop: Header=BB45_17 Depth=1
	v_mul_lo_u32 v8, s67, v2
	v_mul_hi_u32 v9, s66, v2
	v_mul_lo_u32 v46, s66, v2
	v_dual_mov_b32 v31, s60 :: v_dual_mov_b32 v32, s61
	v_dual_mov_b32 v34, v21 :: v_dual_mov_b32 v33, v20
	s_and_b32 s101, s95, 0xfe
	s_mov_b32 s102, 0
	s_delay_alu instid0(VALU_DEP_4)
	v_add_nc_u32_e32 v47, v9, v8
	s_mov_b64 s[76:77], 0
	s_mov_b64 s[78:79], 0
	;; [unrolled: 1-line block ×3, first 2 shown]
.LBB45_57:                              ;   Parent Loop BB45_17 Depth=1
                                        ; =>  This Inner Loop Header: Depth=2
	v_add_co_u32 v8, vcc_lo, v31, v27
	v_add_co_ci_u32_e32 v9, vcc_lo, v32, v28, vcc_lo
	v_add_co_u32 v10, vcc_lo, v31, v26
	v_add_co_ci_u32_e32 v11, vcc_lo, v32, v41, vcc_lo
	v_add_co_u32 v12, vcc_lo, v31, v24
	v_add_co_ci_u32_e32 v13, vcc_lo, v32, v25, vcc_lo
	v_add_co_u32 v14, vcc_lo, v31, v22
	v_add_co_ci_u32_e32 v15, vcc_lo, v32, v23, vcc_lo
	s_clause 0x3
	global_load_b64 v[8:9], v[8:9], off
	global_load_b64 v[10:11], v[10:11], off
	;; [unrolled: 1-line block ×4, first 2 shown]
	v_add_co_u32 v33, vcc_lo, v33, s56
	v_add_co_ci_u32_e32 v34, vcc_lo, 0, v34, vcc_lo
	v_add_co_u32 v31, vcc_lo, v31, v46
	v_add_co_ci_u32_e32 v32, vcc_lo, v32, v47, vcc_lo
	s_delay_alu instid0(VALU_DEP_3)
	v_cmp_ge_i64_e32 vcc_lo, v[33:34], v[29:30]
	s_waitcnt vmcnt(3)
	v_cmp_o_f64_e64 s6, v[8:9], v[8:9]
	s_waitcnt vmcnt(2)
	v_cmp_o_f64_e64 s5, v[10:11], v[10:11]
	;; [unrolled: 2-line block ×4, first 2 shown]
	v_ashrrev_i32_e32 v18, 31, v9
	v_ashrrev_i32_e32 v52, 31, v15
	;; [unrolled: 1-line block ×4, first 2 shown]
	s_delay_alu instid0(VALU_DEP_4) | instskip(NEXT) | instid1(VALU_DEP_4)
	v_or_b32_e32 v54, 0x80000000, v18
	v_or_b32_e32 v57, 0x80000000, v52
	s_delay_alu instid0(VALU_DEP_4) | instskip(NEXT) | instid1(VALU_DEP_4)
	v_or_b32_e32 v55, 0x80000000, v48
	v_or_b32_e32 v56, 0x80000000, v50
	v_xor_b32_e32 v18, v18, v8
	v_xor_b32_e32 v54, v54, v9
	;; [unrolled: 1-line block ×8, first 2 shown]
	v_cndmask_b32_e64 v9, -1, v54, s6
	v_cndmask_b32_e64 v11, -1, v55, s5
	;; [unrolled: 1-line block ×7, first 2 shown]
	v_mov_b32_e32 v49, v19
	v_and_b32_e32 v55, s71, v9
	v_and_b32_e32 v54, s70, v8
	v_lshrrev_b64 v[8:9], s101, v[8:9]
	v_cndmask_b32_e64 v14, -1, v52, s8
	v_dual_mov_b32 v51, v19 :: v_dual_and_b32 v56, s70, v10
	v_lshrrev_b64 v[9:10], s101, v[10:11]
	v_and_b32_e32 v57, s71, v11
	v_lshrrev_b64 v[10:11], s101, v[12:13]
	v_dual_mov_b32 v53, v19 :: v_dual_and_b32 v58, s70, v12
	v_lshrrev_b64 v[11:12], s101, v[14:15]
	v_and_b32_e32 v18, 3, v8
	v_and_b32_e32 v48, 3, v9
	;; [unrolled: 1-line block ×4, first 2 shown]
	v_cmp_eq_u64_e64 s5, s[68:69], v[54:55]
	v_cmp_eq_u64_e64 s9, 0, v[18:19]
	v_and_b32_e32 v61, s71, v15
	v_and_b32_e32 v60, s70, v14
	v_and_b32_e32 v52, 3, v11
	v_cmp_eq_u64_e64 s6, s[68:69], v[56:57]
	v_cmp_eq_u64_e64 s10, 0, v[48:49]
	v_cmp_eq_u64_e64 s7, s[68:69], v[58:59]
	v_cmp_eq_u64_e64 s11, 0, v[50:51]
	v_cmp_eq_u64_e64 s8, s[68:69], v[60:61]
	v_cmp_eq_u64_e64 s12, 0, v[52:53]
	s_and_b32 s9, s5, s9
	v_cmp_eq_u64_e64 s13, 1, v[18:19]
	v_cndmask_b32_e64 v8, 0, 1, s9
	s_and_b32 s9, s6, s10
	v_cmp_eq_u64_e64 s14, 1, v[48:49]
	v_cndmask_b32_e64 v9, 0, 1, s9
	;; [unrolled: 3-line block ×3, first 2 shown]
	s_and_b32 s9, s8, s12
	v_cmp_ne_u32_e64 s10, 0, v9
	v_cndmask_b32_e64 v11, 0, 1, s9
	v_cmp_ne_u32_e64 s9, 0, v8
	v_cmp_ne_u32_e64 s11, 0, v10
	v_cmp_eq_u64_e64 s16, 1, v[52:53]
	s_bcnt1_i32_b32 s10, s10
	v_cmp_ne_u32_e64 s12, 0, v11
	s_bcnt1_i32_b32 s9, s9
	s_bcnt1_i32_b32 s11, s11
	s_add_i32 s9, s10, s9
	v_cmp_eq_u64_e64 s17, 2, v[18:19]
	s_bcnt1_i32_b32 s12, s12
	s_add_i32 s9, s9, s11
	v_cmp_eq_u64_e64 s18, 2, v[48:49]
	s_add_i32 s9, s9, s12
	v_cmp_eq_u64_e64 s19, 2, v[50:51]
	s_add_u32 s80, s80, s9
	s_addc_u32 s81, s81, 0
	s_and_b32 s9, s5, s13
	v_cmp_eq_u64_e64 s20, 2, v[52:53]
	v_cndmask_b32_e64 v8, 0, 1, s9
	s_and_b32 s9, s6, s14
	v_cmp_eq_u64_e64 s21, 3, v[18:19]
	v_cndmask_b32_e64 v9, 0, 1, s9
	;; [unrolled: 3-line block ×3, first 2 shown]
	s_and_b32 s9, s8, s16
	v_cmp_ne_u32_e64 s10, 0, v9
	v_cndmask_b32_e64 v11, 0, 1, s9
	v_cmp_ne_u32_e64 s9, 0, v8
	v_cmp_ne_u32_e64 s11, 0, v10
	v_cmp_eq_u64_e64 s24, 3, v[52:53]
	s_bcnt1_i32_b32 s10, s10
	v_cmp_ne_u32_e64 s12, 0, v11
	s_bcnt1_i32_b32 s9, s9
	s_bcnt1_i32_b32 s11, s11
	s_add_i32 s9, s10, s9
	s_delay_alu instid0(VALU_DEP_1) | instskip(SKIP_1) | instid1(SALU_CYCLE_1)
	s_bcnt1_i32_b32 s12, s12
	s_add_i32 s9, s9, s11
	s_add_i32 s9, s9, s12
	s_delay_alu instid0(SALU_CYCLE_1) | instskip(SKIP_2) | instid1(SALU_CYCLE_1)
	s_add_u32 s78, s78, s9
	s_addc_u32 s79, s79, 0
	s_and_b32 s9, s5, s17
	v_cndmask_b32_e64 v8, 0, 1, s9
	s_and_b32 s9, s6, s18
	s_delay_alu instid0(SALU_CYCLE_1) | instskip(SKIP_1) | instid1(SALU_CYCLE_1)
	v_cndmask_b32_e64 v9, 0, 1, s9
	s_and_b32 s9, s7, s19
	v_cndmask_b32_e64 v10, 0, 1, s9
	s_and_b32 s9, s8, s20
	s_delay_alu instid0(VALU_DEP_2) | instskip(SKIP_3) | instid1(VALU_DEP_4)
	v_cmp_ne_u32_e64 s10, 0, v9
	v_cndmask_b32_e64 v11, 0, 1, s9
	v_cmp_ne_u32_e64 s9, 0, v8
	v_cmp_ne_u32_e64 s11, 0, v10
	s_bcnt1_i32_b32 s10, s10
	s_delay_alu instid0(VALU_DEP_3) | instskip(NEXT) | instid1(VALU_DEP_3)
	v_cmp_ne_u32_e64 s12, 0, v11
	s_bcnt1_i32_b32 s9, s9
	s_delay_alu instid0(VALU_DEP_2) | instskip(SKIP_1) | instid1(VALU_DEP_1)
	s_bcnt1_i32_b32 s11, s11
	s_add_i32 s9, s10, s9
	s_bcnt1_i32_b32 s12, s12
	s_add_i32 s9, s9, s11
	s_delay_alu instid0(SALU_CYCLE_1) | instskip(NEXT) | instid1(SALU_CYCLE_1)
	s_add_i32 s9, s9, s12
	s_add_u32 s76, s76, s9
	s_addc_u32 s77, s77, 0
	s_delay_alu instid0(SALU_CYCLE_1) | instskip(SKIP_2) | instid1(SALU_CYCLE_1)
	v_dual_mov_b32 v12, s76 :: v_dual_mov_b32 v13, s77
	v_cmp_eq_u64_e64 s22, 3, v[48:49]
	s_and_b32 s5, s5, s21
	v_cndmask_b32_e64 v8, 0, 1, s5
	s_delay_alu instid0(VALU_DEP_2) | instskip(NEXT) | instid1(SALU_CYCLE_1)
	s_and_b32 s5, s6, s22
	v_cndmask_b32_e64 v9, 0, 1, s5
	s_and_b32 s5, s7, s23
	s_delay_alu instid0(SALU_CYCLE_1) | instskip(SKIP_1) | instid1(VALU_DEP_2)
	v_cndmask_b32_e64 v10, 0, 1, s5
	s_and_b32 s5, s8, s24
	v_cmp_ne_u32_e64 s6, 0, v9
	v_cndmask_b32_e64 v11, 0, 1, s5
	v_cmp_ne_u32_e64 s5, 0, v8
	v_cmp_ne_u32_e64 s7, 0, v10
	v_dual_mov_b32 v8, s80 :: v_dual_mov_b32 v9, s81
	s_delay_alu instid0(VALU_DEP_4) | instskip(NEXT) | instid1(VALU_DEP_4)
	v_cmp_ne_u32_e64 s8, 0, v11
	s_bcnt1_i32_b32 s5, s5
	s_bcnt1_i32_b32 s6, s6
	;; [unrolled: 1-line block ×3, first 2 shown]
	s_add_i32 s5, s6, s5
	s_bcnt1_i32_b32 s6, s8
	s_add_i32 s5, s5, s7
	v_mov_b32_e32 v10, s78
	s_add_i32 s5, s5, s6
	v_mov_b32_e32 v11, s79
	s_add_u32 s74, s74, s5
	s_addc_u32 s75, s75, 0
	s_delay_alu instid0(SALU_CYCLE_1) | instskip(SKIP_1) | instid1(SALU_CYCLE_1)
	v_dual_mov_b32 v14, s74 :: v_dual_mov_b32 v15, s75
	s_or_b32 s102, vcc_lo, s102
	s_and_not1_b32 exec_lo, exec_lo, s102
	s_cbranch_execnz .LBB45_57
; %bb.58:                               ;   in Loop: Header=BB45_17 Depth=1
	s_or_b32 exec_lo, exec_lo, s102
.LBB45_59:                              ;   in Loop: Header=BB45_17 Depth=1
	s_delay_alu instid0(SALU_CYCLE_1) | instskip(SKIP_4) | instid1(VALU_DEP_3)
	s_or_b32 exec_lo, exec_lo, s73
	v_add_co_u32 v29, vcc_lo, v29, v0
	v_add_co_ci_u32_e32 v30, vcc_lo, 0, v30, vcc_lo
	v_mov_b32_e32 v33, 0
	v_mov_b32_e32 v34, 0
	v_cmp_gt_i64_e32 vcc_lo, s[36:37], v[29:30]
	s_and_saveexec_b32 s6, vcc_lo
	s_cbranch_execz .LBB45_61
; %bb.60:                               ;   in Loop: Header=BB45_17 Depth=1
	v_mul_lo_u32 v18, v30, s42
	v_mul_lo_u32 v33, v29, s43
	v_mad_u64_u32 v[31:32], null, v29, s42, 0
	s_delay_alu instid0(VALU_DEP_1) | instskip(NEXT) | instid1(VALU_DEP_1)
	v_add3_u32 v32, v32, v33, v18
	v_lshlrev_b64 v[31:32], 3, v[31:32]
	s_delay_alu instid0(VALU_DEP_1) | instskip(NEXT) | instid1(VALU_DEP_1)
	v_add_co_u32 v31, s5, s60, v31
	v_add_co_ci_u32_e64 v32, s5, s61, v32, s5
	global_load_b64 v[33:34], v[31:32], off
.LBB45_61:                              ;   in Loop: Header=BB45_17 Depth=1
	s_or_b32 exec_lo, exec_lo, s6
	s_and_saveexec_b32 s9, vcc_lo
	s_cbranch_execz .LBB45_68
; %bb.62:                               ;   in Loop: Header=BB45_17 Depth=1
	v_add_co_u32 v18, vcc_lo, v42, v2
	v_add_co_ci_u32_e32 v31, vcc_lo, 0, v43, vcc_lo
	v_mul_hi_u32 v47, s64, v2
	s_delay_alu instid0(VALU_DEP_3) | instskip(NEXT) | instid1(VALU_DEP_3)
	v_sub_co_u32 v18, vcc_lo, v18, v4
	v_sub_co_ci_u32_e32 v4, vcc_lo, v31, v5, vcc_lo
	v_mul_lo_u32 v46, s64, v2
	s_delay_alu instid0(VALU_DEP_3) | instskip(SKIP_1) | instid1(VALU_DEP_3)
	v_mul_lo_u32 v32, s65, v18
	s_and_b32 s11, s95, 0xfe
	v_mul_lo_u32 v31, s64, v4
	v_mad_u64_u32 v[4:5], null, s64, v18, s[60:61]
	v_mul_lo_u32 v18, s65, v2
	s_mov_b32 s10, 0
	s_delay_alu instid0(VALU_DEP_2) | instskip(NEXT) | instid1(VALU_DEP_2)
	v_add3_u32 v5, v32, v5, v31
	v_add_nc_u32_e32 v47, v47, v18
	s_branch .LBB45_64
.LBB45_63:                              ;   in Loop: Header=BB45_64 Depth=2
	s_or_b32 exec_lo, exec_lo, s6
	s_waitcnt vmcnt(0)
	v_cmp_o_f64_e64 s5, v[33:34], v[33:34]
	v_ashrrev_i32_e32 v18, 31, v34
	s_and_b32 s7, exec_lo, vcc_lo
	s_delay_alu instid0(SALU_CYCLE_1) | instskip(NEXT) | instid1(VALU_DEP_1)
	s_or_b32 s10, s7, s10
	v_or_b32_e32 v48, 0x80000000, v18
	v_xor_b32_e32 v18, v18, v33
	s_delay_alu instid0(VALU_DEP_2) | instskip(NEXT) | instid1(VALU_DEP_1)
	v_xor_b32_e32 v48, v48, v34
	v_cndmask_b32_e64 v34, -1, v48, s5
	s_delay_alu instid0(VALU_DEP_3) | instskip(NEXT) | instid1(VALU_DEP_1)
	v_cndmask_b32_e64 v33, -1, v18, s5
	v_lshrrev_b64 v[48:49], s11, v[33:34]
	v_and_b32_e32 v34, s71, v34
	v_and_b32_e32 v33, s70, v33
	s_delay_alu instid0(VALU_DEP_3) | instskip(NEXT) | instid1(VALU_DEP_2)
	v_and_b32_e32 v18, 3, v48
	v_cmp_eq_u64_e64 s5, s[68:69], v[33:34]
	s_delay_alu instid0(VALU_DEP_2) | instskip(SKIP_3) | instid1(VALU_DEP_4)
	v_cmp_eq_u64_e64 s6, 0, v[18:19]
	v_cmp_eq_u64_e32 vcc_lo, 1, v[18:19]
	v_cmp_eq_u64_e64 s7, 2, v[18:19]
	v_cmp_eq_u64_e64 s8, 3, v[18:19]
	s_and_b32 s6, s5, s6
	s_delay_alu instid0(SALU_CYCLE_1) | instskip(SKIP_1) | instid1(SALU_CYCLE_1)
	v_cndmask_b32_e64 v18, 0, 1, s6
	s_and_b32 s6, s5, vcc_lo
	v_cndmask_b32_e64 v33, 0, 1, s6
	s_and_b32 s6, s5, s7
	s_delay_alu instid0(VALU_DEP_2)
	v_cmp_ne_u32_e32 vcc_lo, 0, v18
	v_cndmask_b32_e64 v34, 0, 1, s6
	s_and_b32 s5, s5, s8
	v_add_co_u32 v4, s8, v4, v46
	v_cndmask_b32_e64 v48, 0, 1, s5
	v_cmp_ne_u32_e64 s5, 0, v33
	v_add_co_ci_u32_e64 v5, s8, v5, v47, s8
	s_bcnt1_i32_b32 s8, vcc_lo
	v_cmp_ne_u32_e64 s6, 0, v34
	v_add_co_u32 v8, vcc_lo, v8, s8
	s_bcnt1_i32_b32 s5, s5
	v_cmp_ne_u32_e64 s7, 0, v48
	v_add_co_ci_u32_e32 v9, vcc_lo, 0, v9, vcc_lo
	v_add_co_u32 v10, vcc_lo, v10, s5
	s_bcnt1_i32_b32 s6, s6
	v_add_co_ci_u32_e32 v11, vcc_lo, 0, v11, vcc_lo
	v_add_co_u32 v12, vcc_lo, v12, s6
	s_bcnt1_i32_b32 s7, s7
	v_add_co_ci_u32_e32 v13, vcc_lo, 0, v13, vcc_lo
	v_add_co_u32 v14, vcc_lo, v14, s7
	v_dual_mov_b32 v34, v32 :: v_dual_mov_b32 v33, v31
	v_add_co_ci_u32_e32 v15, vcc_lo, 0, v15, vcc_lo
	s_and_not1_b32 exec_lo, exec_lo, s10
	s_cbranch_execz .LBB45_67
.LBB45_64:                              ;   Parent Loop BB45_17 Depth=1
                                        ; =>  This Inner Loop Header: Depth=2
	v_add_co_u32 v29, vcc_lo, v29, v2
	v_add_co_ci_u32_e32 v30, vcc_lo, 0, v30, vcc_lo
	v_mov_b32_e32 v31, 0
	v_mov_b32_e32 v32, 0
	s_mov_b32 s6, exec_lo
	s_delay_alu instid0(VALU_DEP_3)
	v_cmp_le_i64_e32 vcc_lo, s[36:37], v[29:30]
	v_cmpx_gt_i64_e64 s[36:37], v[29:30]
	s_cbranch_execz .LBB45_63
; %bb.65:                               ;   in Loop: Header=BB45_64 Depth=2
	global_load_b64 v[31:32], v[4:5], off
	s_branch .LBB45_63
.LBB45_66:                              ;   in Loop: Header=BB45_17 Depth=1
                                        ; implicit-def: $vgpr14_vgpr15
                                        ; implicit-def: $vgpr10_vgpr11
	s_cbranch_execnz .LBB45_69
	s_branch .LBB45_78
.LBB45_67:                              ;   in Loop: Header=BB45_17 Depth=1
	s_or_b32 exec_lo, exec_lo, s10
.LBB45_68:                              ;   in Loop: Header=BB45_17 Depth=1
	s_delay_alu instid0(SALU_CYCLE_1)
	s_or_b32 exec_lo, exec_lo, s9
	s_branch .LBB45_78
.LBB45_69:                              ;   in Loop: Header=BB45_17 Depth=1
	global_load_u16 v2, v19, s[62:63]
	v_mov_b32_e32 v8, 0
	s_mov_b64 s[74:75], 0
	s_mov_b32 s101, exec_lo
	v_mov_b32_e32 v9, 0
	s_delay_alu instid0(VALU_DEP_1)
	v_mov_b32_e32 v15, v9
	v_dual_mov_b32 v11, v9 :: v_dual_mov_b32 v10, v8
	v_dual_mov_b32 v13, v9 :: v_dual_mov_b32 v12, v8
	v_mov_b32_e32 v14, v8
	s_waitcnt vmcnt(0)
	v_readfirstlane_b32 s5, v2
	v_and_b32_e32 v2, 0xffff, v2
	s_delay_alu instid0(VALU_DEP_2) | instskip(NEXT) | instid1(SALU_CYCLE_1)
	s_and_b32 s5, 0xffff, s5
	s_lshl_b32 s73, s5, 2
	s_delay_alu instid0(SALU_CYCLE_1) | instskip(SKIP_1) | instid1(VALU_DEP_1)
	v_cvt_f32_u32_e32 v4, s73
	s_sub_i32 s6, 0, s73
	v_rcp_iflag_f32_e32 v4, v4
	s_waitcnt_depctr 0xfff
	v_mul_f32_e32 v4, 0x4f7ffffe, v4
	s_delay_alu instid0(VALU_DEP_1) | instskip(NEXT) | instid1(VALU_DEP_1)
	v_cvt_u32_f32_e32 v4, v4
	v_readfirstlane_b32 s5, v4
	s_delay_alu instid0(VALU_DEP_1) | instskip(NEXT) | instid1(SALU_CYCLE_1)
	s_mul_i32 s6, s6, s5
	s_mul_hi_u32 s6, s5, s6
	s_delay_alu instid0(SALU_CYCLE_1) | instskip(NEXT) | instid1(SALU_CYCLE_1)
	s_add_i32 s5, s5, s6
	s_mul_hi_u32 s5, s72, s5
	s_delay_alu instid0(SALU_CYCLE_1) | instskip(NEXT) | instid1(SALU_CYCLE_1)
	s_mul_i32 s5, s5, s73
	s_sub_i32 s5, s72, s5
	s_delay_alu instid0(SALU_CYCLE_1) | instskip(SKIP_2) | instid1(SALU_CYCLE_1)
	s_sub_i32 s6, s5, s73
	s_cmp_ge_u32 s5, s73
	s_cselect_b32 s5, s6, s5
	s_sub_i32 s6, s5, s73
	s_cmp_ge_u32 s5, s73
	s_cselect_b32 s5, s6, s5
	s_delay_alu instid0(SALU_CYCLE_1) | instskip(NEXT) | instid1(SALU_CYCLE_1)
	s_sub_i32 s56, s72, s5
	v_cmpx_gt_u32_e64 s56, v20
	s_cbranch_execz .LBB45_73
; %bb.70:                               ;   in Loop: Header=BB45_17 Depth=1
	v_dual_mov_b32 v30, v39 :: v_dual_lshlrev_b32 v29, 5, v2
	v_dual_mov_b32 v4, v20 :: v_dual_mov_b32 v5, v21
	s_and_b32 s102, s95, 0xfe
	s_mov_b32 s103, 0
	s_mov_b64 s[76:77], 0
	s_mov_b64 s[78:79], 0
	;; [unrolled: 1-line block ×3, first 2 shown]
.LBB45_71:                              ;   Parent Loop BB45_17 Depth=1
                                        ; =>  This Inner Loop Header: Depth=2
	ds_load_b128 v[8:11], v30
	ds_load_b128 v[12:15], v30 offset:16
	v_dual_mov_b32 v47, v19 :: v_dual_add_nc_u32 v30, v30, v29
	v_add_co_u32 v4, vcc_lo, v4, s73
	v_add_co_ci_u32_e32 v5, vcc_lo, 0, v5, vcc_lo
	s_delay_alu instid0(VALU_DEP_1)
	v_cmp_le_u64_e32 vcc_lo, s[56:57], v[4:5]
	s_waitcnt lgkmcnt(1)
	v_cmp_o_f64_e64 s6, v[8:9], v[8:9]
	s_waitcnt lgkmcnt(0)
	v_cmp_o_f64_e64 s8, v[14:15], v[14:15]
	v_cmp_o_f64_e64 s5, v[10:11], v[10:11]
	;; [unrolled: 1-line block ×3, first 2 shown]
	v_ashrrev_i32_e32 v18, 31, v9
	v_ashrrev_i32_e32 v46, 31, v15
	;; [unrolled: 1-line block ×4, first 2 shown]
	s_delay_alu instid0(VALU_DEP_4) | instskip(NEXT) | instid1(VALU_DEP_4)
	v_or_b32_e32 v48, 0x80000000, v18
	v_or_b32_e32 v51, 0x80000000, v46
	s_delay_alu instid0(VALU_DEP_4) | instskip(NEXT) | instid1(VALU_DEP_4)
	v_or_b32_e32 v49, 0x80000000, v31
	v_or_b32_e32 v50, 0x80000000, v33
	v_xor_b32_e32 v18, v18, v8
	v_xor_b32_e32 v48, v48, v9
	;; [unrolled: 1-line block ×8, first 2 shown]
	v_cndmask_b32_e64 v9, -1, v48, s6
	v_cndmask_b32_e64 v15, -1, v8, s8
	;; [unrolled: 1-line block ×7, first 2 shown]
	v_dual_mov_b32 v32, v19 :: v_dual_and_b32 v49, s71, v9
	v_and_b32_e32 v48, s70, v8
	v_lshrrev_b64 v[8:9], s102, v[8:9]
	v_cndmask_b32_e64 v14, -1, v46, s8
	v_and_b32_e32 v50, s70, v10
	v_lshrrev_b64 v[9:10], s102, v[10:11]
	v_dual_mov_b32 v34, v19 :: v_dual_and_b32 v51, s71, v11
	v_lshrrev_b64 v[10:11], s102, v[12:13]
	v_and_b32_e32 v52, s70, v12
	v_lshrrev_b64 v[11:12], s102, v[14:15]
	v_and_b32_e32 v18, 3, v8
	v_and_b32_e32 v31, 3, v9
	v_and_b32_e32 v53, s71, v13
	v_and_b32_e32 v33, 3, v10
	v_cmp_eq_u64_e64 s5, s[68:69], v[48:49]
	v_cmp_eq_u64_e64 s9, 0, v[18:19]
	v_and_b32_e32 v55, s71, v15
	v_and_b32_e32 v54, s70, v14
	;; [unrolled: 1-line block ×3, first 2 shown]
	v_cmp_eq_u64_e64 s6, s[68:69], v[50:51]
	v_cmp_eq_u64_e64 s10, 0, v[31:32]
	;; [unrolled: 1-line block ×6, first 2 shown]
	s_and_b32 s9, s5, s9
	v_cmp_eq_u64_e64 s13, 1, v[18:19]
	v_cndmask_b32_e64 v8, 0, 1, s9
	s_and_b32 s9, s6, s10
	v_cmp_eq_u64_e64 s14, 1, v[31:32]
	v_cndmask_b32_e64 v9, 0, 1, s9
	;; [unrolled: 3-line block ×3, first 2 shown]
	s_and_b32 s9, s8, s12
	v_cmp_ne_u32_e64 s10, 0, v9
	v_cndmask_b32_e64 v11, 0, 1, s9
	v_cmp_ne_u32_e64 s9, 0, v8
	v_cmp_ne_u32_e64 s11, 0, v10
	v_cmp_eq_u64_e64 s16, 1, v[46:47]
	s_bcnt1_i32_b32 s10, s10
	v_cmp_ne_u32_e64 s12, 0, v11
	s_bcnt1_i32_b32 s9, s9
	s_bcnt1_i32_b32 s11, s11
	s_add_i32 s9, s10, s9
	v_cmp_eq_u64_e64 s17, 2, v[18:19]
	s_bcnt1_i32_b32 s12, s12
	s_add_i32 s9, s9, s11
	v_cmp_eq_u64_e64 s18, 2, v[31:32]
	s_add_i32 s9, s9, s12
	v_cmp_eq_u64_e64 s19, 2, v[33:34]
	s_add_u32 s80, s80, s9
	s_addc_u32 s81, s81, 0
	s_and_b32 s9, s5, s13
	v_cmp_eq_u64_e64 s20, 2, v[46:47]
	v_cndmask_b32_e64 v8, 0, 1, s9
	s_and_b32 s9, s6, s14
	v_cmp_eq_u64_e64 s21, 3, v[18:19]
	v_cndmask_b32_e64 v9, 0, 1, s9
	;; [unrolled: 3-line block ×3, first 2 shown]
	s_and_b32 s9, s8, s16
	v_cmp_ne_u32_e64 s10, 0, v9
	v_cndmask_b32_e64 v11, 0, 1, s9
	v_cmp_ne_u32_e64 s9, 0, v8
	v_cmp_ne_u32_e64 s11, 0, v10
	v_cmp_eq_u64_e64 s24, 3, v[46:47]
	s_bcnt1_i32_b32 s10, s10
	v_cmp_ne_u32_e64 s12, 0, v11
	s_bcnt1_i32_b32 s9, s9
	s_bcnt1_i32_b32 s11, s11
	s_add_i32 s9, s10, s9
	s_delay_alu instid0(VALU_DEP_1) | instskip(SKIP_1) | instid1(SALU_CYCLE_1)
	s_bcnt1_i32_b32 s12, s12
	s_add_i32 s9, s9, s11
	s_add_i32 s9, s9, s12
	s_delay_alu instid0(SALU_CYCLE_1) | instskip(SKIP_2) | instid1(SALU_CYCLE_1)
	s_add_u32 s78, s78, s9
	s_addc_u32 s79, s79, 0
	s_and_b32 s9, s5, s17
	v_cndmask_b32_e64 v8, 0, 1, s9
	s_and_b32 s9, s6, s18
	s_delay_alu instid0(SALU_CYCLE_1) | instskip(SKIP_1) | instid1(SALU_CYCLE_1)
	v_cndmask_b32_e64 v9, 0, 1, s9
	s_and_b32 s9, s7, s19
	v_cndmask_b32_e64 v10, 0, 1, s9
	s_and_b32 s9, s8, s20
	s_delay_alu instid0(VALU_DEP_2) | instskip(SKIP_3) | instid1(VALU_DEP_4)
	v_cmp_ne_u32_e64 s10, 0, v9
	v_cndmask_b32_e64 v11, 0, 1, s9
	v_cmp_ne_u32_e64 s9, 0, v8
	v_cmp_ne_u32_e64 s11, 0, v10
	s_bcnt1_i32_b32 s10, s10
	s_delay_alu instid0(VALU_DEP_3) | instskip(NEXT) | instid1(VALU_DEP_3)
	v_cmp_ne_u32_e64 s12, 0, v11
	s_bcnt1_i32_b32 s9, s9
	s_delay_alu instid0(VALU_DEP_2) | instskip(SKIP_1) | instid1(VALU_DEP_1)
	s_bcnt1_i32_b32 s11, s11
	s_add_i32 s9, s10, s9
	s_bcnt1_i32_b32 s12, s12
	s_add_i32 s9, s9, s11
	s_delay_alu instid0(SALU_CYCLE_1) | instskip(NEXT) | instid1(SALU_CYCLE_1)
	s_add_i32 s9, s9, s12
	s_add_u32 s76, s76, s9
	s_addc_u32 s77, s77, 0
	v_mov_b32_e32 v12, s76
	v_cmp_eq_u64_e64 s22, 3, v[31:32]
	s_and_b32 s5, s5, s21
	v_mov_b32_e32 v13, s77
	v_cndmask_b32_e64 v8, 0, 1, s5
	s_delay_alu instid0(VALU_DEP_3) | instskip(NEXT) | instid1(SALU_CYCLE_1)
	s_and_b32 s5, s6, s22
	v_cndmask_b32_e64 v9, 0, 1, s5
	s_and_b32 s5, s7, s23
	s_delay_alu instid0(SALU_CYCLE_1) | instskip(SKIP_1) | instid1(VALU_DEP_2)
	v_cndmask_b32_e64 v10, 0, 1, s5
	s_and_b32 s5, s8, s24
	v_cmp_ne_u32_e64 s6, 0, v9
	v_cndmask_b32_e64 v11, 0, 1, s5
	v_cmp_ne_u32_e64 s5, 0, v8
	v_cmp_ne_u32_e64 s7, 0, v10
	v_mov_b32_e32 v8, s80
	s_bcnt1_i32_b32 s6, s6
	v_cmp_ne_u32_e64 s8, 0, v11
	s_bcnt1_i32_b32 s5, s5
	s_bcnt1_i32_b32 s7, s7
	s_add_i32 s5, s6, s5
	v_mov_b32_e32 v10, s78
	s_bcnt1_i32_b32 s6, s8
	s_add_i32 s5, s5, s7
	v_mov_b32_e32 v9, s81
	s_add_i32 s5, s5, s6
	v_mov_b32_e32 v11, s79
	s_add_u32 s74, s74, s5
	s_addc_u32 s75, s75, 0
	s_delay_alu instid0(SALU_CYCLE_1) | instskip(SKIP_1) | instid1(SALU_CYCLE_1)
	v_dual_mov_b32 v14, s74 :: v_dual_mov_b32 v15, s75
	s_or_b32 s103, vcc_lo, s103
	s_and_not1_b32 exec_lo, exec_lo, s103
	s_cbranch_execnz .LBB45_71
; %bb.72:                               ;   in Loop: Header=BB45_17 Depth=1
	s_or_b32 exec_lo, exec_lo, s103
.LBB45_73:                              ;   in Loop: Header=BB45_17 Depth=1
	s_delay_alu instid0(SALU_CYCLE_1) | instskip(SKIP_2) | instid1(VALU_DEP_1)
	s_or_b32 exec_lo, exec_lo, s101
	v_add_nc_u32_e32 v18, s56, v0
	s_mov_b32 s12, exec_lo
	v_cmpx_gt_u32_e64 s72, v18
	s_cbranch_execz .LBB45_77
; %bb.74:                               ;   in Loop: Header=BB45_17 Depth=1
	v_dual_mov_b32 v4, v18 :: v_dual_lshlrev_b32 v29, 3, v18
	v_dual_mov_b32 v5, v19 :: v_dual_lshlrev_b32 v30, 3, v2
	s_mov_b32 s11, 0
	s_and_b32 s10, s72, 0x7fffffff
	s_and_b32 s14, s95, 0xfe
	s_mov_b32 s13, s11
.LBB45_75:                              ;   Parent Loop BB45_17 Depth=1
                                        ; =>  This Inner Loop Header: Depth=2
	ds_load_b64 v[31:32], v29
	v_add_co_u32 v4, s5, v4, v2
	s_delay_alu instid0(VALU_DEP_1) | instskip(NEXT) | instid1(VALU_DEP_1)
	v_add_co_ci_u32_e64 v5, s5, 0, v5, s5
	v_cmp_le_u64_e64 s5, s[10:11], v[4:5]
	s_waitcnt lgkmcnt(0)
	v_cmp_o_f64_e32 vcc_lo, v[31:32], v[31:32]
	v_ashrrev_i32_e32 v18, 31, v32
	s_delay_alu instid0(VALU_DEP_1) | instskip(SKIP_1) | instid1(VALU_DEP_2)
	v_or_b32_e32 v33, 0x80000000, v18
	v_xor_b32_e32 v18, v18, v31
	v_xor_b32_e32 v33, v33, v32
	s_delay_alu instid0(VALU_DEP_1) | instskip(NEXT) | instid1(VALU_DEP_1)
	v_dual_cndmask_b32 v32, -1, v33 :: v_dual_add_nc_u32 v29, v29, v30
	v_dual_cndmask_b32 v31, -1, v18 :: v_dual_and_b32 v34, s71, v32
	s_delay_alu instid0(VALU_DEP_1) | instskip(SKIP_1) | instid1(VALU_DEP_2)
	v_and_b32_e32 v33, s70, v31
	v_lshrrev_b64 v[31:32], s14, v[31:32]
	v_cmp_eq_u64_e32 vcc_lo, s[68:69], v[33:34]
	s_delay_alu instid0(VALU_DEP_2) | instskip(NEXT) | instid1(VALU_DEP_1)
	v_and_b32_e32 v18, 3, v31
	v_cmp_eq_u64_e64 s6, 0, v[18:19]
	v_cmp_eq_u64_e64 s7, 1, v[18:19]
	;; [unrolled: 1-line block ×4, first 2 shown]
	s_delay_alu instid0(VALU_DEP_4) | instskip(NEXT) | instid1(SALU_CYCLE_1)
	s_and_b32 s6, vcc_lo, s6
	v_cndmask_b32_e64 v18, 0, 1, s6
	s_delay_alu instid0(VALU_DEP_4) | instskip(NEXT) | instid1(SALU_CYCLE_1)
	s_and_b32 s6, vcc_lo, s7
	v_cndmask_b32_e64 v31, 0, 1, s6
	s_and_b32 s6, vcc_lo, s8
	s_delay_alu instid0(SALU_CYCLE_1)
	v_cndmask_b32_e64 v32, 0, 1, s6
	s_and_b32 s6, vcc_lo, s9
	v_cmp_ne_u32_e32 vcc_lo, 0, v18
	v_cndmask_b32_e64 v33, 0, 1, s6
	v_cmp_ne_u32_e64 s6, 0, v31
	v_cmp_ne_u32_e64 s7, 0, v32
	s_bcnt1_i32_b32 s9, vcc_lo
	s_delay_alu instid0(VALU_DEP_3)
	v_cmp_ne_u32_e64 s8, 0, v33
	v_add_co_u32 v8, vcc_lo, v8, s9
	s_bcnt1_i32_b32 s6, s6
	v_add_co_ci_u32_e32 v9, vcc_lo, 0, v9, vcc_lo
	v_add_co_u32 v10, vcc_lo, v10, s6
	s_bcnt1_i32_b32 s7, s7
	v_add_co_ci_u32_e32 v11, vcc_lo, 0, v11, vcc_lo
	v_add_co_u32 v12, vcc_lo, v12, s7
	s_bcnt1_i32_b32 s8, s8
	v_add_co_ci_u32_e32 v13, vcc_lo, 0, v13, vcc_lo
	v_add_co_u32 v14, vcc_lo, v14, s8
	v_add_co_ci_u32_e32 v15, vcc_lo, 0, v15, vcc_lo
	s_or_b32 s13, s5, s13
	s_delay_alu instid0(SALU_CYCLE_1)
	s_and_not1_b32 exec_lo, exec_lo, s13
	s_cbranch_execnz .LBB45_75
; %bb.76:                               ;   in Loop: Header=BB45_17 Depth=1
	s_or_b32 exec_lo, exec_lo, s13
.LBB45_77:                              ;   in Loop: Header=BB45_17 Depth=1
	s_delay_alu instid0(SALU_CYCLE_1)
	s_or_b32 exec_lo, exec_lo, s12
.LBB45_78:                              ;   in Loop: Header=BB45_17 Depth=1
	s_lshl_b32 s5, s97, 7
	s_and_saveexec_b32 s6, s1
	s_cbranch_execz .LBB45_80
; %bb.79:                               ;   in Loop: Header=BB45_17 Depth=1
	v_or_b32_e32 v2, s5, v38
	s_delay_alu instid0(VALU_DEP_1)
	v_lshlrev_b32_e32 v2, 3, v2
	ds_store_b128 v2, v[8:11] offset:3072
	ds_store_b128 v2, v[12:15] offset:3088
.LBB45_80:                              ;   in Loop: Header=BB45_17 Depth=1
	s_or_b32 exec_lo, exec_lo, s6
	s_waitcnt vmcnt(0) lgkmcnt(0)
	s_barrier
	buffer_gl0_inv
	s_and_saveexec_b32 s6, s33
	s_cbranch_execz .LBB45_91
; %bb.81:                               ;   in Loop: Header=BB45_17 Depth=1
	v_mov_b32_e32 v4, 0
	v_mov_b32_e32 v5, 0
	s_and_not1_b32 vcc_lo, exec_lo, s89
	s_cbranch_vccnz .LBB45_90
; %bb.82:                               ;   in Loop: Header=BB45_17 Depth=1
	v_mov_b32_e32 v4, 0
	v_mov_b32_e32 v5, 0
	s_and_not1_b32 vcc_lo, exec_lo, s87
	s_cbranch_vccnz .LBB45_87
; %bb.83:                               ;   in Loop: Header=BB45_17 Depth=1
	v_lshl_add_u32 v2, s97, 10, v44
	s_mov_b32 s7, 0
	s_set_inst_prefetch_distance 0x1
	.p2align	6
.LBB45_84:                              ;   Parent Loop BB45_17 Depth=1
                                        ; =>  This Inner Loop Header: Depth=2
	ds_load_2addr_b64 v[8:11], v2 offset1:4
	ds_load_2addr_b64 v[12:15], v2 offset0:8 offset1:12
	ds_load_2addr_b64 v[29:32], v2 offset0:16 offset1:20
	s_add_i32 s7, s7, 8
	s_delay_alu instid0(SALU_CYCLE_1) | instskip(SKIP_3) | instid1(VALU_DEP_2)
	s_cmp_eq_u32 s88, s7
	s_waitcnt lgkmcnt(2)
	v_add_co_u32 v4, vcc_lo, v8, v4
	v_add_co_ci_u32_e32 v5, vcc_lo, v9, v5, vcc_lo
	v_add_co_u32 v4, vcc_lo, v10, v4
	s_delay_alu instid0(VALU_DEP_2)
	v_add_co_ci_u32_e32 v5, vcc_lo, v11, v5, vcc_lo
	ds_load_2addr_b64 v[8:11], v2 offset0:24 offset1:28
	s_waitcnt lgkmcnt(2)
	v_add_co_u32 v4, vcc_lo, v12, v4
	v_add_co_ci_u32_e32 v5, vcc_lo, v13, v5, vcc_lo
	v_add_nc_u32_e32 v2, 0x100, v2
	s_delay_alu instid0(VALU_DEP_3) | instskip(NEXT) | instid1(VALU_DEP_3)
	v_add_co_u32 v4, vcc_lo, v14, v4
	v_add_co_ci_u32_e32 v5, vcc_lo, v15, v5, vcc_lo
	s_waitcnt lgkmcnt(1)
	s_delay_alu instid0(VALU_DEP_2) | instskip(NEXT) | instid1(VALU_DEP_2)
	v_add_co_u32 v4, vcc_lo, v29, v4
	v_add_co_ci_u32_e32 v5, vcc_lo, v30, v5, vcc_lo
	s_delay_alu instid0(VALU_DEP_2) | instskip(NEXT) | instid1(VALU_DEP_2)
	v_add_co_u32 v4, vcc_lo, v31, v4
	v_add_co_ci_u32_e32 v5, vcc_lo, v32, v5, vcc_lo
	s_waitcnt lgkmcnt(0)
	s_delay_alu instid0(VALU_DEP_2) | instskip(NEXT) | instid1(VALU_DEP_2)
	v_add_co_u32 v4, vcc_lo, v8, v4
	v_add_co_ci_u32_e32 v5, vcc_lo, v9, v5, vcc_lo
	s_delay_alu instid0(VALU_DEP_2) | instskip(NEXT) | instid1(VALU_DEP_2)
	v_add_co_u32 v4, vcc_lo, v10, v4
	v_add_co_ci_u32_e32 v5, vcc_lo, v11, v5, vcc_lo
	s_cbranch_scc0 .LBB45_84
; %bb.85:                               ;   in Loop: Header=BB45_17 Depth=1
	s_set_inst_prefetch_distance 0x2
	s_mov_b32 s7, s88
	s_and_not1_b32 vcc_lo, exec_lo, s90
	s_cbranch_vccz .LBB45_88
	s_branch .LBB45_90
.LBB45_86:                              ;   in Loop: Header=BB45_17 Depth=1
                                        ; implicit-def: $vgpr4_vgpr5
	s_branch .LBB45_54
.LBB45_87:                              ;   in Loop: Header=BB45_17 Depth=1
	s_mov_b32 s7, 0
	s_and_not1_b32 vcc_lo, exec_lo, s90
	s_cbranch_vccnz .LBB45_90
.LBB45_88:                              ;   in Loop: Header=BB45_17 Depth=1
	s_lshl_b32 s8, s97, 10
	s_lshl_b32 s7, s7, 5
	s_delay_alu instid0(SALU_CYCLE_1)
	v_add3_u32 v2, s8, s7, v44
	s_mov_b32 s7, s86
.LBB45_89:                              ;   Parent Loop BB45_17 Depth=1
                                        ; =>  This Inner Loop Header: Depth=2
	ds_load_b64 v[8:9], v2
	v_add_nc_u32_e32 v2, 32, v2
	s_add_i32 s7, s7, -1
	s_delay_alu instid0(SALU_CYCLE_1)
	s_cmp_lg_u32 s7, 0
	s_waitcnt lgkmcnt(0)
	v_add_co_u32 v4, vcc_lo, v8, v4
	v_add_co_ci_u32_e32 v5, vcc_lo, v9, v5, vcc_lo
	s_cbranch_scc1 .LBB45_89
.LBB45_90:                              ;   in Loop: Header=BB45_17 Depth=1
	v_add_lshl_u32 v2, s5, v35, 3
	ds_store_b64 v2, v[4:5] offset:3072
.LBB45_91:                              ;   in Loop: Header=BB45_17 Depth=1
	s_or_b32 exec_lo, exec_lo, s6
	s_lshl_b32 s5, s5, 3
	s_waitcnt lgkmcnt(0)
	v_mov_b32_e32 v2, s5
	s_barrier
	buffer_gl0_inv
	s_and_b32 s23, s95, 0xfe
	s_mov_b32 s56, -1
	ds_load_b128 v[8:11], v2 offset:3072
	ds_load_b128 v[12:15], v2 offset:3088
	s_lshl_b64 s[8:9], 3, s23
	s_delay_alu instid0(SALU_CYCLE_1)
	s_not_b64 s[12:13], s[8:9]
	s_waitcnt lgkmcnt(1)
	v_readfirstlane_b32 s17, v9
	v_readfirstlane_b32 s16, v8
	;; [unrolled: 1-line block ×4, first 2 shown]
	s_waitcnt lgkmcnt(0)
	v_readfirstlane_b32 s10, v12
	v_readfirstlane_b32 s11, v13
	s_cmp_eq_u64 s[16:17], 1
	v_readfirstlane_b32 s6, v14
	s_cselect_b32 s5, -1, 0
	s_cmp_eq_u64 s[38:39], 1
	s_cselect_b32 s7, -1, 0
	s_delay_alu instid0(SALU_CYCLE_1)
	s_and_b32 s72, s5, s7
	v_readfirstlane_b32 s7, v15
	s_and_b32 vcc_lo, exec_lo, s72
	s_cbranch_vccz .LBB45_106
; %bb.92:                               ;   in Loop: Header=BB45_17 Depth=1
	ds_load_b64 v[4:5], v19 offset:5120
	s_waitcnt lgkmcnt(0)
	s_barrier
	buffer_gl0_inv
	v_readfirstlane_b32 s18, v4
	v_readfirstlane_b32 s19, v5
	s_and_saveexec_b32 s5, s3
	s_cbranch_execz .LBB45_94
; %bb.93:                               ;   in Loop: Header=BB45_17 Depth=1
	v_mov_b32_e32 v18, v19
	ds_store_b64 v37, v[18:19]
.LBB45_94:                              ;   in Loop: Header=BB45_17 Depth=1
	s_or_b32 exec_lo, exec_lo, s5
	s_delay_alu instid0(VALU_DEP_1)
	v_cmp_lt_i64_e64 s5, s[18:19], 1
	s_and_b64 s[68:69], s[68:69], s[12:13]
	s_or_b64 s[70:71], s[70:71], s[8:9]
	s_waitcnt lgkmcnt(0)
	s_barrier
	buffer_gl0_inv
	s_and_b32 vcc_lo, exec_lo, s5
	s_cbranch_vccz .LBB45_107
; %bb.95:                               ;   in Loop: Header=BB45_17 Depth=1
	s_mov_b32 s24, s57
	s_delay_alu instid0(SALU_CYCLE_1)
	s_cmp_lg_u64 s[24:25], 0
	s_cbranch_scc0 .LBB45_152
; %bb.96:                               ;   in Loop: Header=BB45_17 Depth=1
	v_cvt_f32_u32_e32 v2, s27
	s_sub_u32 s21, 0, s27
	s_subb_u32 s22, 0, 0
	s_delay_alu instid0(VALU_DEP_1) | instskip(NEXT) | instid1(VALU_DEP_1)
	v_fmac_f32_e32 v2, 0x4f800000, v45
	v_rcp_f32_e32 v2, v2
	s_waitcnt_depctr 0xfff
	v_mul_f32_e32 v2, 0x5f7ffffc, v2
	s_delay_alu instid0(VALU_DEP_1) | instskip(NEXT) | instid1(VALU_DEP_1)
	v_mul_f32_e32 v4, 0x2f800000, v2
	v_trunc_f32_e32 v4, v4
	s_delay_alu instid0(VALU_DEP_1) | instskip(SKIP_1) | instid1(VALU_DEP_2)
	v_fmac_f32_e32 v2, 0xcf800000, v4
	v_cvt_u32_f32_e32 v4, v4
	v_cvt_u32_f32_e32 v2, v2
	s_delay_alu instid0(VALU_DEP_2) | instskip(NEXT) | instid1(VALU_DEP_2)
	v_readfirstlane_b32 s5, v4
	v_readfirstlane_b32 s20, v2
	s_delay_alu instid0(VALU_DEP_2) | instskip(NEXT) | instid1(VALU_DEP_1)
	s_mul_i32 s24, s21, s5
	s_mul_hi_u32 s74, s21, s20
	s_mul_i32 s73, s22, s20
	s_add_i32 s24, s74, s24
	s_mul_i32 s75, s21, s20
	s_add_i32 s24, s24, s73
	s_mul_hi_u32 s74, s20, s75
	s_mul_hi_u32 s76, s5, s75
	s_mul_i32 s73, s5, s75
	s_mul_hi_u32 s75, s20, s24
	s_mul_i32 s20, s20, s24
	s_mul_hi_u32 s77, s5, s24
	s_add_u32 s20, s74, s20
	s_addc_u32 s74, 0, s75
	s_add_u32 s20, s20, s73
	s_mul_i32 s24, s5, s24
	s_addc_u32 s20, s74, s76
	s_addc_u32 s73, s77, 0
	s_add_u32 s20, s20, s24
	s_addc_u32 s24, 0, s73
	v_add_co_u32 v2, s20, v2, s20
	s_delay_alu instid0(VALU_DEP_1) | instskip(SKIP_1) | instid1(VALU_DEP_1)
	s_cmp_lg_u32 s20, 0
	s_addc_u32 s5, s5, s24
	v_readfirstlane_b32 s20, v2
	s_mul_i32 s24, s21, s5
	s_delay_alu instid0(VALU_DEP_1)
	s_mul_hi_u32 s73, s21, s20
	s_mul_i32 s22, s22, s20
	s_add_i32 s24, s73, s24
	s_mul_i32 s21, s21, s20
	s_add_i32 s24, s24, s22
	s_mul_hi_u32 s73, s5, s21
	s_mul_i32 s74, s5, s21
	s_mul_hi_u32 s21, s20, s21
	s_mul_hi_u32 s75, s20, s24
	s_mul_i32 s20, s20, s24
	s_mul_hi_u32 s22, s5, s24
	s_add_u32 s20, s21, s20
	s_addc_u32 s21, 0, s75
	s_add_u32 s20, s20, s74
	s_mul_i32 s24, s5, s24
	s_addc_u32 s20, s21, s73
	s_addc_u32 s21, s22, 0
	s_add_u32 s20, s20, s24
	s_addc_u32 s21, 0, s21
	v_add_co_u32 v2, s20, v2, s20
	s_delay_alu instid0(VALU_DEP_1) | instskip(SKIP_2) | instid1(VALU_DEP_1)
	s_cmp_lg_u32 s20, 0
	s_addc_u32 s5, s5, s21
	s_ashr_i32 s20, s25, 31
	v_readfirstlane_b32 s22, v2
	s_add_u32 s74, s85, s20
	s_mov_b32 s21, s20
	s_addc_u32 s75, s25, s20
	s_delay_alu instid0(SALU_CYCLE_1) | instskip(NEXT) | instid1(SALU_CYCLE_1)
	s_xor_b64 s[74:75], s[74:75], s[20:21]
	s_mul_i32 s24, s74, s5
	s_mul_hi_u32 s73, s74, s22
	s_mul_hi_u32 s21, s74, s5
	;; [unrolled: 1-line block ×3, first 2 shown]
	s_mul_i32 s22, s75, s22
	s_add_u32 s24, s73, s24
	s_addc_u32 s21, 0, s21
	s_mul_hi_u32 s76, s75, s5
	s_add_u32 s22, s24, s22
	s_mul_i32 s5, s75, s5
	s_addc_u32 s21, s21, s77
	s_addc_u32 s22, s76, 0
	s_add_u32 s5, s21, s5
	s_addc_u32 s21, 0, s22
	s_mul_hi_u32 s22, s27, s5
	s_mul_i32 s5, s27, s5
	s_mul_i32 s21, s27, s21
	v_sub_co_u32 v2, s5, s74, s5
	s_add_i32 s22, s22, s21
	s_cmp_lg_u32 s5, 0
	s_delay_alu instid0(VALU_DEP_1) | instskip(SKIP_2) | instid1(VALU_DEP_1)
	v_sub_co_u32 v4, s5, v2, s27
	s_subb_u32 s21, s75, s22
	s_cmp_lg_u32 s5, 0
	v_cmp_le_u32_e32 vcc_lo, s27, v4
	v_sub_co_u32 v5, s5, v4, s27
	s_subb_u32 s22, s21, 0
	s_cmp_lg_u32 s5, 0
	v_cndmask_b32_e64 v6, 0, -1, vcc_lo
	s_subb_u32 s5, s22, 0
	s_cmp_eq_u32 s22, 0
	v_mov_b32_e32 v8, s5
	s_cselect_b32 vcc_lo, -1, 0
	s_cmp_eq_u32 s21, 0
	v_cndmask_b32_e32 v6, -1, v6, vcc_lo
	v_cmp_le_u32_e32 vcc_lo, s27, v2
	s_cselect_b32 s5, -1, 0
	v_cndmask_b32_e64 v7, 0, -1, vcc_lo
	s_delay_alu instid0(VALU_DEP_3) | instskip(NEXT) | instid1(VALU_DEP_2)
	v_cmp_ne_u32_e32 vcc_lo, 0, v6
	v_cndmask_b32_e64 v6, -1, v7, s5
	v_cndmask_b32_e32 v7, s22, v8, vcc_lo
	v_cndmask_b32_e32 v4, v4, v5, vcc_lo
	s_delay_alu instid0(VALU_DEP_3) | instskip(NEXT) | instid1(VALU_DEP_2)
	v_cmp_ne_u32_e32 vcc_lo, 0, v6
	v_cndmask_b32_e32 v2, v2, v4, vcc_lo
	s_delay_alu instid0(VALU_DEP_4) | instskip(NEXT) | instid1(VALU_DEP_2)
	v_cndmask_b32_e32 v5, s21, v7, vcc_lo
	v_xor_b32_e32 v2, s20, v2
	s_delay_alu instid0(VALU_DEP_2) | instskip(NEXT) | instid1(VALU_DEP_2)
	v_xor_b32_e32 v5, s20, v5
	v_sub_co_u32 v4, vcc_lo, v2, s20
	s_delay_alu instid0(VALU_DEP_2)
	v_subrev_co_ci_u32_e32 v5, vcc_lo, s20, v5, vcc_lo
	s_cbranch_execnz .LBB45_98
.LBB45_97:                              ;   in Loop: Header=BB45_17 Depth=1
	v_cvt_f32_u32_e32 v2, s27
	s_sub_i32 s5, 0, s27
	s_delay_alu instid0(VALU_DEP_1) | instskip(SKIP_2) | instid1(VALU_DEP_1)
	v_rcp_iflag_f32_e32 v2, v2
	s_waitcnt_depctr 0xfff
	v_mul_f32_e32 v2, 0x4f7ffffe, v2
	v_cvt_u32_f32_e32 v2, v2
	s_delay_alu instid0(VALU_DEP_1) | instskip(NEXT) | instid1(VALU_DEP_1)
	v_mul_lo_u32 v4, s5, v2
	v_mul_hi_u32 v4, v2, v4
	s_delay_alu instid0(VALU_DEP_1) | instskip(NEXT) | instid1(VALU_DEP_1)
	v_add_nc_u32_e32 v2, v2, v4
	v_mul_hi_u32 v2, s85, v2
	s_delay_alu instid0(VALU_DEP_1) | instskip(NEXT) | instid1(VALU_DEP_1)
	v_mul_lo_u32 v2, v2, s27
	v_sub_nc_u32_e32 v2, s85, v2
	s_delay_alu instid0(VALU_DEP_1) | instskip(SKIP_1) | instid1(VALU_DEP_2)
	v_subrev_nc_u32_e32 v4, s27, v2
	v_cmp_le_u32_e32 vcc_lo, s27, v2
	v_cndmask_b32_e32 v2, v2, v4, vcc_lo
	s_delay_alu instid0(VALU_DEP_1) | instskip(SKIP_1) | instid1(VALU_DEP_2)
	v_subrev_nc_u32_e32 v4, s27, v2
	v_cmp_le_u32_e32 vcc_lo, s27, v2
	v_cndmask_b32_e32 v18, v2, v4, vcc_lo
	s_delay_alu instid0(VALU_DEP_1)
	v_dual_mov_b32 v4, v18 :: v_dual_mov_b32 v5, v19
.LBB45_98:                              ;   in Loop: Header=BB45_17 Depth=1
	s_delay_alu instid0(VALU_DEP_1) | instskip(NEXT) | instid1(VALU_DEP_2)
	v_sub_co_u32 v8, vcc_lo, s85, v4
	v_sub_co_ci_u32_e32 v9, vcc_lo, s25, v5, vcc_lo
	s_mov_b32 s5, 0
	s_mov_b32 s20, exec_lo
                                        ; implicit-def: $vgpr6_vgpr7
	s_delay_alu instid0(VALU_DEP_1)
	v_cmpx_gt_i64_e64 v[8:9], v[0:1]
	s_cbranch_execz .LBB45_109
; %bb.99:                               ;   in Loop: Header=BB45_17 Depth=1
	v_dual_mov_b32 v10, v16 :: v_dual_mov_b32 v11, v17
	v_dual_mov_b32 v13, v1 :: v_dual_mov_b32 v12, v0
	s_mov_b32 s22, 0
                                        ; implicit-def: $sgpr21
	s_branch .LBB45_101
.LBB45_100:                             ;   in Loop: Header=BB45_101 Depth=2
	s_or_b32 exec_lo, exec_lo, s5
	s_waitcnt vmcnt(0) lgkmcnt(0)
	s_barrier
	buffer_gl0_inv
	ds_load_b128 v[4:7], v19 offset:3072
	v_add_co_u32 v12, s5, v12, s27
	s_delay_alu instid0(VALU_DEP_1)
	v_add_co_ci_u32_e64 v13, s5, 0, v13, s5
	s_waitcnt lgkmcnt(0)
	s_barrier
	buffer_gl0_inv
	v_cmp_ge_i64_e64 s5, v[12:13], v[8:9]
	v_cmp_neq_f64_e32 vcc_lo, 0, v[4:5]
	s_delay_alu instid0(VALU_DEP_2) | instskip(NEXT) | instid1(SALU_CYCLE_1)
	s_or_b32 s5, vcc_lo, s5
	s_and_b32 s24, exec_lo, s5
	v_add_co_u32 v10, s5, v10, s58
	s_delay_alu instid0(VALU_DEP_1) | instskip(SKIP_3) | instid1(SALU_CYCLE_1)
	v_add_co_ci_u32_e64 v11, s5, s59, v11, s5
	s_or_b32 s22, s24, s22
	s_and_not1_b32 s5, s21, exec_lo
	s_and_b32 s21, vcc_lo, exec_lo
	s_or_b32 s21, s5, s21
	s_and_not1_b32 exec_lo, exec_lo, s22
	s_cbranch_execz .LBB45_108
.LBB45_101:                             ;   Parent Loop BB45_17 Depth=1
                                        ; =>  This Inner Loop Header: Depth=2
	s_delay_alu instid0(VALU_DEP_1)
	v_cmp_gt_i64_e32 vcc_lo, s[36:37], v[12:13]
	v_mov_b32_e32 v4, 0
	v_mov_b32_e32 v5, 0
	s_and_saveexec_b32 s5, vcc_lo
	s_cbranch_execz .LBB45_103
; %bb.102:                              ;   in Loop: Header=BB45_101 Depth=2
	global_load_b64 v[4:5], v[10:11], off
.LBB45_103:                             ;   in Loop: Header=BB45_101 Depth=2
	s_or_b32 exec_lo, exec_lo, s5
	s_and_saveexec_b32 s5, vcc_lo
	s_cbranch_execz .LBB45_100
; %bb.104:                              ;   in Loop: Header=BB45_101 Depth=2
	s_waitcnt vmcnt(0)
	v_cmp_o_f64_e32 vcc_lo, v[4:5], v[4:5]
	v_ashrrev_i32_e32 v2, 31, v5
	s_delay_alu instid0(VALU_DEP_1) | instskip(SKIP_1) | instid1(VALU_DEP_2)
	v_or_b32_e32 v6, 0x80000000, v2
	v_xor_b32_e32 v2, v2, v4
	v_xor_b32_e32 v6, v6, v5
	s_delay_alu instid0(VALU_DEP_1) | instskip(NEXT) | instid1(VALU_DEP_3)
	v_cndmask_b32_e32 v6, -1, v6, vcc_lo
	v_cndmask_b32_e32 v2, -1, v2, vcc_lo
	s_delay_alu instid0(VALU_DEP_2) | instskip(NEXT) | instid1(VALU_DEP_2)
	v_and_b32_e32 v7, s71, v6
	v_and_b32_e32 v6, s70, v2
	s_delay_alu instid0(VALU_DEP_1)
	v_cmp_eq_u64_e32 vcc_lo, s[68:69], v[6:7]
	s_and_b32 exec_lo, exec_lo, vcc_lo
	s_cbranch_execz .LBB45_100
; %bb.105:                              ;   in Loop: Header=BB45_101 Depth=2
	v_mov_b32_e32 v2, v19
	ds_store_b128 v19, v[2:5] offset:3072
	s_branch .LBB45_100
.LBB45_106:                             ;   in Loop: Header=BB45_17 Depth=1
	s_mov_b32 s5, -1
                                        ; implicit-def: $sgpr20
                                        ; implicit-def: $sgpr22
                                        ; implicit-def: $sgpr21
	s_branch .LBB45_123
.LBB45_107:                             ;   in Loop: Header=BB45_17 Depth=1
	s_mov_b32 s20, -1
	s_mov_b32 s5, 0
                                        ; implicit-def: $sgpr21
                                        ; implicit-def: $vgpr6_vgpr7
	s_mov_b32 s22, s20
	s_cbranch_execnz .LBB45_110
	s_branch .LBB45_123
.LBB45_108:                             ;   in Loop: Header=BB45_17 Depth=1
	s_or_b32 exec_lo, exec_lo, s22
	s_delay_alu instid0(SALU_CYCLE_1)
	s_and_b32 s5, s21, exec_lo
.LBB45_109:                             ;   in Loop: Header=BB45_17 Depth=1
	s_or_b32 exec_lo, exec_lo, s20
	s_mov_b32 s21, -1
	s_mov_b32 s20, 0
	s_delay_alu instid0(SALU_CYCLE_1)
	s_mov_b32 s22, s20
	s_branch .LBB45_123
.LBB45_110:                             ;   in Loop: Header=BB45_17 Depth=1
	s_add_u32 s22, s83, s18
	s_addc_u32 s21, s84, s19
	s_mov_b32 s20, s57
	s_delay_alu instid0(SALU_CYCLE_1)
	s_cmp_lg_u64 s[20:21], 0
	s_cbranch_scc0 .LBB45_153
; %bb.111:                              ;   in Loop: Header=BB45_17 Depth=1
	v_cvt_f32_u32_e32 v2, s27
	s_sub_u32 s24, 0, s27
	s_subb_u32 s73, 0, 0
	s_delay_alu instid0(VALU_DEP_1) | instskip(NEXT) | instid1(VALU_DEP_1)
	v_fmac_f32_e32 v2, 0x4f800000, v45
	v_rcp_f32_e32 v2, v2
	s_waitcnt_depctr 0xfff
	v_mul_f32_e32 v2, 0x5f7ffffc, v2
	s_delay_alu instid0(VALU_DEP_1) | instskip(NEXT) | instid1(VALU_DEP_1)
	v_mul_f32_e32 v4, 0x2f800000, v2
	v_trunc_f32_e32 v4, v4
	s_delay_alu instid0(VALU_DEP_1) | instskip(SKIP_1) | instid1(VALU_DEP_2)
	v_fmac_f32_e32 v2, 0xcf800000, v4
	v_cvt_u32_f32_e32 v4, v4
	v_cvt_u32_f32_e32 v2, v2
	s_delay_alu instid0(VALU_DEP_2) | instskip(NEXT) | instid1(VALU_DEP_2)
	v_readfirstlane_b32 s5, v4
	v_readfirstlane_b32 s20, v2
	s_delay_alu instid0(VALU_DEP_2) | instskip(NEXT) | instid1(VALU_DEP_1)
	s_mul_i32 s74, s24, s5
	s_mul_hi_u32 s76, s24, s20
	s_mul_i32 s75, s73, s20
	s_add_i32 s74, s76, s74
	s_mul_i32 s77, s24, s20
	s_add_i32 s74, s74, s75
	s_mul_hi_u32 s76, s20, s77
	s_mul_hi_u32 s78, s5, s77
	s_mul_i32 s75, s5, s77
	s_mul_hi_u32 s77, s20, s74
	s_mul_i32 s20, s20, s74
	s_mul_hi_u32 s79, s5, s74
	s_add_u32 s20, s76, s20
	s_addc_u32 s76, 0, s77
	s_add_u32 s20, s20, s75
	s_mul_i32 s74, s5, s74
	s_addc_u32 s20, s76, s78
	s_addc_u32 s75, s79, 0
	s_add_u32 s20, s20, s74
	s_addc_u32 s74, 0, s75
	v_add_co_u32 v2, s20, v2, s20
	s_delay_alu instid0(VALU_DEP_1) | instskip(SKIP_1) | instid1(VALU_DEP_1)
	s_cmp_lg_u32 s20, 0
	s_addc_u32 s5, s5, s74
	v_readfirstlane_b32 s20, v2
	s_mul_i32 s74, s24, s5
	s_delay_alu instid0(VALU_DEP_1)
	s_mul_hi_u32 s75, s24, s20
	s_mul_i32 s73, s73, s20
	s_add_i32 s74, s75, s74
	s_mul_i32 s24, s24, s20
	s_add_i32 s74, s74, s73
	s_mul_hi_u32 s75, s5, s24
	s_mul_i32 s76, s5, s24
	s_mul_hi_u32 s24, s20, s24
	s_mul_hi_u32 s77, s20, s74
	s_mul_i32 s20, s20, s74
	s_mul_hi_u32 s73, s5, s74
	s_add_u32 s20, s24, s20
	s_addc_u32 s24, 0, s77
	s_add_u32 s20, s20, s76
	s_mul_i32 s74, s5, s74
	s_addc_u32 s20, s24, s75
	s_addc_u32 s24, s73, 0
	s_add_u32 s20, s20, s74
	s_addc_u32 s24, 0, s24
	v_add_co_u32 v2, s20, v2, s20
	s_delay_alu instid0(VALU_DEP_1) | instskip(SKIP_2) | instid1(VALU_DEP_1)
	s_cmp_lg_u32 s20, 0
	s_addc_u32 s5, s5, s24
	s_ashr_i32 s74, s21, 31
	v_readfirstlane_b32 s20, v2
	s_add_u32 s76, s22, s74
	s_mov_b32 s75, s74
	s_addc_u32 s77, s21, s74
	s_delay_alu instid0(SALU_CYCLE_1) | instskip(NEXT) | instid1(SALU_CYCLE_1)
	s_xor_b64 s[76:77], s[76:77], s[74:75]
	s_mul_i32 s73, s76, s5
	s_mul_hi_u32 s75, s76, s20
	s_mul_hi_u32 s24, s76, s5
	;; [unrolled: 1-line block ×3, first 2 shown]
	s_mul_i32 s20, s77, s20
	s_add_u32 s73, s75, s73
	s_addc_u32 s24, 0, s24
	s_mul_hi_u32 s78, s77, s5
	s_add_u32 s20, s73, s20
	s_mul_i32 s5, s77, s5
	s_addc_u32 s20, s24, s79
	s_addc_u32 s24, s78, 0
	s_add_u32 s5, s20, s5
	s_addc_u32 s20, 0, s24
	s_mul_hi_u32 s24, s27, s5
	s_mul_i32 s5, s27, s5
	s_mul_i32 s20, s27, s20
	v_sub_co_u32 v2, s5, s76, s5
	s_add_i32 s24, s24, s20
	s_cmp_lg_u32 s5, 0
	s_delay_alu instid0(VALU_DEP_1) | instskip(SKIP_2) | instid1(VALU_DEP_1)
	v_sub_co_u32 v4, s5, v2, s27
	s_subb_u32 s20, s77, s24
	s_cmp_lg_u32 s5, 0
	v_cmp_le_u32_e32 vcc_lo, s27, v4
	v_sub_co_u32 v5, s5, v4, s27
	s_subb_u32 s24, s20, 0
	s_cmp_lg_u32 s5, 0
	v_cndmask_b32_e64 v6, 0, -1, vcc_lo
	s_subb_u32 s5, s24, 0
	s_cmp_eq_u32 s24, 0
	v_mov_b32_e32 v8, s5
	s_cselect_b32 vcc_lo, -1, 0
	s_cmp_eq_u32 s20, 0
	v_cndmask_b32_e32 v6, -1, v6, vcc_lo
	v_cmp_le_u32_e32 vcc_lo, s27, v2
	s_cselect_b32 s5, -1, 0
	v_cndmask_b32_e64 v7, 0, -1, vcc_lo
	s_delay_alu instid0(VALU_DEP_3) | instskip(NEXT) | instid1(VALU_DEP_2)
	v_cmp_ne_u32_e32 vcc_lo, 0, v6
	v_cndmask_b32_e64 v6, -1, v7, s5
	v_cndmask_b32_e32 v7, s24, v8, vcc_lo
	v_cndmask_b32_e32 v4, v4, v5, vcc_lo
	s_delay_alu instid0(VALU_DEP_3) | instskip(NEXT) | instid1(VALU_DEP_2)
	v_cmp_ne_u32_e32 vcc_lo, 0, v6
	v_cndmask_b32_e32 v2, v2, v4, vcc_lo
	s_delay_alu instid0(VALU_DEP_4) | instskip(NEXT) | instid1(VALU_DEP_2)
	v_cndmask_b32_e32 v5, s20, v7, vcc_lo
	v_xor_b32_e32 v2, s74, v2
	s_delay_alu instid0(VALU_DEP_2) | instskip(NEXT) | instid1(VALU_DEP_2)
	v_xor_b32_e32 v5, s74, v5
	v_sub_co_u32 v4, vcc_lo, v2, s74
	s_delay_alu instid0(VALU_DEP_2)
	v_subrev_co_ci_u32_e32 v5, vcc_lo, s74, v5, vcc_lo
	s_cbranch_execnz .LBB45_113
.LBB45_112:                             ;   in Loop: Header=BB45_17 Depth=1
	v_cvt_f32_u32_e32 v2, s27
	s_sub_i32 s5, 0, s27
	s_delay_alu instid0(VALU_DEP_1) | instskip(SKIP_2) | instid1(VALU_DEP_1)
	v_rcp_iflag_f32_e32 v2, v2
	s_waitcnt_depctr 0xfff
	v_mul_f32_e32 v2, 0x4f7ffffe, v2
	v_cvt_u32_f32_e32 v2, v2
	s_delay_alu instid0(VALU_DEP_1) | instskip(NEXT) | instid1(VALU_DEP_1)
	v_mul_lo_u32 v4, s5, v2
	v_mul_hi_u32 v4, v2, v4
	s_delay_alu instid0(VALU_DEP_1) | instskip(NEXT) | instid1(VALU_DEP_1)
	v_add_nc_u32_e32 v2, v2, v4
	v_mul_hi_u32 v2, s22, v2
	s_delay_alu instid0(VALU_DEP_1) | instskip(NEXT) | instid1(VALU_DEP_1)
	v_mul_lo_u32 v2, v2, s27
	v_sub_nc_u32_e32 v2, s22, v2
	s_delay_alu instid0(VALU_DEP_1) | instskip(SKIP_1) | instid1(VALU_DEP_2)
	v_subrev_nc_u32_e32 v4, s27, v2
	v_cmp_le_u32_e32 vcc_lo, s27, v2
	v_cndmask_b32_e32 v2, v2, v4, vcc_lo
	s_delay_alu instid0(VALU_DEP_1) | instskip(SKIP_1) | instid1(VALU_DEP_2)
	v_subrev_nc_u32_e32 v4, s27, v2
	v_cmp_le_u32_e32 vcc_lo, s27, v2
	v_cndmask_b32_e32 v18, v2, v4, vcc_lo
	s_delay_alu instid0(VALU_DEP_1)
	v_dual_mov_b32 v4, v18 :: v_dual_mov_b32 v5, v19
.LBB45_113:                             ;   in Loop: Header=BB45_17 Depth=1
	s_delay_alu instid0(VALU_DEP_1) | instskip(NEXT) | instid1(VALU_DEP_2)
	v_sub_co_u32 v8, vcc_lo, s22, v4
	v_sub_co_ci_u32_e32 v9, vcc_lo, s21, v5, vcc_lo
	s_mov_b32 s5, 0
	s_mov_b32 s20, exec_lo
                                        ; implicit-def: $vgpr6_vgpr7
	s_delay_alu instid0(VALU_DEP_1)
	v_cmpx_gt_i64_e64 v[8:9], v[0:1]
	s_cbranch_execz .LBB45_122
; %bb.114:                              ;   in Loop: Header=BB45_17 Depth=1
	v_dual_mov_b32 v12, v36 :: v_dual_mov_b32 v11, v1
	v_mov_b32_e32 v10, v0
	s_mov_b32 s22, 0
                                        ; implicit-def: $sgpr21
	s_set_inst_prefetch_distance 0x1
	s_branch .LBB45_116
	.p2align	6
.LBB45_115:                             ;   in Loop: Header=BB45_116 Depth=2
	s_or_b32 exec_lo, exec_lo, s5
	s_waitcnt lgkmcnt(0)
	s_barrier
	buffer_gl0_inv
	ds_load_b128 v[4:7], v19 offset:3072
	v_add_co_u32 v10, s5, v10, s27
	s_delay_alu instid0(VALU_DEP_1) | instskip(SKIP_3) | instid1(VALU_DEP_2)
	v_add_co_ci_u32_e64 v11, s5, 0, v11, s5
	v_add_nc_u32_e32 v12, s91, v12
	s_waitcnt lgkmcnt(0)
	s_barrier
	v_cmp_ge_i64_e64 s5, v[10:11], v[8:9]
	buffer_gl0_inv
	v_cmp_neq_f64_e32 vcc_lo, 0, v[4:5]
	s_or_b32 s5, vcc_lo, s5
	s_delay_alu instid0(SALU_CYCLE_1) | instskip(NEXT) | instid1(SALU_CYCLE_1)
	s_and_b32 s5, exec_lo, s5
	s_or_b32 s22, s5, s22
	s_and_not1_b32 s5, s21, exec_lo
	s_and_b32 s21, vcc_lo, exec_lo
	s_delay_alu instid0(SALU_CYCLE_1)
	s_or_b32 s21, s5, s21
	s_and_not1_b32 exec_lo, exec_lo, s22
	s_cbranch_execz .LBB45_121
.LBB45_116:                             ;   Parent Loop BB45_17 Depth=1
                                        ; =>  This Inner Loop Header: Depth=2
	s_delay_alu instid0(VALU_DEP_1)
	v_cmp_gt_i64_e32 vcc_lo, s[18:19], v[10:11]
	v_mov_b32_e32 v4, 0
	v_mov_b32_e32 v5, 0
	s_and_saveexec_b32 s5, vcc_lo
	s_cbranch_execz .LBB45_118
; %bb.117:                              ;   in Loop: Header=BB45_116 Depth=2
	ds_load_b64 v[4:5], v12
.LBB45_118:                             ;   in Loop: Header=BB45_116 Depth=2
	s_or_b32 exec_lo, exec_lo, s5
	s_and_saveexec_b32 s5, vcc_lo
	s_cbranch_execz .LBB45_115
; %bb.119:                              ;   in Loop: Header=BB45_116 Depth=2
	s_waitcnt lgkmcnt(0)
	v_cmp_o_f64_e32 vcc_lo, v[4:5], v[4:5]
	v_ashrrev_i32_e32 v2, 31, v5
	s_delay_alu instid0(VALU_DEP_1) | instskip(SKIP_1) | instid1(VALU_DEP_2)
	v_or_b32_e32 v6, 0x80000000, v2
	v_xor_b32_e32 v2, v2, v4
	v_xor_b32_e32 v6, v6, v5
	s_delay_alu instid0(VALU_DEP_1) | instskip(NEXT) | instid1(VALU_DEP_3)
	v_cndmask_b32_e32 v6, -1, v6, vcc_lo
	v_cndmask_b32_e32 v2, -1, v2, vcc_lo
	s_delay_alu instid0(VALU_DEP_2) | instskip(NEXT) | instid1(VALU_DEP_2)
	v_and_b32_e32 v7, s71, v6
	v_and_b32_e32 v6, s70, v2
	s_delay_alu instid0(VALU_DEP_1)
	v_cmp_eq_u64_e32 vcc_lo, s[68:69], v[6:7]
	s_and_b32 exec_lo, exec_lo, vcc_lo
	s_cbranch_execz .LBB45_115
; %bb.120:                              ;   in Loop: Header=BB45_116 Depth=2
	v_mov_b32_e32 v2, v19
	ds_store_b128 v19, v[2:5] offset:3072
	s_branch .LBB45_115
.LBB45_121:                             ;   in Loop: Header=BB45_17 Depth=1
	s_set_inst_prefetch_distance 0x2
	s_or_b32 exec_lo, exec_lo, s22
	s_delay_alu instid0(SALU_CYCLE_1)
	s_and_b32 s5, s21, exec_lo
.LBB45_122:                             ;   in Loop: Header=BB45_17 Depth=1
	s_or_b32 exec_lo, exec_lo, s20
	s_mov_b32 s22, -1
	s_mov_b32 s20, 0
	s_mov_b32 s21, 0
.LBB45_123:                             ;   in Loop: Header=BB45_17 Depth=1
	s_and_not1_b32 s18, s98, exec_lo
	s_and_b32 s19, s20, exec_lo
	s_and_not1_b32 s20, s99, exec_lo
	s_or_b32 s98, s18, s19
	s_and_not1_b32 s18, s100, exec_lo
	s_and_b32 s19, s22, exec_lo
	s_and_b32 s21, s21, exec_lo
	s_or_b32 s100, s18, s19
	s_or_b32 s99, s20, s21
	s_and_saveexec_b32 s22, s5
	s_cbranch_execz .LBB45_16
; %bb.124:                              ;   in Loop: Header=BB45_17 Depth=1
	s_xor_b32 s5, s72, -1
	s_delay_alu instid0(SALU_CYCLE_1)
	s_and_not1_b32 vcc_lo, exec_lo, s5
	s_mov_b32 s5, 1
	s_cbranch_vccnz .LBB45_135
; %bb.125:                              ;   in Loop: Header=BB45_17 Depth=1
	v_cmp_gt_i64_e64 s5, s[38:39], s[16:17]
	s_mov_b32 s24, -1
                                        ; implicit-def: $sgpr18_sgpr19
                                        ; implicit-def: $sgpr20_sgpr21
	s_delay_alu instid0(VALU_DEP_1)
	s_and_b32 vcc_lo, exec_lo, s5
                                        ; implicit-def: $sgpr5
	s_cbranch_vccnz .LBB45_131
; %bb.126:                              ;   in Loop: Header=BB45_17 Depth=1
	ds_load_b64 v[4:5], v19 offset:5120
	s_waitcnt lgkmcnt(0)
	v_cmp_ne_u64_e32 vcc_lo, 0, v[4:5]
	s_cbranch_vccnz .LBB45_130
; %bb.127:                              ;   in Loop: Header=BB45_17 Depth=1
	s_and_saveexec_b32 s5, s2
	s_cbranch_execz .LBB45_129
; %bb.128:                              ;   in Loop: Header=BB45_17 Depth=1
	v_dual_mov_b32 v4, s16 :: v_dual_mov_b32 v5, s17
	ds_store_b64 v19, v[4:5] offset:5128
.LBB45_129:                             ;   in Loop: Header=BB45_17 Depth=1
	s_or_b32 exec_lo, exec_lo, s5
	s_waitcnt lgkmcnt(0)
	s_barrier
	buffer_gl0_inv
.LBB45_130:                             ;   in Loop: Header=BB45_17 Depth=1
	s_and_b64 s[18:19], s[68:69], s[12:13]
	s_or_b64 s[20:21], s[70:71], s[8:9]
	s_mov_b32 s24, 0
	s_mov_b32 s5, 8
.LBB45_131:                             ;   in Loop: Header=BB45_17 Depth=1
	s_and_not1_b32 vcc_lo, exec_lo, s24
	s_cbranch_vccnz .LBB45_133
; %bb.132:                              ;   in Loop: Header=BB45_17 Depth=1
	s_sub_u32 s38, s38, s16
	s_subb_u32 s39, s39, s17
	s_mov_b32 s24, -1
	s_mov_b32 s5, 0
	s_mov_b64 s[18:19], s[68:69]
	s_mov_b64 s[20:21], s[70:71]
.LBB45_133:                             ;   in Loop: Header=BB45_17 Depth=1
	s_delay_alu instid0(SALU_CYCLE_1)
	s_mov_b64 s[70:71], s[20:21]
	s_mov_b64 s[68:69], s[18:19]
	s_and_b32 vcc_lo, exec_lo, s24
	s_mov_b32 s20, -1
	s_cbranch_vccnz .LBB45_136
.LBB45_134:                             ;   in Loop: Header=BB45_17 Depth=1
	s_mov_b32 s16, -1
                                        ; implicit-def: $sgpr21
                                        ; implicit-def: $sgpr72
                                        ; implicit-def: $sgpr56
	s_delay_alu instid0(SALU_CYCLE_1) | instskip(NEXT) | instid1(SALU_CYCLE_1)
	s_and_saveexec_b32 s6, s16
	s_xor_b32 s6, exec_lo, s6
	s_cbranch_execz .LBB45_15
	s_branch .LBB45_282
.LBB45_135:                             ;   in Loop: Header=BB45_17 Depth=1
	s_mov_b64 s[38:39], 1
	s_mov_b32 s20, -1
	s_branch .LBB45_134
.LBB45_136:                             ;   in Loop: Header=BB45_17 Depth=1
	s_cmp_eq_u64 s[14:15], 1
	s_mov_b32 s18, -1
	s_cselect_b32 s5, -1, 0
	s_cmp_eq_u64 s[38:39], 1
	s_cselect_b32 s16, -1, 0
	s_delay_alu instid0(SALU_CYCLE_1) | instskip(NEXT) | instid1(SALU_CYCLE_1)
	s_and_b32 s74, s5, s16
	s_and_b32 vcc_lo, exec_lo, s74
	s_cbranch_vccz .LBB45_151
; %bb.137:                              ;   in Loop: Header=BB45_17 Depth=1
	ds_load_b64 v[4:5], v19 offset:5120
	s_waitcnt lgkmcnt(0)
	s_barrier
	buffer_gl0_inv
	v_readfirstlane_b32 s16, v4
	v_readfirstlane_b32 s17, v5
	s_and_saveexec_b32 s5, s3
	s_cbranch_execz .LBB45_139
; %bb.138:                              ;   in Loop: Header=BB45_17 Depth=1
	v_mov_b32_e32 v18, v19
	ds_store_b64 v37, v[18:19]
.LBB45_139:                             ;   in Loop: Header=BB45_17 Depth=1
	s_or_b32 exec_lo, exec_lo, s5
	s_delay_alu instid0(VALU_DEP_1)
	v_cmp_gt_i64_e64 s5, s[16:17], 0
	s_lshl_b64 s[18:19], 1, s23
	s_and_b64 s[68:69], s[68:69], s[12:13]
	s_or_b64 s[70:71], s[70:71], s[8:9]
	s_or_b64 s[68:69], s[68:69], s[18:19]
	s_waitcnt lgkmcnt(0)
	s_and_b32 vcc_lo, exec_lo, s5
	s_barrier
	buffer_gl0_inv
	s_cbranch_vccnz .LBB45_154
; %bb.140:                              ;   in Loop: Header=BB45_17 Depth=1
	s_mov_b32 s24, s57
	s_delay_alu instid0(SALU_CYCLE_1)
	s_cmp_lg_u64 s[24:25], 0
	s_cbranch_scc0 .LBB45_199
; %bb.141:                              ;   in Loop: Header=BB45_17 Depth=1
	v_cvt_f32_u32_e32 v2, s27
	s_sub_u32 s19, 0, s27
	s_subb_u32 s21, 0, 0
	s_delay_alu instid0(VALU_DEP_1) | instskip(NEXT) | instid1(VALU_DEP_1)
	v_fmac_f32_e32 v2, 0x4f800000, v45
	v_rcp_f32_e32 v2, v2
	s_waitcnt_depctr 0xfff
	v_mul_f32_e32 v2, 0x5f7ffffc, v2
	s_delay_alu instid0(VALU_DEP_1) | instskip(NEXT) | instid1(VALU_DEP_1)
	v_mul_f32_e32 v4, 0x2f800000, v2
	v_trunc_f32_e32 v4, v4
	s_delay_alu instid0(VALU_DEP_1) | instskip(SKIP_1) | instid1(VALU_DEP_2)
	v_fmac_f32_e32 v2, 0xcf800000, v4
	v_cvt_u32_f32_e32 v4, v4
	v_cvt_u32_f32_e32 v2, v2
	s_delay_alu instid0(VALU_DEP_2) | instskip(NEXT) | instid1(VALU_DEP_2)
	v_readfirstlane_b32 s5, v4
	v_readfirstlane_b32 s18, v2
	s_delay_alu instid0(VALU_DEP_2) | instskip(NEXT) | instid1(VALU_DEP_1)
	s_mul_i32 s24, s19, s5
	s_mul_hi_u32 s72, s19, s18
	s_mul_i32 s56, s21, s18
	s_add_i32 s24, s72, s24
	s_mul_i32 s73, s19, s18
	s_add_i32 s24, s24, s56
	s_mul_hi_u32 s72, s18, s73
	s_mul_hi_u32 s75, s5, s73
	s_mul_i32 s56, s5, s73
	s_mul_hi_u32 s73, s18, s24
	s_mul_i32 s18, s18, s24
	s_mul_hi_u32 s76, s5, s24
	s_add_u32 s18, s72, s18
	s_addc_u32 s72, 0, s73
	s_add_u32 s18, s18, s56
	s_mul_i32 s24, s5, s24
	s_addc_u32 s18, s72, s75
	s_addc_u32 s56, s76, 0
	s_add_u32 s18, s18, s24
	s_addc_u32 s24, 0, s56
	v_add_co_u32 v2, s18, v2, s18
	s_delay_alu instid0(VALU_DEP_1) | instskip(SKIP_1) | instid1(VALU_DEP_1)
	s_cmp_lg_u32 s18, 0
	s_addc_u32 s5, s5, s24
	v_readfirstlane_b32 s18, v2
	s_mul_i32 s24, s19, s5
	s_delay_alu instid0(VALU_DEP_1)
	s_mul_hi_u32 s56, s19, s18
	s_mul_i32 s21, s21, s18
	s_add_i32 s24, s56, s24
	s_mul_i32 s19, s19, s18
	s_add_i32 s24, s24, s21
	s_mul_hi_u32 s56, s5, s19
	s_mul_i32 s72, s5, s19
	s_mul_hi_u32 s19, s18, s19
	s_mul_hi_u32 s73, s18, s24
	s_mul_i32 s18, s18, s24
	s_mul_hi_u32 s21, s5, s24
	s_add_u32 s18, s19, s18
	s_addc_u32 s19, 0, s73
	s_add_u32 s18, s18, s72
	s_mul_i32 s24, s5, s24
	s_addc_u32 s18, s19, s56
	s_addc_u32 s19, s21, 0
	s_add_u32 s18, s18, s24
	s_addc_u32 s19, 0, s19
	v_add_co_u32 v2, s18, v2, s18
	s_delay_alu instid0(VALU_DEP_1) | instskip(SKIP_2) | instid1(VALU_DEP_1)
	s_cmp_lg_u32 s18, 0
	s_addc_u32 s5, s5, s19
	s_ashr_i32 s18, s25, 31
	v_readfirstlane_b32 s21, v2
	s_add_u32 s72, s85, s18
	s_mov_b32 s19, s18
	s_addc_u32 s73, s25, s18
	s_delay_alu instid0(SALU_CYCLE_1) | instskip(NEXT) | instid1(SALU_CYCLE_1)
	s_xor_b64 s[72:73], s[72:73], s[18:19]
	s_mul_i32 s24, s72, s5
	s_mul_hi_u32 s56, s72, s21
	s_mul_hi_u32 s19, s72, s5
	;; [unrolled: 1-line block ×3, first 2 shown]
	s_mul_i32 s21, s73, s21
	s_add_u32 s24, s56, s24
	s_addc_u32 s19, 0, s19
	s_mul_hi_u32 s75, s73, s5
	s_add_u32 s21, s24, s21
	s_mul_i32 s5, s73, s5
	s_addc_u32 s19, s19, s76
	s_addc_u32 s21, s75, 0
	s_add_u32 s5, s19, s5
	s_addc_u32 s19, 0, s21
	s_mul_hi_u32 s21, s27, s5
	s_mul_i32 s5, s27, s5
	s_mul_i32 s19, s27, s19
	v_sub_co_u32 v2, s5, s72, s5
	s_add_i32 s21, s21, s19
	s_cmp_lg_u32 s5, 0
	s_delay_alu instid0(VALU_DEP_1) | instskip(SKIP_2) | instid1(VALU_DEP_1)
	v_sub_co_u32 v4, s5, v2, s27
	s_subb_u32 s19, s73, s21
	s_cmp_lg_u32 s5, 0
	v_cmp_le_u32_e32 vcc_lo, s27, v4
	v_sub_co_u32 v5, s5, v4, s27
	s_subb_u32 s21, s19, 0
	s_cmp_lg_u32 s5, 0
	v_cndmask_b32_e64 v6, 0, -1, vcc_lo
	s_subb_u32 s5, s21, 0
	s_cmp_eq_u32 s21, 0
	v_mov_b32_e32 v8, s5
	s_cselect_b32 vcc_lo, -1, 0
	s_cmp_eq_u32 s19, 0
	v_cndmask_b32_e32 v6, -1, v6, vcc_lo
	v_cmp_le_u32_e32 vcc_lo, s27, v2
	s_cselect_b32 s5, -1, 0
	v_cndmask_b32_e64 v7, 0, -1, vcc_lo
	s_delay_alu instid0(VALU_DEP_3) | instskip(NEXT) | instid1(VALU_DEP_2)
	v_cmp_ne_u32_e32 vcc_lo, 0, v6
	v_cndmask_b32_e64 v6, -1, v7, s5
	v_cndmask_b32_e32 v7, s21, v8, vcc_lo
	v_cndmask_b32_e32 v4, v4, v5, vcc_lo
	s_delay_alu instid0(VALU_DEP_3) | instskip(NEXT) | instid1(VALU_DEP_2)
	v_cmp_ne_u32_e32 vcc_lo, 0, v6
	v_cndmask_b32_e32 v2, v2, v4, vcc_lo
	s_delay_alu instid0(VALU_DEP_4) | instskip(NEXT) | instid1(VALU_DEP_2)
	v_cndmask_b32_e32 v5, s19, v7, vcc_lo
	v_xor_b32_e32 v2, s18, v2
	s_delay_alu instid0(VALU_DEP_2) | instskip(NEXT) | instid1(VALU_DEP_2)
	v_xor_b32_e32 v5, s18, v5
	v_sub_co_u32 v4, vcc_lo, v2, s18
	s_delay_alu instid0(VALU_DEP_2)
	v_subrev_co_ci_u32_e32 v5, vcc_lo, s18, v5, vcc_lo
	s_cbranch_execnz .LBB45_143
.LBB45_142:                             ;   in Loop: Header=BB45_17 Depth=1
	v_cvt_f32_u32_e32 v2, s27
	s_sub_i32 s5, 0, s27
	s_delay_alu instid0(VALU_DEP_1) | instskip(SKIP_2) | instid1(VALU_DEP_1)
	v_rcp_iflag_f32_e32 v2, v2
	s_waitcnt_depctr 0xfff
	v_mul_f32_e32 v2, 0x4f7ffffe, v2
	v_cvt_u32_f32_e32 v2, v2
	s_delay_alu instid0(VALU_DEP_1) | instskip(NEXT) | instid1(VALU_DEP_1)
	v_mul_lo_u32 v4, s5, v2
	v_mul_hi_u32 v4, v2, v4
	s_delay_alu instid0(VALU_DEP_1) | instskip(NEXT) | instid1(VALU_DEP_1)
	v_add_nc_u32_e32 v2, v2, v4
	v_mul_hi_u32 v2, s85, v2
	s_delay_alu instid0(VALU_DEP_1) | instskip(NEXT) | instid1(VALU_DEP_1)
	v_mul_lo_u32 v2, v2, s27
	v_sub_nc_u32_e32 v2, s85, v2
	s_delay_alu instid0(VALU_DEP_1) | instskip(SKIP_1) | instid1(VALU_DEP_2)
	v_subrev_nc_u32_e32 v4, s27, v2
	v_cmp_le_u32_e32 vcc_lo, s27, v2
	v_cndmask_b32_e32 v2, v2, v4, vcc_lo
	s_delay_alu instid0(VALU_DEP_1) | instskip(SKIP_1) | instid1(VALU_DEP_2)
	v_subrev_nc_u32_e32 v4, s27, v2
	v_cmp_le_u32_e32 vcc_lo, s27, v2
	v_cndmask_b32_e32 v18, v2, v4, vcc_lo
	s_delay_alu instid0(VALU_DEP_1)
	v_dual_mov_b32 v4, v18 :: v_dual_mov_b32 v5, v19
.LBB45_143:                             ;   in Loop: Header=BB45_17 Depth=1
	s_delay_alu instid0(VALU_DEP_1) | instskip(NEXT) | instid1(VALU_DEP_2)
	v_sub_co_u32 v8, vcc_lo, s85, v4
	v_sub_co_ci_u32_e32 v9, vcc_lo, s25, v5, vcc_lo
	s_mov_b32 s18, 0
	s_mov_b32 s19, exec_lo
                                        ; implicit-def: $vgpr6_vgpr7
	s_delay_alu instid0(VALU_DEP_1)
	v_cmpx_gt_i64_e64 v[8:9], v[0:1]
	s_cbranch_execz .LBB45_156
; %bb.144:                              ;   in Loop: Header=BB45_17 Depth=1
	v_dual_mov_b32 v10, v16 :: v_dual_mov_b32 v11, v17
	v_dual_mov_b32 v13, v1 :: v_dual_mov_b32 v12, v0
	s_mov_b32 s21, 0
                                        ; implicit-def: $sgpr18
	s_branch .LBB45_146
.LBB45_145:                             ;   in Loop: Header=BB45_146 Depth=2
	s_or_b32 exec_lo, exec_lo, s5
	s_waitcnt vmcnt(0) lgkmcnt(0)
	s_barrier
	buffer_gl0_inv
	ds_load_b128 v[4:7], v19 offset:3072
	v_add_co_u32 v12, s5, v12, s27
	s_delay_alu instid0(VALU_DEP_1)
	v_add_co_ci_u32_e64 v13, s5, 0, v13, s5
	s_waitcnt lgkmcnt(0)
	s_barrier
	buffer_gl0_inv
	v_cmp_ge_i64_e64 s5, v[12:13], v[8:9]
	v_cmp_neq_f64_e32 vcc_lo, 0, v[4:5]
	s_delay_alu instid0(VALU_DEP_2) | instskip(NEXT) | instid1(SALU_CYCLE_1)
	s_or_b32 s5, vcc_lo, s5
	s_and_b32 s24, exec_lo, s5
	v_add_co_u32 v10, s5, v10, s58
	s_delay_alu instid0(VALU_DEP_1) | instskip(SKIP_3) | instid1(SALU_CYCLE_1)
	v_add_co_ci_u32_e64 v11, s5, s59, v11, s5
	s_or_b32 s21, s24, s21
	s_and_not1_b32 s5, s18, exec_lo
	s_and_b32 s18, vcc_lo, exec_lo
	s_or_b32 s18, s5, s18
	s_and_not1_b32 exec_lo, exec_lo, s21
	s_cbranch_execz .LBB45_155
.LBB45_146:                             ;   Parent Loop BB45_17 Depth=1
                                        ; =>  This Inner Loop Header: Depth=2
	s_delay_alu instid0(VALU_DEP_1)
	v_cmp_gt_i64_e32 vcc_lo, s[36:37], v[12:13]
	v_mov_b32_e32 v4, 0
	v_mov_b32_e32 v5, 0
	s_and_saveexec_b32 s5, vcc_lo
	s_cbranch_execz .LBB45_148
; %bb.147:                              ;   in Loop: Header=BB45_146 Depth=2
	global_load_b64 v[4:5], v[10:11], off
.LBB45_148:                             ;   in Loop: Header=BB45_146 Depth=2
	s_or_b32 exec_lo, exec_lo, s5
	s_and_saveexec_b32 s5, vcc_lo
	s_cbranch_execz .LBB45_145
; %bb.149:                              ;   in Loop: Header=BB45_146 Depth=2
	s_waitcnt vmcnt(0)
	v_cmp_o_f64_e32 vcc_lo, v[4:5], v[4:5]
	v_ashrrev_i32_e32 v2, 31, v5
	s_delay_alu instid0(VALU_DEP_1) | instskip(SKIP_1) | instid1(VALU_DEP_2)
	v_or_b32_e32 v6, 0x80000000, v2
	v_xor_b32_e32 v2, v2, v4
	v_xor_b32_e32 v6, v6, v5
	s_delay_alu instid0(VALU_DEP_1) | instskip(NEXT) | instid1(VALU_DEP_3)
	v_cndmask_b32_e32 v6, -1, v6, vcc_lo
	v_cndmask_b32_e32 v2, -1, v2, vcc_lo
	s_delay_alu instid0(VALU_DEP_2) | instskip(NEXT) | instid1(VALU_DEP_2)
	v_and_b32_e32 v7, s71, v6
	v_and_b32_e32 v6, s70, v2
	s_delay_alu instid0(VALU_DEP_1)
	v_cmp_eq_u64_e32 vcc_lo, s[68:69], v[6:7]
	s_and_b32 exec_lo, exec_lo, vcc_lo
	s_cbranch_execz .LBB45_145
; %bb.150:                              ;   in Loop: Header=BB45_146 Depth=2
	v_mov_b32_e32 v2, v19
	ds_store_b128 v19, v[2:5] offset:3072
	s_branch .LBB45_145
.LBB45_151:                             ;   in Loop: Header=BB45_17 Depth=1
                                        ; implicit-def: $sgpr56
                                        ; implicit-def: $sgpr72
                                        ; implicit-def: $sgpr21
	s_branch .LBB45_170
.LBB45_152:                             ;   in Loop: Header=BB45_17 Depth=1
                                        ; implicit-def: $vgpr4_vgpr5
	s_branch .LBB45_97
.LBB45_153:                             ;   in Loop: Header=BB45_17 Depth=1
                                        ; implicit-def: $vgpr4_vgpr5
	s_branch .LBB45_112
.LBB45_154:                             ;   in Loop: Header=BB45_17 Depth=1
	s_mov_b32 s56, -1
	s_mov_b32 s18, 0
                                        ; implicit-def: $sgpr21
                                        ; implicit-def: $vgpr6_vgpr7
	s_mov_b32 s72, s56
	s_cbranch_execnz .LBB45_157
	s_branch .LBB45_170
.LBB45_155:                             ;   in Loop: Header=BB45_17 Depth=1
	s_or_b32 exec_lo, exec_lo, s21
	s_delay_alu instid0(SALU_CYCLE_1)
	s_and_b32 s18, s18, exec_lo
.LBB45_156:                             ;   in Loop: Header=BB45_17 Depth=1
	s_or_b32 exec_lo, exec_lo, s19
	s_mov_b32 s21, -1
	s_mov_b32 s56, 0
	s_delay_alu instid0(SALU_CYCLE_1)
	s_mov_b32 s72, s56
	s_branch .LBB45_170
.LBB45_157:                             ;   in Loop: Header=BB45_17 Depth=1
	s_add_u32 s21, s83, s16
	s_addc_u32 s19, s84, s17
	s_mov_b32 s18, s57
	s_delay_alu instid0(SALU_CYCLE_1)
	s_cmp_lg_u64 s[18:19], 0
	s_cbranch_scc0 .LBB45_200
; %bb.158:                              ;   in Loop: Header=BB45_17 Depth=1
	v_cvt_f32_u32_e32 v2, s27
	s_sub_u32 s24, 0, s27
	s_subb_u32 s56, 0, 0
	s_delay_alu instid0(VALU_DEP_1) | instskip(NEXT) | instid1(VALU_DEP_1)
	v_fmac_f32_e32 v2, 0x4f800000, v45
	v_rcp_f32_e32 v2, v2
	s_waitcnt_depctr 0xfff
	v_mul_f32_e32 v2, 0x5f7ffffc, v2
	s_delay_alu instid0(VALU_DEP_1) | instskip(NEXT) | instid1(VALU_DEP_1)
	v_mul_f32_e32 v4, 0x2f800000, v2
	v_trunc_f32_e32 v4, v4
	s_delay_alu instid0(VALU_DEP_1) | instskip(SKIP_1) | instid1(VALU_DEP_2)
	v_fmac_f32_e32 v2, 0xcf800000, v4
	v_cvt_u32_f32_e32 v4, v4
	v_cvt_u32_f32_e32 v2, v2
	s_delay_alu instid0(VALU_DEP_2) | instskip(NEXT) | instid1(VALU_DEP_2)
	v_readfirstlane_b32 s5, v4
	v_readfirstlane_b32 s18, v2
	s_delay_alu instid0(VALU_DEP_2) | instskip(NEXT) | instid1(VALU_DEP_1)
	s_mul_i32 s72, s24, s5
	s_mul_hi_u32 s75, s24, s18
	s_mul_i32 s73, s56, s18
	s_add_i32 s72, s75, s72
	s_mul_i32 s76, s24, s18
	s_add_i32 s72, s72, s73
	s_mul_hi_u32 s75, s18, s76
	s_mul_hi_u32 s77, s5, s76
	s_mul_i32 s73, s5, s76
	s_mul_hi_u32 s76, s18, s72
	s_mul_i32 s18, s18, s72
	s_mul_hi_u32 s78, s5, s72
	s_add_u32 s18, s75, s18
	s_addc_u32 s75, 0, s76
	s_add_u32 s18, s18, s73
	s_mul_i32 s72, s5, s72
	s_addc_u32 s18, s75, s77
	s_addc_u32 s73, s78, 0
	s_add_u32 s18, s18, s72
	s_addc_u32 s72, 0, s73
	v_add_co_u32 v2, s18, v2, s18
	s_delay_alu instid0(VALU_DEP_1) | instskip(SKIP_1) | instid1(VALU_DEP_1)
	s_cmp_lg_u32 s18, 0
	s_addc_u32 s5, s5, s72
	v_readfirstlane_b32 s18, v2
	s_mul_i32 s72, s24, s5
	s_delay_alu instid0(VALU_DEP_1)
	s_mul_hi_u32 s73, s24, s18
	s_mul_i32 s56, s56, s18
	s_add_i32 s72, s73, s72
	s_mul_i32 s24, s24, s18
	s_add_i32 s72, s72, s56
	s_mul_hi_u32 s73, s5, s24
	s_mul_i32 s75, s5, s24
	s_mul_hi_u32 s24, s18, s24
	s_mul_hi_u32 s76, s18, s72
	s_mul_i32 s18, s18, s72
	s_mul_hi_u32 s56, s5, s72
	s_add_u32 s18, s24, s18
	s_addc_u32 s24, 0, s76
	s_add_u32 s18, s18, s75
	s_mul_i32 s72, s5, s72
	s_addc_u32 s18, s24, s73
	s_addc_u32 s24, s56, 0
	s_add_u32 s18, s18, s72
	s_addc_u32 s24, 0, s24
	v_add_co_u32 v2, s18, v2, s18
	s_delay_alu instid0(VALU_DEP_1) | instskip(SKIP_2) | instid1(VALU_DEP_1)
	s_cmp_lg_u32 s18, 0
	s_addc_u32 s5, s5, s24
	s_ashr_i32 s72, s19, 31
	v_readfirstlane_b32 s18, v2
	s_add_u32 s76, s21, s72
	s_mov_b32 s73, s72
	s_addc_u32 s77, s19, s72
	s_delay_alu instid0(SALU_CYCLE_1) | instskip(NEXT) | instid1(SALU_CYCLE_1)
	s_xor_b64 s[76:77], s[76:77], s[72:73]
	s_mul_i32 s56, s76, s5
	s_mul_hi_u32 s73, s76, s18
	s_mul_hi_u32 s24, s76, s5
	;; [unrolled: 1-line block ×3, first 2 shown]
	s_mul_i32 s18, s77, s18
	s_add_u32 s56, s73, s56
	s_addc_u32 s24, 0, s24
	s_mul_hi_u32 s75, s77, s5
	s_add_u32 s18, s56, s18
	s_mul_i32 s5, s77, s5
	s_addc_u32 s18, s24, s78
	s_addc_u32 s24, s75, 0
	s_add_u32 s5, s18, s5
	s_addc_u32 s18, 0, s24
	s_mul_hi_u32 s24, s27, s5
	s_mul_i32 s5, s27, s5
	s_mul_i32 s18, s27, s18
	v_sub_co_u32 v2, s5, s76, s5
	s_add_i32 s24, s24, s18
	s_cmp_lg_u32 s5, 0
	s_delay_alu instid0(VALU_DEP_1) | instskip(SKIP_2) | instid1(VALU_DEP_1)
	v_sub_co_u32 v4, s5, v2, s27
	s_subb_u32 s18, s77, s24
	s_cmp_lg_u32 s5, 0
	v_cmp_le_u32_e32 vcc_lo, s27, v4
	v_sub_co_u32 v5, s5, v4, s27
	s_subb_u32 s24, s18, 0
	s_cmp_lg_u32 s5, 0
	v_cndmask_b32_e64 v6, 0, -1, vcc_lo
	s_subb_u32 s5, s24, 0
	s_cmp_eq_u32 s24, 0
	v_mov_b32_e32 v8, s5
	s_cselect_b32 vcc_lo, -1, 0
	s_cmp_eq_u32 s18, 0
	v_cndmask_b32_e32 v6, -1, v6, vcc_lo
	v_cmp_le_u32_e32 vcc_lo, s27, v2
	s_cselect_b32 s5, -1, 0
	v_cndmask_b32_e64 v7, 0, -1, vcc_lo
	s_delay_alu instid0(VALU_DEP_3) | instskip(NEXT) | instid1(VALU_DEP_2)
	v_cmp_ne_u32_e32 vcc_lo, 0, v6
	v_cndmask_b32_e64 v6, -1, v7, s5
	v_cndmask_b32_e32 v7, s24, v8, vcc_lo
	v_cndmask_b32_e32 v4, v4, v5, vcc_lo
	s_delay_alu instid0(VALU_DEP_3) | instskip(NEXT) | instid1(VALU_DEP_2)
	v_cmp_ne_u32_e32 vcc_lo, 0, v6
	v_cndmask_b32_e32 v2, v2, v4, vcc_lo
	s_delay_alu instid0(VALU_DEP_4) | instskip(NEXT) | instid1(VALU_DEP_2)
	v_cndmask_b32_e32 v5, s18, v7, vcc_lo
	v_xor_b32_e32 v2, s72, v2
	s_delay_alu instid0(VALU_DEP_2) | instskip(NEXT) | instid1(VALU_DEP_2)
	v_xor_b32_e32 v5, s72, v5
	v_sub_co_u32 v4, vcc_lo, v2, s72
	s_delay_alu instid0(VALU_DEP_2)
	v_subrev_co_ci_u32_e32 v5, vcc_lo, s72, v5, vcc_lo
	s_cbranch_execnz .LBB45_160
.LBB45_159:                             ;   in Loop: Header=BB45_17 Depth=1
	v_cvt_f32_u32_e32 v2, s27
	s_sub_i32 s5, 0, s27
	s_delay_alu instid0(VALU_DEP_1) | instskip(SKIP_2) | instid1(VALU_DEP_1)
	v_rcp_iflag_f32_e32 v2, v2
	s_waitcnt_depctr 0xfff
	v_mul_f32_e32 v2, 0x4f7ffffe, v2
	v_cvt_u32_f32_e32 v2, v2
	s_delay_alu instid0(VALU_DEP_1) | instskip(NEXT) | instid1(VALU_DEP_1)
	v_mul_lo_u32 v4, s5, v2
	v_mul_hi_u32 v4, v2, v4
	s_delay_alu instid0(VALU_DEP_1) | instskip(NEXT) | instid1(VALU_DEP_1)
	v_add_nc_u32_e32 v2, v2, v4
	v_mul_hi_u32 v2, s21, v2
	s_delay_alu instid0(VALU_DEP_1) | instskip(NEXT) | instid1(VALU_DEP_1)
	v_mul_lo_u32 v2, v2, s27
	v_sub_nc_u32_e32 v2, s21, v2
	s_delay_alu instid0(VALU_DEP_1) | instskip(SKIP_1) | instid1(VALU_DEP_2)
	v_subrev_nc_u32_e32 v4, s27, v2
	v_cmp_le_u32_e32 vcc_lo, s27, v2
	v_cndmask_b32_e32 v2, v2, v4, vcc_lo
	s_delay_alu instid0(VALU_DEP_1) | instskip(SKIP_1) | instid1(VALU_DEP_2)
	v_subrev_nc_u32_e32 v4, s27, v2
	v_cmp_le_u32_e32 vcc_lo, s27, v2
	v_cndmask_b32_e32 v18, v2, v4, vcc_lo
	s_delay_alu instid0(VALU_DEP_1)
	v_dual_mov_b32 v4, v18 :: v_dual_mov_b32 v5, v19
.LBB45_160:                             ;   in Loop: Header=BB45_17 Depth=1
	s_delay_alu instid0(VALU_DEP_1) | instskip(NEXT) | instid1(VALU_DEP_2)
	v_sub_co_u32 v8, vcc_lo, s21, v4
	v_sub_co_ci_u32_e32 v9, vcc_lo, s19, v5, vcc_lo
	s_mov_b32 s18, 0
	s_mov_b32 s19, exec_lo
                                        ; implicit-def: $vgpr6_vgpr7
	s_delay_alu instid0(VALU_DEP_1)
	v_cmpx_gt_i64_e64 v[8:9], v[0:1]
	s_cbranch_execz .LBB45_169
; %bb.161:                              ;   in Loop: Header=BB45_17 Depth=1
	v_dual_mov_b32 v12, v36 :: v_dual_mov_b32 v11, v1
	v_mov_b32_e32 v10, v0
	s_mov_b32 s21, 0
                                        ; implicit-def: $sgpr18
	s_set_inst_prefetch_distance 0x1
	s_branch .LBB45_163
	.p2align	6
.LBB45_162:                             ;   in Loop: Header=BB45_163 Depth=2
	s_or_b32 exec_lo, exec_lo, s5
	s_waitcnt lgkmcnt(0)
	s_barrier
	buffer_gl0_inv
	ds_load_b128 v[4:7], v19 offset:3072
	v_add_co_u32 v10, s5, v10, s27
	s_delay_alu instid0(VALU_DEP_1) | instskip(SKIP_3) | instid1(VALU_DEP_2)
	v_add_co_ci_u32_e64 v11, s5, 0, v11, s5
	v_add_nc_u32_e32 v12, s91, v12
	s_waitcnt lgkmcnt(0)
	s_barrier
	v_cmp_ge_i64_e64 s5, v[10:11], v[8:9]
	buffer_gl0_inv
	v_cmp_neq_f64_e32 vcc_lo, 0, v[4:5]
	s_or_b32 s5, vcc_lo, s5
	s_delay_alu instid0(SALU_CYCLE_1) | instskip(NEXT) | instid1(SALU_CYCLE_1)
	s_and_b32 s5, exec_lo, s5
	s_or_b32 s21, s5, s21
	s_and_not1_b32 s5, s18, exec_lo
	s_and_b32 s18, vcc_lo, exec_lo
	s_delay_alu instid0(SALU_CYCLE_1)
	s_or_b32 s18, s5, s18
	s_and_not1_b32 exec_lo, exec_lo, s21
	s_cbranch_execz .LBB45_168
.LBB45_163:                             ;   Parent Loop BB45_17 Depth=1
                                        ; =>  This Inner Loop Header: Depth=2
	s_delay_alu instid0(VALU_DEP_1)
	v_cmp_gt_i64_e32 vcc_lo, s[16:17], v[10:11]
	v_mov_b32_e32 v4, 0
	v_mov_b32_e32 v5, 0
	s_and_saveexec_b32 s5, vcc_lo
	s_cbranch_execz .LBB45_165
; %bb.164:                              ;   in Loop: Header=BB45_163 Depth=2
	ds_load_b64 v[4:5], v12
.LBB45_165:                             ;   in Loop: Header=BB45_163 Depth=2
	s_or_b32 exec_lo, exec_lo, s5
	s_and_saveexec_b32 s5, vcc_lo
	s_cbranch_execz .LBB45_162
; %bb.166:                              ;   in Loop: Header=BB45_163 Depth=2
	s_waitcnt lgkmcnt(0)
	v_cmp_o_f64_e32 vcc_lo, v[4:5], v[4:5]
	v_ashrrev_i32_e32 v2, 31, v5
	s_delay_alu instid0(VALU_DEP_1) | instskip(SKIP_1) | instid1(VALU_DEP_2)
	v_or_b32_e32 v6, 0x80000000, v2
	v_xor_b32_e32 v2, v2, v4
	v_xor_b32_e32 v6, v6, v5
	s_delay_alu instid0(VALU_DEP_1) | instskip(NEXT) | instid1(VALU_DEP_3)
	v_cndmask_b32_e32 v6, -1, v6, vcc_lo
	v_cndmask_b32_e32 v2, -1, v2, vcc_lo
	s_delay_alu instid0(VALU_DEP_2) | instskip(NEXT) | instid1(VALU_DEP_2)
	v_and_b32_e32 v7, s71, v6
	v_and_b32_e32 v6, s70, v2
	s_delay_alu instid0(VALU_DEP_1)
	v_cmp_eq_u64_e32 vcc_lo, s[68:69], v[6:7]
	s_and_b32 exec_lo, exec_lo, vcc_lo
	s_cbranch_execz .LBB45_162
; %bb.167:                              ;   in Loop: Header=BB45_163 Depth=2
	v_mov_b32_e32 v2, v19
	ds_store_b128 v19, v[2:5] offset:3072
	s_branch .LBB45_162
.LBB45_168:                             ;   in Loop: Header=BB45_17 Depth=1
	s_set_inst_prefetch_distance 0x2
	s_or_b32 exec_lo, exec_lo, s21
	s_delay_alu instid0(SALU_CYCLE_1)
	s_and_b32 s18, s18, exec_lo
.LBB45_169:                             ;   in Loop: Header=BB45_17 Depth=1
	s_or_b32 exec_lo, exec_lo, s19
	s_mov_b32 s72, -1
	s_mov_b32 s56, 0
	s_mov_b32 s21, 0
.LBB45_170:                             ;   in Loop: Header=BB45_17 Depth=1
	s_mov_b32 s16, 0
                                        ; implicit-def: $sgpr5
	s_and_saveexec_b32 s73, s18
	s_cbranch_execz .LBB45_281
; %bb.171:                              ;   in Loop: Header=BB45_17 Depth=1
	s_xor_b32 s5, s74, -1
	s_delay_alu instid0(SALU_CYCLE_1)
	s_and_not1_b32 vcc_lo, exec_lo, s5
	s_mov_b32 s5, 1
	s_cbranch_vccnz .LBB45_182
; %bb.172:                              ;   in Loop: Header=BB45_17 Depth=1
	v_cmp_gt_i64_e64 s5, s[38:39], s[14:15]
	s_mov_b32 s24, -1
                                        ; implicit-def: $sgpr16_sgpr17
                                        ; implicit-def: $sgpr18_sgpr19
	s_delay_alu instid0(VALU_DEP_1)
	s_and_b32 vcc_lo, exec_lo, s5
                                        ; implicit-def: $sgpr5
	s_cbranch_vccnz .LBB45_178
; %bb.173:                              ;   in Loop: Header=BB45_17 Depth=1
	ds_load_b64 v[4:5], v19 offset:5120
	s_waitcnt lgkmcnt(0)
	v_cmp_ne_u64_e32 vcc_lo, 0, v[4:5]
	s_cbranch_vccnz .LBB45_177
; %bb.174:                              ;   in Loop: Header=BB45_17 Depth=1
	s_and_saveexec_b32 s5, s2
	s_cbranch_execz .LBB45_176
; %bb.175:                              ;   in Loop: Header=BB45_17 Depth=1
	v_dual_mov_b32 v4, s14 :: v_dual_mov_b32 v5, s15
	ds_store_b64 v19, v[4:5] offset:5128
.LBB45_176:                             ;   in Loop: Header=BB45_17 Depth=1
	s_or_b32 exec_lo, exec_lo, s5
	s_waitcnt lgkmcnt(0)
	s_barrier
	buffer_gl0_inv
.LBB45_177:                             ;   in Loop: Header=BB45_17 Depth=1
	s_lshl_b64 s[16:17], 1, s23
	s_and_b64 s[18:19], s[68:69], s[12:13]
	s_mov_b32 s24, 0
	s_or_b64 s[16:17], s[18:19], s[16:17]
	s_or_b64 s[18:19], s[70:71], s[8:9]
	s_mov_b32 s5, 8
.LBB45_178:                             ;   in Loop: Header=BB45_17 Depth=1
	s_and_not1_b32 vcc_lo, exec_lo, s24
	s_cbranch_vccnz .LBB45_180
; %bb.179:                              ;   in Loop: Header=BB45_17 Depth=1
	s_sub_u32 s38, s38, s14
	s_subb_u32 s39, s39, s15
	s_mov_b32 s24, -1
	s_mov_b32 s5, 0
	s_mov_b64 s[16:17], s[68:69]
	s_mov_b64 s[18:19], s[70:71]
.LBB45_180:                             ;   in Loop: Header=BB45_17 Depth=1
	s_delay_alu instid0(SALU_CYCLE_1)
	s_mov_b64 s[70:71], s[18:19]
	s_mov_b64 s[68:69], s[16:17]
	s_and_not1_b32 vcc_lo, exec_lo, s24
	s_mov_b32 s14, -1
	s_cbranch_vccz .LBB45_183
.LBB45_181:                             ;   in Loop: Header=BB45_17 Depth=1
                                        ; implicit-def: $sgpr19
                                        ; implicit-def: $sgpr74
                                        ; implicit-def: $sgpr18
	s_branch .LBB45_280
.LBB45_182:                             ;   in Loop: Header=BB45_17 Depth=1
	s_mov_b64 s[38:39], 1
	s_mov_b32 s14, -1
	s_cbranch_execnz .LBB45_181
.LBB45_183:                             ;   in Loop: Header=BB45_17 Depth=1
	s_cmp_eq_u64 s[10:11], 1
	s_mov_b32 s16, -1
	s_cselect_b32 s5, -1, 0
	s_cmp_eq_u64 s[38:39], 1
	s_cselect_b32 s14, -1, 0
	s_delay_alu instid0(SALU_CYCLE_1) | instskip(NEXT) | instid1(SALU_CYCLE_1)
	s_and_b32 s76, s5, s14
	s_and_b32 vcc_lo, exec_lo, s76
	s_cbranch_vccz .LBB45_198
; %bb.184:                              ;   in Loop: Header=BB45_17 Depth=1
	ds_load_b64 v[4:5], v19 offset:5120
	s_waitcnt lgkmcnt(0)
	s_barrier
	buffer_gl0_inv
	v_readfirstlane_b32 s14, v4
	v_readfirstlane_b32 s15, v5
	s_and_saveexec_b32 s5, s3
	s_cbranch_execz .LBB45_186
; %bb.185:                              ;   in Loop: Header=BB45_17 Depth=1
	v_mov_b32_e32 v18, v19
	ds_store_b64 v37, v[18:19]
.LBB45_186:                             ;   in Loop: Header=BB45_17 Depth=1
	s_or_b32 exec_lo, exec_lo, s5
	s_delay_alu instid0(VALU_DEP_1)
	v_cmp_gt_i64_e64 s5, s[14:15], 0
	s_lshl_b64 s[16:17], 2, s23
	s_and_b64 s[18:19], s[68:69], s[12:13]
	s_or_b64 s[70:71], s[70:71], s[8:9]
	s_or_b64 s[68:69], s[18:19], s[16:17]
	s_waitcnt lgkmcnt(0)
	s_and_b32 vcc_lo, exec_lo, s5
	s_barrier
	buffer_gl0_inv
	s_cbranch_vccnz .LBB45_201
; %bb.187:                              ;   in Loop: Header=BB45_17 Depth=1
	s_mov_b32 s24, s57
	s_delay_alu instid0(SALU_CYCLE_1)
	s_cmp_lg_u64 s[24:25], 0
	s_cbranch_scc0 .LBB45_246
; %bb.188:                              ;   in Loop: Header=BB45_17 Depth=1
	v_cvt_f32_u32_e32 v2, s27
	s_sub_u32 s17, 0, s27
	s_subb_u32 s18, 0, 0
	s_delay_alu instid0(VALU_DEP_1) | instskip(NEXT) | instid1(VALU_DEP_1)
	v_fmac_f32_e32 v2, 0x4f800000, v45
	v_rcp_f32_e32 v2, v2
	s_waitcnt_depctr 0xfff
	v_mul_f32_e32 v2, 0x5f7ffffc, v2
	s_delay_alu instid0(VALU_DEP_1) | instskip(NEXT) | instid1(VALU_DEP_1)
	v_mul_f32_e32 v4, 0x2f800000, v2
	v_trunc_f32_e32 v4, v4
	s_delay_alu instid0(VALU_DEP_1) | instskip(SKIP_1) | instid1(VALU_DEP_2)
	v_fmac_f32_e32 v2, 0xcf800000, v4
	v_cvt_u32_f32_e32 v4, v4
	v_cvt_u32_f32_e32 v2, v2
	s_delay_alu instid0(VALU_DEP_2) | instskip(NEXT) | instid1(VALU_DEP_2)
	v_readfirstlane_b32 s5, v4
	v_readfirstlane_b32 s16, v2
	s_delay_alu instid0(VALU_DEP_2) | instskip(NEXT) | instid1(VALU_DEP_1)
	s_mul_i32 s19, s17, s5
	s_mul_hi_u32 s74, s17, s16
	s_mul_i32 s24, s18, s16
	s_add_i32 s19, s74, s19
	s_mul_i32 s75, s17, s16
	s_add_i32 s19, s19, s24
	s_mul_hi_u32 s74, s16, s75
	s_mul_hi_u32 s77, s5, s75
	s_mul_i32 s24, s5, s75
	s_mul_hi_u32 s75, s16, s19
	s_mul_i32 s16, s16, s19
	s_mul_hi_u32 s78, s5, s19
	s_add_u32 s16, s74, s16
	s_addc_u32 s74, 0, s75
	s_add_u32 s16, s16, s24
	s_mul_i32 s19, s5, s19
	s_addc_u32 s16, s74, s77
	s_addc_u32 s24, s78, 0
	s_add_u32 s16, s16, s19
	s_addc_u32 s19, 0, s24
	v_add_co_u32 v2, s16, v2, s16
	s_delay_alu instid0(VALU_DEP_1) | instskip(SKIP_1) | instid1(VALU_DEP_1)
	s_cmp_lg_u32 s16, 0
	s_addc_u32 s5, s5, s19
	v_readfirstlane_b32 s16, v2
	s_mul_i32 s19, s17, s5
	s_delay_alu instid0(VALU_DEP_1)
	s_mul_hi_u32 s24, s17, s16
	s_mul_i32 s18, s18, s16
	s_add_i32 s19, s24, s19
	s_mul_i32 s17, s17, s16
	s_add_i32 s19, s19, s18
	s_mul_hi_u32 s24, s5, s17
	s_mul_i32 s74, s5, s17
	s_mul_hi_u32 s17, s16, s17
	s_mul_hi_u32 s75, s16, s19
	s_mul_i32 s16, s16, s19
	s_mul_hi_u32 s18, s5, s19
	s_add_u32 s16, s17, s16
	s_addc_u32 s17, 0, s75
	s_add_u32 s16, s16, s74
	s_mul_i32 s19, s5, s19
	s_addc_u32 s16, s17, s24
	s_addc_u32 s17, s18, 0
	s_add_u32 s16, s16, s19
	s_addc_u32 s17, 0, s17
	v_add_co_u32 v2, s16, v2, s16
	s_delay_alu instid0(VALU_DEP_1) | instskip(SKIP_2) | instid1(VALU_DEP_1)
	s_cmp_lg_u32 s16, 0
	s_addc_u32 s5, s5, s17
	s_ashr_i32 s16, s25, 31
	v_readfirstlane_b32 s24, v2
	s_add_u32 s18, s85, s16
	s_mov_b32 s17, s16
	s_addc_u32 s19, s25, s16
	s_delay_alu instid0(SALU_CYCLE_1) | instskip(NEXT) | instid1(SALU_CYCLE_1)
	s_xor_b64 s[18:19], s[18:19], s[16:17]
	s_mul_i32 s74, s18, s5
	s_mul_hi_u32 s75, s18, s24
	s_mul_hi_u32 s17, s18, s5
	;; [unrolled: 1-line block ×3, first 2 shown]
	s_mul_i32 s24, s19, s24
	s_add_u32 s74, s75, s74
	s_addc_u32 s17, 0, s17
	s_mul_hi_u32 s77, s19, s5
	s_add_u32 s24, s74, s24
	s_mul_i32 s5, s19, s5
	s_addc_u32 s17, s17, s78
	s_addc_u32 s24, s77, 0
	s_add_u32 s5, s17, s5
	s_addc_u32 s17, 0, s24
	s_mul_hi_u32 s24, s27, s5
	s_mul_i32 s5, s27, s5
	s_mul_i32 s17, s27, s17
	v_sub_co_u32 v2, s5, s18, s5
	s_add_i32 s24, s24, s17
	s_cmp_lg_u32 s5, 0
	s_delay_alu instid0(VALU_DEP_1) | instskip(SKIP_2) | instid1(VALU_DEP_1)
	v_sub_co_u32 v4, s5, v2, s27
	s_subb_u32 s17, s19, s24
	s_cmp_lg_u32 s5, 0
	v_cmp_le_u32_e32 vcc_lo, s27, v4
	v_sub_co_u32 v5, s5, v4, s27
	s_subb_u32 s18, s17, 0
	s_cmp_lg_u32 s5, 0
	v_cndmask_b32_e64 v6, 0, -1, vcc_lo
	s_subb_u32 s5, s18, 0
	s_cmp_eq_u32 s18, 0
	v_mov_b32_e32 v8, s5
	s_cselect_b32 vcc_lo, -1, 0
	s_cmp_eq_u32 s17, 0
	v_cndmask_b32_e32 v6, -1, v6, vcc_lo
	v_cmp_le_u32_e32 vcc_lo, s27, v2
	s_cselect_b32 s5, -1, 0
	v_cndmask_b32_e64 v7, 0, -1, vcc_lo
	s_delay_alu instid0(VALU_DEP_3) | instskip(NEXT) | instid1(VALU_DEP_2)
	v_cmp_ne_u32_e32 vcc_lo, 0, v6
	v_cndmask_b32_e64 v6, -1, v7, s5
	v_cndmask_b32_e32 v7, s18, v8, vcc_lo
	v_cndmask_b32_e32 v4, v4, v5, vcc_lo
	s_delay_alu instid0(VALU_DEP_3) | instskip(NEXT) | instid1(VALU_DEP_2)
	v_cmp_ne_u32_e32 vcc_lo, 0, v6
	v_cndmask_b32_e32 v2, v2, v4, vcc_lo
	s_delay_alu instid0(VALU_DEP_4) | instskip(NEXT) | instid1(VALU_DEP_2)
	v_cndmask_b32_e32 v5, s17, v7, vcc_lo
	v_xor_b32_e32 v2, s16, v2
	s_delay_alu instid0(VALU_DEP_2) | instskip(NEXT) | instid1(VALU_DEP_2)
	v_xor_b32_e32 v5, s16, v5
	v_sub_co_u32 v4, vcc_lo, v2, s16
	s_delay_alu instid0(VALU_DEP_2)
	v_subrev_co_ci_u32_e32 v5, vcc_lo, s16, v5, vcc_lo
	s_cbranch_execnz .LBB45_190
.LBB45_189:                             ;   in Loop: Header=BB45_17 Depth=1
	v_cvt_f32_u32_e32 v2, s27
	s_sub_i32 s5, 0, s27
	s_delay_alu instid0(VALU_DEP_1) | instskip(SKIP_2) | instid1(VALU_DEP_1)
	v_rcp_iflag_f32_e32 v2, v2
	s_waitcnt_depctr 0xfff
	v_mul_f32_e32 v2, 0x4f7ffffe, v2
	v_cvt_u32_f32_e32 v2, v2
	s_delay_alu instid0(VALU_DEP_1) | instskip(NEXT) | instid1(VALU_DEP_1)
	v_mul_lo_u32 v4, s5, v2
	v_mul_hi_u32 v4, v2, v4
	s_delay_alu instid0(VALU_DEP_1) | instskip(NEXT) | instid1(VALU_DEP_1)
	v_add_nc_u32_e32 v2, v2, v4
	v_mul_hi_u32 v2, s85, v2
	s_delay_alu instid0(VALU_DEP_1) | instskip(NEXT) | instid1(VALU_DEP_1)
	v_mul_lo_u32 v2, v2, s27
	v_sub_nc_u32_e32 v2, s85, v2
	s_delay_alu instid0(VALU_DEP_1) | instskip(SKIP_1) | instid1(VALU_DEP_2)
	v_subrev_nc_u32_e32 v4, s27, v2
	v_cmp_le_u32_e32 vcc_lo, s27, v2
	v_cndmask_b32_e32 v2, v2, v4, vcc_lo
	s_delay_alu instid0(VALU_DEP_1) | instskip(SKIP_1) | instid1(VALU_DEP_2)
	v_subrev_nc_u32_e32 v4, s27, v2
	v_cmp_le_u32_e32 vcc_lo, s27, v2
	v_cndmask_b32_e32 v18, v2, v4, vcc_lo
	s_delay_alu instid0(VALU_DEP_1)
	v_dual_mov_b32 v4, v18 :: v_dual_mov_b32 v5, v19
.LBB45_190:                             ;   in Loop: Header=BB45_17 Depth=1
	s_delay_alu instid0(VALU_DEP_1) | instskip(NEXT) | instid1(VALU_DEP_2)
	v_sub_co_u32 v8, vcc_lo, s85, v4
	v_sub_co_ci_u32_e32 v9, vcc_lo, s25, v5, vcc_lo
	s_mov_b32 s16, 0
	s_mov_b32 s17, exec_lo
                                        ; implicit-def: $vgpr6_vgpr7
	s_delay_alu instid0(VALU_DEP_1)
	v_cmpx_gt_i64_e64 v[8:9], v[0:1]
	s_cbranch_execz .LBB45_203
; %bb.191:                              ;   in Loop: Header=BB45_17 Depth=1
	v_dual_mov_b32 v10, v16 :: v_dual_mov_b32 v11, v17
	v_dual_mov_b32 v13, v1 :: v_dual_mov_b32 v12, v0
	s_mov_b32 s18, 0
                                        ; implicit-def: $sgpr16
	s_branch .LBB45_193
.LBB45_192:                             ;   in Loop: Header=BB45_193 Depth=2
	s_or_b32 exec_lo, exec_lo, s5
	s_waitcnt vmcnt(0) lgkmcnt(0)
	s_barrier
	buffer_gl0_inv
	ds_load_b128 v[4:7], v19 offset:3072
	v_add_co_u32 v12, s5, v12, s27
	s_delay_alu instid0(VALU_DEP_1)
	v_add_co_ci_u32_e64 v13, s5, 0, v13, s5
	s_waitcnt lgkmcnt(0)
	s_barrier
	buffer_gl0_inv
	v_cmp_ge_i64_e64 s5, v[12:13], v[8:9]
	v_cmp_neq_f64_e32 vcc_lo, 0, v[4:5]
	s_delay_alu instid0(VALU_DEP_2) | instskip(NEXT) | instid1(SALU_CYCLE_1)
	s_or_b32 s5, vcc_lo, s5
	s_and_b32 s19, exec_lo, s5
	v_add_co_u32 v10, s5, v10, s58
	s_delay_alu instid0(VALU_DEP_1) | instskip(SKIP_3) | instid1(SALU_CYCLE_1)
	v_add_co_ci_u32_e64 v11, s5, s59, v11, s5
	s_or_b32 s18, s19, s18
	s_and_not1_b32 s5, s16, exec_lo
	s_and_b32 s16, vcc_lo, exec_lo
	s_or_b32 s16, s5, s16
	s_and_not1_b32 exec_lo, exec_lo, s18
	s_cbranch_execz .LBB45_202
.LBB45_193:                             ;   Parent Loop BB45_17 Depth=1
                                        ; =>  This Inner Loop Header: Depth=2
	s_delay_alu instid0(VALU_DEP_1)
	v_cmp_gt_i64_e32 vcc_lo, s[36:37], v[12:13]
	v_mov_b32_e32 v4, 0
	v_mov_b32_e32 v5, 0
	s_and_saveexec_b32 s5, vcc_lo
	s_cbranch_execz .LBB45_195
; %bb.194:                              ;   in Loop: Header=BB45_193 Depth=2
	global_load_b64 v[4:5], v[10:11], off
.LBB45_195:                             ;   in Loop: Header=BB45_193 Depth=2
	s_or_b32 exec_lo, exec_lo, s5
	s_and_saveexec_b32 s5, vcc_lo
	s_cbranch_execz .LBB45_192
; %bb.196:                              ;   in Loop: Header=BB45_193 Depth=2
	s_waitcnt vmcnt(0)
	v_cmp_o_f64_e32 vcc_lo, v[4:5], v[4:5]
	v_ashrrev_i32_e32 v2, 31, v5
	s_delay_alu instid0(VALU_DEP_1) | instskip(SKIP_1) | instid1(VALU_DEP_2)
	v_or_b32_e32 v6, 0x80000000, v2
	v_xor_b32_e32 v2, v2, v4
	v_xor_b32_e32 v6, v6, v5
	s_delay_alu instid0(VALU_DEP_1) | instskip(NEXT) | instid1(VALU_DEP_3)
	v_cndmask_b32_e32 v6, -1, v6, vcc_lo
	v_cndmask_b32_e32 v2, -1, v2, vcc_lo
	s_delay_alu instid0(VALU_DEP_2) | instskip(NEXT) | instid1(VALU_DEP_2)
	v_and_b32_e32 v7, s71, v6
	v_and_b32_e32 v6, s70, v2
	s_delay_alu instid0(VALU_DEP_1)
	v_cmp_eq_u64_e32 vcc_lo, s[68:69], v[6:7]
	s_and_b32 exec_lo, exec_lo, vcc_lo
	s_cbranch_execz .LBB45_192
; %bb.197:                              ;   in Loop: Header=BB45_193 Depth=2
	v_mov_b32_e32 v2, v19
	ds_store_b128 v19, v[2:5] offset:3072
	s_branch .LBB45_192
.LBB45_198:                             ;   in Loop: Header=BB45_17 Depth=1
                                        ; implicit-def: $sgpr18
                                        ; implicit-def: $sgpr74
                                        ; implicit-def: $sgpr19
	s_branch .LBB45_217
.LBB45_199:                             ;   in Loop: Header=BB45_17 Depth=1
                                        ; implicit-def: $vgpr4_vgpr5
	s_branch .LBB45_142
.LBB45_200:                             ;   in Loop: Header=BB45_17 Depth=1
                                        ; implicit-def: $vgpr4_vgpr5
	s_branch .LBB45_159
.LBB45_201:                             ;   in Loop: Header=BB45_17 Depth=1
	s_mov_b32 s18, -1
	s_mov_b32 s16, 0
                                        ; implicit-def: $sgpr19
                                        ; implicit-def: $vgpr6_vgpr7
	s_mov_b32 s74, s18
	s_cbranch_execnz .LBB45_204
	s_branch .LBB45_217
.LBB45_202:                             ;   in Loop: Header=BB45_17 Depth=1
	s_or_b32 exec_lo, exec_lo, s18
	s_delay_alu instid0(SALU_CYCLE_1)
	s_and_b32 s16, s16, exec_lo
.LBB45_203:                             ;   in Loop: Header=BB45_17 Depth=1
	s_or_b32 exec_lo, exec_lo, s17
	s_mov_b32 s19, -1
	s_mov_b32 s18, 0
	s_delay_alu instid0(SALU_CYCLE_1)
	s_mov_b32 s74, s18
	s_branch .LBB45_217
.LBB45_204:                             ;   in Loop: Header=BB45_17 Depth=1
	s_add_u32 s18, s83, s14
	s_addc_u32 s17, s84, s15
	s_mov_b32 s16, s57
	s_delay_alu instid0(SALU_CYCLE_1)
	s_cmp_lg_u64 s[16:17], 0
	s_cbranch_scc0 .LBB45_247
; %bb.205:                              ;   in Loop: Header=BB45_17 Depth=1
	v_cvt_f32_u32_e32 v2, s27
	s_sub_u32 s19, 0, s27
	s_subb_u32 s24, 0, 0
	s_delay_alu instid0(VALU_DEP_1) | instskip(NEXT) | instid1(VALU_DEP_1)
	v_fmac_f32_e32 v2, 0x4f800000, v45
	v_rcp_f32_e32 v2, v2
	s_waitcnt_depctr 0xfff
	v_mul_f32_e32 v2, 0x5f7ffffc, v2
	s_delay_alu instid0(VALU_DEP_1) | instskip(NEXT) | instid1(VALU_DEP_1)
	v_mul_f32_e32 v4, 0x2f800000, v2
	v_trunc_f32_e32 v4, v4
	s_delay_alu instid0(VALU_DEP_1) | instskip(SKIP_1) | instid1(VALU_DEP_2)
	v_fmac_f32_e32 v2, 0xcf800000, v4
	v_cvt_u32_f32_e32 v4, v4
	v_cvt_u32_f32_e32 v2, v2
	s_delay_alu instid0(VALU_DEP_2) | instskip(NEXT) | instid1(VALU_DEP_2)
	v_readfirstlane_b32 s5, v4
	v_readfirstlane_b32 s16, v2
	s_delay_alu instid0(VALU_DEP_2) | instskip(NEXT) | instid1(VALU_DEP_1)
	s_mul_i32 s74, s19, s5
	s_mul_hi_u32 s77, s19, s16
	s_mul_i32 s75, s24, s16
	s_add_i32 s74, s77, s74
	s_mul_i32 s78, s19, s16
	s_add_i32 s74, s74, s75
	s_mul_hi_u32 s77, s16, s78
	s_mul_hi_u32 s79, s5, s78
	s_mul_i32 s75, s5, s78
	s_mul_hi_u32 s78, s16, s74
	s_mul_i32 s16, s16, s74
	s_mul_hi_u32 s80, s5, s74
	s_add_u32 s16, s77, s16
	s_addc_u32 s77, 0, s78
	s_add_u32 s16, s16, s75
	s_mul_i32 s74, s5, s74
	s_addc_u32 s16, s77, s79
	s_addc_u32 s75, s80, 0
	s_add_u32 s16, s16, s74
	s_addc_u32 s74, 0, s75
	v_add_co_u32 v2, s16, v2, s16
	s_delay_alu instid0(VALU_DEP_1) | instskip(SKIP_1) | instid1(VALU_DEP_1)
	s_cmp_lg_u32 s16, 0
	s_addc_u32 s5, s5, s74
	v_readfirstlane_b32 s16, v2
	s_mul_i32 s74, s19, s5
	s_delay_alu instid0(VALU_DEP_1)
	s_mul_hi_u32 s75, s19, s16
	s_mul_i32 s24, s24, s16
	s_add_i32 s74, s75, s74
	s_mul_i32 s19, s19, s16
	s_add_i32 s74, s74, s24
	s_mul_hi_u32 s75, s5, s19
	s_mul_i32 s77, s5, s19
	s_mul_hi_u32 s19, s16, s19
	s_mul_hi_u32 s78, s16, s74
	s_mul_i32 s16, s16, s74
	s_mul_hi_u32 s24, s5, s74
	s_add_u32 s16, s19, s16
	s_addc_u32 s19, 0, s78
	s_add_u32 s16, s16, s77
	s_mul_i32 s74, s5, s74
	s_addc_u32 s16, s19, s75
	s_addc_u32 s19, s24, 0
	s_add_u32 s16, s16, s74
	s_addc_u32 s19, 0, s19
	v_add_co_u32 v2, s16, v2, s16
	s_delay_alu instid0(VALU_DEP_1) | instskip(SKIP_2) | instid1(VALU_DEP_1)
	s_cmp_lg_u32 s16, 0
	s_addc_u32 s5, s5, s19
	s_ashr_i32 s74, s17, 31
	v_readfirstlane_b32 s16, v2
	s_add_u32 s78, s18, s74
	s_mov_b32 s75, s74
	s_addc_u32 s79, s17, s74
	s_delay_alu instid0(SALU_CYCLE_1) | instskip(NEXT) | instid1(SALU_CYCLE_1)
	s_xor_b64 s[78:79], s[78:79], s[74:75]
	s_mul_i32 s24, s78, s5
	s_mul_hi_u32 s75, s78, s16
	s_mul_hi_u32 s19, s78, s5
	s_mul_hi_u32 s80, s79, s16
	s_mul_i32 s16, s79, s16
	s_add_u32 s24, s75, s24
	s_addc_u32 s19, 0, s19
	s_mul_hi_u32 s77, s79, s5
	s_add_u32 s16, s24, s16
	s_mul_i32 s5, s79, s5
	s_addc_u32 s16, s19, s80
	s_addc_u32 s19, s77, 0
	s_add_u32 s5, s16, s5
	s_addc_u32 s16, 0, s19
	s_mul_hi_u32 s19, s27, s5
	s_mul_i32 s5, s27, s5
	s_mul_i32 s16, s27, s16
	v_sub_co_u32 v2, s5, s78, s5
	s_add_i32 s19, s19, s16
	s_cmp_lg_u32 s5, 0
	s_delay_alu instid0(VALU_DEP_1) | instskip(SKIP_2) | instid1(VALU_DEP_1)
	v_sub_co_u32 v4, s5, v2, s27
	s_subb_u32 s16, s79, s19
	s_cmp_lg_u32 s5, 0
	v_cmp_le_u32_e32 vcc_lo, s27, v4
	v_sub_co_u32 v5, s5, v4, s27
	s_subb_u32 s19, s16, 0
	s_cmp_lg_u32 s5, 0
	v_cndmask_b32_e64 v6, 0, -1, vcc_lo
	s_subb_u32 s5, s19, 0
	s_cmp_eq_u32 s19, 0
	v_mov_b32_e32 v8, s5
	s_cselect_b32 vcc_lo, -1, 0
	s_cmp_eq_u32 s16, 0
	v_cndmask_b32_e32 v6, -1, v6, vcc_lo
	v_cmp_le_u32_e32 vcc_lo, s27, v2
	s_cselect_b32 s5, -1, 0
	v_cndmask_b32_e64 v7, 0, -1, vcc_lo
	s_delay_alu instid0(VALU_DEP_3) | instskip(NEXT) | instid1(VALU_DEP_2)
	v_cmp_ne_u32_e32 vcc_lo, 0, v6
	v_cndmask_b32_e64 v6, -1, v7, s5
	v_cndmask_b32_e32 v7, s19, v8, vcc_lo
	v_cndmask_b32_e32 v4, v4, v5, vcc_lo
	s_delay_alu instid0(VALU_DEP_3) | instskip(NEXT) | instid1(VALU_DEP_2)
	v_cmp_ne_u32_e32 vcc_lo, 0, v6
	v_cndmask_b32_e32 v2, v2, v4, vcc_lo
	s_delay_alu instid0(VALU_DEP_4) | instskip(NEXT) | instid1(VALU_DEP_2)
	v_cndmask_b32_e32 v5, s16, v7, vcc_lo
	v_xor_b32_e32 v2, s74, v2
	s_delay_alu instid0(VALU_DEP_2) | instskip(NEXT) | instid1(VALU_DEP_2)
	v_xor_b32_e32 v5, s74, v5
	v_sub_co_u32 v4, vcc_lo, v2, s74
	s_delay_alu instid0(VALU_DEP_2)
	v_subrev_co_ci_u32_e32 v5, vcc_lo, s74, v5, vcc_lo
	s_cbranch_execnz .LBB45_207
.LBB45_206:                             ;   in Loop: Header=BB45_17 Depth=1
	v_cvt_f32_u32_e32 v2, s27
	s_sub_i32 s5, 0, s27
	s_delay_alu instid0(VALU_DEP_1) | instskip(SKIP_2) | instid1(VALU_DEP_1)
	v_rcp_iflag_f32_e32 v2, v2
	s_waitcnt_depctr 0xfff
	v_mul_f32_e32 v2, 0x4f7ffffe, v2
	v_cvt_u32_f32_e32 v2, v2
	s_delay_alu instid0(VALU_DEP_1) | instskip(NEXT) | instid1(VALU_DEP_1)
	v_mul_lo_u32 v4, s5, v2
	v_mul_hi_u32 v4, v2, v4
	s_delay_alu instid0(VALU_DEP_1) | instskip(NEXT) | instid1(VALU_DEP_1)
	v_add_nc_u32_e32 v2, v2, v4
	v_mul_hi_u32 v2, s18, v2
	s_delay_alu instid0(VALU_DEP_1) | instskip(NEXT) | instid1(VALU_DEP_1)
	v_mul_lo_u32 v2, v2, s27
	v_sub_nc_u32_e32 v2, s18, v2
	s_delay_alu instid0(VALU_DEP_1) | instskip(SKIP_1) | instid1(VALU_DEP_2)
	v_subrev_nc_u32_e32 v4, s27, v2
	v_cmp_le_u32_e32 vcc_lo, s27, v2
	v_cndmask_b32_e32 v2, v2, v4, vcc_lo
	s_delay_alu instid0(VALU_DEP_1) | instskip(SKIP_1) | instid1(VALU_DEP_2)
	v_subrev_nc_u32_e32 v4, s27, v2
	v_cmp_le_u32_e32 vcc_lo, s27, v2
	v_cndmask_b32_e32 v18, v2, v4, vcc_lo
	s_delay_alu instid0(VALU_DEP_1)
	v_dual_mov_b32 v4, v18 :: v_dual_mov_b32 v5, v19
.LBB45_207:                             ;   in Loop: Header=BB45_17 Depth=1
	s_delay_alu instid0(VALU_DEP_1) | instskip(NEXT) | instid1(VALU_DEP_2)
	v_sub_co_u32 v8, vcc_lo, s18, v4
	v_sub_co_ci_u32_e32 v9, vcc_lo, s17, v5, vcc_lo
	s_mov_b32 s16, 0
	s_mov_b32 s17, exec_lo
                                        ; implicit-def: $vgpr6_vgpr7
	s_delay_alu instid0(VALU_DEP_1)
	v_cmpx_gt_i64_e64 v[8:9], v[0:1]
	s_cbranch_execz .LBB45_216
; %bb.208:                              ;   in Loop: Header=BB45_17 Depth=1
	v_dual_mov_b32 v12, v36 :: v_dual_mov_b32 v11, v1
	v_mov_b32_e32 v10, v0
	s_mov_b32 s18, 0
                                        ; implicit-def: $sgpr16
	s_set_inst_prefetch_distance 0x1
	s_branch .LBB45_210
	.p2align	6
.LBB45_209:                             ;   in Loop: Header=BB45_210 Depth=2
	s_or_b32 exec_lo, exec_lo, s5
	s_waitcnt lgkmcnt(0)
	s_barrier
	buffer_gl0_inv
	ds_load_b128 v[4:7], v19 offset:3072
	v_add_co_u32 v10, s5, v10, s27
	s_delay_alu instid0(VALU_DEP_1) | instskip(SKIP_3) | instid1(VALU_DEP_2)
	v_add_co_ci_u32_e64 v11, s5, 0, v11, s5
	v_add_nc_u32_e32 v12, s91, v12
	s_waitcnt lgkmcnt(0)
	s_barrier
	v_cmp_ge_i64_e64 s5, v[10:11], v[8:9]
	buffer_gl0_inv
	v_cmp_neq_f64_e32 vcc_lo, 0, v[4:5]
	s_or_b32 s5, vcc_lo, s5
	s_delay_alu instid0(SALU_CYCLE_1) | instskip(NEXT) | instid1(SALU_CYCLE_1)
	s_and_b32 s5, exec_lo, s5
	s_or_b32 s18, s5, s18
	s_and_not1_b32 s5, s16, exec_lo
	s_and_b32 s16, vcc_lo, exec_lo
	s_delay_alu instid0(SALU_CYCLE_1)
	s_or_b32 s16, s5, s16
	s_and_not1_b32 exec_lo, exec_lo, s18
	s_cbranch_execz .LBB45_215
.LBB45_210:                             ;   Parent Loop BB45_17 Depth=1
                                        ; =>  This Inner Loop Header: Depth=2
	s_delay_alu instid0(VALU_DEP_1)
	v_cmp_gt_i64_e32 vcc_lo, s[14:15], v[10:11]
	v_mov_b32_e32 v4, 0
	v_mov_b32_e32 v5, 0
	s_and_saveexec_b32 s5, vcc_lo
	s_cbranch_execz .LBB45_212
; %bb.211:                              ;   in Loop: Header=BB45_210 Depth=2
	ds_load_b64 v[4:5], v12
.LBB45_212:                             ;   in Loop: Header=BB45_210 Depth=2
	s_or_b32 exec_lo, exec_lo, s5
	s_and_saveexec_b32 s5, vcc_lo
	s_cbranch_execz .LBB45_209
; %bb.213:                              ;   in Loop: Header=BB45_210 Depth=2
	s_waitcnt lgkmcnt(0)
	v_cmp_o_f64_e32 vcc_lo, v[4:5], v[4:5]
	v_ashrrev_i32_e32 v2, 31, v5
	s_delay_alu instid0(VALU_DEP_1) | instskip(SKIP_1) | instid1(VALU_DEP_2)
	v_or_b32_e32 v6, 0x80000000, v2
	v_xor_b32_e32 v2, v2, v4
	v_xor_b32_e32 v6, v6, v5
	s_delay_alu instid0(VALU_DEP_1) | instskip(NEXT) | instid1(VALU_DEP_3)
	v_cndmask_b32_e32 v6, -1, v6, vcc_lo
	v_cndmask_b32_e32 v2, -1, v2, vcc_lo
	s_delay_alu instid0(VALU_DEP_2) | instskip(NEXT) | instid1(VALU_DEP_2)
	v_and_b32_e32 v7, s71, v6
	v_and_b32_e32 v6, s70, v2
	s_delay_alu instid0(VALU_DEP_1)
	v_cmp_eq_u64_e32 vcc_lo, s[68:69], v[6:7]
	s_and_b32 exec_lo, exec_lo, vcc_lo
	s_cbranch_execz .LBB45_209
; %bb.214:                              ;   in Loop: Header=BB45_210 Depth=2
	v_mov_b32_e32 v2, v19
	ds_store_b128 v19, v[2:5] offset:3072
	s_branch .LBB45_209
.LBB45_215:                             ;   in Loop: Header=BB45_17 Depth=1
	s_set_inst_prefetch_distance 0x2
	s_or_b32 exec_lo, exec_lo, s18
	s_delay_alu instid0(SALU_CYCLE_1)
	s_and_b32 s16, s16, exec_lo
.LBB45_216:                             ;   in Loop: Header=BB45_17 Depth=1
	s_or_b32 exec_lo, exec_lo, s17
	s_mov_b32 s74, -1
	s_mov_b32 s18, 0
	s_mov_b32 s19, 0
.LBB45_217:                             ;   in Loop: Header=BB45_17 Depth=1
	s_mov_b32 s14, 0
                                        ; implicit-def: $sgpr5
	s_and_saveexec_b32 s75, s16
	s_cbranch_execz .LBB45_279
; %bb.218:                              ;   in Loop: Header=BB45_17 Depth=1
	s_xor_b32 s5, s76, -1
	s_delay_alu instid0(SALU_CYCLE_1)
	s_and_not1_b32 vcc_lo, exec_lo, s5
	s_mov_b32 s5, 1
	s_cbranch_vccnz .LBB45_229
; %bb.219:                              ;   in Loop: Header=BB45_17 Depth=1
	v_cmp_gt_i64_e64 s5, s[38:39], s[10:11]
	s_mov_b32 s24, -1
                                        ; implicit-def: $sgpr14_sgpr15
                                        ; implicit-def: $sgpr16_sgpr17
	s_delay_alu instid0(VALU_DEP_1)
	s_and_b32 vcc_lo, exec_lo, s5
                                        ; implicit-def: $sgpr5
	s_cbranch_vccnz .LBB45_225
; %bb.220:                              ;   in Loop: Header=BB45_17 Depth=1
	ds_load_b64 v[4:5], v19 offset:5120
	s_waitcnt lgkmcnt(0)
	v_cmp_ne_u64_e32 vcc_lo, 0, v[4:5]
	s_cbranch_vccnz .LBB45_224
; %bb.221:                              ;   in Loop: Header=BB45_17 Depth=1
	s_and_saveexec_b32 s5, s2
	s_cbranch_execz .LBB45_223
; %bb.222:                              ;   in Loop: Header=BB45_17 Depth=1
	v_dual_mov_b32 v4, s10 :: v_dual_mov_b32 v5, s11
	ds_store_b64 v19, v[4:5] offset:5128
.LBB45_223:                             ;   in Loop: Header=BB45_17 Depth=1
	s_or_b32 exec_lo, exec_lo, s5
	s_waitcnt lgkmcnt(0)
	s_barrier
	buffer_gl0_inv
.LBB45_224:                             ;   in Loop: Header=BB45_17 Depth=1
	s_lshl_b64 s[14:15], 2, s23
	s_and_b64 s[12:13], s[68:69], s[12:13]
	s_or_b64 s[16:17], s[70:71], s[8:9]
	s_or_b64 s[14:15], s[12:13], s[14:15]
	s_mov_b32 s24, 0
	s_mov_b32 s5, 8
.LBB45_225:                             ;   in Loop: Header=BB45_17 Depth=1
	s_and_not1_b32 vcc_lo, exec_lo, s24
	s_cbranch_vccnz .LBB45_227
; %bb.226:                              ;   in Loop: Header=BB45_17 Depth=1
	s_sub_u32 s38, s38, s10
	s_subb_u32 s39, s39, s11
	s_mov_b32 s24, -1
	s_mov_b32 s5, 0
	s_mov_b64 s[14:15], s[68:69]
	s_mov_b64 s[16:17], s[70:71]
.LBB45_227:                             ;   in Loop: Header=BB45_17 Depth=1
	s_delay_alu instid0(SALU_CYCLE_1)
	s_mov_b64 s[70:71], s[16:17]
	s_mov_b64 s[68:69], s[14:15]
	s_and_not1_b32 vcc_lo, exec_lo, s24
	s_mov_b32 s13, -1
	s_cbranch_vccz .LBB45_230
.LBB45_228:                             ;   in Loop: Header=BB45_17 Depth=1
                                        ; implicit-def: $sgpr15
                                        ; implicit-def: $sgpr17
                                        ; implicit-def: $sgpr16
	s_branch .LBB45_278
.LBB45_229:                             ;   in Loop: Header=BB45_17 Depth=1
	s_mov_b64 s[38:39], 1
	s_mov_b32 s13, -1
	s_cbranch_execnz .LBB45_228
.LBB45_230:                             ;   in Loop: Header=BB45_17 Depth=1
	s_cmp_eq_u64 s[6:7], 1
	s_mov_b32 s12, -1
	s_cselect_b32 s5, -1, 0
	s_cmp_eq_u64 s[38:39], 1
	s_cselect_b32 s10, -1, 0
	s_delay_alu instid0(SALU_CYCLE_1) | instskip(NEXT) | instid1(SALU_CYCLE_1)
	s_and_b32 s14, s5, s10
	s_and_b32 vcc_lo, exec_lo, s14
	s_cbranch_vccz .LBB45_245
; %bb.231:                              ;   in Loop: Header=BB45_17 Depth=1
	ds_load_b64 v[4:5], v19 offset:5120
	s_waitcnt lgkmcnt(0)
	s_barrier
	buffer_gl0_inv
	v_readfirstlane_b32 s10, v4
	v_readfirstlane_b32 s11, v5
	s_and_saveexec_b32 s5, s3
	s_cbranch_execz .LBB45_233
; %bb.232:                              ;   in Loop: Header=BB45_17 Depth=1
	v_mov_b32_e32 v18, v19
	ds_store_b64 v37, v[18:19]
.LBB45_233:                             ;   in Loop: Header=BB45_17 Depth=1
	s_or_b32 exec_lo, exec_lo, s5
	s_delay_alu instid0(VALU_DEP_1)
	v_cmp_gt_i64_e64 s5, s[10:11], 0
	s_or_b64 s[68:69], s[68:69], s[8:9]
	s_or_b64 s[70:71], s[70:71], s[8:9]
	s_waitcnt lgkmcnt(0)
	s_barrier
	buffer_gl0_inv
	s_and_b32 vcc_lo, exec_lo, s5
	s_cbranch_vccnz .LBB45_248
; %bb.234:                              ;   in Loop: Header=BB45_17 Depth=1
	s_mov_b32 s24, s57
	s_delay_alu instid0(SALU_CYCLE_1)
	s_cmp_lg_u64 s[24:25], 0
	s_cbranch_scc0 .LBB45_284
; %bb.235:                              ;   in Loop: Header=BB45_17 Depth=1
	v_cvt_f32_u32_e32 v2, s27
	s_sub_u32 s13, 0, s27
	s_subb_u32 s15, 0, 0
	s_delay_alu instid0(VALU_DEP_1) | instskip(NEXT) | instid1(VALU_DEP_1)
	v_fmac_f32_e32 v2, 0x4f800000, v45
	v_rcp_f32_e32 v2, v2
	s_waitcnt_depctr 0xfff
	v_mul_f32_e32 v2, 0x5f7ffffc, v2
	s_delay_alu instid0(VALU_DEP_1) | instskip(NEXT) | instid1(VALU_DEP_1)
	v_mul_f32_e32 v4, 0x2f800000, v2
	v_trunc_f32_e32 v4, v4
	s_delay_alu instid0(VALU_DEP_1) | instskip(SKIP_1) | instid1(VALU_DEP_2)
	v_fmac_f32_e32 v2, 0xcf800000, v4
	v_cvt_u32_f32_e32 v4, v4
	v_cvt_u32_f32_e32 v2, v2
	s_delay_alu instid0(VALU_DEP_2) | instskip(NEXT) | instid1(VALU_DEP_2)
	v_readfirstlane_b32 s5, v4
	v_readfirstlane_b32 s12, v2
	s_delay_alu instid0(VALU_DEP_2) | instskip(NEXT) | instid1(VALU_DEP_1)
	s_mul_i32 s16, s13, s5
	s_mul_hi_u32 s23, s13, s12
	s_mul_i32 s17, s15, s12
	s_add_i32 s16, s23, s16
	s_mul_i32 s24, s13, s12
	s_add_i32 s16, s16, s17
	s_mul_hi_u32 s23, s12, s24
	s_mul_hi_u32 s76, s5, s24
	s_mul_i32 s17, s5, s24
	s_mul_hi_u32 s24, s12, s16
	s_mul_i32 s12, s12, s16
	s_mul_hi_u32 s77, s5, s16
	s_add_u32 s12, s23, s12
	s_addc_u32 s23, 0, s24
	s_add_u32 s12, s12, s17
	s_mul_i32 s16, s5, s16
	s_addc_u32 s12, s23, s76
	s_addc_u32 s17, s77, 0
	s_add_u32 s12, s12, s16
	s_addc_u32 s16, 0, s17
	v_add_co_u32 v2, s12, v2, s12
	s_delay_alu instid0(VALU_DEP_1) | instskip(SKIP_1) | instid1(VALU_DEP_1)
	s_cmp_lg_u32 s12, 0
	s_addc_u32 s5, s5, s16
	v_readfirstlane_b32 s12, v2
	s_mul_i32 s16, s13, s5
	s_delay_alu instid0(VALU_DEP_1)
	s_mul_hi_u32 s17, s13, s12
	s_mul_i32 s15, s15, s12
	s_add_i32 s16, s17, s16
	s_mul_i32 s13, s13, s12
	s_add_i32 s16, s16, s15
	s_mul_hi_u32 s17, s5, s13
	s_mul_i32 s23, s5, s13
	s_mul_hi_u32 s13, s12, s13
	s_mul_hi_u32 s24, s12, s16
	s_mul_i32 s12, s12, s16
	s_mul_hi_u32 s15, s5, s16
	s_add_u32 s12, s13, s12
	s_addc_u32 s13, 0, s24
	s_add_u32 s12, s12, s23
	s_mul_i32 s16, s5, s16
	s_addc_u32 s12, s13, s17
	s_addc_u32 s13, s15, 0
	s_add_u32 s12, s12, s16
	s_addc_u32 s13, 0, s13
	v_add_co_u32 v2, s12, v2, s12
	s_delay_alu instid0(VALU_DEP_1) | instskip(SKIP_2) | instid1(VALU_DEP_1)
	s_cmp_lg_u32 s12, 0
	s_addc_u32 s5, s5, s13
	s_ashr_i32 s12, s25, 31
	v_readfirstlane_b32 s15, v2
	s_add_u32 s16, s85, s12
	s_mov_b32 s13, s12
	s_addc_u32 s17, s25, s12
	s_delay_alu instid0(SALU_CYCLE_1) | instskip(NEXT) | instid1(SALU_CYCLE_1)
	s_xor_b64 s[16:17], s[16:17], s[12:13]
	s_mul_i32 s23, s16, s5
	s_mul_hi_u32 s24, s16, s15
	s_mul_hi_u32 s13, s16, s5
	;; [unrolled: 1-line block ×3, first 2 shown]
	s_mul_i32 s15, s17, s15
	s_add_u32 s23, s24, s23
	s_addc_u32 s13, 0, s13
	s_mul_hi_u32 s76, s17, s5
	s_add_u32 s15, s23, s15
	s_mul_i32 s5, s17, s5
	s_addc_u32 s13, s13, s77
	s_addc_u32 s15, s76, 0
	s_add_u32 s5, s13, s5
	s_addc_u32 s13, 0, s15
	s_mul_hi_u32 s15, s27, s5
	s_mul_i32 s5, s27, s5
	s_mul_i32 s13, s27, s13
	v_sub_co_u32 v2, s5, s16, s5
	s_add_i32 s15, s15, s13
	s_cmp_lg_u32 s5, 0
	s_delay_alu instid0(VALU_DEP_1) | instskip(SKIP_2) | instid1(VALU_DEP_1)
	v_sub_co_u32 v4, s5, v2, s27
	s_subb_u32 s13, s17, s15
	s_cmp_lg_u32 s5, 0
	v_cmp_le_u32_e32 vcc_lo, s27, v4
	v_sub_co_u32 v5, s5, v4, s27
	s_subb_u32 s15, s13, 0
	s_cmp_lg_u32 s5, 0
	v_cndmask_b32_e64 v6, 0, -1, vcc_lo
	s_subb_u32 s5, s15, 0
	s_cmp_eq_u32 s15, 0
	v_mov_b32_e32 v8, s5
	s_cselect_b32 vcc_lo, -1, 0
	s_cmp_eq_u32 s13, 0
	v_cndmask_b32_e32 v6, -1, v6, vcc_lo
	v_cmp_le_u32_e32 vcc_lo, s27, v2
	s_cselect_b32 s5, -1, 0
	v_cndmask_b32_e64 v7, 0, -1, vcc_lo
	s_delay_alu instid0(VALU_DEP_3) | instskip(NEXT) | instid1(VALU_DEP_2)
	v_cmp_ne_u32_e32 vcc_lo, 0, v6
	v_cndmask_b32_e64 v6, -1, v7, s5
	v_cndmask_b32_e32 v7, s15, v8, vcc_lo
	v_cndmask_b32_e32 v4, v4, v5, vcc_lo
	s_delay_alu instid0(VALU_DEP_3) | instskip(NEXT) | instid1(VALU_DEP_2)
	v_cmp_ne_u32_e32 vcc_lo, 0, v6
	v_cndmask_b32_e32 v2, v2, v4, vcc_lo
	s_delay_alu instid0(VALU_DEP_4) | instskip(NEXT) | instid1(VALU_DEP_2)
	v_cndmask_b32_e32 v5, s13, v7, vcc_lo
	v_xor_b32_e32 v2, s12, v2
	s_delay_alu instid0(VALU_DEP_2) | instskip(NEXT) | instid1(VALU_DEP_2)
	v_xor_b32_e32 v5, s12, v5
	v_sub_co_u32 v4, vcc_lo, v2, s12
	s_delay_alu instid0(VALU_DEP_2)
	v_subrev_co_ci_u32_e32 v5, vcc_lo, s12, v5, vcc_lo
	s_cbranch_execnz .LBB45_237
.LBB45_236:                             ;   in Loop: Header=BB45_17 Depth=1
	v_cvt_f32_u32_e32 v2, s27
	s_sub_i32 s5, 0, s27
	s_delay_alu instid0(VALU_DEP_1) | instskip(SKIP_2) | instid1(VALU_DEP_1)
	v_rcp_iflag_f32_e32 v2, v2
	s_waitcnt_depctr 0xfff
	v_mul_f32_e32 v2, 0x4f7ffffe, v2
	v_cvt_u32_f32_e32 v2, v2
	s_delay_alu instid0(VALU_DEP_1) | instskip(NEXT) | instid1(VALU_DEP_1)
	v_mul_lo_u32 v4, s5, v2
	v_mul_hi_u32 v4, v2, v4
	s_delay_alu instid0(VALU_DEP_1) | instskip(NEXT) | instid1(VALU_DEP_1)
	v_add_nc_u32_e32 v2, v2, v4
	v_mul_hi_u32 v2, s85, v2
	s_delay_alu instid0(VALU_DEP_1) | instskip(NEXT) | instid1(VALU_DEP_1)
	v_mul_lo_u32 v2, v2, s27
	v_sub_nc_u32_e32 v2, s85, v2
	s_delay_alu instid0(VALU_DEP_1) | instskip(SKIP_1) | instid1(VALU_DEP_2)
	v_subrev_nc_u32_e32 v4, s27, v2
	v_cmp_le_u32_e32 vcc_lo, s27, v2
	v_cndmask_b32_e32 v2, v2, v4, vcc_lo
	s_delay_alu instid0(VALU_DEP_1) | instskip(SKIP_1) | instid1(VALU_DEP_2)
	v_subrev_nc_u32_e32 v4, s27, v2
	v_cmp_le_u32_e32 vcc_lo, s27, v2
	v_cndmask_b32_e32 v18, v2, v4, vcc_lo
	s_delay_alu instid0(VALU_DEP_1)
	v_dual_mov_b32 v4, v18 :: v_dual_mov_b32 v5, v19
.LBB45_237:                             ;   in Loop: Header=BB45_17 Depth=1
	s_delay_alu instid0(VALU_DEP_1) | instskip(NEXT) | instid1(VALU_DEP_2)
	v_sub_co_u32 v8, vcc_lo, s85, v4
	v_sub_co_ci_u32_e32 v9, vcc_lo, s25, v5, vcc_lo
	s_mov_b32 s12, 0
	s_mov_b32 s13, exec_lo
                                        ; implicit-def: $vgpr6_vgpr7
	s_delay_alu instid0(VALU_DEP_1)
	v_cmpx_gt_i64_e64 v[8:9], v[0:1]
	s_cbranch_execz .LBB45_250
; %bb.238:                              ;   in Loop: Header=BB45_17 Depth=1
	v_dual_mov_b32 v10, v16 :: v_dual_mov_b32 v11, v17
	v_dual_mov_b32 v13, v1 :: v_dual_mov_b32 v12, v0
	s_mov_b32 s15, 0
                                        ; implicit-def: $sgpr12
	s_branch .LBB45_240
.LBB45_239:                             ;   in Loop: Header=BB45_240 Depth=2
	s_or_b32 exec_lo, exec_lo, s5
	s_waitcnt vmcnt(0) lgkmcnt(0)
	s_barrier
	buffer_gl0_inv
	ds_load_b128 v[4:7], v19 offset:3072
	v_add_co_u32 v12, s5, v12, s27
	s_delay_alu instid0(VALU_DEP_1)
	v_add_co_ci_u32_e64 v13, s5, 0, v13, s5
	s_waitcnt lgkmcnt(0)
	s_barrier
	buffer_gl0_inv
	v_cmp_ge_i64_e64 s5, v[12:13], v[8:9]
	v_cmp_neq_f64_e32 vcc_lo, 0, v[4:5]
	s_delay_alu instid0(VALU_DEP_2) | instskip(NEXT) | instid1(SALU_CYCLE_1)
	s_or_b32 s5, vcc_lo, s5
	s_and_b32 s16, exec_lo, s5
	v_add_co_u32 v10, s5, v10, s58
	s_delay_alu instid0(VALU_DEP_1) | instskip(SKIP_3) | instid1(SALU_CYCLE_1)
	v_add_co_ci_u32_e64 v11, s5, s59, v11, s5
	s_or_b32 s15, s16, s15
	s_and_not1_b32 s5, s12, exec_lo
	s_and_b32 s12, vcc_lo, exec_lo
	s_or_b32 s12, s5, s12
	s_and_not1_b32 exec_lo, exec_lo, s15
	s_cbranch_execz .LBB45_249
.LBB45_240:                             ;   Parent Loop BB45_17 Depth=1
                                        ; =>  This Inner Loop Header: Depth=2
	s_delay_alu instid0(VALU_DEP_1)
	v_cmp_gt_i64_e32 vcc_lo, s[36:37], v[12:13]
	v_mov_b32_e32 v4, 0
	v_mov_b32_e32 v5, 0
	s_and_saveexec_b32 s5, vcc_lo
	s_cbranch_execz .LBB45_242
; %bb.241:                              ;   in Loop: Header=BB45_240 Depth=2
	global_load_b64 v[4:5], v[10:11], off
.LBB45_242:                             ;   in Loop: Header=BB45_240 Depth=2
	s_or_b32 exec_lo, exec_lo, s5
	s_and_saveexec_b32 s5, vcc_lo
	s_cbranch_execz .LBB45_239
; %bb.243:                              ;   in Loop: Header=BB45_240 Depth=2
	s_waitcnt vmcnt(0)
	v_cmp_o_f64_e32 vcc_lo, v[4:5], v[4:5]
	v_ashrrev_i32_e32 v2, 31, v5
	s_delay_alu instid0(VALU_DEP_1) | instskip(SKIP_1) | instid1(VALU_DEP_2)
	v_or_b32_e32 v6, 0x80000000, v2
	v_xor_b32_e32 v2, v2, v4
	v_xor_b32_e32 v6, v6, v5
	s_delay_alu instid0(VALU_DEP_1) | instskip(NEXT) | instid1(VALU_DEP_3)
	v_cndmask_b32_e32 v6, -1, v6, vcc_lo
	v_cndmask_b32_e32 v2, -1, v2, vcc_lo
	s_delay_alu instid0(VALU_DEP_2) | instskip(NEXT) | instid1(VALU_DEP_2)
	v_and_b32_e32 v7, s71, v6
	v_and_b32_e32 v6, s70, v2
	s_delay_alu instid0(VALU_DEP_1)
	v_cmp_eq_u64_e32 vcc_lo, s[68:69], v[6:7]
	s_and_b32 exec_lo, exec_lo, vcc_lo
	s_cbranch_execz .LBB45_239
; %bb.244:                              ;   in Loop: Header=BB45_240 Depth=2
	v_mov_b32_e32 v2, v19
	ds_store_b128 v19, v[2:5] offset:3072
	s_branch .LBB45_239
.LBB45_245:                             ;   in Loop: Header=BB45_17 Depth=1
                                        ; implicit-def: $sgpr15
                                        ; implicit-def: $sgpr17
                                        ; implicit-def: $sgpr16
	s_branch .LBB45_264
.LBB45_246:                             ;   in Loop: Header=BB45_17 Depth=1
                                        ; implicit-def: $vgpr4_vgpr5
	s_branch .LBB45_189
.LBB45_247:                             ;   in Loop: Header=BB45_17 Depth=1
                                        ; implicit-def: $vgpr4_vgpr5
	s_branch .LBB45_206
.LBB45_248:                             ;   in Loop: Header=BB45_17 Depth=1
	s_mov_b32 s15, -1
	s_mov_b32 s12, 0
                                        ; implicit-def: $sgpr16
                                        ; implicit-def: $vgpr6_vgpr7
	s_mov_b32 s17, s15
	s_cbranch_execnz .LBB45_251
	s_branch .LBB45_264
.LBB45_249:                             ;   in Loop: Header=BB45_17 Depth=1
	s_or_b32 exec_lo, exec_lo, s15
	s_delay_alu instid0(SALU_CYCLE_1)
	s_and_b32 s12, s12, exec_lo
.LBB45_250:                             ;   in Loop: Header=BB45_17 Depth=1
	s_or_b32 exec_lo, exec_lo, s13
	s_mov_b32 s16, -1
	s_mov_b32 s15, 0
	s_delay_alu instid0(SALU_CYCLE_1)
	s_mov_b32 s17, s15
	s_branch .LBB45_264
.LBB45_251:                             ;   in Loop: Header=BB45_17 Depth=1
	s_add_u32 s15, s83, s10
	s_addc_u32 s13, s84, s11
	s_mov_b32 s12, s57
	s_delay_alu instid0(SALU_CYCLE_1)
	s_cmp_lg_u64 s[12:13], 0
	s_cbranch_scc0 .LBB45_285
; %bb.252:                              ;   in Loop: Header=BB45_17 Depth=1
	v_cvt_f32_u32_e32 v2, s27
	s_sub_u32 s16, 0, s27
	s_subb_u32 s17, 0, 0
	s_delay_alu instid0(VALU_DEP_1) | instskip(NEXT) | instid1(VALU_DEP_1)
	v_fmac_f32_e32 v2, 0x4f800000, v45
	v_rcp_f32_e32 v2, v2
	s_waitcnt_depctr 0xfff
	v_mul_f32_e32 v2, 0x5f7ffffc, v2
	s_delay_alu instid0(VALU_DEP_1) | instskip(NEXT) | instid1(VALU_DEP_1)
	v_mul_f32_e32 v4, 0x2f800000, v2
	v_trunc_f32_e32 v4, v4
	s_delay_alu instid0(VALU_DEP_1) | instskip(SKIP_1) | instid1(VALU_DEP_2)
	v_fmac_f32_e32 v2, 0xcf800000, v4
	v_cvt_u32_f32_e32 v4, v4
	v_cvt_u32_f32_e32 v2, v2
	s_delay_alu instid0(VALU_DEP_2) | instskip(NEXT) | instid1(VALU_DEP_2)
	v_readfirstlane_b32 s5, v4
	v_readfirstlane_b32 s12, v2
	s_delay_alu instid0(VALU_DEP_2) | instskip(NEXT) | instid1(VALU_DEP_1)
	s_mul_i32 s23, s16, s5
	s_mul_hi_u32 s76, s16, s12
	s_mul_i32 s24, s17, s12
	s_add_i32 s23, s76, s23
	s_mul_i32 s77, s16, s12
	s_add_i32 s23, s23, s24
	s_mul_hi_u32 s76, s12, s77
	s_mul_hi_u32 s78, s5, s77
	s_mul_i32 s24, s5, s77
	s_mul_hi_u32 s77, s12, s23
	s_mul_i32 s12, s12, s23
	s_mul_hi_u32 s79, s5, s23
	s_add_u32 s12, s76, s12
	s_addc_u32 s76, 0, s77
	s_add_u32 s12, s12, s24
	s_mul_i32 s23, s5, s23
	s_addc_u32 s12, s76, s78
	s_addc_u32 s24, s79, 0
	s_add_u32 s12, s12, s23
	s_addc_u32 s23, 0, s24
	v_add_co_u32 v2, s12, v2, s12
	s_delay_alu instid0(VALU_DEP_1) | instskip(SKIP_1) | instid1(VALU_DEP_1)
	s_cmp_lg_u32 s12, 0
	s_addc_u32 s5, s5, s23
	v_readfirstlane_b32 s12, v2
	s_mul_i32 s23, s16, s5
	s_delay_alu instid0(VALU_DEP_1)
	s_mul_hi_u32 s24, s16, s12
	s_mul_i32 s17, s17, s12
	s_add_i32 s23, s24, s23
	s_mul_i32 s16, s16, s12
	s_add_i32 s23, s23, s17
	s_mul_hi_u32 s24, s5, s16
	s_mul_i32 s76, s5, s16
	s_mul_hi_u32 s16, s12, s16
	s_mul_hi_u32 s77, s12, s23
	s_mul_i32 s12, s12, s23
	s_mul_hi_u32 s17, s5, s23
	s_add_u32 s12, s16, s12
	s_addc_u32 s16, 0, s77
	s_add_u32 s12, s12, s76
	s_mul_i32 s23, s5, s23
	s_addc_u32 s12, s16, s24
	s_addc_u32 s16, s17, 0
	s_add_u32 s12, s12, s23
	s_addc_u32 s16, 0, s16
	v_add_co_u32 v2, s12, v2, s12
	s_delay_alu instid0(VALU_DEP_1) | instskip(SKIP_2) | instid1(VALU_DEP_1)
	s_cmp_lg_u32 s12, 0
	s_addc_u32 s5, s5, s16
	s_ashr_i32 s16, s13, 31
	v_readfirstlane_b32 s12, v2
	s_add_u32 s76, s15, s16
	s_mov_b32 s17, s16
	s_addc_u32 s77, s13, s16
	s_delay_alu instid0(SALU_CYCLE_1) | instskip(NEXT) | instid1(SALU_CYCLE_1)
	s_xor_b64 s[76:77], s[76:77], s[16:17]
	s_mul_i32 s23, s76, s5
	s_mul_hi_u32 s24, s76, s12
	s_mul_hi_u32 s17, s76, s5
	;; [unrolled: 1-line block ×3, first 2 shown]
	s_mul_i32 s12, s77, s12
	s_add_u32 s23, s24, s23
	s_addc_u32 s17, 0, s17
	s_mul_hi_u32 s78, s77, s5
	s_add_u32 s12, s23, s12
	s_mul_i32 s5, s77, s5
	s_addc_u32 s12, s17, s79
	s_addc_u32 s17, s78, 0
	s_add_u32 s5, s12, s5
	s_addc_u32 s12, 0, s17
	s_mul_hi_u32 s17, s27, s5
	s_mul_i32 s5, s27, s5
	s_mul_i32 s12, s27, s12
	v_sub_co_u32 v2, s5, s76, s5
	s_add_i32 s17, s17, s12
	s_cmp_lg_u32 s5, 0
	s_delay_alu instid0(VALU_DEP_1) | instskip(SKIP_2) | instid1(VALU_DEP_1)
	v_sub_co_u32 v4, s5, v2, s27
	s_subb_u32 s12, s77, s17
	s_cmp_lg_u32 s5, 0
	v_cmp_le_u32_e32 vcc_lo, s27, v4
	v_sub_co_u32 v5, s5, v4, s27
	s_subb_u32 s17, s12, 0
	s_cmp_lg_u32 s5, 0
	v_cndmask_b32_e64 v6, 0, -1, vcc_lo
	s_subb_u32 s5, s17, 0
	s_cmp_eq_u32 s17, 0
	v_mov_b32_e32 v8, s5
	s_cselect_b32 vcc_lo, -1, 0
	s_cmp_eq_u32 s12, 0
	v_cndmask_b32_e32 v6, -1, v6, vcc_lo
	v_cmp_le_u32_e32 vcc_lo, s27, v2
	s_cselect_b32 s5, -1, 0
	v_cndmask_b32_e64 v7, 0, -1, vcc_lo
	s_delay_alu instid0(VALU_DEP_3) | instskip(NEXT) | instid1(VALU_DEP_2)
	v_cmp_ne_u32_e32 vcc_lo, 0, v6
	v_cndmask_b32_e64 v6, -1, v7, s5
	v_cndmask_b32_e32 v7, s17, v8, vcc_lo
	v_cndmask_b32_e32 v4, v4, v5, vcc_lo
	s_delay_alu instid0(VALU_DEP_3) | instskip(NEXT) | instid1(VALU_DEP_2)
	v_cmp_ne_u32_e32 vcc_lo, 0, v6
	v_cndmask_b32_e32 v2, v2, v4, vcc_lo
	s_delay_alu instid0(VALU_DEP_4) | instskip(NEXT) | instid1(VALU_DEP_2)
	v_cndmask_b32_e32 v5, s12, v7, vcc_lo
	v_xor_b32_e32 v2, s16, v2
	s_delay_alu instid0(VALU_DEP_2) | instskip(NEXT) | instid1(VALU_DEP_2)
	v_xor_b32_e32 v5, s16, v5
	v_sub_co_u32 v4, vcc_lo, v2, s16
	s_delay_alu instid0(VALU_DEP_2)
	v_subrev_co_ci_u32_e32 v5, vcc_lo, s16, v5, vcc_lo
	s_cbranch_execnz .LBB45_254
.LBB45_253:                             ;   in Loop: Header=BB45_17 Depth=1
	v_cvt_f32_u32_e32 v2, s27
	s_sub_i32 s5, 0, s27
	s_delay_alu instid0(VALU_DEP_1) | instskip(SKIP_2) | instid1(VALU_DEP_1)
	v_rcp_iflag_f32_e32 v2, v2
	s_waitcnt_depctr 0xfff
	v_mul_f32_e32 v2, 0x4f7ffffe, v2
	v_cvt_u32_f32_e32 v2, v2
	s_delay_alu instid0(VALU_DEP_1) | instskip(NEXT) | instid1(VALU_DEP_1)
	v_mul_lo_u32 v4, s5, v2
	v_mul_hi_u32 v4, v2, v4
	s_delay_alu instid0(VALU_DEP_1) | instskip(NEXT) | instid1(VALU_DEP_1)
	v_add_nc_u32_e32 v2, v2, v4
	v_mul_hi_u32 v2, s15, v2
	s_delay_alu instid0(VALU_DEP_1) | instskip(NEXT) | instid1(VALU_DEP_1)
	v_mul_lo_u32 v2, v2, s27
	v_sub_nc_u32_e32 v2, s15, v2
	s_delay_alu instid0(VALU_DEP_1) | instskip(SKIP_1) | instid1(VALU_DEP_2)
	v_subrev_nc_u32_e32 v4, s27, v2
	v_cmp_le_u32_e32 vcc_lo, s27, v2
	v_cndmask_b32_e32 v2, v2, v4, vcc_lo
	s_delay_alu instid0(VALU_DEP_1) | instskip(SKIP_1) | instid1(VALU_DEP_2)
	v_subrev_nc_u32_e32 v4, s27, v2
	v_cmp_le_u32_e32 vcc_lo, s27, v2
	v_cndmask_b32_e32 v18, v2, v4, vcc_lo
	s_delay_alu instid0(VALU_DEP_1)
	v_dual_mov_b32 v4, v18 :: v_dual_mov_b32 v5, v19
.LBB45_254:                             ;   in Loop: Header=BB45_17 Depth=1
	s_delay_alu instid0(VALU_DEP_1) | instskip(NEXT) | instid1(VALU_DEP_2)
	v_sub_co_u32 v8, vcc_lo, s15, v4
	v_sub_co_ci_u32_e32 v9, vcc_lo, s13, v5, vcc_lo
	s_mov_b32 s12, 0
	s_mov_b32 s13, exec_lo
                                        ; implicit-def: $vgpr6_vgpr7
	s_delay_alu instid0(VALU_DEP_1)
	v_cmpx_gt_i64_e64 v[8:9], v[0:1]
	s_cbranch_execz .LBB45_263
; %bb.255:                              ;   in Loop: Header=BB45_17 Depth=1
	v_dual_mov_b32 v12, v36 :: v_dual_mov_b32 v11, v1
	v_mov_b32_e32 v10, v0
	s_mov_b32 s15, 0
                                        ; implicit-def: $sgpr12
	s_set_inst_prefetch_distance 0x1
	s_branch .LBB45_257
	.p2align	6
.LBB45_256:                             ;   in Loop: Header=BB45_257 Depth=2
	s_or_b32 exec_lo, exec_lo, s5
	s_waitcnt lgkmcnt(0)
	s_barrier
	buffer_gl0_inv
	ds_load_b128 v[4:7], v19 offset:3072
	v_add_co_u32 v10, s5, v10, s27
	s_delay_alu instid0(VALU_DEP_1) | instskip(SKIP_3) | instid1(VALU_DEP_2)
	v_add_co_ci_u32_e64 v11, s5, 0, v11, s5
	v_add_nc_u32_e32 v12, s91, v12
	s_waitcnt lgkmcnt(0)
	s_barrier
	v_cmp_ge_i64_e64 s5, v[10:11], v[8:9]
	buffer_gl0_inv
	v_cmp_neq_f64_e32 vcc_lo, 0, v[4:5]
	s_or_b32 s5, vcc_lo, s5
	s_delay_alu instid0(SALU_CYCLE_1) | instskip(NEXT) | instid1(SALU_CYCLE_1)
	s_and_b32 s5, exec_lo, s5
	s_or_b32 s15, s5, s15
	s_and_not1_b32 s5, s12, exec_lo
	s_and_b32 s12, vcc_lo, exec_lo
	s_delay_alu instid0(SALU_CYCLE_1)
	s_or_b32 s12, s5, s12
	s_and_not1_b32 exec_lo, exec_lo, s15
	s_cbranch_execz .LBB45_262
.LBB45_257:                             ;   Parent Loop BB45_17 Depth=1
                                        ; =>  This Inner Loop Header: Depth=2
	s_delay_alu instid0(VALU_DEP_1)
	v_cmp_gt_i64_e32 vcc_lo, s[10:11], v[10:11]
	v_mov_b32_e32 v4, 0
	v_mov_b32_e32 v5, 0
	s_and_saveexec_b32 s5, vcc_lo
	s_cbranch_execz .LBB45_259
; %bb.258:                              ;   in Loop: Header=BB45_257 Depth=2
	ds_load_b64 v[4:5], v12
.LBB45_259:                             ;   in Loop: Header=BB45_257 Depth=2
	s_or_b32 exec_lo, exec_lo, s5
	s_and_saveexec_b32 s5, vcc_lo
	s_cbranch_execz .LBB45_256
; %bb.260:                              ;   in Loop: Header=BB45_257 Depth=2
	s_waitcnt lgkmcnt(0)
	v_cmp_o_f64_e32 vcc_lo, v[4:5], v[4:5]
	v_ashrrev_i32_e32 v2, 31, v5
	s_delay_alu instid0(VALU_DEP_1) | instskip(SKIP_1) | instid1(VALU_DEP_2)
	v_or_b32_e32 v6, 0x80000000, v2
	v_xor_b32_e32 v2, v2, v4
	v_xor_b32_e32 v6, v6, v5
	s_delay_alu instid0(VALU_DEP_1) | instskip(NEXT) | instid1(VALU_DEP_3)
	v_cndmask_b32_e32 v6, -1, v6, vcc_lo
	v_cndmask_b32_e32 v2, -1, v2, vcc_lo
	s_delay_alu instid0(VALU_DEP_2) | instskip(NEXT) | instid1(VALU_DEP_2)
	v_and_b32_e32 v7, s71, v6
	v_and_b32_e32 v6, s70, v2
	s_delay_alu instid0(VALU_DEP_1)
	v_cmp_eq_u64_e32 vcc_lo, s[68:69], v[6:7]
	s_and_b32 exec_lo, exec_lo, vcc_lo
	s_cbranch_execz .LBB45_256
; %bb.261:                              ;   in Loop: Header=BB45_257 Depth=2
	v_mov_b32_e32 v2, v19
	ds_store_b128 v19, v[2:5] offset:3072
	s_branch .LBB45_256
.LBB45_262:                             ;   in Loop: Header=BB45_17 Depth=1
	s_set_inst_prefetch_distance 0x2
	s_or_b32 exec_lo, exec_lo, s15
	s_delay_alu instid0(SALU_CYCLE_1)
	s_and_b32 s12, s12, exec_lo
.LBB45_263:                             ;   in Loop: Header=BB45_17 Depth=1
	s_or_b32 exec_lo, exec_lo, s13
	s_mov_b32 s17, -1
	s_mov_b32 s15, 0
	s_mov_b32 s16, 0
.LBB45_264:                             ;   in Loop: Header=BB45_17 Depth=1
	s_mov_b32 s13, 0
                                        ; implicit-def: $sgpr5
                                        ; implicit-def: $sgpr10_sgpr11
	s_and_saveexec_b32 s23, s12
	s_cbranch_execz .LBB45_277
; %bb.265:                              ;   in Loop: Header=BB45_17 Depth=1
	s_xor_b32 s5, s14, -1
	s_mov_b64 s[10:11], 1
	s_and_not1_b32 vcc_lo, exec_lo, s5
	s_mov_b32 s5, 1
	s_cbranch_vccnz .LBB45_276
; %bb.266:                              ;   in Loop: Header=BB45_17 Depth=1
	v_cmp_gt_i64_e64 s5, s[38:39], s[6:7]
	s_delay_alu instid0(VALU_DEP_1)
	s_and_b32 vcc_lo, exec_lo, s5
	s_cbranch_vccnz .LBB45_272
; %bb.267:                              ;   in Loop: Header=BB45_17 Depth=1
	ds_load_b64 v[4:5], v19 offset:5120
	s_waitcnt lgkmcnt(0)
	v_cmp_ne_u64_e32 vcc_lo, 0, v[4:5]
	s_cbranch_vccnz .LBB45_271
; %bb.268:                              ;   in Loop: Header=BB45_17 Depth=1
	s_and_saveexec_b32 s5, s2
	s_cbranch_execz .LBB45_270
; %bb.269:                              ;   in Loop: Header=BB45_17 Depth=1
	v_dual_mov_b32 v4, s6 :: v_dual_mov_b32 v5, s7
	ds_store_b64 v19, v[4:5] offset:5128
.LBB45_270:                             ;   in Loop: Header=BB45_17 Depth=1
	s_or_b32 exec_lo, exec_lo, s5
	s_waitcnt lgkmcnt(0)
	s_barrier
	buffer_gl0_inv
.LBB45_271:                             ;   in Loop: Header=BB45_17 Depth=1
	s_or_b64 s[12:13], s[68:69], s[8:9]
	s_or_b64 s[8:9], s[70:71], s[8:9]
	s_mov_b32 s10, 0
	s_mov_b32 s5, 8
	s_branch .LBB45_273
.LBB45_272:                             ;   in Loop: Header=BB45_17 Depth=1
	s_mov_b32 s10, -1
                                        ; implicit-def: $sgpr5
                                        ; implicit-def: $sgpr12_sgpr13
                                        ; implicit-def: $sgpr8_sgpr9
.LBB45_273:                             ;   in Loop: Header=BB45_17 Depth=1
	s_delay_alu instid0(SALU_CYCLE_1)
	s_and_not1_b32 vcc_lo, exec_lo, s10
	s_cbranch_vccnz .LBB45_275
; %bb.274:                              ;   in Loop: Header=BB45_17 Depth=1
	s_sub_u32 s38, s38, s6
	s_subb_u32 s39, s39, s7
	s_mov_b32 s5, 8
	s_mov_b64 s[12:13], s[68:69]
	s_mov_b64 s[8:9], s[70:71]
.LBB45_275:                             ;   in Loop: Header=BB45_17 Depth=1
	s_mov_b64 s[10:11], s[38:39]
	s_mov_b64 s[68:69], s[12:13]
	;; [unrolled: 1-line block ×3, first 2 shown]
.LBB45_276:                             ;   in Loop: Header=BB45_17 Depth=1
	s_mov_b32 s13, exec_lo
.LBB45_277:                             ;   in Loop: Header=BB45_17 Depth=1
	s_or_b32 exec_lo, exec_lo, s23
	s_mov_b64 s[38:39], s[10:11]
.LBB45_278:                             ;   in Loop: Header=BB45_17 Depth=1
	s_and_not1_b32 s6, s18, exec_lo
	s_and_b32 s7, s15, exec_lo
	s_and_not1_b32 s8, s19, exec_lo
	s_or_b32 s18, s6, s7
	s_and_not1_b32 s6, s74, exec_lo
	s_and_b32 s7, s17, exec_lo
	s_and_b32 s9, s16, exec_lo
	s_or_b32 s74, s6, s7
	s_or_b32 s19, s8, s9
	s_and_b32 s14, s13, exec_lo
.LBB45_279:                             ;   in Loop: Header=BB45_17 Depth=1
	s_or_b32 exec_lo, exec_lo, s75
.LBB45_280:                             ;   in Loop: Header=BB45_17 Depth=1
	s_delay_alu instid0(SALU_CYCLE_1)
	s_and_not1_b32 s6, s56, exec_lo
	s_and_b32 s7, s18, exec_lo
	s_and_not1_b32 s8, s21, exec_lo
	s_or_b32 s56, s6, s7
	s_and_not1_b32 s6, s72, exec_lo
	s_and_b32 s7, s74, exec_lo
	s_and_b32 s9, s19, exec_lo
	s_or_b32 s72, s6, s7
	s_or_b32 s21, s8, s9
	s_and_b32 s16, s14, exec_lo
.LBB45_281:                             ;   in Loop: Header=BB45_17 Depth=1
	s_or_b32 exec_lo, exec_lo, s73
	s_and_saveexec_b32 s6, s16
	s_delay_alu instid0(SALU_CYCLE_1)
	s_xor_b32 s6, exec_lo, s6
	s_cbranch_execz .LBB45_15
.LBB45_282:                             ;   in Loop: Header=BB45_17 Depth=1
	s_and_b32 s5, s5, -9
	s_delay_alu instid0(SALU_CYCLE_1)
	s_cmp_eq_u32 s5, 0
	s_cbranch_scc1 .LBB45_13
; %bb.283:                              ;   in Loop: Header=BB45_17 Depth=1
	s_mov_b32 s5, -1
	s_mov_b32 s7, -1
                                        ; implicit-def: $sgpr70_sgpr71
                                        ; implicit-def: $sgpr95
                                        ; implicit-def: $sgpr97
	s_branch .LBB45_14
.LBB45_284:                             ;   in Loop: Header=BB45_17 Depth=1
                                        ; implicit-def: $vgpr4_vgpr5
	s_branch .LBB45_236
.LBB45_285:                             ;   in Loop: Header=BB45_17 Depth=1
                                        ; implicit-def: $vgpr4_vgpr5
	s_branch .LBB45_253
.LBB45_286:
	s_or_b32 exec_lo, exec_lo, s92
	s_xor_b32 s5, s96, -1
	s_xor_b32 s1, s93, -1
	;; [unrolled: 1-line block ×3, first 2 shown]
	s_mov_b32 s3, 0
	s_and_saveexec_b32 s6, s1
	s_delay_alu instid0(SALU_CYCLE_1)
	s_xor_b32 s1, exec_lo, s6
	s_cbranch_execz .LBB45_312
; %bb.287:
	s_and_saveexec_b32 s3, s5
	s_delay_alu instid0(SALU_CYCLE_1)
	s_xor_b32 s3, exec_lo, s3
	s_cbranch_execz .LBB45_310
; %bb.288:
	s_and_saveexec_b32 s5, s4
	s_delay_alu instid0(SALU_CYCLE_1)
	s_xor_b32 s4, exec_lo, s5
; %bb.289:
	v_lshrrev_b32_e32 v2, 31, v5
	s_delay_alu instid0(VALU_DEP_1) | instskip(NEXT) | instid1(VALU_DEP_1)
	v_add_co_u32 v2, s5, v2, -1
	v_add_co_ci_u32_e64 v3, null, 0, -1, s5
	s_delay_alu instid0(VALU_DEP_2) | instskip(NEXT) | instid1(VALU_DEP_2)
	v_xor_b32_e32 v6, v2, v4
	v_or_b32_e32 v3, 0x80000000, v3
	s_delay_alu instid0(VALU_DEP_1)
	v_xor_b32_e32 v7, v3, v5
; %bb.290:
	s_or_b32 exec_lo, exec_lo, s4
	s_and_saveexec_b32 s4, s2
	s_cbranch_execz .LBB45_292
; %bb.291:
	v_dual_mov_b32 v2, 0 :: v_dual_mov_b32 v3, s36
	ds_store_b32 v2, v3 offset:5140
.LBB45_292:
	s_or_b32 exec_lo, exec_lo, s4
	s_waitcnt lgkmcnt(0)
	s_barrier
	buffer_gl0_inv
	s_and_saveexec_b32 s4, s0
	s_cbranch_execz .LBB45_307
; %bb.293:
	v_cmp_u_f64_e32 vcc_lo, v[6:7], v[6:7]
	v_mov_b32_e32 v2, 0
	s_mov_b32 s5, 0
                                        ; implicit-def: $sgpr7
                                        ; implicit-def: $sgpr8
                                        ; implicit-def: $sgpr9
	ds_load_b32 v4, v2 offset:5140
	s_waitcnt lgkmcnt(0)
	v_ashrrev_i32_e32 v5, 31, v4
	s_xor_b32 s6, vcc_lo, -1
	s_set_inst_prefetch_distance 0x1
	s_branch .LBB45_296
	.p2align	6
.LBB45_294:                             ;   in Loop: Header=BB45_296 Depth=1
	s_or_b32 exec_lo, exec_lo, s13
	s_delay_alu instid0(SALU_CYCLE_1)
	s_and_not1_b32 s0, s9, exec_lo
	s_and_b32 s9, s11, exec_lo
	s_and_not1_b32 s8, s8, exec_lo
	s_and_b32 s11, s12, exec_lo
	s_or_b32 s9, s0, s9
	s_or_b32 s8, s8, s11
.LBB45_295:                             ;   in Loop: Header=BB45_296 Depth=1
	s_or_b32 exec_lo, exec_lo, s10
	s_delay_alu instid0(SALU_CYCLE_1) | instskip(NEXT) | instid1(SALU_CYCLE_1)
	s_and_b32 s0, exec_lo, s8
	s_or_b32 s5, s0, s5
	s_and_not1_b32 s0, s7, exec_lo
	s_and_b32 s7, s9, exec_lo
	s_delay_alu instid0(SALU_CYCLE_1)
	s_or_b32 s7, s0, s7
	s_and_not1_b32 exec_lo, exec_lo, s5
	s_cbranch_execz .LBB45_302
.LBB45_296:                             ; =>This Inner Loop Header: Depth=1
	v_dual_mov_b32 v3, v1 :: v_dual_mov_b32 v2, v0
	s_or_b32 s9, s9, exec_lo
	s_or_b32 s8, s8, exec_lo
	s_mov_b32 s10, exec_lo
                                        ; implicit-def: $vgpr0_vgpr1
	s_delay_alu instid0(VALU_DEP_1)
	v_cmpx_lt_i64_e64 v[2:3], v[4:5]
	s_cbranch_execz .LBB45_295
; %bb.297:                              ;   in Loop: Header=BB45_296 Depth=1
	global_load_b64 v[0:1], v[16:17], off
	s_mov_b32 s12, -1
	s_waitcnt vmcnt(0)
	v_cmp_o_f64_e32 vcc_lo, v[0:1], v[0:1]
	v_cmp_neq_f64_e64 s0, v[0:1], v[6:7]
                                        ; implicit-def: $vgpr0_vgpr1
	s_or_b32 s11, vcc_lo, s6
	s_delay_alu instid0(VALU_DEP_1) | instid1(SALU_CYCLE_1)
	s_and_b32 s0, s0, s11
	s_mov_b32 s11, 0
	s_and_saveexec_b32 s13, s0
	s_cbranch_execz .LBB45_294
; %bb.298:                              ;   in Loop: Header=BB45_296 Depth=1
	v_add_co_u32 v0, vcc_lo, v2, s27
	v_add_co_ci_u32_e32 v1, vcc_lo, 0, v3, vcc_lo
	v_add_co_u32 v16, s0, v16, s58
	s_mov_b32 s11, exec_lo
	s_delay_alu instid0(VALU_DEP_2)
	v_cmp_le_i64_e32 vcc_lo, s[36:37], v[0:1]
	v_add_co_ci_u32_e64 v17, s0, s59, v17, s0
	s_or_not1_b32 s12, vcc_lo, exec_lo
	s_branch .LBB45_294
.LBB45_299:
                                        ; implicit-def: $sgpr16_sgpr17
	s_branch .LBB45_3
.LBB45_300:
                                        ; implicit-def: $sgpr48_sgpr49
	s_branch .LBB45_6
.LBB45_301:
                                        ; implicit-def: $sgpr50_sgpr51
	s_load_b64 s[18:19], s[0:1], 0x0
	s_branch .LBB45_9
.LBB45_302:
	s_set_inst_prefetch_distance 0x2
	s_or_b32 exec_lo, exec_lo, s5
	s_xor_b32 s0, s7, -1
	s_delay_alu instid0(SALU_CYCLE_1) | instskip(NEXT) | instid1(SALU_CYCLE_1)
	s_and_saveexec_b32 s5, s0
	s_xor_b32 s5, exec_lo, s5
	s_cbranch_execz .LBB45_307
; %bb.303:
	s_mov_b32 s5, exec_lo
	s_brev_b32 s0, -2
.LBB45_304:                             ; =>This Inner Loop Header: Depth=1
	s_ctz_i32_b32 s6, s5
	s_delay_alu instid0(SALU_CYCLE_1) | instskip(SKIP_1) | instid1(SALU_CYCLE_1)
	v_readlane_b32 s7, v2, s6
	s_lshl_b32 s6, 1, s6
	s_and_not1_b32 s5, s5, s6
	s_delay_alu instid0(VALU_DEP_1)
	s_min_i32 s0, s0, s7
	s_cmp_lg_u32 s5, 0
	s_cbranch_scc1 .LBB45_304
; %bb.305:
	v_mbcnt_lo_u32_b32 v0, exec_lo, 0
	s_mov_b32 s5, exec_lo
	s_delay_alu instid0(VALU_DEP_1)
	v_cmpx_eq_u32_e32 0, v0
	s_xor_b32 s5, exec_lo, s5
	s_cbranch_execz .LBB45_307
; %bb.306:
	v_dual_mov_b32 v0, 0 :: v_dual_mov_b32 v1, s0
	ds_min_i32 v0, v1 offset:5140
.LBB45_307:
	s_or_b32 exec_lo, exec_lo, s4
	s_waitcnt lgkmcnt(0)
	s_barrier
	buffer_gl0_inv
	s_and_saveexec_b32 s0, s2
	s_cbranch_execz .LBB45_309
; %bb.308:
	s_mul_i32 s2, s48, s35
	s_mul_hi_u32 s4, s48, s34
	s_mul_i32 s5, s48, s34
	s_add_i32 s2, s4, s2
	s_mul_i32 s4, s49, s34
	s_mul_hi_u32 s7, s48, s44
	s_add_i32 s2, s2, s4
	s_sub_u32 s4, s26, s5
	s_subb_u32 s2, 0, s2
	s_mul_i32 s5, s4, s47
	s_mul_hi_u32 s6, s4, s46
	s_mul_i32 s2, s2, s46
	s_add_i32 s5, s6, s5
	s_mul_i32 s6, s48, s45
	v_mov_b32_e32 v2, 0
	s_add_i32 s5, s5, s2
	s_add_i32 s2, s7, s6
	s_mul_i32 s6, s49, s44
	s_mul_hi_u32 s8, s50, s40
	s_add_i32 s7, s2, s6
	s_mul_i32 s2, s50, s41
	ds_load_b32 v0, v2 offset:5140
	s_add_i32 s2, s8, s2
	s_mul_i32 s8, s51, s40
	s_mul_i32 s9, s50, s40
	s_add_i32 s2, s2, s8
	s_sub_u32 s8, s26, s9
	s_subb_u32 s2, 0, s2
	s_mul_i32 s9, s8, s31
	s_mul_hi_u32 s10, s8, s30
	s_mul_i32 s2, s2, s30
	s_add_i32 s9, s10, s9
	s_mul_i32 s10, s50, s29
	s_mul_hi_u32 s11, s50, s28
	s_mul_i32 s6, s48, s44
	s_add_i32 s9, s9, s2
	s_add_i32 s2, s11, s10
	s_mul_i32 s10, s51, s28
	s_lshl_b64 s[6:7], s[6:7], 3
	s_mul_i32 s4, s4, s46
	s_add_i32 s11, s2, s10
	s_add_u32 s2, s54, s6
	s_addc_u32 s6, s55, s7
	s_lshl_b64 s[4:5], s[4:5], 3
	s_mul_i32 s10, s50, s28
	s_add_u32 s4, s2, s4
	s_addc_u32 s5, s6, s5
	s_lshl_b64 s[6:7], s[10:11], 3
	s_mul_i32 s8, s8, s30
	s_add_u32 s2, s52, s6
	s_addc_u32 s10, s53, s7
	s_lshl_b64 s[6:7], s[8:9], 3
	s_waitcnt lgkmcnt(0)
	v_ashrrev_i32_e32 v1, 31, v0
	s_add_u32 s6, s2, s6
	s_addc_u32 s7, s10, s7
	s_clause 0x1
	global_store_b64 v2, v[0:1], s[6:7]
	global_store_b64 v2, v[6:7], s[4:5]
.LBB45_309:
	s_or_b32 exec_lo, exec_lo, s0
.LBB45_310:
	s_or_saveexec_b32 s0, s3
	s_mov_b32 s2, 0
	s_xor_b32 exec_lo, exec_lo, s0
	s_cbranch_execnz .LBB45_318
.LBB45_311:
	s_or_b32 exec_lo, exec_lo, s0
	s_delay_alu instid0(SALU_CYCLE_1)
	s_and_b32 s3, s2, exec_lo
.LBB45_312:
	s_and_not1_saveexec_b32 s0, s1
	s_cbranch_execnz .LBB45_316
; %bb.313:
	s_or_b32 exec_lo, exec_lo, s0
	s_and_saveexec_b32 s0, s3
.LBB45_314:
	; divergent unreachable
.LBB45_315:
	s_nop 0
	s_sendmsg sendmsg(MSG_DEALLOC_VGPRS)
	s_endpgm
.LBB45_316:
	s_cbranch_execnz .LBB45_320
; %bb.317:
	s_or_b32 s3, s3, exec_lo
	s_or_b32 exec_lo, exec_lo, s0
	s_and_saveexec_b32 s0, s3
	s_cbranch_execnz .LBB45_314
	s_branch .LBB45_315
.LBB45_318:
	s_cbranch_execnz .LBB45_322
; %bb.319:
	s_mov_b32 s2, exec_lo
	s_branch .LBB45_311
.LBB45_320:
	s_trap 2
	s_sendmsg_rtn_b32 s0, sendmsg(MSG_RTN_GET_DOORBELL)
	s_mov_b32 ttmp2, m0
	s_waitcnt lgkmcnt(0)
	s_and_b32 s0, s0, 0x3ff
	s_delay_alu instid0(SALU_CYCLE_1) | instskip(NEXT) | instid1(SALU_CYCLE_1)
	s_bitset1_b32 s0, 10
	s_mov_b32 m0, s0
	s_sendmsg sendmsg(MSG_INTERRUPT)
	s_mov_b32 m0, ttmp2
.LBB45_321:                             ; =>This Inner Loop Header: Depth=1
	s_sethalt 5
	s_branch .LBB45_321
.LBB45_322:
	s_trap 2
	s_sendmsg_rtn_b32 s0, sendmsg(MSG_RTN_GET_DOORBELL)
	s_mov_b32 ttmp2, m0
	s_waitcnt lgkmcnt(0)
	s_and_b32 s0, s0, 0x3ff
	s_delay_alu instid0(SALU_CYCLE_1) | instskip(NEXT) | instid1(SALU_CYCLE_1)
	s_bitset1_b32 s0, 10
	s_mov_b32 m0, s0
	s_sendmsg sendmsg(MSG_INTERRUPT)
	s_mov_b32 m0, ttmp2
.LBB45_323:                             ; =>This Inner Loop Header: Depth=1
	s_sethalt 5
	s_branch .LBB45_323
	.section	.rodata,"a",@progbits
	.p2align	6, 0x0
	.amdhsa_kernel _ZN2at6native12_GLOBAL__N_114gatherKthValueIdlLi2EEEvNS_4cuda6detail10TensorInfoIKT_T0_EES8_S8_S8_S8_NS5_IS6_S8_EENS5_IlS8_EE
		.amdhsa_group_segment_fixed_size 5144
		.amdhsa_private_segment_fixed_size 0
		.amdhsa_kernarg_size 1536
		.amdhsa_user_sgpr_count 13
		.amdhsa_user_sgpr_dispatch_ptr 0
		.amdhsa_user_sgpr_queue_ptr 0
		.amdhsa_user_sgpr_kernarg_segment_ptr 1
		.amdhsa_user_sgpr_dispatch_id 0
		.amdhsa_user_sgpr_private_segment_size 0
		.amdhsa_wavefront_size32 1
		.amdhsa_uses_dynamic_stack 0
		.amdhsa_enable_private_segment 0
		.amdhsa_system_sgpr_workgroup_id_x 1
		.amdhsa_system_sgpr_workgroup_id_y 1
		.amdhsa_system_sgpr_workgroup_id_z 1
		.amdhsa_system_sgpr_workgroup_info 0
		.amdhsa_system_vgpr_workitem_id 0
		.amdhsa_next_free_vgpr 62
		.amdhsa_next_free_sgpr 104
		.amdhsa_reserve_vcc 1
		.amdhsa_float_round_mode_32 0
		.amdhsa_float_round_mode_16_64 0
		.amdhsa_float_denorm_mode_32 3
		.amdhsa_float_denorm_mode_16_64 3
		.amdhsa_dx10_clamp 1
		.amdhsa_ieee_mode 1
		.amdhsa_fp16_overflow 0
		.amdhsa_workgroup_processor_mode 1
		.amdhsa_memory_ordered 1
		.amdhsa_forward_progress 0
		.amdhsa_shared_vgpr_count 0
		.amdhsa_exception_fp_ieee_invalid_op 0
		.amdhsa_exception_fp_denorm_src 0
		.amdhsa_exception_fp_ieee_div_zero 0
		.amdhsa_exception_fp_ieee_overflow 0
		.amdhsa_exception_fp_ieee_underflow 0
		.amdhsa_exception_fp_ieee_inexact 0
		.amdhsa_exception_int_div_zero 0
	.end_amdhsa_kernel
	.section	.text._ZN2at6native12_GLOBAL__N_114gatherKthValueIdlLi2EEEvNS_4cuda6detail10TensorInfoIKT_T0_EES8_S8_S8_S8_NS5_IS6_S8_EENS5_IlS8_EE,"axG",@progbits,_ZN2at6native12_GLOBAL__N_114gatherKthValueIdlLi2EEEvNS_4cuda6detail10TensorInfoIKT_T0_EES8_S8_S8_S8_NS5_IS6_S8_EENS5_IlS8_EE,comdat
.Lfunc_end45:
	.size	_ZN2at6native12_GLOBAL__N_114gatherKthValueIdlLi2EEEvNS_4cuda6detail10TensorInfoIKT_T0_EES8_S8_S8_S8_NS5_IS6_S8_EENS5_IlS8_EE, .Lfunc_end45-_ZN2at6native12_GLOBAL__N_114gatherKthValueIdlLi2EEEvNS_4cuda6detail10TensorInfoIKT_T0_EES8_S8_S8_S8_NS5_IS6_S8_EENS5_IlS8_EE
                                        ; -- End function
	.section	.AMDGPU.csdata,"",@progbits
; Kernel info:
; codeLenInByte = 20556
; NumSgprs: 106
; NumVgprs: 62
; ScratchSize: 0
; MemoryBound: 0
; FloatMode: 240
; IeeeMode: 1
; LDSByteSize: 5144 bytes/workgroup (compile time only)
; SGPRBlocks: 13
; VGPRBlocks: 7
; NumSGPRsForWavesPerEU: 106
; NumVGPRsForWavesPerEU: 62
; Occupancy: 16
; WaveLimiterHint : 1
; COMPUTE_PGM_RSRC2:SCRATCH_EN: 0
; COMPUTE_PGM_RSRC2:USER_SGPR: 13
; COMPUTE_PGM_RSRC2:TRAP_HANDLER: 0
; COMPUTE_PGM_RSRC2:TGID_X_EN: 1
; COMPUTE_PGM_RSRC2:TGID_Y_EN: 1
; COMPUTE_PGM_RSRC2:TGID_Z_EN: 1
; COMPUTE_PGM_RSRC2:TIDIG_COMP_CNT: 0
	.section	.text._ZN2at6native12_GLOBAL__N_114gatherKthValueIdlLi3EEEvNS_4cuda6detail10TensorInfoIKT_T0_EES8_S8_S8_S8_NS5_IS6_S8_EENS5_IlS8_EE,"axG",@progbits,_ZN2at6native12_GLOBAL__N_114gatherKthValueIdlLi3EEEvNS_4cuda6detail10TensorInfoIKT_T0_EES8_S8_S8_S8_NS5_IS6_S8_EENS5_IlS8_EE,comdat
	.globl	_ZN2at6native12_GLOBAL__N_114gatherKthValueIdlLi3EEEvNS_4cuda6detail10TensorInfoIKT_T0_EES8_S8_S8_S8_NS5_IS6_S8_EENS5_IlS8_EE ; -- Begin function _ZN2at6native12_GLOBAL__N_114gatherKthValueIdlLi3EEEvNS_4cuda6detail10TensorInfoIKT_T0_EES8_S8_S8_S8_NS5_IS6_S8_EENS5_IlS8_EE
	.p2align	8
	.type	_ZN2at6native12_GLOBAL__N_114gatherKthValueIdlLi3EEEvNS_4cuda6detail10TensorInfoIKT_T0_EES8_S8_S8_S8_NS5_IS6_S8_EENS5_IlS8_EE,@function
_ZN2at6native12_GLOBAL__N_114gatherKthValueIdlLi3EEEvNS_4cuda6detail10TensorInfoIKT_T0_EES8_S8_S8_S8_NS5_IS6_S8_EENS5_IlS8_EE: ; @_ZN2at6native12_GLOBAL__N_114gatherKthValueIdlLi3EEEvNS_4cuda6detail10TensorInfoIKT_T0_EES8_S8_S8_S8_NS5_IS6_S8_EENS5_IlS8_EE
; %bb.0:
	s_clause 0x1
	s_load_b64 s[18:19], s[0:1], 0x500
	s_load_b256 s[36:43], s[0:1], 0x1a0
	s_add_u32 s16, s0, 0x500
	s_addc_u32 s17, s1, 0
	s_mov_b32 s27, 0
	s_waitcnt lgkmcnt(0)
	s_mul_i32 s2, s19, s15
	s_delay_alu instid0(SALU_CYCLE_1) | instskip(NEXT) | instid1(SALU_CYCLE_1)
	s_add_i32 s2, s2, s14
	s_mul_i32 s2, s2, s18
	s_delay_alu instid0(SALU_CYCLE_1) | instskip(NEXT) | instid1(SALU_CYCLE_1)
	s_add_i32 s26, s2, s13
	v_cmp_ge_i64_e64 s2, s[26:27], s[40:41]
	s_delay_alu instid0(VALU_DEP_1)
	s_and_b32 vcc_lo, exec_lo, s2
	s_cbranch_vccnz .LBB46_328
; %bb.1:
	s_load_b128 s[4:7], s[0:1], 0x10
	s_mov_b32 s2, s27
	s_waitcnt lgkmcnt(0)
	s_mov_b32 s3, s7
	s_delay_alu instid0(SALU_CYCLE_1)
	s_cmp_lg_u64 s[2:3], 0
	s_cbranch_scc0 .LBB46_18
; %bb.2:
	s_ashr_i32 s2, s7, 31
	s_delay_alu instid0(SALU_CYCLE_1) | instskip(SKIP_2) | instid1(SALU_CYCLE_1)
	s_add_u32 s8, s6, s2
	s_mov_b32 s3, s2
	s_addc_u32 s9, s7, s2
	s_xor_b64 s[8:9], s[8:9], s[2:3]
	s_delay_alu instid0(SALU_CYCLE_1) | instskip(SKIP_3) | instid1(VALU_DEP_1)
	v_cvt_f32_u32_e32 v1, s8
	v_cvt_f32_u32_e32 v2, s9
	s_sub_u32 s12, 0, s8
	s_subb_u32 s14, 0, s9
	v_fmamk_f32 v1, v2, 0x4f800000, v1
	s_delay_alu instid0(VALU_DEP_1) | instskip(SKIP_2) | instid1(VALU_DEP_1)
	v_rcp_f32_e32 v1, v1
	s_waitcnt_depctr 0xfff
	v_mul_f32_e32 v1, 0x5f7ffffc, v1
	v_mul_f32_e32 v2, 0x2f800000, v1
	s_delay_alu instid0(VALU_DEP_1) | instskip(NEXT) | instid1(VALU_DEP_1)
	v_trunc_f32_e32 v2, v2
	v_fmamk_f32 v1, v2, 0xcf800000, v1
	v_cvt_u32_f32_e32 v2, v2
	s_delay_alu instid0(VALU_DEP_2) | instskip(NEXT) | instid1(VALU_DEP_2)
	v_cvt_u32_f32_e32 v1, v1
	v_readfirstlane_b32 s10, v2
	s_delay_alu instid0(VALU_DEP_2) | instskip(NEXT) | instid1(VALU_DEP_2)
	v_readfirstlane_b32 s11, v1
	s_mul_i32 s15, s12, s10
	s_delay_alu instid0(VALU_DEP_1)
	s_mul_hi_u32 s20, s12, s11
	s_mul_i32 s19, s14, s11
	s_add_i32 s15, s20, s15
	s_mul_i32 s21, s12, s11
	s_add_i32 s15, s15, s19
	s_mul_hi_u32 s20, s11, s21
	s_mul_hi_u32 s22, s10, s21
	s_mul_i32 s19, s10, s21
	s_mul_hi_u32 s21, s11, s15
	s_mul_i32 s11, s11, s15
	s_mul_hi_u32 s23, s10, s15
	s_add_u32 s11, s20, s11
	s_addc_u32 s20, 0, s21
	s_add_u32 s11, s11, s19
	s_mul_i32 s15, s10, s15
	s_addc_u32 s11, s20, s22
	s_addc_u32 s19, s23, 0
	s_add_u32 s11, s11, s15
	s_addc_u32 s15, 0, s19
	v_add_co_u32 v1, s11, v1, s11
	s_delay_alu instid0(VALU_DEP_1) | instskip(SKIP_1) | instid1(VALU_DEP_1)
	s_cmp_lg_u32 s11, 0
	s_addc_u32 s10, s10, s15
	v_readfirstlane_b32 s11, v1
	s_mul_i32 s15, s12, s10
	s_delay_alu instid0(VALU_DEP_1)
	s_mul_hi_u32 s19, s12, s11
	s_mul_i32 s14, s14, s11
	s_add_i32 s15, s19, s15
	s_mul_i32 s12, s12, s11
	s_add_i32 s15, s15, s14
	s_mul_hi_u32 s19, s10, s12
	s_mul_i32 s20, s10, s12
	s_mul_hi_u32 s12, s11, s12
	s_mul_hi_u32 s21, s11, s15
	s_mul_i32 s11, s11, s15
	s_mul_hi_u32 s14, s10, s15
	s_add_u32 s11, s12, s11
	s_addc_u32 s12, 0, s21
	s_add_u32 s11, s11, s20
	s_mul_i32 s15, s10, s15
	s_addc_u32 s11, s12, s19
	s_addc_u32 s12, s14, 0
	s_add_u32 s11, s11, s15
	s_addc_u32 s12, 0, s12
	v_add_co_u32 v1, s11, v1, s11
	s_delay_alu instid0(VALU_DEP_1) | instskip(SKIP_2) | instid1(VALU_DEP_1)
	s_cmp_lg_u32 s11, 0
	s_addc_u32 s12, s10, s12
	s_ashr_i32 s10, 0, 31
	v_readfirstlane_b32 s19, v1
	s_add_u32 s14, s26, s10
	s_mov_b32 s11, s10
	s_addc_u32 s15, 0, s10
	s_delay_alu instid0(SALU_CYCLE_1) | instskip(NEXT) | instid1(SALU_CYCLE_1)
	s_xor_b64 s[14:15], s[14:15], s[10:11]
	s_mul_i32 s21, s14, s12
	s_mul_hi_u32 s22, s14, s19
	s_mul_hi_u32 s20, s14, s12
	;; [unrolled: 1-line block ×3, first 2 shown]
	s_mul_i32 s19, s15, s19
	s_add_u32 s21, s22, s21
	s_addc_u32 s20, 0, s20
	s_mul_hi_u32 s23, s15, s12
	s_add_u32 s19, s21, s19
	s_mul_i32 s12, s15, s12
	s_addc_u32 s19, s20, s24
	s_addc_u32 s20, s23, 0
	s_add_u32 s12, s19, s12
	s_addc_u32 s19, 0, s20
	s_mul_i32 s23, s8, s12
	s_mul_hi_u32 s20, s8, s12
	s_mul_i32 s22, s8, s19
	v_sub_co_u32 v1, s14, s14, s23
	s_mul_i32 s21, s9, s12
	s_add_i32 s20, s20, s22
	s_delay_alu instid0(SALU_CYCLE_1) | instskip(NEXT) | instid1(VALU_DEP_1)
	s_add_i32 s20, s20, s21
	v_sub_co_u32 v2, s22, v1, s8
	s_sub_i32 s21, s15, s20
	s_cmp_lg_u32 s14, 0
	s_subb_u32 s21, s21, s9
	s_cmp_lg_u32 s22, 0
	v_readfirstlane_b32 s22, v2
	s_subb_u32 s21, s21, 0
	s_delay_alu instid0(SALU_CYCLE_1) | instskip(SKIP_1) | instid1(VALU_DEP_1)
	s_cmp_ge_u32 s21, s9
	s_cselect_b32 s23, -1, 0
	s_cmp_ge_u32 s22, s8
	s_cselect_b32 s22, -1, 0
	s_cmp_eq_u32 s21, s9
	s_cselect_b32 s21, s22, s23
	s_add_u32 s22, s12, 1
	s_addc_u32 s23, s19, 0
	s_add_u32 s24, s12, 2
	s_addc_u32 s25, s19, 0
	s_cmp_lg_u32 s21, 0
	s_cselect_b32 s21, s24, s22
	s_cselect_b32 s22, s25, s23
	s_cmp_lg_u32 s14, 0
	v_readfirstlane_b32 s14, v1
	s_subb_u32 s15, s15, s20
	s_delay_alu instid0(SALU_CYCLE_1) | instskip(SKIP_1) | instid1(VALU_DEP_1)
	s_cmp_ge_u32 s15, s9
	s_cselect_b32 s20, -1, 0
	s_cmp_ge_u32 s14, s8
	s_cselect_b32 s8, -1, 0
	s_cmp_eq_u32 s15, s9
	s_cselect_b32 s8, s8, s20
	s_delay_alu instid0(SALU_CYCLE_1) | instskip(SKIP_3) | instid1(SALU_CYCLE_1)
	s_cmp_lg_u32 s8, 0
	s_cselect_b32 s9, s22, s19
	s_cselect_b32 s8, s21, s12
	s_xor_b64 s[2:3], s[10:11], s[2:3]
	s_xor_b64 s[10:11], s[8:9], s[2:3]
	s_delay_alu instid0(SALU_CYCLE_1)
	s_sub_u32 s2, s10, s2
	s_subb_u32 s3, s11, s3
	s_cbranch_execnz .LBB46_4
.LBB46_3:
	v_cvt_f32_u32_e32 v1, s6
	s_sub_i32 s3, 0, s6
	s_delay_alu instid0(VALU_DEP_1) | instskip(SKIP_2) | instid1(VALU_DEP_1)
	v_rcp_iflag_f32_e32 v1, v1
	s_waitcnt_depctr 0xfff
	v_mul_f32_e32 v1, 0x4f7ffffe, v1
	v_cvt_u32_f32_e32 v1, v1
	s_delay_alu instid0(VALU_DEP_1) | instskip(NEXT) | instid1(VALU_DEP_1)
	v_readfirstlane_b32 s2, v1
	s_mul_i32 s3, s3, s2
	s_delay_alu instid0(SALU_CYCLE_1) | instskip(NEXT) | instid1(SALU_CYCLE_1)
	s_mul_hi_u32 s3, s2, s3
	s_add_i32 s2, s2, s3
	s_delay_alu instid0(SALU_CYCLE_1) | instskip(NEXT) | instid1(SALU_CYCLE_1)
	s_mul_hi_u32 s2, s26, s2
	s_mul_i32 s3, s2, s6
	s_add_i32 s8, s2, 1
	s_sub_i32 s3, s26, s3
	s_delay_alu instid0(SALU_CYCLE_1)
	s_sub_i32 s9, s3, s6
	s_cmp_ge_u32 s3, s6
	s_cselect_b32 s2, s8, s2
	s_cselect_b32 s3, s9, s3
	s_add_i32 s8, s2, 1
	s_cmp_ge_u32 s3, s6
	s_mov_b32 s3, 0
	s_cselect_b32 s2, s8, s2
.LBB46_4:
	s_delay_alu instid0(SALU_CYCLE_1) | instskip(SKIP_1) | instid1(SALU_CYCLE_1)
	s_or_b64 s[8:9], s[2:3], s[4:5]
	s_mov_b32 s8, 0
	s_cmp_lg_u64 s[8:9], 0
	s_cbranch_scc0 .LBB46_19
; %bb.5:
	s_ashr_i32 s10, s5, 31
	s_delay_alu instid0(SALU_CYCLE_1) | instskip(SKIP_2) | instid1(SALU_CYCLE_1)
	s_add_u32 s14, s4, s10
	s_mov_b32 s11, s10
	s_addc_u32 s15, s5, s10
	s_xor_b64 s[14:15], s[14:15], s[10:11]
	s_delay_alu instid0(SALU_CYCLE_1) | instskip(SKIP_3) | instid1(VALU_DEP_1)
	v_cvt_f32_u32_e32 v1, s14
	v_cvt_f32_u32_e32 v2, s15
	s_sub_u32 s19, 0, s14
	s_subb_u32 s20, 0, s15
	v_fmamk_f32 v1, v2, 0x4f800000, v1
	s_delay_alu instid0(VALU_DEP_1) | instskip(SKIP_2) | instid1(VALU_DEP_1)
	v_rcp_f32_e32 v1, v1
	s_waitcnt_depctr 0xfff
	v_mul_f32_e32 v1, 0x5f7ffffc, v1
	v_mul_f32_e32 v2, 0x2f800000, v1
	s_delay_alu instid0(VALU_DEP_1) | instskip(NEXT) | instid1(VALU_DEP_1)
	v_trunc_f32_e32 v2, v2
	v_fmamk_f32 v1, v2, 0xcf800000, v1
	v_cvt_u32_f32_e32 v2, v2
	s_delay_alu instid0(VALU_DEP_2) | instskip(NEXT) | instid1(VALU_DEP_2)
	v_cvt_u32_f32_e32 v1, v1
	v_readfirstlane_b32 s9, v2
	s_delay_alu instid0(VALU_DEP_2) | instskip(NEXT) | instid1(VALU_DEP_2)
	v_readfirstlane_b32 s12, v1
	s_mul_i32 s21, s19, s9
	s_delay_alu instid0(VALU_DEP_1)
	s_mul_hi_u32 s23, s19, s12
	s_mul_i32 s22, s20, s12
	s_add_i32 s21, s23, s21
	s_mul_i32 s24, s19, s12
	s_add_i32 s21, s21, s22
	s_mul_hi_u32 s23, s12, s24
	s_mul_hi_u32 s25, s9, s24
	s_mul_i32 s22, s9, s24
	s_mul_hi_u32 s24, s12, s21
	s_mul_i32 s12, s12, s21
	s_mul_hi_u32 s27, s9, s21
	s_add_u32 s12, s23, s12
	s_addc_u32 s23, 0, s24
	s_add_u32 s12, s12, s22
	s_mul_i32 s21, s9, s21
	s_addc_u32 s12, s23, s25
	s_addc_u32 s22, s27, 0
	s_add_u32 s12, s12, s21
	s_addc_u32 s21, 0, s22
	v_add_co_u32 v1, s12, v1, s12
	s_delay_alu instid0(VALU_DEP_1) | instskip(SKIP_1) | instid1(VALU_DEP_1)
	s_cmp_lg_u32 s12, 0
	s_addc_u32 s9, s9, s21
	v_readfirstlane_b32 s12, v1
	s_mul_i32 s21, s19, s9
	s_delay_alu instid0(VALU_DEP_1)
	s_mul_hi_u32 s22, s19, s12
	s_mul_i32 s20, s20, s12
	s_add_i32 s21, s22, s21
	s_mul_i32 s19, s19, s12
	s_add_i32 s21, s21, s20
	s_mul_hi_u32 s22, s9, s19
	s_mul_i32 s23, s9, s19
	s_mul_hi_u32 s19, s12, s19
	s_mul_hi_u32 s24, s12, s21
	s_mul_i32 s12, s12, s21
	s_mul_hi_u32 s20, s9, s21
	s_add_u32 s12, s19, s12
	s_addc_u32 s19, 0, s24
	s_add_u32 s12, s12, s23
	s_mul_i32 s21, s9, s21
	s_addc_u32 s12, s19, s22
	s_addc_u32 s19, s20, 0
	s_add_u32 s12, s12, s21
	s_addc_u32 s19, 0, s19
	v_add_co_u32 v1, s12, v1, s12
	s_delay_alu instid0(VALU_DEP_1) | instskip(SKIP_2) | instid1(VALU_DEP_1)
	s_cmp_lg_u32 s12, 0
	s_addc_u32 s9, s9, s19
	s_ashr_i32 s20, s3, 31
	v_readfirstlane_b32 s12, v1
	s_add_u32 s22, s2, s20
	s_mov_b32 s21, s20
	s_addc_u32 s23, s3, s20
	s_delay_alu instid0(SALU_CYCLE_1) | instskip(NEXT) | instid1(SALU_CYCLE_1)
	s_xor_b64 s[22:23], s[22:23], s[20:21]
	s_mul_i32 s24, s22, s9
	s_mul_hi_u32 s25, s22, s12
	s_mul_hi_u32 s19, s22, s9
	s_mul_hi_u32 s28, s23, s12
	s_mul_i32 s12, s23, s12
	s_add_u32 s24, s25, s24
	s_addc_u32 s19, 0, s19
	s_mul_hi_u32 s27, s23, s9
	s_add_u32 s12, s24, s12
	s_mul_i32 s9, s23, s9
	s_addc_u32 s12, s19, s28
	s_addc_u32 s19, s27, 0
	s_add_u32 s9, s12, s9
	s_addc_u32 s12, 0, s19
	s_mul_i32 s27, s14, s9
	s_mul_hi_u32 s19, s14, s9
	s_mul_i32 s25, s14, s12
	v_sub_co_u32 v1, s22, s22, s27
	s_mul_i32 s24, s15, s9
	s_add_i32 s19, s19, s25
	s_delay_alu instid0(SALU_CYCLE_1) | instskip(NEXT) | instid1(VALU_DEP_1)
	s_add_i32 s19, s19, s24
	v_sub_co_u32 v2, s25, v1, s14
	s_sub_i32 s24, s23, s19
	s_cmp_lg_u32 s22, 0
	s_subb_u32 s24, s24, s15
	s_cmp_lg_u32 s25, 0
	v_readfirstlane_b32 s25, v2
	s_subb_u32 s24, s24, 0
	s_delay_alu instid0(SALU_CYCLE_1) | instskip(SKIP_1) | instid1(VALU_DEP_1)
	s_cmp_ge_u32 s24, s15
	s_cselect_b32 s27, -1, 0
	s_cmp_ge_u32 s25, s14
	s_cselect_b32 s25, -1, 0
	s_cmp_eq_u32 s24, s15
	s_cselect_b32 s24, s25, s27
	s_add_u32 s25, s9, 1
	s_addc_u32 s27, s12, 0
	s_add_u32 s28, s9, 2
	s_addc_u32 s29, s12, 0
	s_cmp_lg_u32 s24, 0
	s_cselect_b32 s24, s28, s25
	s_cselect_b32 s25, s29, s27
	s_cmp_lg_u32 s22, 0
	v_readfirstlane_b32 s22, v1
	s_subb_u32 s19, s23, s19
	s_delay_alu instid0(SALU_CYCLE_1) | instskip(SKIP_1) | instid1(VALU_DEP_1)
	s_cmp_ge_u32 s19, s15
	s_cselect_b32 s23, -1, 0
	s_cmp_ge_u32 s22, s14
	s_cselect_b32 s14, -1, 0
	s_cmp_eq_u32 s19, s15
	s_cselect_b32 s14, s14, s23
	s_delay_alu instid0(SALU_CYCLE_1) | instskip(SKIP_3) | instid1(SALU_CYCLE_1)
	s_cmp_lg_u32 s14, 0
	s_cselect_b32 s15, s25, s12
	s_cselect_b32 s14, s24, s9
	s_xor_b64 s[10:11], s[20:21], s[10:11]
	s_xor_b64 s[14:15], s[14:15], s[10:11]
	s_delay_alu instid0(SALU_CYCLE_1)
	s_sub_u32 s14, s14, s10
	s_subb_u32 s15, s15, s11
	s_load_b128 s[28:31], s[0:1], 0x1d0
	s_and_not1_b32 vcc_lo, exec_lo, s8
	s_cbranch_vccnz .LBB46_7
.LBB46_6:
	v_cvt_f32_u32_e32 v1, s4
	s_sub_i32 s9, 0, s4
	s_mov_b32 s15, 0
	s_delay_alu instid0(VALU_DEP_1) | instskip(SKIP_2) | instid1(VALU_DEP_1)
	v_rcp_iflag_f32_e32 v1, v1
	s_waitcnt_depctr 0xfff
	v_mul_f32_e32 v1, 0x4f7ffffe, v1
	v_cvt_u32_f32_e32 v1, v1
	s_delay_alu instid0(VALU_DEP_1) | instskip(NEXT) | instid1(VALU_DEP_1)
	v_readfirstlane_b32 s8, v1
	s_mul_i32 s9, s9, s8
	s_delay_alu instid0(SALU_CYCLE_1) | instskip(NEXT) | instid1(SALU_CYCLE_1)
	s_mul_hi_u32 s9, s8, s9
	s_add_i32 s8, s8, s9
	s_delay_alu instid0(SALU_CYCLE_1) | instskip(NEXT) | instid1(SALU_CYCLE_1)
	s_mul_hi_u32 s8, s2, s8
	s_mul_i32 s9, s8, s4
	s_add_i32 s10, s8, 1
	s_sub_i32 s9, s2, s9
	s_delay_alu instid0(SALU_CYCLE_1)
	s_sub_i32 s11, s9, s4
	s_cmp_ge_u32 s9, s4
	s_cselect_b32 s8, s10, s8
	s_cselect_b32 s9, s11, s9
	s_add_i32 s10, s8, 1
	s_cmp_ge_u32 s9, s4
	s_cselect_b32 s14, s10, s8
.LBB46_7:
	s_mov_b32 s8, 0
	s_waitcnt lgkmcnt(0)
	s_mov_b32 s9, s31
	s_delay_alu instid0(SALU_CYCLE_1)
	s_cmp_lg_u64 s[8:9], 0
	s_cbranch_scc0 .LBB46_20
; %bb.8:
	s_ashr_i32 s10, s31, 31
	s_delay_alu instid0(SALU_CYCLE_1) | instskip(SKIP_2) | instid1(SALU_CYCLE_1)
	s_add_u32 s20, s30, s10
	s_mov_b32 s11, s10
	s_addc_u32 s21, s31, s10
	s_xor_b64 s[20:21], s[20:21], s[10:11]
	s_delay_alu instid0(SALU_CYCLE_1) | instskip(SKIP_3) | instid1(VALU_DEP_1)
	v_cvt_f32_u32_e32 v1, s20
	v_cvt_f32_u32_e32 v2, s21
	s_sub_u32 s19, 0, s20
	s_subb_u32 s22, 0, s21
	v_fmamk_f32 v1, v2, 0x4f800000, v1
	s_delay_alu instid0(VALU_DEP_1) | instskip(SKIP_2) | instid1(VALU_DEP_1)
	v_rcp_f32_e32 v1, v1
	s_waitcnt_depctr 0xfff
	v_mul_f32_e32 v1, 0x5f7ffffc, v1
	v_mul_f32_e32 v2, 0x2f800000, v1
	s_delay_alu instid0(VALU_DEP_1) | instskip(NEXT) | instid1(VALU_DEP_1)
	v_trunc_f32_e32 v2, v2
	v_fmamk_f32 v1, v2, 0xcf800000, v1
	v_cvt_u32_f32_e32 v2, v2
	s_delay_alu instid0(VALU_DEP_2) | instskip(NEXT) | instid1(VALU_DEP_2)
	v_cvt_u32_f32_e32 v1, v1
	v_readfirstlane_b32 s9, v2
	s_delay_alu instid0(VALU_DEP_2) | instskip(NEXT) | instid1(VALU_DEP_2)
	v_readfirstlane_b32 s12, v1
	s_mul_i32 s23, s19, s9
	s_delay_alu instid0(VALU_DEP_1)
	s_mul_hi_u32 s25, s19, s12
	s_mul_i32 s24, s22, s12
	s_add_i32 s23, s25, s23
	s_mul_i32 s27, s19, s12
	s_add_i32 s23, s23, s24
	s_mul_hi_u32 s25, s12, s27
	s_mul_hi_u32 s33, s9, s27
	s_mul_i32 s24, s9, s27
	s_mul_hi_u32 s27, s12, s23
	s_mul_i32 s12, s12, s23
	s_mul_hi_u32 s34, s9, s23
	s_add_u32 s12, s25, s12
	s_addc_u32 s25, 0, s27
	s_add_u32 s12, s12, s24
	s_mul_i32 s23, s9, s23
	s_addc_u32 s12, s25, s33
	s_addc_u32 s24, s34, 0
	s_add_u32 s12, s12, s23
	s_addc_u32 s23, 0, s24
	v_add_co_u32 v1, s12, v1, s12
	s_delay_alu instid0(VALU_DEP_1) | instskip(SKIP_1) | instid1(VALU_DEP_1)
	s_cmp_lg_u32 s12, 0
	s_addc_u32 s9, s9, s23
	v_readfirstlane_b32 s12, v1
	s_mul_i32 s23, s19, s9
	s_delay_alu instid0(VALU_DEP_1)
	s_mul_hi_u32 s24, s19, s12
	s_mul_i32 s22, s22, s12
	s_add_i32 s23, s24, s23
	s_mul_i32 s19, s19, s12
	s_add_i32 s23, s23, s22
	s_mul_hi_u32 s24, s9, s19
	s_mul_i32 s25, s9, s19
	s_mul_hi_u32 s19, s12, s19
	s_mul_hi_u32 s27, s12, s23
	s_mul_i32 s12, s12, s23
	s_mul_hi_u32 s22, s9, s23
	s_add_u32 s12, s19, s12
	s_addc_u32 s19, 0, s27
	s_add_u32 s12, s12, s25
	s_mul_i32 s23, s9, s23
	s_addc_u32 s12, s19, s24
	s_addc_u32 s19, s22, 0
	s_add_u32 s12, s12, s23
	s_addc_u32 s19, 0, s19
	v_add_co_u32 v1, s12, v1, s12
	s_delay_alu instid0(VALU_DEP_1) | instskip(SKIP_2) | instid1(VALU_DEP_1)
	s_cmp_lg_u32 s12, 0
	s_addc_u32 s9, s9, s19
	s_ashr_i32 s22, 0, 31
	v_readfirstlane_b32 s12, v1
	s_add_u32 s24, s26, s22
	s_mov_b32 s23, s22
	s_addc_u32 s25, 0, s22
	s_delay_alu instid0(SALU_CYCLE_1) | instskip(NEXT) | instid1(SALU_CYCLE_1)
	s_xor_b64 s[24:25], s[24:25], s[22:23]
	s_mul_i32 s27, s24, s9
	s_mul_hi_u32 s33, s24, s12
	s_mul_hi_u32 s19, s24, s9
	;; [unrolled: 1-line block ×3, first 2 shown]
	s_mul_i32 s12, s25, s12
	s_add_u32 s27, s33, s27
	s_addc_u32 s19, 0, s19
	s_mul_hi_u32 s34, s25, s9
	s_add_u32 s12, s27, s12
	s_mul_i32 s9, s25, s9
	s_addc_u32 s12, s19, s35
	s_addc_u32 s19, s34, 0
	s_add_u32 s9, s12, s9
	s_addc_u32 s12, 0, s19
	s_mul_i32 s34, s20, s9
	s_mul_hi_u32 s19, s20, s9
	s_mul_i32 s33, s20, s12
	v_sub_co_u32 v1, s24, s24, s34
	s_mul_i32 s27, s21, s9
	s_add_i32 s19, s19, s33
	s_delay_alu instid0(SALU_CYCLE_1) | instskip(NEXT) | instid1(VALU_DEP_1)
	s_add_i32 s19, s19, s27
	v_sub_co_u32 v2, s33, v1, s20
	s_sub_i32 s27, s25, s19
	s_cmp_lg_u32 s24, 0
	s_subb_u32 s27, s27, s21
	s_cmp_lg_u32 s33, 0
	v_readfirstlane_b32 s33, v2
	s_subb_u32 s27, s27, 0
	s_delay_alu instid0(SALU_CYCLE_1) | instskip(SKIP_1) | instid1(VALU_DEP_1)
	s_cmp_ge_u32 s27, s21
	s_cselect_b32 s34, -1, 0
	s_cmp_ge_u32 s33, s20
	s_cselect_b32 s33, -1, 0
	s_cmp_eq_u32 s27, s21
	s_cselect_b32 s27, s33, s34
	s_add_u32 s33, s9, 1
	s_addc_u32 s34, s12, 0
	s_add_u32 s35, s9, 2
	s_addc_u32 s40, s12, 0
	s_cmp_lg_u32 s27, 0
	s_cselect_b32 s27, s35, s33
	s_cselect_b32 s33, s40, s34
	s_cmp_lg_u32 s24, 0
	v_readfirstlane_b32 s24, v1
	s_subb_u32 s19, s25, s19
	s_delay_alu instid0(SALU_CYCLE_1) | instskip(SKIP_1) | instid1(VALU_DEP_1)
	s_cmp_ge_u32 s19, s21
	s_cselect_b32 s25, -1, 0
	s_cmp_ge_u32 s24, s20
	s_cselect_b32 s20, -1, 0
	s_cmp_eq_u32 s19, s21
	s_cselect_b32 s19, s20, s25
	s_delay_alu instid0(SALU_CYCLE_1) | instskip(SKIP_3) | instid1(SALU_CYCLE_1)
	s_cmp_lg_u32 s19, 0
	s_cselect_b32 s21, s33, s12
	s_cselect_b32 s20, s27, s9
	s_xor_b64 s[10:11], s[22:23], s[10:11]
	s_xor_b64 s[20:21], s[20:21], s[10:11]
	s_delay_alu instid0(SALU_CYCLE_1)
	s_sub_u32 s34, s20, s10
	s_subb_u32 s35, s21, s11
	s_and_not1_b32 vcc_lo, exec_lo, s8
	s_cbranch_vccnz .LBB46_10
.LBB46_9:
	v_cvt_f32_u32_e32 v1, s30
	s_sub_i32 s9, 0, s30
	s_mov_b32 s35, 0
	s_delay_alu instid0(VALU_DEP_1) | instskip(SKIP_2) | instid1(VALU_DEP_1)
	v_rcp_iflag_f32_e32 v1, v1
	s_waitcnt_depctr 0xfff
	v_mul_f32_e32 v1, 0x4f7ffffe, v1
	v_cvt_u32_f32_e32 v1, v1
	s_delay_alu instid0(VALU_DEP_1) | instskip(NEXT) | instid1(VALU_DEP_1)
	v_readfirstlane_b32 s8, v1
	s_mul_i32 s9, s9, s8
	s_delay_alu instid0(SALU_CYCLE_1) | instskip(NEXT) | instid1(SALU_CYCLE_1)
	s_mul_hi_u32 s9, s8, s9
	s_add_i32 s8, s8, s9
	s_delay_alu instid0(SALU_CYCLE_1) | instskip(NEXT) | instid1(SALU_CYCLE_1)
	s_mul_hi_u32 s8, s26, s8
	s_mul_i32 s9, s8, s30
	s_add_i32 s10, s8, 1
	s_sub_i32 s9, s26, s9
	s_delay_alu instid0(SALU_CYCLE_1)
	s_sub_i32 s11, s9, s30
	s_cmp_ge_u32 s9, s30
	s_cselect_b32 s8, s10, s8
	s_cselect_b32 s9, s11, s9
	s_add_i32 s10, s8, 1
	s_cmp_ge_u32 s9, s30
	s_cselect_b32 s34, s10, s8
.LBB46_10:
	s_delay_alu instid0(SALU_CYCLE_1) | instskip(SKIP_1) | instid1(SALU_CYCLE_1)
	s_or_b64 s[8:9], s[34:35], s[28:29]
	s_mov_b32 s8, 0
	s_cmp_lg_u64 s[8:9], 0
	s_cbranch_scc0 .LBB46_21
; %bb.11:
	s_ashr_i32 s10, s29, 31
	s_delay_alu instid0(SALU_CYCLE_1) | instskip(SKIP_2) | instid1(SALU_CYCLE_1)
	s_add_u32 s20, s28, s10
	s_mov_b32 s11, s10
	s_addc_u32 s21, s29, s10
	s_xor_b64 s[20:21], s[20:21], s[10:11]
	s_delay_alu instid0(SALU_CYCLE_1) | instskip(SKIP_3) | instid1(VALU_DEP_1)
	v_cvt_f32_u32_e32 v1, s20
	v_cvt_f32_u32_e32 v2, s21
	s_sub_u32 s19, 0, s20
	s_subb_u32 s22, 0, s21
	v_fmamk_f32 v1, v2, 0x4f800000, v1
	s_delay_alu instid0(VALU_DEP_1) | instskip(SKIP_2) | instid1(VALU_DEP_1)
	v_rcp_f32_e32 v1, v1
	s_waitcnt_depctr 0xfff
	v_mul_f32_e32 v1, 0x5f7ffffc, v1
	v_mul_f32_e32 v2, 0x2f800000, v1
	s_delay_alu instid0(VALU_DEP_1) | instskip(NEXT) | instid1(VALU_DEP_1)
	v_trunc_f32_e32 v2, v2
	v_fmamk_f32 v1, v2, 0xcf800000, v1
	v_cvt_u32_f32_e32 v2, v2
	s_delay_alu instid0(VALU_DEP_2) | instskip(NEXT) | instid1(VALU_DEP_2)
	v_cvt_u32_f32_e32 v1, v1
	v_readfirstlane_b32 s9, v2
	s_delay_alu instid0(VALU_DEP_2) | instskip(NEXT) | instid1(VALU_DEP_2)
	v_readfirstlane_b32 s12, v1
	s_mul_i32 s23, s19, s9
	s_delay_alu instid0(VALU_DEP_1)
	s_mul_hi_u32 s25, s19, s12
	s_mul_i32 s24, s22, s12
	s_add_i32 s23, s25, s23
	s_mul_i32 s27, s19, s12
	s_add_i32 s23, s23, s24
	s_mul_hi_u32 s25, s12, s27
	s_mul_hi_u32 s33, s9, s27
	s_mul_i32 s24, s9, s27
	s_mul_hi_u32 s27, s12, s23
	s_mul_i32 s12, s12, s23
	s_mul_hi_u32 s40, s9, s23
	s_add_u32 s12, s25, s12
	s_addc_u32 s25, 0, s27
	s_add_u32 s12, s12, s24
	s_mul_i32 s23, s9, s23
	s_addc_u32 s12, s25, s33
	s_addc_u32 s24, s40, 0
	s_add_u32 s12, s12, s23
	s_addc_u32 s23, 0, s24
	v_add_co_u32 v1, s12, v1, s12
	s_delay_alu instid0(VALU_DEP_1) | instskip(SKIP_1) | instid1(VALU_DEP_1)
	s_cmp_lg_u32 s12, 0
	s_addc_u32 s9, s9, s23
	v_readfirstlane_b32 s12, v1
	s_mul_i32 s23, s19, s9
	s_delay_alu instid0(VALU_DEP_1)
	s_mul_hi_u32 s24, s19, s12
	s_mul_i32 s22, s22, s12
	s_add_i32 s23, s24, s23
	s_mul_i32 s19, s19, s12
	s_add_i32 s23, s23, s22
	s_mul_hi_u32 s24, s9, s19
	s_mul_i32 s25, s9, s19
	s_mul_hi_u32 s19, s12, s19
	s_mul_hi_u32 s27, s12, s23
	s_mul_i32 s12, s12, s23
	s_mul_hi_u32 s22, s9, s23
	s_add_u32 s12, s19, s12
	s_addc_u32 s19, 0, s27
	s_add_u32 s12, s12, s25
	s_mul_i32 s23, s9, s23
	s_addc_u32 s12, s19, s24
	s_addc_u32 s19, s22, 0
	s_add_u32 s12, s12, s23
	s_addc_u32 s19, 0, s19
	v_add_co_u32 v1, s12, v1, s12
	s_delay_alu instid0(VALU_DEP_1) | instskip(SKIP_2) | instid1(VALU_DEP_1)
	s_cmp_lg_u32 s12, 0
	s_addc_u32 s9, s9, s19
	s_ashr_i32 s22, s35, 31
	v_readfirstlane_b32 s12, v1
	s_add_u32 s24, s34, s22
	s_mov_b32 s23, s22
	s_addc_u32 s25, s35, s22
	s_delay_alu instid0(SALU_CYCLE_1) | instskip(NEXT) | instid1(SALU_CYCLE_1)
	s_xor_b64 s[24:25], s[24:25], s[22:23]
	s_mul_i32 s27, s24, s9
	s_mul_hi_u32 s33, s24, s12
	s_mul_hi_u32 s19, s24, s9
	;; [unrolled: 1-line block ×3, first 2 shown]
	s_mul_i32 s12, s25, s12
	s_add_u32 s27, s33, s27
	s_addc_u32 s19, 0, s19
	s_mul_hi_u32 s40, s25, s9
	s_add_u32 s12, s27, s12
	s_mul_i32 s9, s25, s9
	s_addc_u32 s12, s19, s41
	s_addc_u32 s19, s40, 0
	s_add_u32 s9, s12, s9
	s_addc_u32 s12, 0, s19
	s_mul_i32 s40, s20, s9
	s_mul_hi_u32 s19, s20, s9
	s_mul_i32 s33, s20, s12
	v_sub_co_u32 v1, s24, s24, s40
	s_mul_i32 s27, s21, s9
	s_add_i32 s19, s19, s33
	s_delay_alu instid0(SALU_CYCLE_1) | instskip(NEXT) | instid1(VALU_DEP_1)
	s_add_i32 s19, s19, s27
	v_sub_co_u32 v2, s33, v1, s20
	s_sub_i32 s27, s25, s19
	s_cmp_lg_u32 s24, 0
	s_subb_u32 s27, s27, s21
	s_cmp_lg_u32 s33, 0
	v_readfirstlane_b32 s33, v2
	s_subb_u32 s27, s27, 0
	s_delay_alu instid0(SALU_CYCLE_1) | instskip(SKIP_1) | instid1(VALU_DEP_1)
	s_cmp_ge_u32 s27, s21
	s_cselect_b32 s40, -1, 0
	s_cmp_ge_u32 s33, s20
	s_cselect_b32 s33, -1, 0
	s_cmp_eq_u32 s27, s21
	s_cselect_b32 s27, s33, s40
	s_add_u32 s33, s9, 1
	s_addc_u32 s40, s12, 0
	s_add_u32 s41, s9, 2
	s_addc_u32 s44, s12, 0
	s_cmp_lg_u32 s27, 0
	s_cselect_b32 s27, s41, s33
	s_cselect_b32 s33, s44, s40
	s_cmp_lg_u32 s24, 0
	v_readfirstlane_b32 s24, v1
	s_subb_u32 s19, s25, s19
	s_delay_alu instid0(SALU_CYCLE_1) | instskip(SKIP_1) | instid1(VALU_DEP_1)
	s_cmp_ge_u32 s19, s21
	s_cselect_b32 s25, -1, 0
	s_cmp_ge_u32 s24, s20
	s_cselect_b32 s20, -1, 0
	s_cmp_eq_u32 s19, s21
	s_cselect_b32 s19, s20, s25
	s_delay_alu instid0(SALU_CYCLE_1) | instskip(SKIP_3) | instid1(SALU_CYCLE_1)
	s_cmp_lg_u32 s19, 0
	s_cselect_b32 s21, s33, s12
	s_cselect_b32 s20, s27, s9
	s_xor_b64 s[10:11], s[22:23], s[10:11]
	s_xor_b64 s[20:21], s[20:21], s[10:11]
	s_delay_alu instid0(SALU_CYCLE_1)
	s_sub_u32 s40, s20, s10
	s_subb_u32 s41, s21, s11
	s_load_b128 s[44:47], s[0:1], 0x370
	s_and_not1_b32 vcc_lo, exec_lo, s8
	s_cbranch_vccnz .LBB46_13
.LBB46_12:
	v_cvt_f32_u32_e32 v1, s28
	s_sub_i32 s9, 0, s28
	s_mov_b32 s41, 0
	s_delay_alu instid0(VALU_DEP_1) | instskip(SKIP_2) | instid1(VALU_DEP_1)
	v_rcp_iflag_f32_e32 v1, v1
	s_waitcnt_depctr 0xfff
	v_mul_f32_e32 v1, 0x4f7ffffe, v1
	v_cvt_u32_f32_e32 v1, v1
	s_delay_alu instid0(VALU_DEP_1) | instskip(NEXT) | instid1(VALU_DEP_1)
	v_readfirstlane_b32 s8, v1
	s_mul_i32 s9, s9, s8
	s_delay_alu instid0(SALU_CYCLE_1) | instskip(NEXT) | instid1(SALU_CYCLE_1)
	s_mul_hi_u32 s9, s8, s9
	s_add_i32 s8, s8, s9
	s_delay_alu instid0(SALU_CYCLE_1) | instskip(NEXT) | instid1(SALU_CYCLE_1)
	s_mul_hi_u32 s8, s34, s8
	s_mul_i32 s9, s8, s28
	s_add_i32 s10, s8, 1
	s_sub_i32 s9, s34, s9
	s_delay_alu instid0(SALU_CYCLE_1)
	s_sub_i32 s11, s9, s28
	s_cmp_ge_u32 s9, s28
	s_cselect_b32 s8, s10, s8
	s_cselect_b32 s9, s11, s9
	s_add_i32 s10, s8, 1
	s_cmp_ge_u32 s9, s28
	s_cselect_b32 s40, s10, s8
.LBB46_13:
	s_mov_b32 s8, 0
	s_waitcnt lgkmcnt(0)
	s_mov_b32 s9, s47
	s_delay_alu instid0(SALU_CYCLE_1)
	s_cmp_lg_u64 s[8:9], 0
	s_cbranch_scc0 .LBB46_22
; %bb.14:
	s_ashr_i32 s10, s47, 31
	s_delay_alu instid0(SALU_CYCLE_1) | instskip(SKIP_2) | instid1(SALU_CYCLE_1)
	s_add_u32 s20, s46, s10
	s_mov_b32 s11, s10
	s_addc_u32 s21, s47, s10
	s_xor_b64 s[20:21], s[20:21], s[10:11]
	s_delay_alu instid0(SALU_CYCLE_1) | instskip(SKIP_3) | instid1(VALU_DEP_1)
	v_cvt_f32_u32_e32 v1, s20
	v_cvt_f32_u32_e32 v2, s21
	s_sub_u32 s19, 0, s20
	s_subb_u32 s22, 0, s21
	v_fmamk_f32 v1, v2, 0x4f800000, v1
	s_delay_alu instid0(VALU_DEP_1) | instskip(SKIP_2) | instid1(VALU_DEP_1)
	v_rcp_f32_e32 v1, v1
	s_waitcnt_depctr 0xfff
	v_mul_f32_e32 v1, 0x5f7ffffc, v1
	v_mul_f32_e32 v2, 0x2f800000, v1
	s_delay_alu instid0(VALU_DEP_1) | instskip(NEXT) | instid1(VALU_DEP_1)
	v_trunc_f32_e32 v2, v2
	v_fmamk_f32 v1, v2, 0xcf800000, v1
	v_cvt_u32_f32_e32 v2, v2
	s_delay_alu instid0(VALU_DEP_2) | instskip(NEXT) | instid1(VALU_DEP_2)
	v_cvt_u32_f32_e32 v1, v1
	v_readfirstlane_b32 s9, v2
	s_delay_alu instid0(VALU_DEP_2) | instskip(NEXT) | instid1(VALU_DEP_2)
	v_readfirstlane_b32 s12, v1
	s_mul_i32 s23, s19, s9
	s_delay_alu instid0(VALU_DEP_1)
	s_mul_hi_u32 s25, s19, s12
	s_mul_i32 s24, s22, s12
	s_add_i32 s23, s25, s23
	s_mul_i32 s27, s19, s12
	s_add_i32 s23, s23, s24
	s_mul_hi_u32 s25, s12, s27
	s_mul_hi_u32 s33, s9, s27
	s_mul_i32 s24, s9, s27
	s_mul_hi_u32 s27, s12, s23
	s_mul_i32 s12, s12, s23
	s_mul_hi_u32 s48, s9, s23
	s_add_u32 s12, s25, s12
	s_addc_u32 s25, 0, s27
	s_add_u32 s12, s12, s24
	s_mul_i32 s23, s9, s23
	s_addc_u32 s12, s25, s33
	s_addc_u32 s24, s48, 0
	s_add_u32 s12, s12, s23
	s_addc_u32 s23, 0, s24
	v_add_co_u32 v1, s12, v1, s12
	s_delay_alu instid0(VALU_DEP_1) | instskip(SKIP_1) | instid1(VALU_DEP_1)
	s_cmp_lg_u32 s12, 0
	s_addc_u32 s9, s9, s23
	v_readfirstlane_b32 s12, v1
	s_mul_i32 s23, s19, s9
	s_delay_alu instid0(VALU_DEP_1)
	s_mul_hi_u32 s24, s19, s12
	s_mul_i32 s22, s22, s12
	s_add_i32 s23, s24, s23
	s_mul_i32 s19, s19, s12
	s_add_i32 s23, s23, s22
	s_mul_hi_u32 s24, s9, s19
	s_mul_i32 s25, s9, s19
	s_mul_hi_u32 s19, s12, s19
	s_mul_hi_u32 s27, s12, s23
	s_mul_i32 s12, s12, s23
	s_mul_hi_u32 s22, s9, s23
	s_add_u32 s12, s19, s12
	s_addc_u32 s19, 0, s27
	s_add_u32 s12, s12, s25
	s_mul_i32 s23, s9, s23
	s_addc_u32 s12, s19, s24
	s_addc_u32 s19, s22, 0
	s_add_u32 s12, s12, s23
	s_addc_u32 s19, 0, s19
	v_add_co_u32 v1, s12, v1, s12
	s_delay_alu instid0(VALU_DEP_1) | instskip(SKIP_2) | instid1(VALU_DEP_1)
	s_cmp_lg_u32 s12, 0
	s_addc_u32 s9, s9, s19
	s_ashr_i32 s22, 0, 31
	v_readfirstlane_b32 s12, v1
	s_add_u32 s24, s26, s22
	s_mov_b32 s23, s22
	s_addc_u32 s25, 0, s22
	s_delay_alu instid0(SALU_CYCLE_1) | instskip(NEXT) | instid1(SALU_CYCLE_1)
	s_xor_b64 s[24:25], s[24:25], s[22:23]
	s_mul_i32 s27, s24, s9
	s_mul_hi_u32 s33, s24, s12
	s_mul_hi_u32 s19, s24, s9
	;; [unrolled: 1-line block ×3, first 2 shown]
	s_mul_i32 s12, s25, s12
	s_add_u32 s27, s33, s27
	s_addc_u32 s19, 0, s19
	s_mul_hi_u32 s48, s25, s9
	s_add_u32 s12, s27, s12
	s_mul_i32 s9, s25, s9
	s_addc_u32 s12, s19, s49
	s_addc_u32 s19, s48, 0
	s_add_u32 s9, s12, s9
	s_addc_u32 s12, 0, s19
	s_mul_i32 s48, s20, s9
	s_mul_hi_u32 s19, s20, s9
	s_mul_i32 s33, s20, s12
	v_sub_co_u32 v1, s24, s24, s48
	s_mul_i32 s27, s21, s9
	s_add_i32 s19, s19, s33
	s_delay_alu instid0(SALU_CYCLE_1) | instskip(NEXT) | instid1(VALU_DEP_1)
	s_add_i32 s19, s19, s27
	v_sub_co_u32 v2, s33, v1, s20
	s_sub_i32 s27, s25, s19
	s_cmp_lg_u32 s24, 0
	s_subb_u32 s27, s27, s21
	s_cmp_lg_u32 s33, 0
	v_readfirstlane_b32 s33, v2
	s_subb_u32 s27, s27, 0
	s_delay_alu instid0(SALU_CYCLE_1) | instskip(SKIP_1) | instid1(VALU_DEP_1)
	s_cmp_ge_u32 s27, s21
	s_cselect_b32 s48, -1, 0
	s_cmp_ge_u32 s33, s20
	s_cselect_b32 s33, -1, 0
	s_cmp_eq_u32 s27, s21
	s_cselect_b32 s27, s33, s48
	s_add_u32 s33, s9, 1
	s_addc_u32 s48, s12, 0
	s_add_u32 s49, s9, 2
	s_addc_u32 s50, s12, 0
	s_cmp_lg_u32 s27, 0
	s_cselect_b32 s27, s49, s33
	s_cselect_b32 s33, s50, s48
	s_cmp_lg_u32 s24, 0
	v_readfirstlane_b32 s24, v1
	s_subb_u32 s19, s25, s19
	s_delay_alu instid0(SALU_CYCLE_1) | instskip(SKIP_1) | instid1(VALU_DEP_1)
	s_cmp_ge_u32 s19, s21
	s_cselect_b32 s25, -1, 0
	s_cmp_ge_u32 s24, s20
	s_cselect_b32 s20, -1, 0
	s_cmp_eq_u32 s19, s21
	s_cselect_b32 s19, s20, s25
	s_delay_alu instid0(SALU_CYCLE_1) | instskip(SKIP_3) | instid1(SALU_CYCLE_1)
	s_cmp_lg_u32 s19, 0
	s_cselect_b32 s21, s33, s12
	s_cselect_b32 s20, s27, s9
	s_xor_b64 s[10:11], s[22:23], s[10:11]
	s_xor_b64 s[20:21], s[20:21], s[10:11]
	s_delay_alu instid0(SALU_CYCLE_1)
	s_sub_u32 s56, s20, s10
	s_subb_u32 s57, s21, s11
	s_and_not1_b32 vcc_lo, exec_lo, s8
	s_cbranch_vccnz .LBB46_16
.LBB46_15:
	v_cvt_f32_u32_e32 v1, s46
	s_sub_i32 s9, 0, s46
	s_mov_b32 s57, 0
	s_delay_alu instid0(VALU_DEP_1) | instskip(SKIP_2) | instid1(VALU_DEP_1)
	v_rcp_iflag_f32_e32 v1, v1
	s_waitcnt_depctr 0xfff
	v_mul_f32_e32 v1, 0x4f7ffffe, v1
	v_cvt_u32_f32_e32 v1, v1
	s_delay_alu instid0(VALU_DEP_1) | instskip(NEXT) | instid1(VALU_DEP_1)
	v_readfirstlane_b32 s8, v1
	s_mul_i32 s9, s9, s8
	s_delay_alu instid0(SALU_CYCLE_1) | instskip(NEXT) | instid1(SALU_CYCLE_1)
	s_mul_hi_u32 s9, s8, s9
	s_add_i32 s8, s8, s9
	s_delay_alu instid0(SALU_CYCLE_1) | instskip(NEXT) | instid1(SALU_CYCLE_1)
	s_mul_hi_u32 s8, s26, s8
	s_mul_i32 s9, s8, s46
	s_add_i32 s10, s8, 1
	s_sub_i32 s9, s26, s9
	s_delay_alu instid0(SALU_CYCLE_1)
	s_sub_i32 s11, s9, s46
	s_cmp_ge_u32 s9, s46
	s_cselect_b32 s8, s10, s8
	s_cselect_b32 s9, s11, s9
	s_add_i32 s10, s8, 1
	s_cmp_ge_u32 s9, s46
	s_cselect_b32 s56, s10, s8
.LBB46_16:
	s_clause 0x1
	s_load_b64 s[20:21], s[0:1], 0xe0
	s_load_b128 s[8:11], s[0:1], 0xd0
	s_or_b64 s[24:25], s[56:57], s[44:45]
	s_mov_b32 s24, 0
	s_delay_alu instid0(SALU_CYCLE_1)
	s_cmp_lg_u64 s[24:25], 0
	s_cbranch_scc0 .LBB46_23
; %bb.17:
	s_ashr_i32 s22, s45, 31
	s_delay_alu instid0(SALU_CYCLE_1) | instskip(SKIP_2) | instid1(SALU_CYCLE_1)
	s_add_u32 s48, s44, s22
	s_mov_b32 s23, s22
	s_addc_u32 s49, s45, s22
	s_xor_b64 s[48:49], s[48:49], s[22:23]
	s_delay_alu instid0(SALU_CYCLE_1) | instskip(SKIP_3) | instid1(VALU_DEP_1)
	v_cvt_f32_u32_e32 v1, s48
	v_cvt_f32_u32_e32 v2, s49
	s_sub_u32 s25, 0, s48
	s_subb_u32 s27, 0, s49
	v_fmamk_f32 v1, v2, 0x4f800000, v1
	s_delay_alu instid0(VALU_DEP_1) | instskip(SKIP_2) | instid1(VALU_DEP_1)
	v_rcp_f32_e32 v1, v1
	s_waitcnt_depctr 0xfff
	v_mul_f32_e32 v1, 0x5f7ffffc, v1
	v_mul_f32_e32 v2, 0x2f800000, v1
	s_delay_alu instid0(VALU_DEP_1) | instskip(NEXT) | instid1(VALU_DEP_1)
	v_trunc_f32_e32 v2, v2
	v_fmamk_f32 v1, v2, 0xcf800000, v1
	v_cvt_u32_f32_e32 v2, v2
	s_delay_alu instid0(VALU_DEP_2) | instskip(NEXT) | instid1(VALU_DEP_2)
	v_cvt_u32_f32_e32 v1, v1
	v_readfirstlane_b32 s12, v2
	s_delay_alu instid0(VALU_DEP_2) | instskip(NEXT) | instid1(VALU_DEP_2)
	v_readfirstlane_b32 s19, v1
	s_mul_i32 s33, s25, s12
	s_delay_alu instid0(VALU_DEP_1)
	s_mul_hi_u32 s51, s25, s19
	s_mul_i32 s50, s27, s19
	s_add_i32 s33, s51, s33
	s_mul_i32 s52, s25, s19
	s_add_i32 s33, s33, s50
	s_mul_hi_u32 s51, s19, s52
	s_mul_hi_u32 s53, s12, s52
	s_mul_i32 s50, s12, s52
	s_mul_hi_u32 s52, s19, s33
	s_mul_i32 s19, s19, s33
	s_mul_hi_u32 s54, s12, s33
	s_add_u32 s19, s51, s19
	s_addc_u32 s51, 0, s52
	s_add_u32 s19, s19, s50
	s_mul_i32 s33, s12, s33
	s_addc_u32 s19, s51, s53
	s_addc_u32 s50, s54, 0
	s_add_u32 s19, s19, s33
	s_addc_u32 s33, 0, s50
	v_add_co_u32 v1, s19, v1, s19
	s_delay_alu instid0(VALU_DEP_1) | instskip(SKIP_1) | instid1(VALU_DEP_1)
	s_cmp_lg_u32 s19, 0
	s_addc_u32 s12, s12, s33
	v_readfirstlane_b32 s19, v1
	s_mul_i32 s33, s25, s12
	s_delay_alu instid0(VALU_DEP_1)
	s_mul_hi_u32 s50, s25, s19
	s_mul_i32 s27, s27, s19
	s_add_i32 s33, s50, s33
	s_mul_i32 s25, s25, s19
	s_add_i32 s33, s33, s27
	s_mul_hi_u32 s50, s12, s25
	s_mul_i32 s51, s12, s25
	s_mul_hi_u32 s25, s19, s25
	s_mul_hi_u32 s52, s19, s33
	s_mul_i32 s19, s19, s33
	s_mul_hi_u32 s27, s12, s33
	s_add_u32 s19, s25, s19
	s_addc_u32 s25, 0, s52
	s_add_u32 s19, s19, s51
	s_mul_i32 s33, s12, s33
	s_addc_u32 s19, s25, s50
	s_addc_u32 s25, s27, 0
	s_add_u32 s19, s19, s33
	s_addc_u32 s25, 0, s25
	v_add_co_u32 v1, s19, v1, s19
	s_delay_alu instid0(VALU_DEP_1) | instskip(SKIP_2) | instid1(VALU_DEP_1)
	s_cmp_lg_u32 s19, 0
	s_addc_u32 s12, s12, s25
	s_ashr_i32 s50, s57, 31
	v_readfirstlane_b32 s19, v1
	s_add_u32 s52, s56, s50
	s_mov_b32 s51, s50
	s_addc_u32 s53, s57, s50
	s_delay_alu instid0(SALU_CYCLE_1) | instskip(NEXT) | instid1(SALU_CYCLE_1)
	s_xor_b64 s[52:53], s[52:53], s[50:51]
	s_mul_i32 s27, s52, s12
	s_mul_hi_u32 s33, s52, s19
	s_mul_hi_u32 s25, s52, s12
	;; [unrolled: 1-line block ×3, first 2 shown]
	s_mul_i32 s19, s53, s19
	s_add_u32 s27, s33, s27
	s_addc_u32 s25, 0, s25
	s_mul_hi_u32 s54, s53, s12
	s_add_u32 s19, s27, s19
	s_mul_i32 s12, s53, s12
	s_addc_u32 s19, s25, s55
	s_addc_u32 s25, s54, 0
	s_add_u32 s12, s19, s12
	s_addc_u32 s19, 0, s25
	s_mul_hi_u32 s25, s48, s12
	s_mul_i32 s33, s48, s19
	s_mul_i32 s54, s48, s12
	s_add_i32 s25, s25, s33
	v_sub_co_u32 v1, s33, s52, s54
	s_mul_i32 s27, s49, s12
	s_delay_alu instid0(SALU_CYCLE_1) | instskip(NEXT) | instid1(VALU_DEP_1)
	s_add_i32 s25, s25, s27
	v_sub_co_u32 v2, s52, v1, s48
	s_sub_i32 s27, s53, s25
	s_cmp_lg_u32 s33, 0
	s_subb_u32 s27, s27, s49
	s_cmp_lg_u32 s52, 0
	v_readfirstlane_b32 s52, v2
	s_subb_u32 s27, s27, 0
	s_delay_alu instid0(SALU_CYCLE_1) | instskip(SKIP_1) | instid1(VALU_DEP_1)
	s_cmp_ge_u32 s27, s49
	s_cselect_b32 s54, -1, 0
	s_cmp_ge_u32 s52, s48
	s_cselect_b32 s52, -1, 0
	s_cmp_eq_u32 s27, s49
	s_cselect_b32 s27, s52, s54
	s_add_u32 s52, s12, 1
	s_addc_u32 s54, s19, 0
	s_add_u32 s55, s12, 2
	s_addc_u32 s58, s19, 0
	s_cmp_lg_u32 s27, 0
	s_cselect_b32 s27, s55, s52
	s_cselect_b32 s52, s58, s54
	s_cmp_lg_u32 s33, 0
	v_readfirstlane_b32 s33, v1
	s_subb_u32 s25, s53, s25
	s_delay_alu instid0(SALU_CYCLE_1) | instskip(SKIP_1) | instid1(VALU_DEP_1)
	s_cmp_ge_u32 s25, s49
	s_cselect_b32 s53, -1, 0
	s_cmp_ge_u32 s33, s48
	s_cselect_b32 s33, -1, 0
	s_cmp_eq_u32 s25, s49
	s_cselect_b32 s25, s33, s53
	s_delay_alu instid0(SALU_CYCLE_1) | instskip(SKIP_3) | instid1(SALU_CYCLE_1)
	s_cmp_lg_u32 s25, 0
	s_cselect_b32 s49, s52, s19
	s_cselect_b32 s48, s27, s12
	s_xor_b64 s[22:23], s[50:51], s[22:23]
	s_xor_b64 s[48:49], s[48:49], s[22:23]
	s_delay_alu instid0(SALU_CYCLE_1)
	s_sub_u32 s62, s48, s22
	s_subb_u32 s63, s49, s23
	s_branch .LBB46_24
.LBB46_18:
                                        ; implicit-def: $sgpr2_sgpr3
	s_branch .LBB46_3
.LBB46_19:
                                        ; implicit-def: $sgpr14_sgpr15
	s_load_b128 s[28:31], s[0:1], 0x1d0
	s_branch .LBB46_6
.LBB46_20:
                                        ; implicit-def: $sgpr34_sgpr35
	s_branch .LBB46_9
.LBB46_21:
                                        ; implicit-def: $sgpr40_sgpr41
	s_load_b128 s[44:47], s[0:1], 0x370
	s_branch .LBB46_12
.LBB46_22:
                                        ; implicit-def: $sgpr56_sgpr57
	s_branch .LBB46_15
.LBB46_23:
	s_mov_b32 s24, -1
                                        ; implicit-def: $sgpr62_sgpr63
.LBB46_24:
	s_clause 0x1
	s_load_b64 s[22:23], s[0:1], 0x440
	s_load_b128 s[48:51], s[0:1], 0x430
                                        ; implicit-def: $vgpr52 : SGPR spill to VGPR lane
	s_and_not1_b32 vcc_lo, exec_lo, s24
	s_waitcnt lgkmcnt(0)
	v_writelane_b32 v52, s22, 0
	v_writelane_b32 v52, s23, 1
	s_load_b64 s[22:23], s[0:1], 0x2a0
	v_writelane_b32 v52, s48, 2
	v_writelane_b32 v52, s49, 3
	;; [unrolled: 1-line block ×4, first 2 shown]
	s_waitcnt lgkmcnt(0)
	v_writelane_b32 v52, s22, 6
	v_writelane_b32 v52, s23, 7
	s_clause 0x1
	s_load_b128 s[52:55], s[0:1], 0x290
	s_load_b64 s[22:23], s[0:1], 0x0
	s_cbranch_vccnz .LBB46_26
; %bb.25:
	v_cvt_f32_u32_e32 v1, s44
	s_sub_i32 s19, 0, s44
	s_mov_b32 s63, 0
	s_delay_alu instid0(VALU_DEP_1) | instskip(SKIP_2) | instid1(VALU_DEP_1)
	v_rcp_iflag_f32_e32 v1, v1
	s_waitcnt_depctr 0xfff
	v_mul_f32_e32 v1, 0x4f7ffffe, v1
	v_cvt_u32_f32_e32 v1, v1
	s_delay_alu instid0(VALU_DEP_1) | instskip(NEXT) | instid1(VALU_DEP_1)
	v_readfirstlane_b32 s12, v1
	s_mul_i32 s19, s19, s12
	s_delay_alu instid0(SALU_CYCLE_1) | instskip(NEXT) | instid1(SALU_CYCLE_1)
	s_mul_hi_u32 s19, s12, s19
	s_add_i32 s12, s12, s19
	s_delay_alu instid0(SALU_CYCLE_1) | instskip(NEXT) | instid1(SALU_CYCLE_1)
	s_mul_hi_u32 s12, s56, s12
	s_mul_i32 s19, s12, s44
	s_add_i32 s24, s12, 1
	s_sub_i32 s19, s56, s19
	s_delay_alu instid0(SALU_CYCLE_1)
	s_sub_i32 s25, s19, s44
	s_cmp_ge_u32 s19, s44
	s_cselect_b32 s12, s24, s12
	s_cselect_b32 s19, s25, s19
	s_add_i32 s24, s12, 1
	s_cmp_ge_u32 s19, s44
	s_cselect_b32 s62, s24, s12
.LBB46_26:
	s_clause 0x1
	s_load_b64 s[24:25], s[0:1], 0x360
	s_load_b64 s[0:1], s[0:1], 0x1c0
	s_mov_b32 s69, 0
	s_waitcnt lgkmcnt(0)
	v_writelane_b32 v52, s24, 8
	v_writelane_b32 v52, s25, 9
	;; [unrolled: 1-line block ×4, first 2 shown]
	v_cmp_eq_u32_e64 s0, 0, v0
	s_delay_alu instid0(VALU_DEP_1)
	s_and_saveexec_b32 s1, s0
	s_cbranch_execz .LBB46_28
; %bb.27:
	v_dual_mov_b32 v1, 0 :: v_dual_mov_b32 v4, s37
	s_delay_alu instid0(VALU_DEP_1)
	v_dual_mov_b32 v3, s36 :: v_dual_mov_b32 v2, v1
	ds_store_b32 v1, v1 offset:5136
	ds_store_b128 v1, v[1:4] offset:5120
.LBB46_28:
	s_or_b32 exec_lo, exec_lo, s1
	s_mul_i32 s1, s14, s5
	s_mul_hi_u32 s5, s14, s4
	s_mul_i32 s9, s14, s9
	s_add_i32 s1, s5, s1
	s_mul_i32 s5, s15, s4
	s_mul_i32 s4, s14, s4
	s_add_i32 s1, s1, s5
	s_sub_u32 s4, s2, s4
	s_subb_u32 s1, s3, s1
	s_mul_i32 s5, s4, s11
	s_mul_hi_u32 s11, s4, s10
	s_mul_i32 s1, s1, s10
	s_add_i32 s5, s11, s5
	s_mul_hi_u32 s11, s14, s8
	s_add_i32 s5, s5, s1
	s_add_i32 s1, s11, s9
	s_mul_i32 s9, s15, s8
	s_mul_i32 s11, s2, s7
	s_mul_hi_u32 s12, s2, s6
	s_add_i32 s7, s1, s9
	s_add_i32 s1, s12, s11
	s_mul_i32 s3, s3, s6
	s_mul_i32 s2, s2, s6
	s_add_i32 s1, s1, s3
	s_sub_u32 s2, s26, s2
	s_subb_u32 s1, 0, s1
	s_mul_i32 s3, s2, s21
	s_mul_hi_u32 s6, s2, s20
	s_mul_i32 s1, s1, s20
	s_add_i32 s3, s6, s3
	s_mul_i32 s6, s14, s8
	s_mul_i32 s4, s4, s10
	s_lshl_b64 s[6:7], s[6:7], 3
	s_add_i32 s3, s3, s1
	s_add_u32 s1, s22, s6
	s_addc_u32 s10, s23, s7
	s_lshl_b64 s[8:9], s[4:5], 3
	s_waitcnt lgkmcnt(0)
	s_barrier
	buffer_gl0_inv
	s_load_b32 s5, s[16:17], 0xc
	v_mad_u64_u32 v[2:3], null, v0, s42, 0
	v_lshlrev_b32_e32 v41, 5, v0
	v_mbcnt_lo_u32_b32 v37, -1, 0
	s_mul_i32 s2, s2, s20
	s_add_u32 s1, s1, s8
	v_dual_mov_b32 v19, 0 :: v_dual_lshlrev_b32 v22, 2, v0
	v_or_b32_e32 v11, 24, v41
	v_or_b32_e32 v12, 16, v41
	v_dual_mov_b32 v1, v3 :: v_dual_lshlrev_b32 v38, 3, v0
	v_lshrrev_b32_e32 v6, 3, v0
	s_addc_u32 s4, s10, s9
	s_lshl_b64 s[10:11], s[2:3], 3
	v_cmp_gt_u32_e32 vcc_lo, 32, v0
	s_add_u32 s72, s1, s10
	v_cmp_gt_i32_e64 s1, 4, v37
	v_mad_u64_u32 v[24:25], null, s42, v11, 0
	v_mad_u64_u32 v[26:27], null, s42, v12, 0
	;; [unrolled: 1-line block ×3, first 2 shown]
	v_dual_mov_b32 v1, v19 :: v_dual_and_b32 v40, 0x7c, v6
	v_lshlrev_b64 v[6:7], v37, -1
	v_or_b32_e32 v13, 8, v41
	s_addc_u32 s73, s4, s11
	s_waitcnt lgkmcnt(0)
	s_and_b32 s27, s5, 0xffff
	s_and_b32 s33, vcc_lo, s1
	s_bfe_u32 s12, s5, 0xb0005
	s_add_u32 s97, s27, -1
	s_addc_u32 s98, 0, -1
	v_add_nc_u32_e32 v39, 0xc00, v38
	s_add_u32 s99, s97, s36
	v_not_b32_e32 v42, v6
	v_mov_b32_e32 v6, v25
	v_mad_u64_u32 v[28:29], null, s42, v13, 0
	v_mov_b32_e32 v7, v27
	s_addc_u32 s25, s98, s37
	s_cmp_lt_u32 s13, s18
	v_mov_b32_e32 v23, v19
	s_cselect_b32 s13, 12, 18
	v_mad_u64_u32 v[9:10], null, s43, v11, v[6:7]
	s_delay_alu instid0(VALU_DEP_4)
	v_mov_b32_e32 v8, v29
	s_add_u32 s74, s16, s13
	s_addc_u32 s75, s17, 0
	s_add_i32 s13, s12, -1
	s_bfe_u32 s100, s27, 0x30005
	s_cmp_gt_u32 s13, 6
	v_lshlrev_b64 v[4:5], 3, v[2:3]
	s_cselect_b32 s101, -1, 0
	s_and_b32 s102, s12, 0x7f8
	s_cmp_lg_u32 s100, 0
	v_mad_u64_u32 v[10:11], null, s43, v12, v[7:8]
	v_mad_u64_u32 v[6:7], null, s43, v13, v[8:9]
	v_cmp_gt_u16_e64 s103, s5, 31
	s_cselect_b32 s104, -1, 0
	s_add_u32 s5, s6, s10
	s_addc_u32 s6, s7, s11
	s_add_u32 s5, s5, s8
	v_add_co_u32 v20, vcc_lo, s72, v4
	s_addc_u32 s6, s6, s9
	s_add_u32 s76, s22, s5
	v_add_co_ci_u32_e32 v21, vcc_lo, s73, v5, vcc_lo
	v_add_co_u32 v44, s5, s36, v0
	s_addc_u32 s77, s23, s6
	v_add_co_u32 v16, vcc_lo, s76, v4
	v_cmp_lt_i64_e64 s96, 0x180, s[36:37]
	v_cmp_gt_u64_e64 s4, s[36:37], v[0:1]
	v_cmp_gt_i64_e64 s1, s[36:37], v[0:1]
	v_mov_b32_e32 v43, v6
	v_lshlrev_b64 v[29:30], 5, v[2:3]
	v_add_co_ci_u32_e64 v45, null, s37, 0, s5
	s_mul_i32 s5, s43, s27
	s_mul_hi_u32 s6, s42, s27
	v_mov_b32_e32 v6, 0
	v_cmp_eq_u32_e64 s2, 0, v37
	v_cmp_gt_u32_e64 s3, 2, v0
	v_mov_b32_e32 v25, v9
	v_mov_b32_e32 v27, v10
	v_lshl_or_b32 v46, v37, 3, 0xc00
	v_add_co_ci_u32_e32 v17, vcc_lo, s77, v5, vcc_lo
	v_mov_b32_e32 v7, 0
	v_mov_b32_e32 v3, 0x3ff00000
	v_cvt_f32_ubyte0_e32 v47, 0
	s_add_i32 s7, s6, s5
	s_mul_i32 s6, s42, s27
	s_lshl_b64 s[78:79], s[42:43], 3
	s_lshl_b64 s[80:81], s[42:43], 5
	;; [unrolled: 1-line block ×3, first 2 shown]
	s_lshl_b32 vcc_hi, s27, 3
	s_mov_b64 s[82:83], 0
	s_mov_b32 s67, 62
	s_mov_b32 s64, 0
	;; [unrolled: 1-line block ×3, first 2 shown]
	s_mov_b64 s[84:85], 0
                                        ; implicit-def: $sgpr65
                                        ; implicit-def: $sgpr58
                                        ; implicit-def: $sgpr66
                                        ; implicit-def: $sgpr61
                                        ; implicit-def: $sgpr48
                                        ; implicit-def: $sgpr60
	s_branch .LBB46_33
.LBB46_29:                              ;   in Loop: Header=BB46_33 Depth=1
	s_xor_b32 s59, s59, 1
	s_add_i32 s8, s67, -2
	s_cmp_eq_u32 s67, 0
	s_mov_b32 s5, 0
	s_cselect_b32 s7, -1, 0
	s_mov_b32 s67, s8
.LBB46_30:                              ;   in Loop: Header=BB46_33 Depth=1
	s_and_not1_b32 s8, s49, exec_lo
	s_and_b32 s5, s5, exec_lo
	s_and_not1_b32 s50, s50, exec_lo
	s_or_b32 s49, s8, s5
	s_and_not1_b32 s21, s21, exec_lo
	s_or_not1_b32 s20, s7, exec_lo
.LBB46_31:                              ;   in Loop: Header=BB46_33 Depth=1
	s_or_b32 exec_lo, exec_lo, s6
	s_delay_alu instid0(SALU_CYCLE_1)
	s_and_not1_b32 s5, s60, exec_lo
	s_and_b32 s6, s49, exec_lo
	s_and_not1_b32 s7, s61, exec_lo
	s_or_b32 s60, s5, s6
	s_and_not1_b32 s5, s48, exec_lo
	s_and_b32 s6, s50, exec_lo
	s_and_b32 s8, s21, exec_lo
	s_or_b32 s48, s5, s6
	s_or_b32 s61, s7, s8
	s_or_not1_b32 s49, s20, exec_lo
.LBB46_32:                              ;   in Loop: Header=BB46_33 Depth=1
	s_or_b32 exec_lo, exec_lo, s22
	s_delay_alu instid0(SALU_CYCLE_1)
	s_and_b32 s5, exec_lo, s49
	v_dual_mov_b32 v4, s82 :: v_dual_mov_b32 v5, s83
	s_or_b32 s64, s5, s64
	s_and_not1_b32 s5, s66, exec_lo
	s_and_b32 s6, s60, exec_lo
	s_and_not1_b32 s7, s65, exec_lo
	s_or_b32 s66, s5, s6
	s_and_not1_b32 s5, s58, exec_lo
	s_and_b32 s6, s48, exec_lo
	s_and_b32 s8, s61, exec_lo
	s_or_b32 s58, s5, s6
	s_or_b32 s65, s7, s8
	s_and_not1_b32 exec_lo, exec_lo, s64
	s_cbranch_execz .LBB46_302
.LBB46_33:                              ; =>This Loop Header: Depth=1
                                        ;     Child Loop BB46_41 Depth 2
                                        ;     Child Loop BB46_60 Depth 2
	;; [unrolled: 1-line block ×16, first 2 shown]
	ds_load_b128 v[8:11], v19 offset:5120
	s_waitcnt lgkmcnt(0)
	v_readfirstlane_b32 s87, v9
	v_readfirstlane_b32 s86, v8
	s_delay_alu instid0(VALU_DEP_1) | instskip(NEXT) | instid1(VALU_DEP_1)
	v_cmp_gt_i64_e64 s5, s[86:87], 0
	s_and_b32 vcc_lo, exec_lo, s5
	s_cbranch_vccnz .LBB46_67
; %bb.34:                               ;   in Loop: Header=BB46_33 Depth=1
	s_and_b32 vcc_lo, exec_lo, s96
	s_cbranch_vccz .LBB46_49
; %bb.35:                               ;   in Loop: Header=BB46_33 Depth=1
	v_cmp_gt_i64_e32 vcc_lo, 0x181, v[10:11]
	s_mov_b32 s7, 0
	s_mov_b32 s5, 0
	s_cbranch_vccz .LBB46_54
; %bb.36:                               ;   in Loop: Header=BB46_33 Depth=1
	v_mov_b32_e32 v4, 0
	v_mov_b32_e32 v5, 0
	s_and_saveexec_b32 s5, s4
	s_cbranch_execz .LBB46_38
; %bb.37:                               ;   in Loop: Header=BB46_33 Depth=1
	global_load_b64 v[4:5], v[20:21], off
.LBB46_38:                              ;   in Loop: Header=BB46_33 Depth=1
	s_or_b32 exec_lo, exec_lo, s5
	s_and_saveexec_b32 s8, s4
	s_cbranch_execz .LBB46_50
; %bb.39:                               ;   in Loop: Header=BB46_33 Depth=1
	global_load_u16 v11, v19, s[74:75]
	s_mov_b32 s11, 0
	s_waitcnt vmcnt(0)
	v_readfirstlane_b32 s5, v11
	s_delay_alu instid0(VALU_DEP_1) | instskip(NEXT) | instid1(SALU_CYCLE_1)
	s_and_b32 s5, 0xffff, s5
	v_add_nc_u32_e32 v12, s5, v0
	s_mul_i32 s6, s79, s5
	s_mul_hi_u32 s9, s78, s5
	s_mul_i32 s10, s78, s5
	s_add_i32 s9, s9, s6
	v_mad_u64_u32 v[8:9], null, s78, v12, s[76:77]
	s_delay_alu instid0(VALU_DEP_1) | instskip(NEXT) | instid1(VALU_DEP_1)
	v_mov_b32_e32 v2, v9
	v_mad_u64_u32 v[9:10], null, s79, v12, v[2:3]
	v_dual_mov_b32 v11, v1 :: v_dual_and_b32 v2, 0xffff, v11
	v_mov_b32_e32 v10, v0
	s_branch .LBB46_41
.LBB46_40:                              ;   in Loop: Header=BB46_41 Depth=2
	s_or_b32 exec_lo, exec_lo, s6
	v_add_co_u32 v8, vcc_lo, v8, s10
	v_add_co_ci_u32_e32 v9, vcc_lo, s9, v9, vcc_lo
	s_waitcnt vmcnt(0)
	v_dual_mov_b32 v4, v12 :: v_dual_mov_b32 v5, v13
	s_and_not1_b32 exec_lo, exec_lo, s11
	s_cbranch_execz .LBB46_50
.LBB46_41:                              ;   Parent Loop BB46_33 Depth=1
                                        ; =>  This Inner Loop Header: Depth=2
	s_delay_alu instid0(VALU_DEP_1) | instskip(NEXT) | instid1(VALU_DEP_3)
	v_add_co_u32 v10, vcc_lo, v10, v2
	v_add_co_ci_u32_e32 v11, vcc_lo, 0, v11, vcc_lo
	v_mov_b32_e32 v12, 0
	v_mov_b32_e32 v13, 0
	s_mov_b32 s6, exec_lo
	s_delay_alu instid0(VALU_DEP_3)
	v_cmp_le_i64_e32 vcc_lo, s[36:37], v[10:11]
	v_cmpx_gt_i64_e64 s[36:37], v[10:11]
	s_cbranch_execz .LBB46_43
; %bb.42:                               ;   in Loop: Header=BB46_41 Depth=2
	global_load_b64 v[12:13], v[8:9], off
.LBB46_43:                              ;   in Loop: Header=BB46_41 Depth=2
	s_or_b32 exec_lo, exec_lo, s6
	v_cmp_o_f64_e64 s5, v[4:5], v[4:5]
	s_waitcnt lgkmcnt(0)
	v_ashrrev_i32_e32 v14, 31, v5
	s_delay_alu instid0(VALU_DEP_1) | instskip(SKIP_1) | instid1(VALU_DEP_2)
	v_or_b32_e32 v15, 0x80000000, v14
	v_xor_b32_e32 v14, v14, v4
	v_xor_b32_e32 v15, v15, v5
	s_delay_alu instid0(VALU_DEP_1) | instskip(NEXT) | instid1(VALU_DEP_3)
	v_cndmask_b32_e64 v15, -1, v15, s5
	v_cndmask_b32_e64 v14, -1, v14, s5
	s_delay_alu instid0(VALU_DEP_2) | instskip(NEXT) | instid1(VALU_DEP_2)
	v_and_b32_e32 v15, s85, v15
	v_and_b32_e32 v14, s84, v14
	s_delay_alu instid0(VALU_DEP_1) | instskip(SKIP_1) | instid1(VALU_DEP_2)
	v_cmp_eq_u64_e64 s5, s[82:83], v[14:15]
	v_mov_b32_e32 v14, 0
	s_cmp_lg_u32 s5, 0
	s_cselect_b32 s6, -1, 0
	s_delay_alu instid0(SALU_CYCLE_1) | instskip(NEXT) | instid1(SALU_CYCLE_1)
	s_and_b32 s6, s2, s6
	s_and_saveexec_b32 s12, s6
	s_cbranch_execz .LBB46_47
; %bb.44:                               ;   in Loop: Header=BB46_41 Depth=2
	s_mov_b32 s15, exec_lo
	s_bcnt1_i32_b32 s13, s5
	v_mbcnt_lo_u32_b32 v14, s15, 0
	s_mov_b32 s14, exec_lo
                                        ; implicit-def: $vgpr15
	s_delay_alu instid0(VALU_DEP_1)
	v_cmpx_eq_u32_e32 0, v14
	s_cbranch_execz .LBB46_46
; %bb.45:                               ;   in Loop: Header=BB46_41 Depth=2
	s_bcnt1_i32_b32 s6, s15
	s_delay_alu instid0(SALU_CYCLE_1) | instskip(NEXT) | instid1(SALU_CYCLE_1)
	s_mul_i32 s6, s13, s6
	v_mov_b32_e32 v15, s6
	ds_add_rtn_u32 v15, v19, v15 offset:5136
.LBB46_46:                              ;   in Loop: Header=BB46_41 Depth=2
	s_or_b32 exec_lo, exec_lo, s14
	s_waitcnt lgkmcnt(0)
	v_readfirstlane_b32 s6, v15
	s_delay_alu instid0(VALU_DEP_1)
	v_mad_u32_u24 v14, s13, v14, s6
.LBB46_47:                              ;   in Loop: Header=BB46_41 Depth=2
	s_or_b32 exec_lo, exec_lo, s12
	ds_bpermute_b32 v14, v19, v14
	s_and_b32 s6, exec_lo, vcc_lo
	s_delay_alu instid0(SALU_CYCLE_1)
	s_or_b32 s11, s6, s11
	s_and_saveexec_b32 s6, s5
	s_cbranch_execz .LBB46_40
; %bb.48:                               ;   in Loop: Header=BB46_41 Depth=2
	v_and_b32_e32 v15, s5, v42
	s_delay_alu instid0(VALU_DEP_1) | instskip(NEXT) | instid1(VALU_DEP_1)
	v_bcnt_u32_b32 v15, v15, 0
	v_lshlrev_b32_e32 v15, 3, v15
	s_waitcnt lgkmcnt(0)
	s_delay_alu instid0(VALU_DEP_1)
	v_lshl_add_u32 v14, v14, 3, v15
	ds_store_b64 v14, v[4:5]
	s_branch .LBB46_40
.LBB46_49:                              ;   in Loop: Header=BB46_33 Depth=1
	s_mov_b32 s7, -1
	s_mov_b32 s5, 0
	s_branch .LBB46_53
.LBB46_50:                              ;   in Loop: Header=BB46_33 Depth=1
	s_or_b32 exec_lo, exec_lo, s8
	s_waitcnt vmcnt(0) lgkmcnt(0)
	s_barrier
	buffer_gl0_inv
	s_and_saveexec_b32 s5, s0
	s_cbranch_execz .LBB46_52
; %bb.51:                               ;   in Loop: Header=BB46_33 Depth=1
	ds_load_b32 v4, v19 offset:5136
	s_waitcnt lgkmcnt(0)
	v_ashrrev_i32_e32 v5, 31, v4
	ds_store_b64 v19, v[4:5] offset:5120
.LBB46_52:                              ;   in Loop: Header=BB46_33 Depth=1
	s_or_b32 exec_lo, exec_lo, s5
	s_waitcnt lgkmcnt(0)
	s_mov_b32 s5, -1
	s_barrier
.LBB46_53:                              ;   in Loop: Header=BB46_33 Depth=1
                                        ; implicit-def: $sgpr86_sgpr87
.LBB46_54:                              ;   in Loop: Header=BB46_33 Depth=1
	s_and_b32 vcc_lo, exec_lo, s7
	s_cbranch_vccz .LBB46_65
; %bb.55:                               ;   in Loop: Header=BB46_33 Depth=1
	v_mov_b32_e32 v4, 0
	v_mov_b32_e32 v5, 0
	s_and_saveexec_b32 s5, s1
	s_cbranch_execz .LBB46_57
; %bb.56:                               ;   in Loop: Header=BB46_33 Depth=1
	global_load_b64 v[4:5], v[20:21], off
.LBB46_57:                              ;   in Loop: Header=BB46_33 Depth=1
	s_or_b32 exec_lo, exec_lo, s5
	s_and_saveexec_b32 s6, s1
	s_cbranch_execz .LBB46_62
; %bb.58:                               ;   in Loop: Header=BB46_33 Depth=1
	global_load_u16 v11, v19, s[74:75]
	s_mov_b32 s10, 0
	s_waitcnt vmcnt(0)
	v_readfirstlane_b32 s5, v11
	v_and_b32_e32 v14, 0xffff, v11
	s_delay_alu instid0(VALU_DEP_2) | instskip(NEXT) | instid1(SALU_CYCLE_1)
	s_and_b32 s5, 0xffff, s5
	v_add_nc_u32_e32 v12, s5, v0
	s_mul_i32 s8, s79, s5
	s_mul_hi_u32 s9, s78, s5
	s_lshl_b32 s7, s5, 3
	s_add_i32 s8, s9, s8
	v_mad_u64_u32 v[8:9], null, s78, v12, s[76:77]
	s_mul_i32 s9, s78, s5
	s_delay_alu instid0(VALU_DEP_1) | instskip(NEXT) | instid1(VALU_DEP_1)
	v_mov_b32_e32 v2, v9
	v_mad_u64_u32 v[9:10], null, s79, v12, v[2:3]
	v_dual_mov_b32 v11, v1 :: v_dual_mov_b32 v2, v38
	v_mov_b32_e32 v10, v0
	s_set_inst_prefetch_distance 0x1
	s_branch .LBB46_60
	.p2align	6
.LBB46_59:                              ;   in Loop: Header=BB46_60 Depth=2
	s_or_b32 exec_lo, exec_lo, s11
	s_delay_alu instid0(SALU_CYCLE_1)
	s_and_b32 s5, exec_lo, vcc_lo
	v_add_co_u32 v8, vcc_lo, v8, s9
	ds_store_b64 v2, v[4:5]
	s_waitcnt vmcnt(0)
	v_mov_b32_e32 v4, v12
	v_dual_mov_b32 v5, v13 :: v_dual_add_nc_u32 v2, s7, v2
	v_add_co_ci_u32_e32 v9, vcc_lo, s8, v9, vcc_lo
	s_or_b32 s10, s5, s10
	s_delay_alu instid0(SALU_CYCLE_1)
	s_and_not1_b32 exec_lo, exec_lo, s10
	s_cbranch_execz .LBB46_62
.LBB46_60:                              ;   Parent Loop BB46_33 Depth=1
                                        ; =>  This Inner Loop Header: Depth=2
	s_delay_alu instid0(VALU_DEP_1) | instskip(SKIP_4) | instid1(VALU_DEP_3)
	v_add_co_u32 v10, vcc_lo, v10, v14
	v_add_co_ci_u32_e32 v11, vcc_lo, 0, v11, vcc_lo
	v_mov_b32_e32 v12, 0
	v_mov_b32_e32 v13, 0
	s_mov_b32 s11, exec_lo
	v_cmp_le_i64_e32 vcc_lo, s[36:37], v[10:11]
	v_cmpx_gt_i64_e64 s[36:37], v[10:11]
	s_cbranch_execz .LBB46_59
; %bb.61:                               ;   in Loop: Header=BB46_60 Depth=2
	global_load_b64 v[12:13], v[8:9], off
	s_branch .LBB46_59
.LBB46_62:                              ;   in Loop: Header=BB46_33 Depth=1
	s_set_inst_prefetch_distance 0x2
	s_or_b32 exec_lo, exec_lo, s6
	s_waitcnt vmcnt(0) lgkmcnt(0)
	s_barrier
	buffer_gl0_inv
	s_and_saveexec_b32 s5, s0
	s_cbranch_execz .LBB46_64
; %bb.63:                               ;   in Loop: Header=BB46_33 Depth=1
	v_dual_mov_b32 v4, s36 :: v_dual_mov_b32 v5, s37
	ds_store_b64 v19, v[4:5] offset:5120
.LBB46_64:                              ;   in Loop: Header=BB46_33 Depth=1
	s_or_b32 exec_lo, exec_lo, s5
	s_mov_b32 s5, -1
	s_waitcnt lgkmcnt(0)
	s_barrier
                                        ; implicit-def: $sgpr86_sgpr87
.LBB46_65:                              ;   in Loop: Header=BB46_33 Depth=1
	s_and_b32 vcc_lo, exec_lo, s5
	s_cbranch_vccz .LBB46_67
; %bb.66:                               ;   in Loop: Header=BB46_33 Depth=1
	buffer_gl0_inv
	ds_load_b64 v[4:5], v19 offset:5120
	s_waitcnt lgkmcnt(0)
	v_readfirstlane_b32 s86, v4
.LBB46_67:                              ;   in Loop: Header=BB46_33 Depth=1
	s_delay_alu instid0(VALU_DEP_1)
	s_cmp_lt_i32 s86, 1
	s_cbranch_scc0 .LBB46_82
; %bb.68:                               ;   in Loop: Header=BB46_33 Depth=1
	global_load_u16 v2, v19, s[74:75]
	s_mov_b32 s6, s69
	s_mov_b32 s7, s37
	s_waitcnt vmcnt(0)
	v_readfirstlane_b32 s5, v2
	s_delay_alu instid0(VALU_DEP_1) | instskip(NEXT) | instid1(SALU_CYCLE_1)
	s_and_b32 s5, 0xffff, s5
	s_lshl_b32 s24, s5, 2
	s_cmp_lg_u64 s[6:7], 0
	s_cbranch_scc0 .LBB46_102
; %bb.69:                               ;   in Loop: Header=BB46_33 Depth=1
	v_cvt_f32_u32_e32 v4, s24
	s_sub_u32 s7, 0, s24
	s_subb_u32 s8, 0, 0
	s_delay_alu instid0(VALU_DEP_1) | instskip(NEXT) | instid1(VALU_DEP_1)
	v_fmac_f32_e32 v4, 0x4f800000, v47
	v_rcp_f32_e32 v4, v4
	s_waitcnt_depctr 0xfff
	v_mul_f32_e32 v4, 0x5f7ffffc, v4
	s_delay_alu instid0(VALU_DEP_1) | instskip(NEXT) | instid1(VALU_DEP_1)
	v_mul_f32_e32 v5, 0x2f800000, v4
	v_trunc_f32_e32 v5, v5
	s_delay_alu instid0(VALU_DEP_1) | instskip(SKIP_1) | instid1(VALU_DEP_2)
	v_fmac_f32_e32 v4, 0xcf800000, v5
	v_cvt_u32_f32_e32 v5, v5
	v_cvt_u32_f32_e32 v4, v4
	s_delay_alu instid0(VALU_DEP_2) | instskip(NEXT) | instid1(VALU_DEP_2)
	v_readfirstlane_b32 s5, v5
	v_readfirstlane_b32 s6, v4
	s_delay_alu instid0(VALU_DEP_2) | instskip(NEXT) | instid1(VALU_DEP_1)
	s_mul_i32 s9, s7, s5
	s_mul_hi_u32 s11, s7, s6
	s_mul_i32 s10, s8, s6
	s_add_i32 s9, s11, s9
	s_mul_i32 s12, s7, s6
	s_add_i32 s9, s9, s10
	s_mul_hi_u32 s11, s6, s12
	s_mul_hi_u32 s13, s5, s12
	s_mul_i32 s10, s5, s12
	s_mul_hi_u32 s12, s6, s9
	s_mul_i32 s6, s6, s9
	s_mul_hi_u32 s14, s5, s9
	s_add_u32 s6, s11, s6
	s_addc_u32 s11, 0, s12
	s_add_u32 s6, s6, s10
	s_mul_i32 s9, s5, s9
	s_addc_u32 s6, s11, s13
	s_addc_u32 s10, s14, 0
	s_add_u32 s6, s6, s9
	s_addc_u32 s9, 0, s10
	v_add_co_u32 v4, s6, v4, s6
	s_delay_alu instid0(VALU_DEP_1) | instskip(SKIP_1) | instid1(VALU_DEP_1)
	s_cmp_lg_u32 s6, 0
	s_addc_u32 s5, s5, s9
	v_readfirstlane_b32 s6, v4
	s_mul_i32 s9, s7, s5
	s_delay_alu instid0(VALU_DEP_1)
	s_mul_hi_u32 s10, s7, s6
	s_mul_i32 s8, s8, s6
	s_add_i32 s9, s10, s9
	s_mul_i32 s7, s7, s6
	s_add_i32 s9, s9, s8
	s_mul_hi_u32 s10, s5, s7
	s_mul_i32 s11, s5, s7
	s_mul_hi_u32 s7, s6, s7
	s_mul_hi_u32 s12, s6, s9
	s_mul_i32 s6, s6, s9
	s_mul_hi_u32 s8, s5, s9
	s_add_u32 s6, s7, s6
	s_addc_u32 s7, 0, s12
	s_add_u32 s6, s6, s11
	s_mul_i32 s9, s5, s9
	s_addc_u32 s6, s7, s10
	s_addc_u32 s7, s8, 0
	s_add_u32 s6, s6, s9
	s_addc_u32 s7, 0, s7
	v_add_co_u32 v4, s6, v4, s6
	s_delay_alu instid0(VALU_DEP_1) | instskip(SKIP_2) | instid1(VALU_DEP_1)
	s_cmp_lg_u32 s6, 0
	s_addc_u32 s5, s5, s7
	s_ashr_i32 s6, s37, 31
	v_readfirstlane_b32 s10, v4
	s_add_u32 s8, s36, s6
	s_mov_b32 s7, s6
	s_addc_u32 s9, s37, s6
	s_delay_alu instid0(SALU_CYCLE_1) | instskip(NEXT) | instid1(SALU_CYCLE_1)
	s_xor_b64 s[8:9], s[8:9], s[6:7]
	s_mul_i32 s11, s8, s5
	s_mul_hi_u32 s12, s8, s10
	s_mul_hi_u32 s7, s8, s5
	;; [unrolled: 1-line block ×3, first 2 shown]
	s_mul_i32 s10, s9, s10
	s_add_u32 s11, s12, s11
	s_addc_u32 s7, 0, s7
	s_mul_hi_u32 s13, s9, s5
	s_add_u32 s10, s11, s10
	s_mul_i32 s5, s9, s5
	s_addc_u32 s7, s7, s14
	s_addc_u32 s10, s13, 0
	s_add_u32 s5, s7, s5
	s_addc_u32 s7, 0, s10
	s_mul_hi_u32 s10, s24, s5
	s_mul_i32 s5, s24, s5
	s_mul_i32 s7, s24, s7
	v_sub_co_u32 v4, s5, s8, s5
	s_add_i32 s10, s10, s7
	s_cmp_lg_u32 s5, 0
	s_delay_alu instid0(VALU_DEP_1) | instskip(SKIP_2) | instid1(VALU_DEP_1)
	v_sub_co_u32 v5, s5, v4, s24
	s_subb_u32 s7, s9, s10
	s_cmp_lg_u32 s5, 0
	v_cmp_le_u32_e32 vcc_lo, s24, v5
	v_sub_co_u32 v8, s5, v5, s24
	s_subb_u32 s8, s7, 0
	s_cmp_lg_u32 s5, 0
	v_cndmask_b32_e64 v9, 0, -1, vcc_lo
	s_subb_u32 s5, s8, 0
	s_cmp_eq_u32 s8, 0
	v_mov_b32_e32 v11, s5
	s_cselect_b32 vcc_lo, -1, 0
	s_cmp_eq_u32 s7, 0
	v_cndmask_b32_e32 v9, -1, v9, vcc_lo
	v_cmp_le_u32_e32 vcc_lo, s24, v4
	s_cselect_b32 s5, -1, 0
	v_cndmask_b32_e64 v10, 0, -1, vcc_lo
	s_delay_alu instid0(VALU_DEP_3) | instskip(NEXT) | instid1(VALU_DEP_2)
	v_cmp_ne_u32_e32 vcc_lo, 0, v9
	v_cndmask_b32_e64 v9, -1, v10, s5
	v_cndmask_b32_e32 v5, v5, v8, vcc_lo
	v_cndmask_b32_e32 v10, s8, v11, vcc_lo
	s_delay_alu instid0(VALU_DEP_3) | instskip(NEXT) | instid1(VALU_DEP_3)
	v_cmp_ne_u32_e32 vcc_lo, 0, v9
	v_cndmask_b32_e32 v4, v4, v5, vcc_lo
	s_delay_alu instid0(VALU_DEP_3) | instskip(NEXT) | instid1(VALU_DEP_2)
	v_cndmask_b32_e32 v8, s7, v10, vcc_lo
	v_xor_b32_e32 v4, s6, v4
	s_delay_alu instid0(VALU_DEP_2) | instskip(NEXT) | instid1(VALU_DEP_2)
	v_xor_b32_e32 v5, s6, v8
	v_sub_co_u32 v4, vcc_lo, v4, s6
	s_delay_alu instid0(VALU_DEP_2)
	v_subrev_co_ci_u32_e32 v5, vcc_lo, s6, v5, vcc_lo
	s_cbranch_execnz .LBB46_71
.LBB46_70:                              ;   in Loop: Header=BB46_33 Depth=1
	v_cvt_f32_u32_e32 v4, s24
	s_sub_i32 s5, 0, s24
	s_delay_alu instid0(VALU_DEP_1) | instskip(SKIP_2) | instid1(VALU_DEP_1)
	v_rcp_iflag_f32_e32 v4, v4
	s_waitcnt_depctr 0xfff
	v_mul_f32_e32 v4, 0x4f7ffffe, v4
	v_cvt_u32_f32_e32 v4, v4
	s_delay_alu instid0(VALU_DEP_1) | instskip(NEXT) | instid1(VALU_DEP_1)
	v_mul_lo_u32 v5, s5, v4
	v_mul_hi_u32 v5, v4, v5
	s_delay_alu instid0(VALU_DEP_1) | instskip(NEXT) | instid1(VALU_DEP_1)
	v_add_nc_u32_e32 v4, v4, v5
	v_mul_hi_u32 v4, s36, v4
	s_delay_alu instid0(VALU_DEP_1) | instskip(NEXT) | instid1(VALU_DEP_1)
	v_mul_lo_u32 v4, v4, s24
	v_sub_nc_u32_e32 v4, s36, v4
	s_delay_alu instid0(VALU_DEP_1) | instskip(SKIP_1) | instid1(VALU_DEP_2)
	v_subrev_nc_u32_e32 v5, s24, v4
	v_cmp_le_u32_e32 vcc_lo, s24, v4
	v_cndmask_b32_e32 v4, v4, v5, vcc_lo
	s_delay_alu instid0(VALU_DEP_1) | instskip(SKIP_1) | instid1(VALU_DEP_2)
	v_subrev_nc_u32_e32 v5, s24, v4
	v_cmp_le_u32_e32 vcc_lo, s24, v4
	v_cndmask_b32_e32 v18, v4, v5, vcc_lo
	s_delay_alu instid0(VALU_DEP_1)
	v_dual_mov_b32 v4, v18 :: v_dual_mov_b32 v5, v19
.LBB46_71:                              ;   in Loop: Header=BB46_33 Depth=1
	v_mov_b32_e32 v8, 0
	v_dual_mov_b32 v9, 0 :: v_dual_and_b32 v2, 0xffff, v2
	s_delay_alu instid0(VALU_DEP_3) | instskip(NEXT) | instid1(VALU_DEP_4)
	v_sub_co_u32 v31, vcc_lo, s36, v4
	v_sub_co_ci_u32_e32 v32, vcc_lo, s37, v5, vcc_lo
	s_delay_alu instid0(VALU_DEP_3)
	v_dual_mov_b32 v11, v9 :: v_dual_mov_b32 v10, v8
	v_dual_mov_b32 v13, v9 :: v_dual_mov_b32 v12, v8
	;; [unrolled: 1-line block ×3, first 2 shown]
	s_mov_b64 s[22:23], 0
	s_mov_b32 s49, exec_lo
	v_cmpx_gt_i64_e64 v[31:32], v[22:23]
	s_cbranch_execz .LBB46_75
; %bb.72:                               ;   in Loop: Header=BB46_33 Depth=1
	v_mul_lo_u32 v8, s81, v2
	v_mul_hi_u32 v9, s80, v2
	v_mul_lo_u32 v48, s80, v2
	v_dual_mov_b32 v33, s72 :: v_dual_mov_b32 v34, s73
	s_and_b32 s50, s67, 0xfe
	s_mov_b32 s51, 0
	s_mov_b64 s[88:89], 0
	s_delay_alu instid0(VALU_DEP_3)
	v_dual_mov_b32 v36, v23 :: v_dual_add_nc_u32 v49, v9, v8
	v_mov_b32_e32 v35, v22
	s_mov_b64 s[90:91], 0
	s_mov_b64 s[92:93], 0
.LBB46_73:                              ;   Parent Loop BB46_33 Depth=1
                                        ; =>  This Inner Loop Header: Depth=2
	v_add_co_u32 v8, vcc_lo, v33, v29
	v_add_co_ci_u32_e32 v9, vcc_lo, v34, v30, vcc_lo
	global_load_b64 v[8:9], v[8:9], off
	s_waitcnt vmcnt(0)
	v_ashrrev_i32_e32 v10, 31, v9
	v_cmp_o_f64_e32 vcc_lo, v[8:9], v[8:9]
	s_delay_alu instid0(VALU_DEP_2) | instskip(SKIP_2) | instid1(VALU_DEP_3)
	v_or_b32_e32 v11, 0x80000000, v10
	v_xor_b32_e32 v10, v10, v8
	v_add_co_u32 v8, s5, v33, v28
	v_xor_b32_e32 v11, v11, v9
	v_add_co_ci_u32_e64 v9, s5, v34, v43, s5
	global_load_b64 v[8:9], v[8:9], off
	s_waitcnt vmcnt(0)
	v_ashrrev_i32_e32 v12, 31, v9
	v_cmp_o_f64_e64 s5, v[8:9], v[8:9]
	s_delay_alu instid0(VALU_DEP_2) | instskip(SKIP_2) | instid1(VALU_DEP_3)
	v_or_b32_e32 v13, 0x80000000, v12
	v_xor_b32_e32 v12, v12, v8
	v_add_co_u32 v8, s6, v33, v26
	v_xor_b32_e32 v13, v13, v9
	v_add_co_ci_u32_e64 v9, s6, v34, v27, s6
	global_load_b64 v[8:9], v[8:9], off
	s_waitcnt vmcnt(0)
	v_ashrrev_i32_e32 v14, 31, v9
	v_cmp_o_f64_e64 s6, v[8:9], v[8:9]
	;; [unrolled: 10-line block ×3, first 2 shown]
	s_delay_alu instid0(VALU_DEP_2) | instskip(SKIP_2) | instid1(VALU_DEP_3)
	v_or_b32_e32 v50, 0x80000000, v18
	v_xor_b32_e32 v18, v18, v8
	v_cndmask_b32_e32 v8, -1, v10, vcc_lo
	v_xor_b32_e32 v50, v50, v9
	s_delay_alu instid0(VALU_DEP_2) | instskip(NEXT) | instid1(VALU_DEP_1)
	v_dual_cndmask_b32 v9, -1, v11 :: v_dual_and_b32 v10, s84, v8
	v_and_b32_e32 v11, s85, v9
	v_lshrrev_b64 v[8:9], s50, v[8:9]
	s_delay_alu instid0(VALU_DEP_2) | instskip(SKIP_2) | instid1(VALU_DEP_2)
	v_cmp_eq_u64_e32 vcc_lo, s[82:83], v[10:11]
	v_cndmask_b32_e64 v11, -1, v13, s5
	v_cndmask_b32_e64 v10, -1, v12, s5
	v_and_b32_e32 v13, s85, v11
	s_delay_alu instid0(VALU_DEP_2) | instskip(NEXT) | instid1(VALU_DEP_1)
	v_and_b32_e32 v12, s84, v10
	v_cmp_eq_u64_e64 s5, s[82:83], v[12:13]
	v_cndmask_b32_e64 v13, -1, v15, s6
	v_cndmask_b32_e64 v12, -1, v14, s6
	s_delay_alu instid0(VALU_DEP_2) | instskip(NEXT) | instid1(VALU_DEP_2)
	v_and_b32_e32 v15, s85, v13
	v_and_b32_e32 v14, s84, v12
	s_delay_alu instid0(VALU_DEP_1)
	v_cmp_eq_u64_e64 s6, s[82:83], v[14:15]
	v_cndmask_b32_e64 v14, -1, v18, s7
	v_and_b32_e32 v18, 3, v8
	v_lshrrev_b64 v[8:9], s50, v[10:11]
	v_mov_b32_e32 v9, v19
	v_cndmask_b32_e64 v15, -1, v50, s7
	v_and_b32_e32 v50, s84, v14
	v_cmp_eq_u64_e64 s20, 0, v[18:19]
	v_cmp_eq_u64_e64 s21, 1, v[18:19]
	v_and_b32_e32 v8, 3, v8
	v_and_b32_e32 v51, s85, v15
	s_delay_alu instid0(VALU_DEP_4) | instskip(NEXT) | instid1(VALU_DEP_2)
	s_and_b32 s20, vcc_lo, s20
	v_cmp_eq_u64_e64 s8, 0, v[8:9]
	v_cmp_eq_u64_e64 s9, 1, v[8:9]
	;; [unrolled: 1-line block ×4, first 2 shown]
	v_lshrrev_b64 v[8:9], s50, v[12:13]
	v_mov_b32_e32 v9, v19
	s_and_b32 s8, s5, s8
	v_cmp_eq_u64_e64 s7, s[82:83], v[50:51]
	s_delay_alu instid0(VALU_DEP_3) | instskip(NEXT) | instid1(VALU_DEP_1)
	v_and_b32_e32 v8, 3, v8
	v_cmp_eq_u64_e64 s12, 0, v[8:9]
	v_cmp_eq_u64_e64 s13, 1, v[8:9]
	;; [unrolled: 1-line block ×4, first 2 shown]
	v_lshrrev_b64 v[8:9], s50, v[14:15]
	v_mov_b32_e32 v9, v19
	s_and_b32 s12, s6, s12
	s_delay_alu instid0(VALU_DEP_2) | instskip(NEXT) | instid1(VALU_DEP_1)
	v_and_b32_e32 v8, 3, v8
	v_cmp_eq_u64_e64 s16, 0, v[8:9]
	v_cmp_eq_u64_e64 s17, 1, v[8:9]
	;; [unrolled: 1-line block ×4, first 2 shown]
	v_cndmask_b32_e64 v8, 0, 1, s20
	s_and_b32 s16, s7, s16
	s_delay_alu instid0(VALU_DEP_1) | instskip(SKIP_1) | instid1(VALU_DEP_2)
	v_cmp_ne_u32_e64 s20, 0, v8
	v_cndmask_b32_e64 v8, 0, 1, s8
	s_bcnt1_i32_b32 s20, s20
	s_delay_alu instid0(VALU_DEP_1) | instskip(SKIP_1) | instid1(VALU_DEP_2)
	v_cmp_ne_u32_e64 s8, 0, v8
	v_cndmask_b32_e64 v8, 0, 1, s12
	s_bcnt1_i32_b32 s8, s8
	s_delay_alu instid0(VALU_DEP_1) | instskip(SKIP_2) | instid1(VALU_DEP_2)
	v_cmp_ne_u32_e64 s12, 0, v8
	v_cndmask_b32_e64 v8, 0, 1, s16
	s_add_i32 s8, s8, s20
	s_bcnt1_i32_b32 s12, s12
	s_delay_alu instid0(VALU_DEP_1) | instskip(SKIP_1) | instid1(VALU_DEP_1)
	v_cmp_ne_u32_e64 s16, 0, v8
	s_add_i32 s8, s8, s12
	s_bcnt1_i32_b32 s16, s16
	s_delay_alu instid0(SALU_CYCLE_1) | instskip(NEXT) | instid1(SALU_CYCLE_1)
	s_add_i32 s8, s8, s16
	s_add_u32 s92, s92, s8
	s_addc_u32 s93, s93, 0
	s_and_b32 s8, vcc_lo, s21
	s_and_b32 s9, s5, s9
	v_cndmask_b32_e64 v8, 0, 1, s8
	s_and_b32 s12, s6, s13
	s_and_b32 s13, s7, s17
	s_delay_alu instid0(VALU_DEP_1) | instskip(SKIP_1) | instid1(VALU_DEP_2)
	v_cmp_ne_u32_e64 s8, 0, v8
	v_cndmask_b32_e64 v8, 0, 1, s9
	s_bcnt1_i32_b32 s8, s8
	s_delay_alu instid0(VALU_DEP_1) | instskip(SKIP_1) | instid1(VALU_DEP_2)
	v_cmp_ne_u32_e64 s9, 0, v8
	v_cndmask_b32_e64 v8, 0, 1, s12
	s_bcnt1_i32_b32 s9, s9
	s_delay_alu instid0(VALU_DEP_1) | instskip(SKIP_2) | instid1(VALU_DEP_2)
	v_cmp_ne_u32_e64 s12, 0, v8
	v_cndmask_b32_e64 v8, 0, 1, s13
	s_add_i32 s8, s9, s8
	s_bcnt1_i32_b32 s12, s12
	s_delay_alu instid0(VALU_DEP_1) | instskip(SKIP_1) | instid1(VALU_DEP_1)
	v_cmp_ne_u32_e64 s13, 0, v8
	s_add_i32 s8, s8, s12
	s_bcnt1_i32_b32 s13, s13
	s_delay_alu instid0(SALU_CYCLE_1) | instskip(NEXT) | instid1(SALU_CYCLE_1)
	s_add_i32 s8, s8, s13
	s_add_u32 s90, s90, s8
	s_addc_u32 s91, s91, 0
	s_delay_alu instid0(SALU_CYCLE_1)
	v_dual_mov_b32 v10, s90 :: v_dual_mov_b32 v11, s91
	v_cmp_eq_u64_e64 s16, 2, v[18:19]
	s_and_b32 s9, s5, s10
	s_and_b32 s10, s6, s14
	;; [unrolled: 1-line block ×3, first 2 shown]
	v_cmp_eq_u64_e64 s13, 3, v[18:19]
	s_delay_alu instid0(VALU_DEP_2) | instskip(NEXT) | instid1(SALU_CYCLE_1)
	s_and_b32 s8, vcc_lo, s16
	v_cndmask_b32_e64 v8, 0, 1, s8
	s_delay_alu instid0(VALU_DEP_1) | instskip(SKIP_1) | instid1(VALU_DEP_2)
	v_cmp_ne_u32_e64 s8, 0, v8
	v_cndmask_b32_e64 v8, 0, 1, s9
	s_bcnt1_i32_b32 s8, s8
	s_delay_alu instid0(VALU_DEP_1) | instskip(SKIP_1) | instid1(VALU_DEP_2)
	v_cmp_ne_u32_e64 s9, 0, v8
	v_cndmask_b32_e64 v8, 0, 1, s10
	s_bcnt1_i32_b32 s9, s9
	s_delay_alu instid0(VALU_DEP_1) | instskip(SKIP_3) | instid1(VALU_DEP_3)
	v_cmp_ne_u32_e64 s10, 0, v8
	v_cndmask_b32_e64 v8, 0, 1, s12
	s_add_i32 s8, s9, s8
	v_add_co_u32 v33, s9, v33, v48
	s_bcnt1_i32_b32 s10, s10
	s_delay_alu instid0(VALU_DEP_2) | instskip(SKIP_1) | instid1(VALU_DEP_1)
	v_cmp_ne_u32_e64 s12, 0, v8
	s_add_i32 s8, s8, s10
	s_bcnt1_i32_b32 s12, s12
	s_delay_alu instid0(SALU_CYCLE_1) | instskip(NEXT) | instid1(SALU_CYCLE_1)
	s_add_i32 s8, s8, s12
	s_add_u32 s88, s88, s8
	s_addc_u32 s89, s89, 0
	s_and_b32 s8, vcc_lo, s13
	s_and_b32 s5, s5, s11
	v_cndmask_b32_e64 v8, 0, 1, s8
	s_and_b32 s6, s6, s15
	s_and_b32 s7, s7, s19
	v_add_co_u32 v35, s8, v35, s24
	s_delay_alu instid0(VALU_DEP_2) | instskip(SKIP_3) | instid1(VALU_DEP_3)
	v_cmp_ne_u32_e32 vcc_lo, 0, v8
	v_cndmask_b32_e64 v8, 0, 1, s5
	v_add_co_ci_u32_e64 v36, s8, 0, v36, s8
	v_add_co_ci_u32_e64 v34, s8, v34, v49, s9
	v_cmp_ne_u32_e64 s5, 0, v8
	v_cndmask_b32_e64 v8, 0, 1, s6
	s_bcnt1_i32_b32 s9, vcc_lo
	v_cmp_ge_i64_e64 s8, v[35:36], v[31:32]
	v_mov_b32_e32 v12, s88
	s_bcnt1_i32_b32 s5, s5
	v_cmp_ne_u32_e64 s6, 0, v8
	v_cndmask_b32_e64 v8, 0, 1, s7
	s_add_i32 s5, s5, s9
	v_mov_b32_e32 v13, s89
	s_delay_alu instid0(VALU_DEP_3) | instskip(NEXT) | instid1(VALU_DEP_2)
	s_bcnt1_i32_b32 s6, s6
	v_cmp_ne_u32_e64 s7, 0, v8
	s_add_i32 s5, s5, s6
	v_dual_mov_b32 v8, s92 :: v_dual_mov_b32 v9, s93
	s_delay_alu instid0(VALU_DEP_2) | instskip(NEXT) | instid1(SALU_CYCLE_1)
	s_bcnt1_i32_b32 s7, s7
	s_add_i32 s5, s5, s7
	s_delay_alu instid0(SALU_CYCLE_1) | instskip(SKIP_1) | instid1(SALU_CYCLE_1)
	s_add_u32 s22, s22, s5
	s_addc_u32 s23, s23, 0
	v_dual_mov_b32 v14, s22 :: v_dual_mov_b32 v15, s23
	s_or_b32 s51, s8, s51
	s_delay_alu instid0(SALU_CYCLE_1)
	s_and_not1_b32 exec_lo, exec_lo, s51
	s_cbranch_execnz .LBB46_73
; %bb.74:                               ;   in Loop: Header=BB46_33 Depth=1
	s_or_b32 exec_lo, exec_lo, s51
.LBB46_75:                              ;   in Loop: Header=BB46_33 Depth=1
	s_delay_alu instid0(SALU_CYCLE_1) | instskip(SKIP_4) | instid1(VALU_DEP_3)
	s_or_b32 exec_lo, exec_lo, s49
	v_add_co_u32 v31, vcc_lo, v31, v0
	v_add_co_ci_u32_e32 v32, vcc_lo, 0, v32, vcc_lo
	v_mov_b32_e32 v35, 0
	v_mov_b32_e32 v36, 0
	v_cmp_gt_i64_e32 vcc_lo, s[36:37], v[31:32]
	s_and_saveexec_b32 s6, vcc_lo
	s_cbranch_execz .LBB46_77
; %bb.76:                               ;   in Loop: Header=BB46_33 Depth=1
	v_mul_lo_u32 v18, v32, s42
	v_mul_lo_u32 v35, v31, s43
	v_mad_u64_u32 v[33:34], null, v31, s42, 0
	s_delay_alu instid0(VALU_DEP_1) | instskip(NEXT) | instid1(VALU_DEP_1)
	v_add3_u32 v34, v34, v35, v18
	v_lshlrev_b64 v[33:34], 3, v[33:34]
	s_delay_alu instid0(VALU_DEP_1) | instskip(NEXT) | instid1(VALU_DEP_1)
	v_add_co_u32 v33, s5, s72, v33
	v_add_co_ci_u32_e64 v34, s5, s73, v34, s5
	global_load_b64 v[35:36], v[33:34], off
.LBB46_77:                              ;   in Loop: Header=BB46_33 Depth=1
	s_or_b32 exec_lo, exec_lo, s6
	s_and_saveexec_b32 s9, vcc_lo
	s_cbranch_execz .LBB46_84
; %bb.78:                               ;   in Loop: Header=BB46_33 Depth=1
	v_add_co_u32 v18, vcc_lo, v44, v2
	v_add_co_ci_u32_e32 v33, vcc_lo, 0, v45, vcc_lo
	v_mul_hi_u32 v49, s78, v2
	s_delay_alu instid0(VALU_DEP_3) | instskip(NEXT) | instid1(VALU_DEP_3)
	v_sub_co_u32 v18, vcc_lo, v18, v4
	v_sub_co_ci_u32_e32 v4, vcc_lo, v33, v5, vcc_lo
	v_mul_lo_u32 v48, s78, v2
	s_delay_alu instid0(VALU_DEP_3) | instskip(SKIP_1) | instid1(VALU_DEP_3)
	v_mul_lo_u32 v34, s79, v18
	s_and_b32 s11, s67, 0xfe
	v_mul_lo_u32 v33, s78, v4
	v_mad_u64_u32 v[4:5], null, s78, v18, s[76:77]
	v_mul_lo_u32 v18, s79, v2
	s_mov_b32 s10, 0
	s_delay_alu instid0(VALU_DEP_2) | instskip(NEXT) | instid1(VALU_DEP_2)
	v_add3_u32 v5, v34, v5, v33
	v_add_nc_u32_e32 v49, v49, v18
	s_branch .LBB46_80
.LBB46_79:                              ;   in Loop: Header=BB46_80 Depth=2
	s_or_b32 exec_lo, exec_lo, s6
	s_waitcnt vmcnt(0)
	v_cmp_o_f64_e64 s5, v[35:36], v[35:36]
	v_ashrrev_i32_e32 v18, 31, v36
	s_and_b32 s7, exec_lo, vcc_lo
	s_delay_alu instid0(SALU_CYCLE_1) | instskip(NEXT) | instid1(VALU_DEP_1)
	s_or_b32 s10, s7, s10
	v_or_b32_e32 v50, 0x80000000, v18
	v_xor_b32_e32 v18, v18, v35
	s_delay_alu instid0(VALU_DEP_2) | instskip(NEXT) | instid1(VALU_DEP_1)
	v_xor_b32_e32 v50, v50, v36
	v_cndmask_b32_e64 v36, -1, v50, s5
	s_delay_alu instid0(VALU_DEP_3) | instskip(NEXT) | instid1(VALU_DEP_1)
	v_cndmask_b32_e64 v35, -1, v18, s5
	v_lshrrev_b64 v[50:51], s11, v[35:36]
	v_and_b32_e32 v36, s85, v36
	v_and_b32_e32 v35, s84, v35
	s_delay_alu instid0(VALU_DEP_3) | instskip(NEXT) | instid1(VALU_DEP_2)
	v_and_b32_e32 v18, 3, v50
	v_cmp_eq_u64_e64 s5, s[82:83], v[35:36]
	s_delay_alu instid0(VALU_DEP_2) | instskip(SKIP_3) | instid1(VALU_DEP_4)
	v_cmp_eq_u64_e64 s6, 0, v[18:19]
	v_cmp_eq_u64_e32 vcc_lo, 1, v[18:19]
	v_cmp_eq_u64_e64 s7, 2, v[18:19]
	v_cmp_eq_u64_e64 s8, 3, v[18:19]
	s_and_b32 s6, s5, s6
	s_delay_alu instid0(SALU_CYCLE_1) | instskip(SKIP_1) | instid1(SALU_CYCLE_1)
	v_cndmask_b32_e64 v18, 0, 1, s6
	s_and_b32 s6, s5, vcc_lo
	v_cndmask_b32_e64 v35, 0, 1, s6
	s_and_b32 s6, s5, s7
	s_delay_alu instid0(VALU_DEP_2)
	v_cmp_ne_u32_e32 vcc_lo, 0, v18
	v_cndmask_b32_e64 v36, 0, 1, s6
	s_and_b32 s5, s5, s8
	v_add_co_u32 v4, s8, v4, v48
	v_cndmask_b32_e64 v50, 0, 1, s5
	v_cmp_ne_u32_e64 s5, 0, v35
	v_add_co_ci_u32_e64 v5, s8, v5, v49, s8
	s_bcnt1_i32_b32 s8, vcc_lo
	v_cmp_ne_u32_e64 s6, 0, v36
	v_add_co_u32 v8, vcc_lo, v8, s8
	s_bcnt1_i32_b32 s5, s5
	v_cmp_ne_u32_e64 s7, 0, v50
	v_add_co_ci_u32_e32 v9, vcc_lo, 0, v9, vcc_lo
	v_add_co_u32 v10, vcc_lo, v10, s5
	s_bcnt1_i32_b32 s6, s6
	v_add_co_ci_u32_e32 v11, vcc_lo, 0, v11, vcc_lo
	v_add_co_u32 v12, vcc_lo, v12, s6
	s_bcnt1_i32_b32 s7, s7
	v_add_co_ci_u32_e32 v13, vcc_lo, 0, v13, vcc_lo
	v_add_co_u32 v14, vcc_lo, v14, s7
	v_dual_mov_b32 v36, v34 :: v_dual_mov_b32 v35, v33
	v_add_co_ci_u32_e32 v15, vcc_lo, 0, v15, vcc_lo
	s_and_not1_b32 exec_lo, exec_lo, s10
	s_cbranch_execz .LBB46_83
.LBB46_80:                              ;   Parent Loop BB46_33 Depth=1
                                        ; =>  This Inner Loop Header: Depth=2
	v_add_co_u32 v31, vcc_lo, v31, v2
	v_add_co_ci_u32_e32 v32, vcc_lo, 0, v32, vcc_lo
	v_mov_b32_e32 v33, 0
	v_mov_b32_e32 v34, 0
	s_mov_b32 s6, exec_lo
	s_delay_alu instid0(VALU_DEP_3)
	v_cmp_le_i64_e32 vcc_lo, s[36:37], v[31:32]
	v_cmpx_gt_i64_e64 s[36:37], v[31:32]
	s_cbranch_execz .LBB46_79
; %bb.81:                               ;   in Loop: Header=BB46_80 Depth=2
	global_load_b64 v[33:34], v[4:5], off
	s_branch .LBB46_79
.LBB46_82:                              ;   in Loop: Header=BB46_33 Depth=1
                                        ; implicit-def: $vgpr14_vgpr15
                                        ; implicit-def: $vgpr10_vgpr11
	s_cbranch_execnz .LBB46_85
	s_branch .LBB46_94
.LBB46_83:                              ;   in Loop: Header=BB46_33 Depth=1
	s_or_b32 exec_lo, exec_lo, s10
.LBB46_84:                              ;   in Loop: Header=BB46_33 Depth=1
	s_delay_alu instid0(SALU_CYCLE_1)
	s_or_b32 exec_lo, exec_lo, s9
	s_branch .LBB46_94
.LBB46_85:                              ;   in Loop: Header=BB46_33 Depth=1
	global_load_u16 v2, v19, s[74:75]
	v_mov_b32_e32 v8, 0
	s_mov_b64 s[88:89], 0
	s_mov_b32 s50, exec_lo
	v_mov_b32_e32 v9, 0
	s_delay_alu instid0(VALU_DEP_1)
	v_mov_b32_e32 v15, v9
	v_dual_mov_b32 v11, v9 :: v_dual_mov_b32 v10, v8
	v_dual_mov_b32 v13, v9 :: v_dual_mov_b32 v12, v8
	v_mov_b32_e32 v14, v8
	s_waitcnt vmcnt(0)
	v_readfirstlane_b32 s5, v2
	v_and_b32_e32 v2, 0xffff, v2
	s_delay_alu instid0(VALU_DEP_2) | instskip(NEXT) | instid1(SALU_CYCLE_1)
	s_and_b32 s5, 0xffff, s5
	s_lshl_b32 s49, s5, 2
	s_delay_alu instid0(SALU_CYCLE_1) | instskip(SKIP_1) | instid1(VALU_DEP_1)
	v_cvt_f32_u32_e32 v4, s49
	s_sub_i32 s6, 0, s49
	v_rcp_iflag_f32_e32 v4, v4
	s_waitcnt_depctr 0xfff
	v_mul_f32_e32 v4, 0x4f7ffffe, v4
	s_delay_alu instid0(VALU_DEP_1) | instskip(NEXT) | instid1(VALU_DEP_1)
	v_cvt_u32_f32_e32 v4, v4
	v_readfirstlane_b32 s5, v4
	s_delay_alu instid0(VALU_DEP_1) | instskip(NEXT) | instid1(SALU_CYCLE_1)
	s_mul_i32 s6, s6, s5
	s_mul_hi_u32 s6, s5, s6
	s_delay_alu instid0(SALU_CYCLE_1) | instskip(NEXT) | instid1(SALU_CYCLE_1)
	s_add_i32 s5, s5, s6
	s_mul_hi_u32 s5, s86, s5
	s_delay_alu instid0(SALU_CYCLE_1) | instskip(NEXT) | instid1(SALU_CYCLE_1)
	s_mul_i32 s5, s5, s49
	s_sub_i32 s5, s86, s5
	s_delay_alu instid0(SALU_CYCLE_1) | instskip(SKIP_2) | instid1(SALU_CYCLE_1)
	s_sub_i32 s6, s5, s49
	s_cmp_ge_u32 s5, s49
	s_cselect_b32 s5, s6, s5
	s_sub_i32 s6, s5, s49
	s_cmp_ge_u32 s5, s49
	s_cselect_b32 s5, s6, s5
	s_delay_alu instid0(SALU_CYCLE_1) | instskip(NEXT) | instid1(SALU_CYCLE_1)
	s_sub_i32 s68, s86, s5
	v_cmpx_gt_u32_e64 s68, v22
	s_cbranch_execz .LBB46_89
; %bb.86:                               ;   in Loop: Header=BB46_33 Depth=1
	v_dual_mov_b32 v32, v41 :: v_dual_lshlrev_b32 v31, 5, v2
	v_dual_mov_b32 v4, v22 :: v_dual_mov_b32 v5, v23
	s_and_b32 s51, s67, 0xfe
	s_mov_b32 s87, 0
	s_mov_b64 s[90:91], 0
	s_mov_b64 s[92:93], 0
	;; [unrolled: 1-line block ×3, first 2 shown]
.LBB46_87:                              ;   Parent Loop BB46_33 Depth=1
                                        ; =>  This Inner Loop Header: Depth=2
	ds_load_b128 v[8:11], v32
	v_add_co_u32 v4, s8, v4, s49
	s_delay_alu instid0(VALU_DEP_1) | instskip(NEXT) | instid1(VALU_DEP_1)
	v_add_co_ci_u32_e64 v5, s8, 0, v5, s8
	v_cmp_le_u64_e64 s8, s[68:69], v[4:5]
	s_waitcnt lgkmcnt(0)
	v_ashrrev_i32_e32 v12, 31, v9
	v_ashrrev_i32_e32 v13, 31, v11
	v_cmp_o_f64_e64 s5, v[8:9], v[8:9]
	v_cmp_o_f64_e32 vcc_lo, v[10:11], v[10:11]
	s_delay_alu instid0(VALU_DEP_4) | instskip(SKIP_3) | instid1(VALU_DEP_4)
	v_or_b32_e32 v14, 0x80000000, v12
	v_xor_b32_e32 v12, v12, v8
	v_or_b32_e32 v8, 0x80000000, v13
	v_xor_b32_e32 v13, v13, v10
	v_xor_b32_e32 v14, v14, v9
	s_delay_alu instid0(VALU_DEP_3)
	v_xor_b32_e32 v15, v8, v11
	ds_load_b128 v[8:11], v32 offset:16
	v_add_nc_u32_e32 v32, v32, v31
	s_waitcnt lgkmcnt(0)
	v_cmp_o_f64_e64 s6, v[8:9], v[8:9]
	v_ashrrev_i32_e32 v18, 31, v9
	v_cmp_o_f64_e64 s7, v[10:11], v[10:11]
	s_delay_alu instid0(VALU_DEP_2) | instskip(SKIP_2) | instid1(VALU_DEP_3)
	v_or_b32_e32 v33, 0x80000000, v18
	v_xor_b32_e32 v18, v18, v8
	v_ashrrev_i32_e32 v8, 31, v11
	v_xor_b32_e32 v33, v33, v9
	v_cndmask_b32_e64 v9, -1, v14, s5
	s_delay_alu instid0(VALU_DEP_3) | instskip(SKIP_2) | instid1(VALU_DEP_3)
	v_or_b32_e32 v34, 0x80000000, v8
	v_xor_b32_e32 v35, v8, v10
	v_cndmask_b32_e64 v8, -1, v12, s5
	v_xor_b32_e32 v34, v34, v11
	v_and_b32_e32 v11, s85, v9
	s_delay_alu instid0(VALU_DEP_3) | instskip(SKIP_1) | instid1(VALU_DEP_2)
	v_and_b32_e32 v10, s84, v8
	v_lshrrev_b64 v[8:9], s51, v[8:9]
	v_cmp_eq_u64_e64 s5, s[82:83], v[10:11]
	v_dual_cndmask_b32 v11, -1, v15 :: v_dual_cndmask_b32 v10, -1, v13
	s_delay_alu instid0(VALU_DEP_1) | instskip(NEXT) | instid1(VALU_DEP_2)
	v_and_b32_e32 v13, s85, v11
	v_and_b32_e32 v12, s84, v10
	s_delay_alu instid0(VALU_DEP_1)
	v_cmp_eq_u64_e32 vcc_lo, s[82:83], v[12:13]
	v_cndmask_b32_e64 v13, -1, v33, s6
	v_cndmask_b32_e64 v12, -1, v18, s6
	v_and_b32_e32 v18, 3, v8
	v_lshrrev_b64 v[8:9], s51, v[10:11]
	v_mov_b32_e32 v9, v19
	v_and_b32_e32 v15, s85, v13
	v_and_b32_e32 v14, s84, v12
	v_lshrrev_b64 v[10:11], s51, v[12:13]
	v_dual_mov_b32 v11, v19 :: v_dual_and_b32 v8, 3, v8
	v_cmp_eq_u64_e64 s9, 0, v[18:19]
	s_delay_alu instid0(VALU_DEP_4)
	v_cmp_eq_u64_e64 s6, s[82:83], v[14:15]
	v_cndmask_b32_e64 v15, -1, v34, s7
	v_cndmask_b32_e64 v14, -1, v35, s7
	v_and_b32_e32 v10, 3, v10
	v_cmp_eq_u64_e64 s10, 0, v[8:9]
	s_and_b32 s9, s5, s9
	v_and_b32_e32 v34, s85, v15
	v_lshrrev_b64 v[12:13], s51, v[14:15]
	v_mov_b32_e32 v13, v19
	v_and_b32_e32 v33, s84, v14
	v_cmp_eq_u64_e64 s11, 0, v[10:11]
	s_and_b32 s10, vcc_lo, s10
	v_cmp_eq_u64_e64 s14, 1, v[8:9]
	v_and_b32_e32 v12, 3, v12
	v_cmp_eq_u64_e64 s7, s[82:83], v[33:34]
	v_cmp_eq_u64_e64 s18, 2, v[8:9]
	;; [unrolled: 1-line block ×3, first 2 shown]
	s_and_b32 s11, s6, s11
	v_cmp_eq_u64_e64 s12, 0, v[12:13]
	v_cndmask_b32_e64 v8, 0, 1, s9
	v_cndmask_b32_e64 v9, 0, 1, s10
	v_cmp_eq_u64_e64 s15, 1, v[10:11]
	v_cmp_eq_u64_e64 s19, 2, v[10:11]
	;; [unrolled: 1-line block ×3, first 2 shown]
	s_and_b32 s12, s7, s12
	v_cndmask_b32_e64 v10, 0, 1, s11
	v_cndmask_b32_e64 v11, 0, 1, s12
	v_cmp_ne_u32_e64 s9, 0, v8
	v_cmp_ne_u32_e64 s10, 0, v9
	v_cmp_eq_u64_e64 s13, 1, v[18:19]
	v_cmp_ne_u32_e64 s11, 0, v10
	v_cmp_ne_u32_e64 s12, 0, v11
	s_bcnt1_i32_b32 s9, s9
	s_bcnt1_i32_b32 s10, s10
	v_cmp_eq_u64_e64 s16, 1, v[12:13]
	s_bcnt1_i32_b32 s11, s11
	s_add_i32 s9, s10, s9
	s_bcnt1_i32_b32 s12, s12
	s_add_i32 s9, s9, s11
	v_cmp_eq_u64_e64 s17, 2, v[18:19]
	s_add_i32 s9, s9, s12
	v_cmp_eq_u64_e64 s20, 2, v[12:13]
	s_add_u32 s94, s94, s9
	s_addc_u32 s95, s95, 0
	s_and_b32 s9, s5, s13
	s_and_b32 s10, vcc_lo, s14
	s_and_b32 s11, s6, s15
	v_cndmask_b32_e64 v8, 0, 1, s9
	v_cndmask_b32_e64 v9, 0, 1, s10
	s_and_b32 s12, s7, s16
	v_cndmask_b32_e64 v10, 0, 1, s11
	v_cndmask_b32_e64 v11, 0, 1, s12
	v_cmp_ne_u32_e64 s9, 0, v8
	v_cmp_ne_u32_e64 s10, 0, v9
	v_cmp_eq_u64_e64 s21, 3, v[18:19]
	v_cmp_ne_u32_e64 s11, 0, v10
	v_cmp_ne_u32_e64 s12, 0, v11
	s_bcnt1_i32_b32 s9, s9
	s_bcnt1_i32_b32 s10, s10
	v_cmp_eq_u64_e64 s24, 3, v[12:13]
	s_bcnt1_i32_b32 s11, s11
	s_add_i32 s9, s10, s9
	s_bcnt1_i32_b32 s12, s12
	s_add_i32 s9, s9, s11
	s_delay_alu instid0(SALU_CYCLE_1) | instskip(NEXT) | instid1(SALU_CYCLE_1)
	s_add_i32 s9, s9, s12
	s_add_u32 s92, s92, s9
	s_addc_u32 s93, s93, 0
	s_and_b32 s9, s5, s17
	s_and_b32 s10, vcc_lo, s18
	s_and_b32 s11, s6, s19
	v_cndmask_b32_e64 v8, 0, 1, s9
	v_cndmask_b32_e64 v9, 0, 1, s10
	s_and_b32 s12, s7, s20
	v_cndmask_b32_e64 v10, 0, 1, s11
	v_cndmask_b32_e64 v11, 0, 1, s12
	v_cmp_ne_u32_e64 s9, 0, v8
	v_cmp_ne_u32_e64 s10, 0, v9
	s_delay_alu instid0(VALU_DEP_4) | instskip(NEXT) | instid1(VALU_DEP_4)
	v_cmp_ne_u32_e64 s11, 0, v10
	v_cmp_ne_u32_e64 s12, 0, v11
	s_delay_alu instid0(VALU_DEP_4) | instskip(NEXT) | instid1(VALU_DEP_3)
	s_bcnt1_i32_b32 s9, s9
	s_bcnt1_i32_b32 s10, s10
	s_delay_alu instid0(VALU_DEP_2) | instskip(SKIP_3) | instid1(SALU_CYCLE_1)
	s_bcnt1_i32_b32 s11, s11
	s_add_i32 s9, s10, s9
	s_bcnt1_i32_b32 s12, s12
	s_add_i32 s9, s9, s11
	s_add_i32 s9, s9, s12
	s_delay_alu instid0(SALU_CYCLE_1)
	s_add_u32 s90, s90, s9
	s_addc_u32 s91, s91, 0
	s_and_b32 s5, s5, s21
	s_and_b32 s9, vcc_lo, s22
	s_and_b32 s6, s6, s23
	v_cndmask_b32_e64 v8, 0, 1, s5
	v_cndmask_b32_e64 v9, 0, 1, s9
	s_and_b32 s7, s7, s24
	v_cndmask_b32_e64 v10, 0, 1, s6
	v_cndmask_b32_e64 v11, 0, 1, s7
	v_cmp_ne_u32_e32 vcc_lo, 0, v8
	v_cmp_ne_u32_e64 s5, 0, v9
	v_mov_b32_e32 v8, s94
	v_cmp_ne_u32_e64 s6, 0, v10
	v_cmp_ne_u32_e64 s7, 0, v11
	s_bcnt1_i32_b32 s9, vcc_lo
	s_bcnt1_i32_b32 s5, s5
	v_mov_b32_e32 v10, s92
	s_bcnt1_i32_b32 s6, s6
	s_add_i32 s5, s5, s9
	s_bcnt1_i32_b32 s7, s7
	s_add_i32 s5, s5, s6
	v_mov_b32_e32 v12, s90
	s_add_i32 s5, s5, s7
	v_mov_b32_e32 v9, s95
	s_add_u32 s88, s88, s5
	s_addc_u32 s89, s89, 0
	s_delay_alu instid0(SALU_CYCLE_1) | instskip(SKIP_3) | instid1(SALU_CYCLE_1)
	v_dual_mov_b32 v14, s88 :: v_dual_mov_b32 v15, s89
	v_mov_b32_e32 v11, s93
	v_mov_b32_e32 v13, s91
	s_or_b32 s87, s8, s87
	s_and_not1_b32 exec_lo, exec_lo, s87
	s_cbranch_execnz .LBB46_87
; %bb.88:                               ;   in Loop: Header=BB46_33 Depth=1
	s_or_b32 exec_lo, exec_lo, s87
.LBB46_89:                              ;   in Loop: Header=BB46_33 Depth=1
	s_delay_alu instid0(SALU_CYCLE_1) | instskip(SKIP_2) | instid1(VALU_DEP_1)
	s_or_b32 exec_lo, exec_lo, s50
	v_add_nc_u32_e32 v18, s68, v0
	s_mov_b32 s12, exec_lo
	v_cmpx_gt_u32_e64 s86, v18
	s_cbranch_execz .LBB46_93
; %bb.90:                               ;   in Loop: Header=BB46_33 Depth=1
	v_dual_mov_b32 v4, v18 :: v_dual_lshlrev_b32 v31, 3, v18
	v_dual_mov_b32 v5, v19 :: v_dual_lshlrev_b32 v32, 3, v2
	s_mov_b32 s11, 0
	s_and_b32 s10, s86, 0x7fffffff
	s_and_b32 s14, s67, 0xfe
	s_mov_b32 s13, s11
.LBB46_91:                              ;   Parent Loop BB46_33 Depth=1
                                        ; =>  This Inner Loop Header: Depth=2
	ds_load_b64 v[33:34], v31
	v_add_co_u32 v4, s5, v4, v2
	s_delay_alu instid0(VALU_DEP_1) | instskip(NEXT) | instid1(VALU_DEP_1)
	v_add_co_ci_u32_e64 v5, s5, 0, v5, s5
	v_cmp_le_u64_e64 s5, s[10:11], v[4:5]
	s_waitcnt lgkmcnt(0)
	v_cmp_o_f64_e32 vcc_lo, v[33:34], v[33:34]
	v_ashrrev_i32_e32 v18, 31, v34
	s_delay_alu instid0(VALU_DEP_1) | instskip(SKIP_1) | instid1(VALU_DEP_2)
	v_or_b32_e32 v35, 0x80000000, v18
	v_xor_b32_e32 v18, v18, v33
	v_xor_b32_e32 v35, v35, v34
	s_delay_alu instid0(VALU_DEP_1) | instskip(NEXT) | instid1(VALU_DEP_3)
	v_dual_cndmask_b32 v34, -1, v35 :: v_dual_add_nc_u32 v31, v31, v32
	v_cndmask_b32_e32 v33, -1, v18, vcc_lo
	s_delay_alu instid0(VALU_DEP_2) | instskip(NEXT) | instid1(VALU_DEP_2)
	v_and_b32_e32 v36, s85, v34
	v_and_b32_e32 v35, s84, v33
	v_lshrrev_b64 v[33:34], s14, v[33:34]
	s_delay_alu instid0(VALU_DEP_2) | instskip(NEXT) | instid1(VALU_DEP_2)
	v_cmp_eq_u64_e32 vcc_lo, s[82:83], v[35:36]
	v_and_b32_e32 v18, 3, v33
	s_delay_alu instid0(VALU_DEP_1) | instskip(SKIP_3) | instid1(VALU_DEP_4)
	v_cmp_eq_u64_e64 s6, 0, v[18:19]
	v_cmp_eq_u64_e64 s7, 1, v[18:19]
	v_cmp_eq_u64_e64 s8, 2, v[18:19]
	v_cmp_eq_u64_e64 s9, 3, v[18:19]
	s_and_b32 s6, vcc_lo, s6
	s_delay_alu instid0(SALU_CYCLE_1) | instskip(NEXT) | instid1(VALU_DEP_4)
	v_cndmask_b32_e64 v18, 0, 1, s6
	s_and_b32 s6, vcc_lo, s7
	s_delay_alu instid0(SALU_CYCLE_1) | instskip(SKIP_1) | instid1(SALU_CYCLE_1)
	v_cndmask_b32_e64 v33, 0, 1, s6
	s_and_b32 s6, vcc_lo, s8
	v_cndmask_b32_e64 v34, 0, 1, s6
	s_and_b32 s6, vcc_lo, s9
	v_cmp_ne_u32_e32 vcc_lo, 0, v18
	v_cndmask_b32_e64 v35, 0, 1, s6
	v_cmp_ne_u32_e64 s6, 0, v33
	v_cmp_ne_u32_e64 s7, 0, v34
	s_bcnt1_i32_b32 s9, vcc_lo
	s_delay_alu instid0(VALU_DEP_3)
	v_cmp_ne_u32_e64 s8, 0, v35
	v_add_co_u32 v8, vcc_lo, v8, s9
	s_bcnt1_i32_b32 s6, s6
	v_add_co_ci_u32_e32 v9, vcc_lo, 0, v9, vcc_lo
	v_add_co_u32 v10, vcc_lo, v10, s6
	s_bcnt1_i32_b32 s7, s7
	v_add_co_ci_u32_e32 v11, vcc_lo, 0, v11, vcc_lo
	v_add_co_u32 v12, vcc_lo, v12, s7
	s_bcnt1_i32_b32 s8, s8
	v_add_co_ci_u32_e32 v13, vcc_lo, 0, v13, vcc_lo
	v_add_co_u32 v14, vcc_lo, v14, s8
	v_add_co_ci_u32_e32 v15, vcc_lo, 0, v15, vcc_lo
	s_or_b32 s13, s5, s13
	s_delay_alu instid0(SALU_CYCLE_1)
	s_and_not1_b32 exec_lo, exec_lo, s13
	s_cbranch_execnz .LBB46_91
; %bb.92:                               ;   in Loop: Header=BB46_33 Depth=1
	s_or_b32 exec_lo, exec_lo, s13
.LBB46_93:                              ;   in Loop: Header=BB46_33 Depth=1
	s_delay_alu instid0(SALU_CYCLE_1)
	s_or_b32 exec_lo, exec_lo, s12
.LBB46_94:                              ;   in Loop: Header=BB46_33 Depth=1
	s_lshl_b32 s5, s59, 7
	s_and_saveexec_b32 s6, s2
	s_cbranch_execz .LBB46_96
; %bb.95:                               ;   in Loop: Header=BB46_33 Depth=1
	v_or_b32_e32 v2, s5, v40
	s_delay_alu instid0(VALU_DEP_1)
	v_lshlrev_b32_e32 v2, 3, v2
	ds_store_b128 v2, v[8:11] offset:3072
	ds_store_b128 v2, v[12:15] offset:3088
.LBB46_96:                              ;   in Loop: Header=BB46_33 Depth=1
	s_or_b32 exec_lo, exec_lo, s6
	s_waitcnt vmcnt(0) lgkmcnt(0)
	s_barrier
	buffer_gl0_inv
	s_and_saveexec_b32 s6, s33
	s_cbranch_execz .LBB46_107
; %bb.97:                               ;   in Loop: Header=BB46_33 Depth=1
	v_mov_b32_e32 v4, 0
	v_mov_b32_e32 v5, 0
	s_and_not1_b32 vcc_lo, exec_lo, s103
	s_cbranch_vccnz .LBB46_106
; %bb.98:                               ;   in Loop: Header=BB46_33 Depth=1
	v_mov_b32_e32 v4, 0
	v_mov_b32_e32 v5, 0
	s_and_not1_b32 vcc_lo, exec_lo, s101
	s_cbranch_vccnz .LBB46_103
; %bb.99:                               ;   in Loop: Header=BB46_33 Depth=1
	v_lshl_add_u32 v2, s59, 10, v46
	s_mov_b32 s7, 0
	s_set_inst_prefetch_distance 0x1
	.p2align	6
.LBB46_100:                             ;   Parent Loop BB46_33 Depth=1
                                        ; =>  This Inner Loop Header: Depth=2
	ds_load_2addr_b64 v[8:11], v2 offset1:4
	ds_load_2addr_b64 v[12:15], v2 offset0:8 offset1:12
	ds_load_2addr_b64 v[31:34], v2 offset0:16 offset1:20
	s_add_i32 s7, s7, 8
	s_delay_alu instid0(SALU_CYCLE_1) | instskip(SKIP_3) | instid1(VALU_DEP_2)
	s_cmp_eq_u32 s102, s7
	s_waitcnt lgkmcnt(2)
	v_add_co_u32 v4, vcc_lo, v8, v4
	v_add_co_ci_u32_e32 v5, vcc_lo, v9, v5, vcc_lo
	v_add_co_u32 v4, vcc_lo, v10, v4
	s_delay_alu instid0(VALU_DEP_2)
	v_add_co_ci_u32_e32 v5, vcc_lo, v11, v5, vcc_lo
	ds_load_2addr_b64 v[8:11], v2 offset0:24 offset1:28
	s_waitcnt lgkmcnt(2)
	v_add_co_u32 v4, vcc_lo, v12, v4
	v_add_co_ci_u32_e32 v5, vcc_lo, v13, v5, vcc_lo
	v_add_nc_u32_e32 v2, 0x100, v2
	s_delay_alu instid0(VALU_DEP_3) | instskip(NEXT) | instid1(VALU_DEP_3)
	v_add_co_u32 v4, vcc_lo, v14, v4
	v_add_co_ci_u32_e32 v5, vcc_lo, v15, v5, vcc_lo
	s_waitcnt lgkmcnt(1)
	s_delay_alu instid0(VALU_DEP_2) | instskip(NEXT) | instid1(VALU_DEP_2)
	v_add_co_u32 v4, vcc_lo, v31, v4
	v_add_co_ci_u32_e32 v5, vcc_lo, v32, v5, vcc_lo
	s_delay_alu instid0(VALU_DEP_2) | instskip(NEXT) | instid1(VALU_DEP_2)
	v_add_co_u32 v4, vcc_lo, v33, v4
	v_add_co_ci_u32_e32 v5, vcc_lo, v34, v5, vcc_lo
	s_waitcnt lgkmcnt(0)
	s_delay_alu instid0(VALU_DEP_2) | instskip(NEXT) | instid1(VALU_DEP_2)
	v_add_co_u32 v4, vcc_lo, v8, v4
	v_add_co_ci_u32_e32 v5, vcc_lo, v9, v5, vcc_lo
	s_delay_alu instid0(VALU_DEP_2) | instskip(NEXT) | instid1(VALU_DEP_2)
	v_add_co_u32 v4, vcc_lo, v10, v4
	v_add_co_ci_u32_e32 v5, vcc_lo, v11, v5, vcc_lo
	s_cbranch_scc0 .LBB46_100
; %bb.101:                              ;   in Loop: Header=BB46_33 Depth=1
	s_set_inst_prefetch_distance 0x2
	s_mov_b32 s7, s102
	s_and_not1_b32 vcc_lo, exec_lo, s104
	s_cbranch_vccz .LBB46_104
	s_branch .LBB46_106
.LBB46_102:                             ;   in Loop: Header=BB46_33 Depth=1
                                        ; implicit-def: $vgpr4_vgpr5
	s_branch .LBB46_70
.LBB46_103:                             ;   in Loop: Header=BB46_33 Depth=1
	s_mov_b32 s7, 0
	s_and_not1_b32 vcc_lo, exec_lo, s104
	s_cbranch_vccnz .LBB46_106
.LBB46_104:                             ;   in Loop: Header=BB46_33 Depth=1
	s_lshl_b32 s8, s59, 10
	s_lshl_b32 s7, s7, 5
	s_delay_alu instid0(SALU_CYCLE_1)
	v_add3_u32 v2, s8, s7, v46
	s_mov_b32 s7, s100
.LBB46_105:                             ;   Parent Loop BB46_33 Depth=1
                                        ; =>  This Inner Loop Header: Depth=2
	ds_load_b64 v[8:9], v2
	v_add_nc_u32_e32 v2, 32, v2
	s_add_i32 s7, s7, -1
	s_delay_alu instid0(SALU_CYCLE_1)
	s_cmp_lg_u32 s7, 0
	s_waitcnt lgkmcnt(0)
	v_add_co_u32 v4, vcc_lo, v8, v4
	v_add_co_ci_u32_e32 v5, vcc_lo, v9, v5, vcc_lo
	s_cbranch_scc1 .LBB46_105
.LBB46_106:                             ;   in Loop: Header=BB46_33 Depth=1
	v_add_lshl_u32 v2, s5, v37, 3
	ds_store_b64 v2, v[4:5] offset:3072
.LBB46_107:                             ;   in Loop: Header=BB46_33 Depth=1
	s_or_b32 exec_lo, exec_lo, s6
	s_lshl_b32 s5, s5, 3
	s_waitcnt lgkmcnt(0)
	v_mov_b32_e32 v2, s5
	s_barrier
	buffer_gl0_inv
	s_and_b32 s23, s67, 0xfe
	s_mov_b32 s49, -1
	ds_load_b128 v[8:11], v2 offset:3072
	ds_load_b128 v[12:15], v2 offset:3088
	s_lshl_b64 s[8:9], 3, s23
	s_delay_alu instid0(SALU_CYCLE_1)
	s_not_b64 s[12:13], s[8:9]
	s_waitcnt lgkmcnt(1)
	v_readfirstlane_b32 s17, v9
	v_readfirstlane_b32 s16, v8
	v_readfirstlane_b32 s14, v10
	v_readfirstlane_b32 s15, v11
	s_waitcnt lgkmcnt(0)
	v_readfirstlane_b32 s10, v12
	v_readfirstlane_b32 s11, v13
	s_cmp_eq_u64 s[16:17], 1
	v_readfirstlane_b32 s6, v14
	s_cselect_b32 s5, -1, 0
	s_cmp_eq_u64 s[38:39], 1
	s_cselect_b32 s7, -1, 0
	s_delay_alu instid0(SALU_CYCLE_1)
	s_and_b32 s50, s5, s7
	v_readfirstlane_b32 s7, v15
	s_and_b32 vcc_lo, exec_lo, s50
	s_cbranch_vccz .LBB46_122
; %bb.108:                              ;   in Loop: Header=BB46_33 Depth=1
	ds_load_b64 v[4:5], v19 offset:5120
	s_waitcnt lgkmcnt(0)
	s_barrier
	buffer_gl0_inv
	v_readfirstlane_b32 s18, v4
	v_readfirstlane_b32 s19, v5
	s_and_saveexec_b32 s5, s3
	s_cbranch_execz .LBB46_110
; %bb.109:                              ;   in Loop: Header=BB46_33 Depth=1
	v_mov_b32_e32 v18, v19
	ds_store_b64 v39, v[18:19]
.LBB46_110:                             ;   in Loop: Header=BB46_33 Depth=1
	s_or_b32 exec_lo, exec_lo, s5
	s_delay_alu instid0(VALU_DEP_1)
	v_cmp_lt_i64_e64 s5, s[18:19], 1
	s_and_b64 s[82:83], s[82:83], s[12:13]
	s_or_b64 s[84:85], s[84:85], s[8:9]
	s_waitcnt lgkmcnt(0)
	s_barrier
	buffer_gl0_inv
	s_and_b32 vcc_lo, exec_lo, s5
	s_cbranch_vccz .LBB46_123
; %bb.111:                              ;   in Loop: Header=BB46_33 Depth=1
	s_mov_b32 s24, s69
	s_delay_alu instid0(SALU_CYCLE_1)
	s_cmp_lg_u64 s[24:25], 0
	s_cbranch_scc0 .LBB46_168
; %bb.112:                              ;   in Loop: Header=BB46_33 Depth=1
	v_cvt_f32_u32_e32 v2, s27
	s_sub_u32 s21, 0, s27
	s_subb_u32 s22, 0, 0
	s_delay_alu instid0(VALU_DEP_1) | instskip(NEXT) | instid1(VALU_DEP_1)
	v_fmac_f32_e32 v2, 0x4f800000, v47
	v_rcp_f32_e32 v2, v2
	s_waitcnt_depctr 0xfff
	v_mul_f32_e32 v2, 0x5f7ffffc, v2
	s_delay_alu instid0(VALU_DEP_1) | instskip(NEXT) | instid1(VALU_DEP_1)
	v_mul_f32_e32 v4, 0x2f800000, v2
	v_trunc_f32_e32 v4, v4
	s_delay_alu instid0(VALU_DEP_1) | instskip(SKIP_1) | instid1(VALU_DEP_2)
	v_fmac_f32_e32 v2, 0xcf800000, v4
	v_cvt_u32_f32_e32 v4, v4
	v_cvt_u32_f32_e32 v2, v2
	s_delay_alu instid0(VALU_DEP_2) | instskip(NEXT) | instid1(VALU_DEP_2)
	v_readfirstlane_b32 s5, v4
	v_readfirstlane_b32 s20, v2
	s_delay_alu instid0(VALU_DEP_2) | instskip(NEXT) | instid1(VALU_DEP_1)
	s_mul_i32 s24, s21, s5
	s_mul_hi_u32 s68, s21, s20
	s_mul_i32 s51, s22, s20
	s_add_i32 s24, s68, s24
	s_mul_i32 s86, s21, s20
	s_add_i32 s24, s24, s51
	s_mul_hi_u32 s68, s20, s86
	s_mul_hi_u32 s87, s5, s86
	s_mul_i32 s51, s5, s86
	s_mul_hi_u32 s86, s20, s24
	s_mul_i32 s20, s20, s24
	s_mul_hi_u32 s88, s5, s24
	s_add_u32 s20, s68, s20
	s_addc_u32 s68, 0, s86
	s_add_u32 s20, s20, s51
	s_mul_i32 s24, s5, s24
	s_addc_u32 s20, s68, s87
	s_addc_u32 s51, s88, 0
	s_add_u32 s20, s20, s24
	s_addc_u32 s24, 0, s51
	v_add_co_u32 v2, s20, v2, s20
	s_delay_alu instid0(VALU_DEP_1) | instskip(SKIP_1) | instid1(VALU_DEP_1)
	s_cmp_lg_u32 s20, 0
	s_addc_u32 s5, s5, s24
	v_readfirstlane_b32 s20, v2
	s_mul_i32 s24, s21, s5
	s_delay_alu instid0(VALU_DEP_1)
	s_mul_hi_u32 s51, s21, s20
	s_mul_i32 s22, s22, s20
	s_add_i32 s24, s51, s24
	s_mul_i32 s21, s21, s20
	s_add_i32 s24, s24, s22
	s_mul_hi_u32 s51, s5, s21
	s_mul_i32 s68, s5, s21
	s_mul_hi_u32 s21, s20, s21
	s_mul_hi_u32 s86, s20, s24
	s_mul_i32 s20, s20, s24
	s_mul_hi_u32 s22, s5, s24
	s_add_u32 s20, s21, s20
	s_addc_u32 s21, 0, s86
	s_add_u32 s20, s20, s68
	s_mul_i32 s24, s5, s24
	s_addc_u32 s20, s21, s51
	s_addc_u32 s21, s22, 0
	s_add_u32 s20, s20, s24
	s_addc_u32 s21, 0, s21
	v_add_co_u32 v2, s20, v2, s20
	s_delay_alu instid0(VALU_DEP_1) | instskip(SKIP_2) | instid1(VALU_DEP_1)
	s_cmp_lg_u32 s20, 0
	s_addc_u32 s5, s5, s21
	s_ashr_i32 s20, s25, 31
	v_readfirstlane_b32 s22, v2
	s_add_u32 s86, s99, s20
	s_mov_b32 s21, s20
	s_addc_u32 s87, s25, s20
	s_delay_alu instid0(SALU_CYCLE_1) | instskip(NEXT) | instid1(SALU_CYCLE_1)
	s_xor_b64 s[86:87], s[86:87], s[20:21]
	s_mul_i32 s24, s86, s5
	s_mul_hi_u32 s51, s86, s22
	s_mul_hi_u32 s21, s86, s5
	;; [unrolled: 1-line block ×3, first 2 shown]
	s_mul_i32 s22, s87, s22
	s_add_u32 s24, s51, s24
	s_addc_u32 s21, 0, s21
	s_mul_hi_u32 s68, s87, s5
	s_add_u32 s22, s24, s22
	s_mul_i32 s5, s87, s5
	s_addc_u32 s21, s21, s88
	s_addc_u32 s22, s68, 0
	s_add_u32 s5, s21, s5
	s_addc_u32 s21, 0, s22
	s_mul_hi_u32 s22, s27, s5
	s_mul_i32 s5, s27, s5
	s_mul_i32 s21, s27, s21
	v_sub_co_u32 v2, s5, s86, s5
	s_add_i32 s22, s22, s21
	s_cmp_lg_u32 s5, 0
	s_delay_alu instid0(VALU_DEP_1) | instskip(SKIP_2) | instid1(VALU_DEP_1)
	v_sub_co_u32 v4, s5, v2, s27
	s_subb_u32 s21, s87, s22
	s_cmp_lg_u32 s5, 0
	v_cmp_le_u32_e32 vcc_lo, s27, v4
	v_sub_co_u32 v5, s5, v4, s27
	s_subb_u32 s22, s21, 0
	s_cmp_lg_u32 s5, 0
	v_cmp_le_u32_e64 s5, s27, v2
	s_subb_u32 s24, s22, 0
	v_cndmask_b32_e64 v6, 0, -1, vcc_lo
	s_cmp_eq_u32 s22, 0
	s_cselect_b32 vcc_lo, -1, 0
	v_cndmask_b32_e64 v7, 0, -1, s5
	s_delay_alu instid0(VALU_DEP_2) | instskip(SKIP_2) | instid1(VALU_DEP_1)
	v_cndmask_b32_e32 v6, -1, v6, vcc_lo
	s_cmp_eq_u32 s21, 0
	s_cselect_b32 vcc_lo, -1, 0
	v_cmp_ne_u32_e64 s5, 0, v6
	v_dual_cndmask_b32 v6, -1, v7 :: v_dual_mov_b32 v7, s24
	s_delay_alu instid0(VALU_DEP_2) | instskip(NEXT) | instid1(VALU_DEP_2)
	v_cndmask_b32_e64 v4, v4, v5, s5
	v_cmp_ne_u32_e32 vcc_lo, 0, v6
	s_delay_alu instid0(VALU_DEP_3) | instskip(NEXT) | instid1(VALU_DEP_3)
	v_cndmask_b32_e64 v5, s22, v7, s5
	v_cndmask_b32_e32 v2, v2, v4, vcc_lo
	s_delay_alu instid0(VALU_DEP_2) | instskip(NEXT) | instid1(VALU_DEP_2)
	v_cndmask_b32_e32 v4, s21, v5, vcc_lo
	v_xor_b32_e32 v2, s20, v2
	s_delay_alu instid0(VALU_DEP_2) | instskip(NEXT) | instid1(VALU_DEP_2)
	v_xor_b32_e32 v5, s20, v4
	v_sub_co_u32 v4, vcc_lo, v2, s20
	s_delay_alu instid0(VALU_DEP_2)
	v_subrev_co_ci_u32_e32 v5, vcc_lo, s20, v5, vcc_lo
	s_cbranch_execnz .LBB46_114
.LBB46_113:                             ;   in Loop: Header=BB46_33 Depth=1
	v_cvt_f32_u32_e32 v2, s27
	s_sub_i32 s5, 0, s27
	s_delay_alu instid0(VALU_DEP_1) | instskip(SKIP_2) | instid1(VALU_DEP_1)
	v_rcp_iflag_f32_e32 v2, v2
	s_waitcnt_depctr 0xfff
	v_mul_f32_e32 v2, 0x4f7ffffe, v2
	v_cvt_u32_f32_e32 v2, v2
	s_delay_alu instid0(VALU_DEP_1) | instskip(NEXT) | instid1(VALU_DEP_1)
	v_mul_lo_u32 v4, s5, v2
	v_mul_hi_u32 v4, v2, v4
	s_delay_alu instid0(VALU_DEP_1) | instskip(NEXT) | instid1(VALU_DEP_1)
	v_add_nc_u32_e32 v2, v2, v4
	v_mul_hi_u32 v2, s99, v2
	s_delay_alu instid0(VALU_DEP_1) | instskip(NEXT) | instid1(VALU_DEP_1)
	v_mul_lo_u32 v2, v2, s27
	v_sub_nc_u32_e32 v2, s99, v2
	s_delay_alu instid0(VALU_DEP_1) | instskip(SKIP_1) | instid1(VALU_DEP_2)
	v_subrev_nc_u32_e32 v4, s27, v2
	v_cmp_le_u32_e32 vcc_lo, s27, v2
	v_cndmask_b32_e32 v2, v2, v4, vcc_lo
	s_delay_alu instid0(VALU_DEP_1) | instskip(SKIP_1) | instid1(VALU_DEP_2)
	v_subrev_nc_u32_e32 v4, s27, v2
	v_cmp_le_u32_e32 vcc_lo, s27, v2
	v_cndmask_b32_e32 v18, v2, v4, vcc_lo
	s_delay_alu instid0(VALU_DEP_1)
	v_dual_mov_b32 v4, v18 :: v_dual_mov_b32 v5, v19
.LBB46_114:                             ;   in Loop: Header=BB46_33 Depth=1
	s_delay_alu instid0(VALU_DEP_1) | instskip(NEXT) | instid1(VALU_DEP_2)
	v_sub_co_u32 v8, vcc_lo, s99, v4
	v_sub_co_ci_u32_e32 v9, vcc_lo, s25, v5, vcc_lo
	s_mov_b32 s5, 0
	s_mov_b32 s20, exec_lo
                                        ; implicit-def: $vgpr6_vgpr7
	s_delay_alu instid0(VALU_DEP_1)
	v_cmpx_gt_i64_e64 v[8:9], v[0:1]
	s_cbranch_execz .LBB46_125
; %bb.115:                              ;   in Loop: Header=BB46_33 Depth=1
	v_dual_mov_b32 v10, v16 :: v_dual_mov_b32 v11, v17
	v_dual_mov_b32 v13, v1 :: v_dual_mov_b32 v12, v0
	s_mov_b32 s22, 0
                                        ; implicit-def: $sgpr21
	s_branch .LBB46_117
.LBB46_116:                             ;   in Loop: Header=BB46_117 Depth=2
	s_or_b32 exec_lo, exec_lo, s5
	s_waitcnt vmcnt(0) lgkmcnt(0)
	s_barrier
	buffer_gl0_inv
	ds_load_b128 v[4:7], v19 offset:3072
	v_add_co_u32 v12, s5, v12, s27
	s_delay_alu instid0(VALU_DEP_1)
	v_add_co_ci_u32_e64 v13, s5, 0, v13, s5
	s_waitcnt lgkmcnt(0)
	s_barrier
	buffer_gl0_inv
	v_cmp_ge_i64_e64 s5, v[12:13], v[8:9]
	v_cmp_neq_f64_e32 vcc_lo, 0, v[4:5]
	s_delay_alu instid0(VALU_DEP_2)
	s_or_b32 s24, vcc_lo, s5
	v_add_co_u32 v10, s5, v10, s70
	s_and_b32 s24, exec_lo, s24
	v_add_co_ci_u32_e64 v11, s5, s71, v11, s5
	s_or_b32 s22, s24, s22
	s_and_not1_b32 s5, s21, exec_lo
	s_and_b32 s21, vcc_lo, exec_lo
	s_delay_alu instid0(SALU_CYCLE_1)
	s_or_b32 s21, s5, s21
	s_and_not1_b32 exec_lo, exec_lo, s22
	s_cbranch_execz .LBB46_124
.LBB46_117:                             ;   Parent Loop BB46_33 Depth=1
                                        ; =>  This Inner Loop Header: Depth=2
	s_delay_alu instid0(VALU_DEP_1)
	v_cmp_gt_i64_e32 vcc_lo, s[36:37], v[12:13]
	v_mov_b32_e32 v4, 0
	v_mov_b32_e32 v5, 0
	s_and_saveexec_b32 s5, vcc_lo
	s_cbranch_execz .LBB46_119
; %bb.118:                              ;   in Loop: Header=BB46_117 Depth=2
	global_load_b64 v[4:5], v[10:11], off
.LBB46_119:                             ;   in Loop: Header=BB46_117 Depth=2
	s_or_b32 exec_lo, exec_lo, s5
	s_and_saveexec_b32 s5, vcc_lo
	s_cbranch_execz .LBB46_116
; %bb.120:                              ;   in Loop: Header=BB46_117 Depth=2
	s_waitcnt vmcnt(0)
	v_cmp_o_f64_e32 vcc_lo, v[4:5], v[4:5]
	v_ashrrev_i32_e32 v2, 31, v5
	s_delay_alu instid0(VALU_DEP_1) | instskip(SKIP_1) | instid1(VALU_DEP_2)
	v_or_b32_e32 v6, 0x80000000, v2
	v_xor_b32_e32 v2, v2, v4
	v_xor_b32_e32 v6, v6, v5
	s_delay_alu instid0(VALU_DEP_1) | instskip(NEXT) | instid1(VALU_DEP_3)
	v_cndmask_b32_e32 v6, -1, v6, vcc_lo
	v_cndmask_b32_e32 v2, -1, v2, vcc_lo
	s_delay_alu instid0(VALU_DEP_2) | instskip(NEXT) | instid1(VALU_DEP_2)
	v_and_b32_e32 v7, s85, v6
	v_and_b32_e32 v6, s84, v2
	s_delay_alu instid0(VALU_DEP_1)
	v_cmp_eq_u64_e32 vcc_lo, s[82:83], v[6:7]
	s_and_b32 exec_lo, exec_lo, vcc_lo
	s_cbranch_execz .LBB46_116
; %bb.121:                              ;   in Loop: Header=BB46_117 Depth=2
	v_mov_b32_e32 v2, v19
	ds_store_b128 v19, v[2:5] offset:3072
	s_branch .LBB46_116
.LBB46_122:                             ;   in Loop: Header=BB46_33 Depth=1
	s_mov_b32 s5, -1
                                        ; implicit-def: $sgpr20
                                        ; implicit-def: $sgpr22
                                        ; implicit-def: $sgpr21
	s_branch .LBB46_139
.LBB46_123:                             ;   in Loop: Header=BB46_33 Depth=1
	s_mov_b32 s20, -1
	s_mov_b32 s5, 0
                                        ; implicit-def: $sgpr21
                                        ; implicit-def: $vgpr6_vgpr7
	s_mov_b32 s22, s20
	s_cbranch_execnz .LBB46_126
	s_branch .LBB46_139
.LBB46_124:                             ;   in Loop: Header=BB46_33 Depth=1
	s_or_b32 exec_lo, exec_lo, s22
	s_delay_alu instid0(SALU_CYCLE_1)
	s_and_b32 s5, s21, exec_lo
.LBB46_125:                             ;   in Loop: Header=BB46_33 Depth=1
	s_or_b32 exec_lo, exec_lo, s20
	s_mov_b32 s21, -1
	s_mov_b32 s20, 0
	s_delay_alu instid0(SALU_CYCLE_1)
	s_mov_b32 s22, s20
	s_branch .LBB46_139
.LBB46_126:                             ;   in Loop: Header=BB46_33 Depth=1
	s_add_u32 s22, s97, s18
	s_addc_u32 s21, s98, s19
	s_mov_b32 s20, s69
	s_delay_alu instid0(SALU_CYCLE_1)
	s_cmp_lg_u64 s[20:21], 0
	s_cbranch_scc0 .LBB46_169
; %bb.127:                              ;   in Loop: Header=BB46_33 Depth=1
	v_cvt_f32_u32_e32 v2, s27
	s_sub_u32 s24, 0, s27
	s_subb_u32 s51, 0, 0
	s_delay_alu instid0(VALU_DEP_1) | instskip(NEXT) | instid1(VALU_DEP_1)
	v_fmac_f32_e32 v2, 0x4f800000, v47
	v_rcp_f32_e32 v2, v2
	s_waitcnt_depctr 0xfff
	v_mul_f32_e32 v2, 0x5f7ffffc, v2
	s_delay_alu instid0(VALU_DEP_1) | instskip(NEXT) | instid1(VALU_DEP_1)
	v_mul_f32_e32 v4, 0x2f800000, v2
	v_trunc_f32_e32 v4, v4
	s_delay_alu instid0(VALU_DEP_1) | instskip(SKIP_1) | instid1(VALU_DEP_2)
	v_fmac_f32_e32 v2, 0xcf800000, v4
	v_cvt_u32_f32_e32 v4, v4
	v_cvt_u32_f32_e32 v2, v2
	s_delay_alu instid0(VALU_DEP_2) | instskip(NEXT) | instid1(VALU_DEP_2)
	v_readfirstlane_b32 s5, v4
	v_readfirstlane_b32 s20, v2
	s_delay_alu instid0(VALU_DEP_2) | instskip(NEXT) | instid1(VALU_DEP_1)
	s_mul_i32 s68, s24, s5
	s_mul_hi_u32 s87, s24, s20
	s_mul_i32 s86, s51, s20
	s_add_i32 s68, s87, s68
	s_mul_i32 s88, s24, s20
	s_add_i32 s68, s68, s86
	s_mul_hi_u32 s87, s20, s88
	s_mul_hi_u32 s89, s5, s88
	s_mul_i32 s86, s5, s88
	s_mul_hi_u32 s88, s20, s68
	s_mul_i32 s20, s20, s68
	s_mul_hi_u32 s90, s5, s68
	s_add_u32 s20, s87, s20
	s_addc_u32 s87, 0, s88
	s_add_u32 s20, s20, s86
	s_mul_i32 s68, s5, s68
	s_addc_u32 s20, s87, s89
	s_addc_u32 s86, s90, 0
	s_add_u32 s20, s20, s68
	s_addc_u32 s68, 0, s86
	v_add_co_u32 v2, s20, v2, s20
	s_delay_alu instid0(VALU_DEP_1) | instskip(SKIP_1) | instid1(VALU_DEP_1)
	s_cmp_lg_u32 s20, 0
	s_addc_u32 s5, s5, s68
	v_readfirstlane_b32 s20, v2
	s_mul_i32 s68, s24, s5
	s_delay_alu instid0(VALU_DEP_1)
	s_mul_hi_u32 s86, s24, s20
	s_mul_i32 s51, s51, s20
	s_add_i32 s68, s86, s68
	s_mul_i32 s24, s24, s20
	s_add_i32 s68, s68, s51
	s_mul_hi_u32 s86, s5, s24
	s_mul_i32 s87, s5, s24
	s_mul_hi_u32 s24, s20, s24
	s_mul_hi_u32 s88, s20, s68
	s_mul_i32 s20, s20, s68
	s_mul_hi_u32 s51, s5, s68
	s_add_u32 s20, s24, s20
	s_addc_u32 s24, 0, s88
	s_add_u32 s20, s20, s87
	s_mul_i32 s68, s5, s68
	s_addc_u32 s20, s24, s86
	s_addc_u32 s24, s51, 0
	s_add_u32 s20, s20, s68
	s_addc_u32 s24, 0, s24
	v_add_co_u32 v2, s20, v2, s20
	s_delay_alu instid0(VALU_DEP_1) | instskip(SKIP_2) | instid1(VALU_DEP_1)
	s_cmp_lg_u32 s20, 0
	s_addc_u32 s5, s5, s24
	s_ashr_i32 s86, s21, 31
	v_readfirstlane_b32 s20, v2
	s_add_u32 s88, s22, s86
	s_mov_b32 s87, s86
	s_addc_u32 s89, s21, s86
	s_delay_alu instid0(SALU_CYCLE_1) | instskip(NEXT) | instid1(SALU_CYCLE_1)
	s_xor_b64 s[88:89], s[88:89], s[86:87]
	s_mul_i32 s51, s88, s5
	s_mul_hi_u32 s68, s88, s20
	s_mul_hi_u32 s24, s88, s5
	;; [unrolled: 1-line block ×3, first 2 shown]
	s_mul_i32 s20, s89, s20
	s_add_u32 s51, s68, s51
	s_addc_u32 s24, 0, s24
	s_mul_hi_u32 s87, s89, s5
	s_add_u32 s20, s51, s20
	s_mul_i32 s5, s89, s5
	s_addc_u32 s20, s24, s90
	s_addc_u32 s24, s87, 0
	s_add_u32 s5, s20, s5
	s_addc_u32 s20, 0, s24
	s_mul_hi_u32 s24, s27, s5
	s_mul_i32 s5, s27, s5
	s_mul_i32 s20, s27, s20
	v_sub_co_u32 v2, s5, s88, s5
	s_add_i32 s24, s24, s20
	s_cmp_lg_u32 s5, 0
	s_delay_alu instid0(VALU_DEP_1) | instskip(SKIP_2) | instid1(VALU_DEP_1)
	v_sub_co_u32 v4, s5, v2, s27
	s_subb_u32 s20, s89, s24
	s_cmp_lg_u32 s5, 0
	v_cmp_le_u32_e32 vcc_lo, s27, v4
	v_sub_co_u32 v5, s5, v4, s27
	s_subb_u32 s24, s20, 0
	s_cmp_lg_u32 s5, 0
	v_cmp_le_u32_e64 s5, s27, v2
	s_subb_u32 s51, s24, 0
	v_cndmask_b32_e64 v6, 0, -1, vcc_lo
	s_cmp_eq_u32 s24, 0
	s_cselect_b32 vcc_lo, -1, 0
	v_cndmask_b32_e64 v7, 0, -1, s5
	s_delay_alu instid0(VALU_DEP_2) | instskip(SKIP_2) | instid1(VALU_DEP_1)
	v_cndmask_b32_e32 v6, -1, v6, vcc_lo
	s_cmp_eq_u32 s20, 0
	s_cselect_b32 vcc_lo, -1, 0
	v_cmp_ne_u32_e64 s5, 0, v6
	v_dual_cndmask_b32 v6, -1, v7 :: v_dual_mov_b32 v7, s51
	s_delay_alu instid0(VALU_DEP_2) | instskip(NEXT) | instid1(VALU_DEP_2)
	v_cndmask_b32_e64 v4, v4, v5, s5
	v_cmp_ne_u32_e32 vcc_lo, 0, v6
	s_delay_alu instid0(VALU_DEP_3) | instskip(NEXT) | instid1(VALU_DEP_3)
	v_cndmask_b32_e64 v5, s24, v7, s5
	v_cndmask_b32_e32 v2, v2, v4, vcc_lo
	s_delay_alu instid0(VALU_DEP_2) | instskip(NEXT) | instid1(VALU_DEP_2)
	v_cndmask_b32_e32 v4, s20, v5, vcc_lo
	v_xor_b32_e32 v2, s86, v2
	s_delay_alu instid0(VALU_DEP_2) | instskip(NEXT) | instid1(VALU_DEP_2)
	v_xor_b32_e32 v5, s86, v4
	v_sub_co_u32 v4, vcc_lo, v2, s86
	s_delay_alu instid0(VALU_DEP_2)
	v_subrev_co_ci_u32_e32 v5, vcc_lo, s86, v5, vcc_lo
	s_cbranch_execnz .LBB46_129
.LBB46_128:                             ;   in Loop: Header=BB46_33 Depth=1
	v_cvt_f32_u32_e32 v2, s27
	s_sub_i32 s5, 0, s27
	s_delay_alu instid0(VALU_DEP_1) | instskip(SKIP_2) | instid1(VALU_DEP_1)
	v_rcp_iflag_f32_e32 v2, v2
	s_waitcnt_depctr 0xfff
	v_mul_f32_e32 v2, 0x4f7ffffe, v2
	v_cvt_u32_f32_e32 v2, v2
	s_delay_alu instid0(VALU_DEP_1) | instskip(NEXT) | instid1(VALU_DEP_1)
	v_mul_lo_u32 v4, s5, v2
	v_mul_hi_u32 v4, v2, v4
	s_delay_alu instid0(VALU_DEP_1) | instskip(NEXT) | instid1(VALU_DEP_1)
	v_add_nc_u32_e32 v2, v2, v4
	v_mul_hi_u32 v2, s22, v2
	s_delay_alu instid0(VALU_DEP_1) | instskip(NEXT) | instid1(VALU_DEP_1)
	v_mul_lo_u32 v2, v2, s27
	v_sub_nc_u32_e32 v2, s22, v2
	s_delay_alu instid0(VALU_DEP_1) | instskip(SKIP_1) | instid1(VALU_DEP_2)
	v_subrev_nc_u32_e32 v4, s27, v2
	v_cmp_le_u32_e32 vcc_lo, s27, v2
	v_cndmask_b32_e32 v2, v2, v4, vcc_lo
	s_delay_alu instid0(VALU_DEP_1) | instskip(SKIP_1) | instid1(VALU_DEP_2)
	v_subrev_nc_u32_e32 v4, s27, v2
	v_cmp_le_u32_e32 vcc_lo, s27, v2
	v_cndmask_b32_e32 v18, v2, v4, vcc_lo
	s_delay_alu instid0(VALU_DEP_1)
	v_dual_mov_b32 v4, v18 :: v_dual_mov_b32 v5, v19
.LBB46_129:                             ;   in Loop: Header=BB46_33 Depth=1
	s_delay_alu instid0(VALU_DEP_1) | instskip(NEXT) | instid1(VALU_DEP_2)
	v_sub_co_u32 v8, vcc_lo, s22, v4
	v_sub_co_ci_u32_e32 v9, vcc_lo, s21, v5, vcc_lo
	s_mov_b32 s5, 0
	s_mov_b32 s20, exec_lo
                                        ; implicit-def: $vgpr6_vgpr7
	s_delay_alu instid0(VALU_DEP_1)
	v_cmpx_gt_i64_e64 v[8:9], v[0:1]
	s_cbranch_execz .LBB46_138
; %bb.130:                              ;   in Loop: Header=BB46_33 Depth=1
	v_dual_mov_b32 v12, v38 :: v_dual_mov_b32 v11, v1
	v_mov_b32_e32 v10, v0
	s_mov_b32 s22, 0
                                        ; implicit-def: $sgpr21
	s_set_inst_prefetch_distance 0x1
	s_branch .LBB46_132
	.p2align	6
.LBB46_131:                             ;   in Loop: Header=BB46_132 Depth=2
	s_or_b32 exec_lo, exec_lo, s5
	s_waitcnt lgkmcnt(0)
	s_barrier
	buffer_gl0_inv
	ds_load_b128 v[4:7], v19 offset:3072
	v_add_co_u32 v10, s5, v10, s27
	s_delay_alu instid0(VALU_DEP_1)
	v_add_co_ci_u32_e64 v11, s5, 0, v11, s5
	s_waitcnt lgkmcnt(0)
	s_barrier
	buffer_gl0_inv
	v_cmp_ge_i64_e64 s5, v[10:11], v[8:9]
	v_cmp_neq_f64_e32 vcc_lo, 0, v[4:5]
	s_delay_alu instid0(VALU_DEP_2) | instskip(SKIP_2) | instid1(SALU_CYCLE_1)
	s_or_b32 s5, vcc_lo, s5
	v_add_nc_u32_e32 v12, vcc_hi, v12
	s_and_b32 s5, exec_lo, s5
	s_or_b32 s22, s5, s22
	s_and_not1_b32 s5, s21, exec_lo
	s_and_b32 s21, vcc_lo, exec_lo
	s_delay_alu instid0(SALU_CYCLE_1)
	s_or_b32 s21, s5, s21
	s_and_not1_b32 exec_lo, exec_lo, s22
	s_cbranch_execz .LBB46_137
.LBB46_132:                             ;   Parent Loop BB46_33 Depth=1
                                        ; =>  This Inner Loop Header: Depth=2
	s_delay_alu instid0(VALU_DEP_1)
	v_cmp_gt_i64_e32 vcc_lo, s[18:19], v[10:11]
	v_mov_b32_e32 v4, 0
	v_mov_b32_e32 v5, 0
	s_and_saveexec_b32 s5, vcc_lo
	s_cbranch_execz .LBB46_134
; %bb.133:                              ;   in Loop: Header=BB46_132 Depth=2
	ds_load_b64 v[4:5], v12
.LBB46_134:                             ;   in Loop: Header=BB46_132 Depth=2
	s_or_b32 exec_lo, exec_lo, s5
	s_and_saveexec_b32 s5, vcc_lo
	s_cbranch_execz .LBB46_131
; %bb.135:                              ;   in Loop: Header=BB46_132 Depth=2
	s_waitcnt lgkmcnt(0)
	v_cmp_o_f64_e32 vcc_lo, v[4:5], v[4:5]
	v_ashrrev_i32_e32 v2, 31, v5
	s_delay_alu instid0(VALU_DEP_1) | instskip(SKIP_1) | instid1(VALU_DEP_2)
	v_or_b32_e32 v6, 0x80000000, v2
	v_xor_b32_e32 v2, v2, v4
	v_xor_b32_e32 v6, v6, v5
	s_delay_alu instid0(VALU_DEP_1) | instskip(NEXT) | instid1(VALU_DEP_3)
	v_cndmask_b32_e32 v6, -1, v6, vcc_lo
	v_cndmask_b32_e32 v2, -1, v2, vcc_lo
	s_delay_alu instid0(VALU_DEP_2) | instskip(NEXT) | instid1(VALU_DEP_2)
	v_and_b32_e32 v7, s85, v6
	v_and_b32_e32 v6, s84, v2
	s_delay_alu instid0(VALU_DEP_1)
	v_cmp_eq_u64_e32 vcc_lo, s[82:83], v[6:7]
	s_and_b32 exec_lo, exec_lo, vcc_lo
	s_cbranch_execz .LBB46_131
; %bb.136:                              ;   in Loop: Header=BB46_132 Depth=2
	v_mov_b32_e32 v2, v19
	ds_store_b128 v19, v[2:5] offset:3072
	s_branch .LBB46_131
.LBB46_137:                             ;   in Loop: Header=BB46_33 Depth=1
	s_set_inst_prefetch_distance 0x2
	s_or_b32 exec_lo, exec_lo, s22
	s_delay_alu instid0(SALU_CYCLE_1)
	s_and_b32 s5, s21, exec_lo
.LBB46_138:                             ;   in Loop: Header=BB46_33 Depth=1
	s_or_b32 exec_lo, exec_lo, s20
	s_mov_b32 s22, -1
	s_mov_b32 s20, 0
	s_mov_b32 s21, 0
.LBB46_139:                             ;   in Loop: Header=BB46_33 Depth=1
	s_and_not1_b32 s18, s60, exec_lo
	s_and_b32 s19, s20, exec_lo
	s_and_not1_b32 s20, s61, exec_lo
	s_or_b32 s60, s18, s19
	s_and_not1_b32 s18, s48, exec_lo
	s_and_b32 s19, s22, exec_lo
	s_and_b32 s21, s21, exec_lo
	s_or_b32 s48, s18, s19
	s_or_b32 s61, s20, s21
	s_and_saveexec_b32 s22, s5
	s_cbranch_execz .LBB46_32
; %bb.140:                              ;   in Loop: Header=BB46_33 Depth=1
	s_xor_b32 s5, s50, -1
	s_delay_alu instid0(SALU_CYCLE_1)
	s_and_not1_b32 vcc_lo, exec_lo, s5
	s_mov_b32 s5, 1
	s_cbranch_vccnz .LBB46_151
; %bb.141:                              ;   in Loop: Header=BB46_33 Depth=1
	v_cmp_gt_i64_e64 s5, s[38:39], s[16:17]
	s_mov_b32 s24, -1
                                        ; implicit-def: $sgpr18_sgpr19
                                        ; implicit-def: $sgpr20_sgpr21
	s_delay_alu instid0(VALU_DEP_1)
	s_and_b32 vcc_lo, exec_lo, s5
                                        ; implicit-def: $sgpr5
	s_cbranch_vccnz .LBB46_147
; %bb.142:                              ;   in Loop: Header=BB46_33 Depth=1
	ds_load_b64 v[4:5], v19 offset:5120
	s_waitcnt lgkmcnt(0)
	v_cmp_ne_u64_e32 vcc_lo, 0, v[4:5]
	s_cbranch_vccnz .LBB46_146
; %bb.143:                              ;   in Loop: Header=BB46_33 Depth=1
	s_and_saveexec_b32 s5, s0
	s_cbranch_execz .LBB46_145
; %bb.144:                              ;   in Loop: Header=BB46_33 Depth=1
	v_dual_mov_b32 v4, s16 :: v_dual_mov_b32 v5, s17
	ds_store_b64 v19, v[4:5] offset:5128
.LBB46_145:                             ;   in Loop: Header=BB46_33 Depth=1
	s_or_b32 exec_lo, exec_lo, s5
	s_waitcnt lgkmcnt(0)
	s_barrier
	buffer_gl0_inv
.LBB46_146:                             ;   in Loop: Header=BB46_33 Depth=1
	s_and_b64 s[18:19], s[82:83], s[12:13]
	s_or_b64 s[20:21], s[84:85], s[8:9]
	s_mov_b32 s24, 0
	s_mov_b32 s5, 8
.LBB46_147:                             ;   in Loop: Header=BB46_33 Depth=1
	s_and_not1_b32 vcc_lo, exec_lo, s24
	s_cbranch_vccnz .LBB46_149
; %bb.148:                              ;   in Loop: Header=BB46_33 Depth=1
	s_sub_u32 s38, s38, s16
	s_subb_u32 s39, s39, s17
	s_mov_b32 s24, -1
	s_mov_b32 s5, 0
	s_mov_b64 s[18:19], s[82:83]
	s_mov_b64 s[20:21], s[84:85]
.LBB46_149:                             ;   in Loop: Header=BB46_33 Depth=1
	s_delay_alu instid0(SALU_CYCLE_1)
	s_mov_b64 s[84:85], s[20:21]
	s_mov_b64 s[82:83], s[18:19]
	s_and_b32 vcc_lo, exec_lo, s24
	s_mov_b32 s20, -1
	s_cbranch_vccnz .LBB46_152
.LBB46_150:                             ;   in Loop: Header=BB46_33 Depth=1
	s_mov_b32 s16, -1
                                        ; implicit-def: $sgpr21
                                        ; implicit-def: $sgpr50
                                        ; implicit-def: $sgpr49
	s_delay_alu instid0(SALU_CYCLE_1) | instskip(NEXT) | instid1(SALU_CYCLE_1)
	s_and_saveexec_b32 s6, s16
	s_xor_b32 s6, exec_lo, s6
	s_cbranch_execz .LBB46_31
	s_branch .LBB46_298
.LBB46_151:                             ;   in Loop: Header=BB46_33 Depth=1
	s_mov_b64 s[38:39], 1
	s_mov_b32 s20, -1
	s_branch .LBB46_150
.LBB46_152:                             ;   in Loop: Header=BB46_33 Depth=1
	s_cmp_eq_u64 s[14:15], 1
	s_mov_b32 s18, -1
	s_cselect_b32 s5, -1, 0
	s_cmp_eq_u64 s[38:39], 1
	s_cselect_b32 s16, -1, 0
	s_delay_alu instid0(SALU_CYCLE_1) | instskip(NEXT) | instid1(SALU_CYCLE_1)
	s_and_b32 s68, s5, s16
	s_and_b32 vcc_lo, exec_lo, s68
	s_cbranch_vccz .LBB46_167
; %bb.153:                              ;   in Loop: Header=BB46_33 Depth=1
	ds_load_b64 v[4:5], v19 offset:5120
	s_waitcnt lgkmcnt(0)
	s_barrier
	buffer_gl0_inv
	v_readfirstlane_b32 s16, v4
	v_readfirstlane_b32 s17, v5
	s_and_saveexec_b32 s5, s3
	s_cbranch_execz .LBB46_155
; %bb.154:                              ;   in Loop: Header=BB46_33 Depth=1
	v_mov_b32_e32 v18, v19
	ds_store_b64 v39, v[18:19]
.LBB46_155:                             ;   in Loop: Header=BB46_33 Depth=1
	s_or_b32 exec_lo, exec_lo, s5
	s_delay_alu instid0(VALU_DEP_1)
	v_cmp_gt_i64_e64 s5, s[16:17], 0
	s_lshl_b64 s[18:19], 1, s23
	s_and_b64 s[50:51], s[82:83], s[12:13]
	s_or_b64 s[84:85], s[84:85], s[8:9]
	s_or_b64 s[82:83], s[50:51], s[18:19]
	s_waitcnt lgkmcnt(0)
	s_and_b32 vcc_lo, exec_lo, s5
	s_barrier
	buffer_gl0_inv
	s_cbranch_vccnz .LBB46_170
; %bb.156:                              ;   in Loop: Header=BB46_33 Depth=1
	s_mov_b32 s24, s69
	s_delay_alu instid0(SALU_CYCLE_1)
	s_cmp_lg_u64 s[24:25], 0
	s_cbranch_scc0 .LBB46_215
; %bb.157:                              ;   in Loop: Header=BB46_33 Depth=1
	v_cvt_f32_u32_e32 v2, s27
	s_sub_u32 s19, 0, s27
	s_subb_u32 s21, 0, 0
	s_delay_alu instid0(VALU_DEP_1) | instskip(NEXT) | instid1(VALU_DEP_1)
	v_fmac_f32_e32 v2, 0x4f800000, v47
	v_rcp_f32_e32 v2, v2
	s_waitcnt_depctr 0xfff
	v_mul_f32_e32 v2, 0x5f7ffffc, v2
	s_delay_alu instid0(VALU_DEP_1) | instskip(NEXT) | instid1(VALU_DEP_1)
	v_mul_f32_e32 v4, 0x2f800000, v2
	v_trunc_f32_e32 v4, v4
	s_delay_alu instid0(VALU_DEP_1) | instskip(SKIP_1) | instid1(VALU_DEP_2)
	v_fmac_f32_e32 v2, 0xcf800000, v4
	v_cvt_u32_f32_e32 v4, v4
	v_cvt_u32_f32_e32 v2, v2
	s_delay_alu instid0(VALU_DEP_2) | instskip(NEXT) | instid1(VALU_DEP_2)
	v_readfirstlane_b32 s5, v4
	v_readfirstlane_b32 s18, v2
	s_delay_alu instid0(VALU_DEP_2) | instskip(NEXT) | instid1(VALU_DEP_1)
	s_mul_i32 s24, s19, s5
	s_mul_hi_u32 s50, s19, s18
	s_mul_i32 s49, s21, s18
	s_add_i32 s24, s50, s24
	s_mul_i32 s51, s19, s18
	s_add_i32 s24, s24, s49
	s_mul_hi_u32 s50, s18, s51
	s_mul_hi_u32 s86, s5, s51
	s_mul_i32 s49, s5, s51
	s_mul_hi_u32 s51, s18, s24
	s_mul_i32 s18, s18, s24
	s_mul_hi_u32 s87, s5, s24
	s_add_u32 s18, s50, s18
	s_addc_u32 s50, 0, s51
	s_add_u32 s18, s18, s49
	s_mul_i32 s24, s5, s24
	s_addc_u32 s18, s50, s86
	s_addc_u32 s49, s87, 0
	s_add_u32 s18, s18, s24
	s_addc_u32 s24, 0, s49
	v_add_co_u32 v2, s18, v2, s18
	s_delay_alu instid0(VALU_DEP_1) | instskip(SKIP_1) | instid1(VALU_DEP_1)
	s_cmp_lg_u32 s18, 0
	s_addc_u32 s5, s5, s24
	v_readfirstlane_b32 s18, v2
	s_mul_i32 s24, s19, s5
	s_delay_alu instid0(VALU_DEP_1)
	s_mul_hi_u32 s49, s19, s18
	s_mul_i32 s21, s21, s18
	s_add_i32 s24, s49, s24
	s_mul_i32 s19, s19, s18
	s_add_i32 s24, s24, s21
	s_mul_hi_u32 s49, s5, s19
	s_mul_i32 s50, s5, s19
	s_mul_hi_u32 s19, s18, s19
	s_mul_hi_u32 s51, s18, s24
	s_mul_i32 s18, s18, s24
	s_mul_hi_u32 s21, s5, s24
	s_add_u32 s18, s19, s18
	s_addc_u32 s19, 0, s51
	s_add_u32 s18, s18, s50
	s_mul_i32 s24, s5, s24
	s_addc_u32 s18, s19, s49
	s_addc_u32 s19, s21, 0
	s_add_u32 s18, s18, s24
	s_addc_u32 s19, 0, s19
	v_add_co_u32 v2, s18, v2, s18
	s_delay_alu instid0(VALU_DEP_1) | instskip(SKIP_2) | instid1(VALU_DEP_1)
	s_cmp_lg_u32 s18, 0
	s_addc_u32 s5, s5, s19
	s_ashr_i32 s18, s25, 31
	v_readfirstlane_b32 s21, v2
	s_add_u32 s50, s99, s18
	s_mov_b32 s19, s18
	s_addc_u32 s51, s25, s18
	s_delay_alu instid0(SALU_CYCLE_1) | instskip(NEXT) | instid1(SALU_CYCLE_1)
	s_xor_b64 s[50:51], s[50:51], s[18:19]
	s_mul_i32 s24, s50, s5
	s_mul_hi_u32 s49, s50, s21
	s_mul_hi_u32 s19, s50, s5
	;; [unrolled: 1-line block ×3, first 2 shown]
	s_mul_i32 s21, s51, s21
	s_add_u32 s24, s49, s24
	s_addc_u32 s19, 0, s19
	s_mul_hi_u32 s86, s51, s5
	s_add_u32 s21, s24, s21
	s_mul_i32 s5, s51, s5
	s_addc_u32 s19, s19, s87
	s_addc_u32 s21, s86, 0
	s_add_u32 s5, s19, s5
	s_addc_u32 s19, 0, s21
	s_mul_hi_u32 s21, s27, s5
	s_mul_i32 s5, s27, s5
	s_mul_i32 s19, s27, s19
	v_sub_co_u32 v2, s5, s50, s5
	s_add_i32 s21, s21, s19
	s_cmp_lg_u32 s5, 0
	s_delay_alu instid0(VALU_DEP_1) | instskip(SKIP_2) | instid1(VALU_DEP_1)
	v_sub_co_u32 v4, s5, v2, s27
	s_subb_u32 s19, s51, s21
	s_cmp_lg_u32 s5, 0
	v_cmp_le_u32_e32 vcc_lo, s27, v4
	v_sub_co_u32 v5, s5, v4, s27
	s_subb_u32 s21, s19, 0
	s_cmp_lg_u32 s5, 0
	v_cmp_le_u32_e64 s5, s27, v2
	s_subb_u32 s24, s21, 0
	v_cndmask_b32_e64 v6, 0, -1, vcc_lo
	s_cmp_eq_u32 s21, 0
	s_cselect_b32 vcc_lo, -1, 0
	v_cndmask_b32_e64 v7, 0, -1, s5
	s_delay_alu instid0(VALU_DEP_2) | instskip(SKIP_2) | instid1(VALU_DEP_1)
	v_cndmask_b32_e32 v6, -1, v6, vcc_lo
	s_cmp_eq_u32 s19, 0
	s_cselect_b32 vcc_lo, -1, 0
	v_cmp_ne_u32_e64 s5, 0, v6
	v_dual_cndmask_b32 v6, -1, v7 :: v_dual_mov_b32 v7, s24
	s_delay_alu instid0(VALU_DEP_2) | instskip(NEXT) | instid1(VALU_DEP_2)
	v_cndmask_b32_e64 v4, v4, v5, s5
	v_cmp_ne_u32_e32 vcc_lo, 0, v6
	s_delay_alu instid0(VALU_DEP_3) | instskip(NEXT) | instid1(VALU_DEP_3)
	v_cndmask_b32_e64 v5, s21, v7, s5
	v_cndmask_b32_e32 v2, v2, v4, vcc_lo
	s_delay_alu instid0(VALU_DEP_2) | instskip(NEXT) | instid1(VALU_DEP_2)
	v_cndmask_b32_e32 v4, s19, v5, vcc_lo
	v_xor_b32_e32 v2, s18, v2
	s_delay_alu instid0(VALU_DEP_2) | instskip(NEXT) | instid1(VALU_DEP_2)
	v_xor_b32_e32 v5, s18, v4
	v_sub_co_u32 v4, vcc_lo, v2, s18
	s_delay_alu instid0(VALU_DEP_2)
	v_subrev_co_ci_u32_e32 v5, vcc_lo, s18, v5, vcc_lo
	s_cbranch_execnz .LBB46_159
.LBB46_158:                             ;   in Loop: Header=BB46_33 Depth=1
	v_cvt_f32_u32_e32 v2, s27
	s_sub_i32 s5, 0, s27
	s_delay_alu instid0(VALU_DEP_1) | instskip(SKIP_2) | instid1(VALU_DEP_1)
	v_rcp_iflag_f32_e32 v2, v2
	s_waitcnt_depctr 0xfff
	v_mul_f32_e32 v2, 0x4f7ffffe, v2
	v_cvt_u32_f32_e32 v2, v2
	s_delay_alu instid0(VALU_DEP_1) | instskip(NEXT) | instid1(VALU_DEP_1)
	v_mul_lo_u32 v4, s5, v2
	v_mul_hi_u32 v4, v2, v4
	s_delay_alu instid0(VALU_DEP_1) | instskip(NEXT) | instid1(VALU_DEP_1)
	v_add_nc_u32_e32 v2, v2, v4
	v_mul_hi_u32 v2, s99, v2
	s_delay_alu instid0(VALU_DEP_1) | instskip(NEXT) | instid1(VALU_DEP_1)
	v_mul_lo_u32 v2, v2, s27
	v_sub_nc_u32_e32 v2, s99, v2
	s_delay_alu instid0(VALU_DEP_1) | instskip(SKIP_1) | instid1(VALU_DEP_2)
	v_subrev_nc_u32_e32 v4, s27, v2
	v_cmp_le_u32_e32 vcc_lo, s27, v2
	v_cndmask_b32_e32 v2, v2, v4, vcc_lo
	s_delay_alu instid0(VALU_DEP_1) | instskip(SKIP_1) | instid1(VALU_DEP_2)
	v_subrev_nc_u32_e32 v4, s27, v2
	v_cmp_le_u32_e32 vcc_lo, s27, v2
	v_cndmask_b32_e32 v18, v2, v4, vcc_lo
	s_delay_alu instid0(VALU_DEP_1)
	v_dual_mov_b32 v4, v18 :: v_dual_mov_b32 v5, v19
.LBB46_159:                             ;   in Loop: Header=BB46_33 Depth=1
	s_delay_alu instid0(VALU_DEP_1) | instskip(NEXT) | instid1(VALU_DEP_2)
	v_sub_co_u32 v8, vcc_lo, s99, v4
	v_sub_co_ci_u32_e32 v9, vcc_lo, s25, v5, vcc_lo
	s_mov_b32 s18, 0
	s_mov_b32 s19, exec_lo
                                        ; implicit-def: $vgpr6_vgpr7
	s_delay_alu instid0(VALU_DEP_1)
	v_cmpx_gt_i64_e64 v[8:9], v[0:1]
	s_cbranch_execz .LBB46_172
; %bb.160:                              ;   in Loop: Header=BB46_33 Depth=1
	v_dual_mov_b32 v10, v16 :: v_dual_mov_b32 v11, v17
	v_dual_mov_b32 v13, v1 :: v_dual_mov_b32 v12, v0
	s_mov_b32 s21, 0
                                        ; implicit-def: $sgpr18
	s_branch .LBB46_162
.LBB46_161:                             ;   in Loop: Header=BB46_162 Depth=2
	s_or_b32 exec_lo, exec_lo, s5
	s_waitcnt vmcnt(0) lgkmcnt(0)
	s_barrier
	buffer_gl0_inv
	ds_load_b128 v[4:7], v19 offset:3072
	v_add_co_u32 v12, s5, v12, s27
	s_delay_alu instid0(VALU_DEP_1)
	v_add_co_ci_u32_e64 v13, s5, 0, v13, s5
	s_waitcnt lgkmcnt(0)
	s_barrier
	buffer_gl0_inv
	v_cmp_ge_i64_e64 s5, v[12:13], v[8:9]
	v_cmp_neq_f64_e32 vcc_lo, 0, v[4:5]
	s_delay_alu instid0(VALU_DEP_2) | instskip(NEXT) | instid1(SALU_CYCLE_1)
	s_or_b32 s5, vcc_lo, s5
	s_and_b32 s24, exec_lo, s5
	v_add_co_u32 v10, s5, v10, s70
	s_delay_alu instid0(VALU_DEP_1) | instskip(SKIP_3) | instid1(SALU_CYCLE_1)
	v_add_co_ci_u32_e64 v11, s5, s71, v11, s5
	s_or_b32 s21, s24, s21
	s_and_not1_b32 s5, s18, exec_lo
	s_and_b32 s18, vcc_lo, exec_lo
	s_or_b32 s18, s5, s18
	s_and_not1_b32 exec_lo, exec_lo, s21
	s_cbranch_execz .LBB46_171
.LBB46_162:                             ;   Parent Loop BB46_33 Depth=1
                                        ; =>  This Inner Loop Header: Depth=2
	s_delay_alu instid0(VALU_DEP_1)
	v_cmp_gt_i64_e32 vcc_lo, s[36:37], v[12:13]
	v_mov_b32_e32 v4, 0
	v_mov_b32_e32 v5, 0
	s_and_saveexec_b32 s5, vcc_lo
	s_cbranch_execz .LBB46_164
; %bb.163:                              ;   in Loop: Header=BB46_162 Depth=2
	global_load_b64 v[4:5], v[10:11], off
.LBB46_164:                             ;   in Loop: Header=BB46_162 Depth=2
	s_or_b32 exec_lo, exec_lo, s5
	s_and_saveexec_b32 s5, vcc_lo
	s_cbranch_execz .LBB46_161
; %bb.165:                              ;   in Loop: Header=BB46_162 Depth=2
	s_waitcnt vmcnt(0)
	v_cmp_o_f64_e32 vcc_lo, v[4:5], v[4:5]
	v_ashrrev_i32_e32 v2, 31, v5
	s_delay_alu instid0(VALU_DEP_1) | instskip(SKIP_1) | instid1(VALU_DEP_2)
	v_or_b32_e32 v6, 0x80000000, v2
	v_xor_b32_e32 v2, v2, v4
	v_xor_b32_e32 v6, v6, v5
	s_delay_alu instid0(VALU_DEP_1) | instskip(NEXT) | instid1(VALU_DEP_3)
	v_cndmask_b32_e32 v6, -1, v6, vcc_lo
	v_cndmask_b32_e32 v2, -1, v2, vcc_lo
	s_delay_alu instid0(VALU_DEP_2) | instskip(NEXT) | instid1(VALU_DEP_2)
	v_and_b32_e32 v7, s85, v6
	v_and_b32_e32 v6, s84, v2
	s_delay_alu instid0(VALU_DEP_1)
	v_cmp_eq_u64_e32 vcc_lo, s[82:83], v[6:7]
	s_and_b32 exec_lo, exec_lo, vcc_lo
	s_cbranch_execz .LBB46_161
; %bb.166:                              ;   in Loop: Header=BB46_162 Depth=2
	v_mov_b32_e32 v2, v19
	ds_store_b128 v19, v[2:5] offset:3072
	s_branch .LBB46_161
.LBB46_167:                             ;   in Loop: Header=BB46_33 Depth=1
                                        ; implicit-def: $sgpr49
                                        ; implicit-def: $sgpr50
                                        ; implicit-def: $sgpr21
	s_branch .LBB46_186
.LBB46_168:                             ;   in Loop: Header=BB46_33 Depth=1
                                        ; implicit-def: $vgpr4_vgpr5
	s_branch .LBB46_113
.LBB46_169:                             ;   in Loop: Header=BB46_33 Depth=1
                                        ; implicit-def: $vgpr4_vgpr5
	s_branch .LBB46_128
.LBB46_170:                             ;   in Loop: Header=BB46_33 Depth=1
	s_mov_b32 s49, -1
	s_mov_b32 s18, 0
                                        ; implicit-def: $sgpr21
                                        ; implicit-def: $vgpr6_vgpr7
	s_mov_b32 s50, s49
	s_cbranch_execnz .LBB46_173
	s_branch .LBB46_186
.LBB46_171:                             ;   in Loop: Header=BB46_33 Depth=1
	s_or_b32 exec_lo, exec_lo, s21
	s_delay_alu instid0(SALU_CYCLE_1)
	s_and_b32 s18, s18, exec_lo
.LBB46_172:                             ;   in Loop: Header=BB46_33 Depth=1
	s_or_b32 exec_lo, exec_lo, s19
	s_mov_b32 s21, -1
	s_mov_b32 s49, 0
	s_delay_alu instid0(SALU_CYCLE_1)
	s_mov_b32 s50, s49
	s_branch .LBB46_186
.LBB46_173:                             ;   in Loop: Header=BB46_33 Depth=1
	s_add_u32 s21, s97, s16
	s_addc_u32 s19, s98, s17
	s_mov_b32 s18, s69
	s_delay_alu instid0(SALU_CYCLE_1)
	s_cmp_lg_u64 s[18:19], 0
	s_cbranch_scc0 .LBB46_216
; %bb.174:                              ;   in Loop: Header=BB46_33 Depth=1
	v_cvt_f32_u32_e32 v2, s27
	s_sub_u32 s24, 0, s27
	s_subb_u32 s49, 0, 0
	s_delay_alu instid0(VALU_DEP_1) | instskip(NEXT) | instid1(VALU_DEP_1)
	v_fmac_f32_e32 v2, 0x4f800000, v47
	v_rcp_f32_e32 v2, v2
	s_waitcnt_depctr 0xfff
	v_mul_f32_e32 v2, 0x5f7ffffc, v2
	s_delay_alu instid0(VALU_DEP_1) | instskip(NEXT) | instid1(VALU_DEP_1)
	v_mul_f32_e32 v4, 0x2f800000, v2
	v_trunc_f32_e32 v4, v4
	s_delay_alu instid0(VALU_DEP_1) | instskip(SKIP_1) | instid1(VALU_DEP_2)
	v_fmac_f32_e32 v2, 0xcf800000, v4
	v_cvt_u32_f32_e32 v4, v4
	v_cvt_u32_f32_e32 v2, v2
	s_delay_alu instid0(VALU_DEP_2) | instskip(NEXT) | instid1(VALU_DEP_2)
	v_readfirstlane_b32 s5, v4
	v_readfirstlane_b32 s18, v2
	s_delay_alu instid0(VALU_DEP_2) | instskip(NEXT) | instid1(VALU_DEP_1)
	s_mul_i32 s50, s24, s5
	s_mul_hi_u32 s86, s24, s18
	s_mul_i32 s51, s49, s18
	s_add_i32 s50, s86, s50
	s_mul_i32 s87, s24, s18
	s_add_i32 s50, s50, s51
	s_mul_hi_u32 s86, s18, s87
	s_mul_hi_u32 s88, s5, s87
	s_mul_i32 s51, s5, s87
	s_mul_hi_u32 s87, s18, s50
	s_mul_i32 s18, s18, s50
	s_mul_hi_u32 s89, s5, s50
	s_add_u32 s18, s86, s18
	s_addc_u32 s86, 0, s87
	s_add_u32 s18, s18, s51
	s_mul_i32 s50, s5, s50
	s_addc_u32 s18, s86, s88
	s_addc_u32 s51, s89, 0
	s_add_u32 s18, s18, s50
	s_addc_u32 s50, 0, s51
	v_add_co_u32 v2, s18, v2, s18
	s_delay_alu instid0(VALU_DEP_1) | instskip(SKIP_1) | instid1(VALU_DEP_1)
	s_cmp_lg_u32 s18, 0
	s_addc_u32 s5, s5, s50
	v_readfirstlane_b32 s18, v2
	s_mul_i32 s50, s24, s5
	s_delay_alu instid0(VALU_DEP_1)
	s_mul_hi_u32 s51, s24, s18
	s_mul_i32 s49, s49, s18
	s_add_i32 s50, s51, s50
	s_mul_i32 s24, s24, s18
	s_add_i32 s50, s50, s49
	s_mul_hi_u32 s51, s5, s24
	s_mul_i32 s86, s5, s24
	s_mul_hi_u32 s24, s18, s24
	s_mul_hi_u32 s87, s18, s50
	s_mul_i32 s18, s18, s50
	s_mul_hi_u32 s49, s5, s50
	s_add_u32 s18, s24, s18
	s_addc_u32 s24, 0, s87
	s_add_u32 s18, s18, s86
	s_mul_i32 s50, s5, s50
	s_addc_u32 s18, s24, s51
	s_addc_u32 s24, s49, 0
	s_add_u32 s18, s18, s50
	s_addc_u32 s24, 0, s24
	v_add_co_u32 v2, s18, v2, s18
	s_delay_alu instid0(VALU_DEP_1) | instskip(SKIP_2) | instid1(VALU_DEP_1)
	s_cmp_lg_u32 s18, 0
	s_addc_u32 s5, s5, s24
	s_ashr_i32 s50, s19, 31
	v_readfirstlane_b32 s18, v2
	s_add_u32 s86, s21, s50
	s_mov_b32 s51, s50
	s_addc_u32 s87, s19, s50
	s_delay_alu instid0(SALU_CYCLE_1) | instskip(NEXT) | instid1(SALU_CYCLE_1)
	s_xor_b64 s[86:87], s[86:87], s[50:51]
	s_mul_i32 s49, s86, s5
	s_mul_hi_u32 s51, s86, s18
	s_mul_hi_u32 s24, s86, s5
	;; [unrolled: 1-line block ×3, first 2 shown]
	s_mul_i32 s18, s87, s18
	s_add_u32 s49, s51, s49
	s_addc_u32 s24, 0, s24
	s_mul_hi_u32 s88, s87, s5
	s_add_u32 s18, s49, s18
	s_mul_i32 s5, s87, s5
	s_addc_u32 s18, s24, s89
	s_addc_u32 s24, s88, 0
	s_add_u32 s5, s18, s5
	s_addc_u32 s18, 0, s24
	s_mul_hi_u32 s24, s27, s5
	s_mul_i32 s5, s27, s5
	s_mul_i32 s18, s27, s18
	v_sub_co_u32 v2, s5, s86, s5
	s_add_i32 s24, s24, s18
	s_cmp_lg_u32 s5, 0
	s_delay_alu instid0(VALU_DEP_1) | instskip(SKIP_2) | instid1(VALU_DEP_1)
	v_sub_co_u32 v4, s5, v2, s27
	s_subb_u32 s18, s87, s24
	s_cmp_lg_u32 s5, 0
	v_cmp_le_u32_e32 vcc_lo, s27, v4
	v_sub_co_u32 v5, s5, v4, s27
	s_subb_u32 s24, s18, 0
	s_cmp_lg_u32 s5, 0
	v_cmp_le_u32_e64 s5, s27, v2
	s_subb_u32 s49, s24, 0
	v_cndmask_b32_e64 v6, 0, -1, vcc_lo
	s_cmp_eq_u32 s24, 0
	s_cselect_b32 vcc_lo, -1, 0
	v_cndmask_b32_e64 v7, 0, -1, s5
	s_delay_alu instid0(VALU_DEP_2) | instskip(SKIP_2) | instid1(VALU_DEP_1)
	v_cndmask_b32_e32 v6, -1, v6, vcc_lo
	s_cmp_eq_u32 s18, 0
	s_cselect_b32 vcc_lo, -1, 0
	v_cmp_ne_u32_e64 s5, 0, v6
	v_dual_cndmask_b32 v6, -1, v7 :: v_dual_mov_b32 v7, s49
	s_delay_alu instid0(VALU_DEP_2) | instskip(NEXT) | instid1(VALU_DEP_2)
	v_cndmask_b32_e64 v4, v4, v5, s5
	v_cmp_ne_u32_e32 vcc_lo, 0, v6
	s_delay_alu instid0(VALU_DEP_3) | instskip(NEXT) | instid1(VALU_DEP_3)
	v_cndmask_b32_e64 v5, s24, v7, s5
	v_cndmask_b32_e32 v2, v2, v4, vcc_lo
	s_delay_alu instid0(VALU_DEP_2) | instskip(NEXT) | instid1(VALU_DEP_2)
	v_cndmask_b32_e32 v4, s18, v5, vcc_lo
	v_xor_b32_e32 v2, s50, v2
	s_delay_alu instid0(VALU_DEP_2) | instskip(NEXT) | instid1(VALU_DEP_2)
	v_xor_b32_e32 v5, s50, v4
	v_sub_co_u32 v4, vcc_lo, v2, s50
	s_delay_alu instid0(VALU_DEP_2)
	v_subrev_co_ci_u32_e32 v5, vcc_lo, s50, v5, vcc_lo
	s_cbranch_execnz .LBB46_176
.LBB46_175:                             ;   in Loop: Header=BB46_33 Depth=1
	v_cvt_f32_u32_e32 v2, s27
	s_sub_i32 s5, 0, s27
	s_delay_alu instid0(VALU_DEP_1) | instskip(SKIP_2) | instid1(VALU_DEP_1)
	v_rcp_iflag_f32_e32 v2, v2
	s_waitcnt_depctr 0xfff
	v_mul_f32_e32 v2, 0x4f7ffffe, v2
	v_cvt_u32_f32_e32 v2, v2
	s_delay_alu instid0(VALU_DEP_1) | instskip(NEXT) | instid1(VALU_DEP_1)
	v_mul_lo_u32 v4, s5, v2
	v_mul_hi_u32 v4, v2, v4
	s_delay_alu instid0(VALU_DEP_1) | instskip(NEXT) | instid1(VALU_DEP_1)
	v_add_nc_u32_e32 v2, v2, v4
	v_mul_hi_u32 v2, s21, v2
	s_delay_alu instid0(VALU_DEP_1) | instskip(NEXT) | instid1(VALU_DEP_1)
	v_mul_lo_u32 v2, v2, s27
	v_sub_nc_u32_e32 v2, s21, v2
	s_delay_alu instid0(VALU_DEP_1) | instskip(SKIP_1) | instid1(VALU_DEP_2)
	v_subrev_nc_u32_e32 v4, s27, v2
	v_cmp_le_u32_e32 vcc_lo, s27, v2
	v_cndmask_b32_e32 v2, v2, v4, vcc_lo
	s_delay_alu instid0(VALU_DEP_1) | instskip(SKIP_1) | instid1(VALU_DEP_2)
	v_subrev_nc_u32_e32 v4, s27, v2
	v_cmp_le_u32_e32 vcc_lo, s27, v2
	v_cndmask_b32_e32 v18, v2, v4, vcc_lo
	s_delay_alu instid0(VALU_DEP_1)
	v_dual_mov_b32 v4, v18 :: v_dual_mov_b32 v5, v19
.LBB46_176:                             ;   in Loop: Header=BB46_33 Depth=1
	s_delay_alu instid0(VALU_DEP_1) | instskip(NEXT) | instid1(VALU_DEP_2)
	v_sub_co_u32 v8, vcc_lo, s21, v4
	v_sub_co_ci_u32_e32 v9, vcc_lo, s19, v5, vcc_lo
	s_mov_b32 s18, 0
	s_mov_b32 s19, exec_lo
                                        ; implicit-def: $vgpr6_vgpr7
	s_delay_alu instid0(VALU_DEP_1)
	v_cmpx_gt_i64_e64 v[8:9], v[0:1]
	s_cbranch_execz .LBB46_185
; %bb.177:                              ;   in Loop: Header=BB46_33 Depth=1
	v_dual_mov_b32 v12, v38 :: v_dual_mov_b32 v11, v1
	v_mov_b32_e32 v10, v0
	s_mov_b32 s21, 0
                                        ; implicit-def: $sgpr18
	s_set_inst_prefetch_distance 0x1
	s_branch .LBB46_179
	.p2align	6
.LBB46_178:                             ;   in Loop: Header=BB46_179 Depth=2
	s_or_b32 exec_lo, exec_lo, s5
	s_waitcnt lgkmcnt(0)
	s_barrier
	buffer_gl0_inv
	ds_load_b128 v[4:7], v19 offset:3072
	v_add_co_u32 v10, s5, v10, s27
	s_delay_alu instid0(VALU_DEP_1)
	v_add_co_ci_u32_e64 v11, s5, 0, v11, s5
	s_waitcnt lgkmcnt(0)
	s_barrier
	buffer_gl0_inv
	v_cmp_ge_i64_e64 s5, v[10:11], v[8:9]
	v_cmp_neq_f64_e32 vcc_lo, 0, v[4:5]
	s_delay_alu instid0(VALU_DEP_2) | instskip(SKIP_2) | instid1(SALU_CYCLE_1)
	s_or_b32 s5, vcc_lo, s5
	v_add_nc_u32_e32 v12, vcc_hi, v12
	s_and_b32 s5, exec_lo, s5
	s_or_b32 s21, s5, s21
	s_and_not1_b32 s5, s18, exec_lo
	s_and_b32 s18, vcc_lo, exec_lo
	s_delay_alu instid0(SALU_CYCLE_1)
	s_or_b32 s18, s5, s18
	s_and_not1_b32 exec_lo, exec_lo, s21
	s_cbranch_execz .LBB46_184
.LBB46_179:                             ;   Parent Loop BB46_33 Depth=1
                                        ; =>  This Inner Loop Header: Depth=2
	s_delay_alu instid0(VALU_DEP_1)
	v_cmp_gt_i64_e32 vcc_lo, s[16:17], v[10:11]
	v_mov_b32_e32 v4, 0
	v_mov_b32_e32 v5, 0
	s_and_saveexec_b32 s5, vcc_lo
	s_cbranch_execz .LBB46_181
; %bb.180:                              ;   in Loop: Header=BB46_179 Depth=2
	ds_load_b64 v[4:5], v12
.LBB46_181:                             ;   in Loop: Header=BB46_179 Depth=2
	s_or_b32 exec_lo, exec_lo, s5
	s_and_saveexec_b32 s5, vcc_lo
	s_cbranch_execz .LBB46_178
; %bb.182:                              ;   in Loop: Header=BB46_179 Depth=2
	s_waitcnt lgkmcnt(0)
	v_cmp_o_f64_e32 vcc_lo, v[4:5], v[4:5]
	v_ashrrev_i32_e32 v2, 31, v5
	s_delay_alu instid0(VALU_DEP_1) | instskip(SKIP_1) | instid1(VALU_DEP_2)
	v_or_b32_e32 v6, 0x80000000, v2
	v_xor_b32_e32 v2, v2, v4
	v_xor_b32_e32 v6, v6, v5
	s_delay_alu instid0(VALU_DEP_1) | instskip(NEXT) | instid1(VALU_DEP_3)
	v_cndmask_b32_e32 v6, -1, v6, vcc_lo
	v_cndmask_b32_e32 v2, -1, v2, vcc_lo
	s_delay_alu instid0(VALU_DEP_2) | instskip(NEXT) | instid1(VALU_DEP_2)
	v_and_b32_e32 v7, s85, v6
	v_and_b32_e32 v6, s84, v2
	s_delay_alu instid0(VALU_DEP_1)
	v_cmp_eq_u64_e32 vcc_lo, s[82:83], v[6:7]
	s_and_b32 exec_lo, exec_lo, vcc_lo
	s_cbranch_execz .LBB46_178
; %bb.183:                              ;   in Loop: Header=BB46_179 Depth=2
	v_mov_b32_e32 v2, v19
	ds_store_b128 v19, v[2:5] offset:3072
	s_branch .LBB46_178
.LBB46_184:                             ;   in Loop: Header=BB46_33 Depth=1
	s_set_inst_prefetch_distance 0x2
	s_or_b32 exec_lo, exec_lo, s21
	s_delay_alu instid0(SALU_CYCLE_1)
	s_and_b32 s18, s18, exec_lo
.LBB46_185:                             ;   in Loop: Header=BB46_33 Depth=1
	s_or_b32 exec_lo, exec_lo, s19
	s_mov_b32 s50, -1
	s_mov_b32 s49, 0
	s_mov_b32 s21, 0
.LBB46_186:                             ;   in Loop: Header=BB46_33 Depth=1
	s_mov_b32 s16, 0
                                        ; implicit-def: $sgpr5
	s_and_saveexec_b32 s51, s18
	s_cbranch_execz .LBB46_297
; %bb.187:                              ;   in Loop: Header=BB46_33 Depth=1
	s_xor_b32 s5, s68, -1
	s_delay_alu instid0(SALU_CYCLE_1)
	s_and_not1_b32 vcc_lo, exec_lo, s5
	s_mov_b32 s5, 1
	s_cbranch_vccnz .LBB46_198
; %bb.188:                              ;   in Loop: Header=BB46_33 Depth=1
	v_cmp_gt_i64_e64 s5, s[38:39], s[14:15]
	s_mov_b32 s24, -1
                                        ; implicit-def: $sgpr16_sgpr17
                                        ; implicit-def: $sgpr18_sgpr19
	s_delay_alu instid0(VALU_DEP_1)
	s_and_b32 vcc_lo, exec_lo, s5
                                        ; implicit-def: $sgpr5
	s_cbranch_vccnz .LBB46_194
; %bb.189:                              ;   in Loop: Header=BB46_33 Depth=1
	ds_load_b64 v[4:5], v19 offset:5120
	s_waitcnt lgkmcnt(0)
	v_cmp_ne_u64_e32 vcc_lo, 0, v[4:5]
	s_cbranch_vccnz .LBB46_193
; %bb.190:                              ;   in Loop: Header=BB46_33 Depth=1
	s_and_saveexec_b32 s5, s0
	s_cbranch_execz .LBB46_192
; %bb.191:                              ;   in Loop: Header=BB46_33 Depth=1
	v_dual_mov_b32 v4, s14 :: v_dual_mov_b32 v5, s15
	ds_store_b64 v19, v[4:5] offset:5128
.LBB46_192:                             ;   in Loop: Header=BB46_33 Depth=1
	s_or_b32 exec_lo, exec_lo, s5
	s_waitcnt lgkmcnt(0)
	s_barrier
	buffer_gl0_inv
.LBB46_193:                             ;   in Loop: Header=BB46_33 Depth=1
	s_lshl_b64 s[16:17], 1, s23
	s_and_b64 s[18:19], s[82:83], s[12:13]
	s_mov_b32 s24, 0
	s_or_b64 s[16:17], s[18:19], s[16:17]
	s_or_b64 s[18:19], s[84:85], s[8:9]
	s_mov_b32 s5, 8
.LBB46_194:                             ;   in Loop: Header=BB46_33 Depth=1
	s_and_not1_b32 vcc_lo, exec_lo, s24
	s_cbranch_vccnz .LBB46_196
; %bb.195:                              ;   in Loop: Header=BB46_33 Depth=1
	s_sub_u32 s38, s38, s14
	s_subb_u32 s39, s39, s15
	s_mov_b32 s24, -1
	s_mov_b32 s5, 0
	s_mov_b64 s[16:17], s[82:83]
	s_mov_b64 s[18:19], s[84:85]
.LBB46_196:                             ;   in Loop: Header=BB46_33 Depth=1
	s_delay_alu instid0(SALU_CYCLE_1)
	s_mov_b64 s[84:85], s[18:19]
	s_mov_b64 s[82:83], s[16:17]
	s_and_not1_b32 vcc_lo, exec_lo, s24
	s_mov_b32 s14, -1
	s_cbranch_vccz .LBB46_199
.LBB46_197:                             ;   in Loop: Header=BB46_33 Depth=1
                                        ; implicit-def: $sgpr19
                                        ; implicit-def: $sgpr68
                                        ; implicit-def: $sgpr18
	s_branch .LBB46_296
.LBB46_198:                             ;   in Loop: Header=BB46_33 Depth=1
	s_mov_b64 s[38:39], 1
	s_mov_b32 s14, -1
	s_cbranch_execnz .LBB46_197
.LBB46_199:                             ;   in Loop: Header=BB46_33 Depth=1
	s_cmp_eq_u64 s[10:11], 1
	s_mov_b32 s16, -1
	s_cselect_b32 s5, -1, 0
	s_cmp_eq_u64 s[38:39], 1
	s_cselect_b32 s14, -1, 0
	s_delay_alu instid0(SALU_CYCLE_1) | instskip(NEXT) | instid1(SALU_CYCLE_1)
	s_and_b32 s87, s5, s14
	s_and_b32 vcc_lo, exec_lo, s87
	s_cbranch_vccz .LBB46_214
; %bb.200:                              ;   in Loop: Header=BB46_33 Depth=1
	ds_load_b64 v[4:5], v19 offset:5120
	s_waitcnt lgkmcnt(0)
	s_barrier
	buffer_gl0_inv
	v_readfirstlane_b32 s14, v4
	v_readfirstlane_b32 s15, v5
	s_and_saveexec_b32 s5, s3
	s_cbranch_execz .LBB46_202
; %bb.201:                              ;   in Loop: Header=BB46_33 Depth=1
	v_mov_b32_e32 v18, v19
	ds_store_b64 v39, v[18:19]
.LBB46_202:                             ;   in Loop: Header=BB46_33 Depth=1
	s_or_b32 exec_lo, exec_lo, s5
	s_delay_alu instid0(VALU_DEP_1)
	v_cmp_gt_i64_e64 s5, s[14:15], 0
	s_lshl_b64 s[16:17], 2, s23
	s_and_b64 s[18:19], s[82:83], s[12:13]
	s_or_b64 s[84:85], s[84:85], s[8:9]
	s_or_b64 s[82:83], s[18:19], s[16:17]
	s_waitcnt lgkmcnt(0)
	s_and_b32 vcc_lo, exec_lo, s5
	s_barrier
	buffer_gl0_inv
	s_cbranch_vccnz .LBB46_217
; %bb.203:                              ;   in Loop: Header=BB46_33 Depth=1
	s_mov_b32 s24, s69
	s_delay_alu instid0(SALU_CYCLE_1)
	s_cmp_lg_u64 s[24:25], 0
	s_cbranch_scc0 .LBB46_262
; %bb.204:                              ;   in Loop: Header=BB46_33 Depth=1
	v_cvt_f32_u32_e32 v2, s27
	s_sub_u32 s17, 0, s27
	s_subb_u32 s18, 0, 0
	s_delay_alu instid0(VALU_DEP_1) | instskip(NEXT) | instid1(VALU_DEP_1)
	v_fmac_f32_e32 v2, 0x4f800000, v47
	v_rcp_f32_e32 v2, v2
	s_waitcnt_depctr 0xfff
	v_mul_f32_e32 v2, 0x5f7ffffc, v2
	s_delay_alu instid0(VALU_DEP_1) | instskip(NEXT) | instid1(VALU_DEP_1)
	v_mul_f32_e32 v4, 0x2f800000, v2
	v_trunc_f32_e32 v4, v4
	s_delay_alu instid0(VALU_DEP_1) | instskip(SKIP_1) | instid1(VALU_DEP_2)
	v_fmac_f32_e32 v2, 0xcf800000, v4
	v_cvt_u32_f32_e32 v4, v4
	v_cvt_u32_f32_e32 v2, v2
	s_delay_alu instid0(VALU_DEP_2) | instskip(NEXT) | instid1(VALU_DEP_2)
	v_readfirstlane_b32 s5, v4
	v_readfirstlane_b32 s16, v2
	s_delay_alu instid0(VALU_DEP_2) | instskip(NEXT) | instid1(VALU_DEP_1)
	s_mul_i32 s19, s17, s5
	s_mul_hi_u32 s68, s17, s16
	s_mul_i32 s24, s18, s16
	s_add_i32 s19, s68, s19
	s_mul_i32 s86, s17, s16
	s_add_i32 s19, s19, s24
	s_mul_hi_u32 s68, s16, s86
	s_mul_hi_u32 s88, s5, s86
	s_mul_i32 s24, s5, s86
	s_mul_hi_u32 s86, s16, s19
	s_mul_i32 s16, s16, s19
	s_mul_hi_u32 s89, s5, s19
	s_add_u32 s16, s68, s16
	s_addc_u32 s68, 0, s86
	s_add_u32 s16, s16, s24
	s_mul_i32 s19, s5, s19
	s_addc_u32 s16, s68, s88
	s_addc_u32 s24, s89, 0
	s_add_u32 s16, s16, s19
	s_addc_u32 s19, 0, s24
	v_add_co_u32 v2, s16, v2, s16
	s_delay_alu instid0(VALU_DEP_1) | instskip(SKIP_1) | instid1(VALU_DEP_1)
	s_cmp_lg_u32 s16, 0
	s_addc_u32 s5, s5, s19
	v_readfirstlane_b32 s16, v2
	s_mul_i32 s19, s17, s5
	s_delay_alu instid0(VALU_DEP_1)
	s_mul_hi_u32 s24, s17, s16
	s_mul_i32 s18, s18, s16
	s_add_i32 s19, s24, s19
	s_mul_i32 s17, s17, s16
	s_add_i32 s19, s19, s18
	s_mul_hi_u32 s24, s5, s17
	s_mul_i32 s68, s5, s17
	s_mul_hi_u32 s17, s16, s17
	s_mul_hi_u32 s86, s16, s19
	s_mul_i32 s16, s16, s19
	s_mul_hi_u32 s18, s5, s19
	s_add_u32 s16, s17, s16
	s_addc_u32 s17, 0, s86
	s_add_u32 s16, s16, s68
	s_mul_i32 s19, s5, s19
	s_addc_u32 s16, s17, s24
	s_addc_u32 s17, s18, 0
	s_add_u32 s16, s16, s19
	s_addc_u32 s17, 0, s17
	v_add_co_u32 v2, s16, v2, s16
	s_delay_alu instid0(VALU_DEP_1) | instskip(SKIP_2) | instid1(VALU_DEP_1)
	s_cmp_lg_u32 s16, 0
	s_addc_u32 s5, s5, s17
	s_ashr_i32 s16, s25, 31
	v_readfirstlane_b32 s24, v2
	s_add_u32 s18, s99, s16
	s_mov_b32 s17, s16
	s_addc_u32 s19, s25, s16
	s_delay_alu instid0(SALU_CYCLE_1) | instskip(NEXT) | instid1(SALU_CYCLE_1)
	s_xor_b64 s[18:19], s[18:19], s[16:17]
	s_mul_i32 s68, s18, s5
	s_mul_hi_u32 s86, s18, s24
	s_mul_hi_u32 s17, s18, s5
	;; [unrolled: 1-line block ×3, first 2 shown]
	s_mul_i32 s24, s19, s24
	s_add_u32 s68, s86, s68
	s_addc_u32 s17, 0, s17
	s_mul_hi_u32 s88, s19, s5
	s_add_u32 s24, s68, s24
	s_mul_i32 s5, s19, s5
	s_addc_u32 s17, s17, s89
	s_addc_u32 s24, s88, 0
	s_add_u32 s5, s17, s5
	s_addc_u32 s17, 0, s24
	s_mul_hi_u32 s24, s27, s5
	s_mul_i32 s5, s27, s5
	s_mul_i32 s17, s27, s17
	v_sub_co_u32 v2, s5, s18, s5
	s_add_i32 s24, s24, s17
	s_cmp_lg_u32 s5, 0
	s_delay_alu instid0(VALU_DEP_1) | instskip(SKIP_2) | instid1(VALU_DEP_1)
	v_sub_co_u32 v4, s5, v2, s27
	s_subb_u32 s17, s19, s24
	s_cmp_lg_u32 s5, 0
	v_cmp_le_u32_e32 vcc_lo, s27, v4
	v_sub_co_u32 v5, s5, v4, s27
	s_subb_u32 s18, s17, 0
	s_cmp_lg_u32 s5, 0
	v_cmp_le_u32_e64 s5, s27, v2
	s_subb_u32 s19, s18, 0
	v_cndmask_b32_e64 v6, 0, -1, vcc_lo
	s_cmp_eq_u32 s18, 0
	s_cselect_b32 vcc_lo, -1, 0
	v_cndmask_b32_e64 v7, 0, -1, s5
	s_delay_alu instid0(VALU_DEP_2) | instskip(SKIP_2) | instid1(VALU_DEP_1)
	v_cndmask_b32_e32 v6, -1, v6, vcc_lo
	s_cmp_eq_u32 s17, 0
	s_cselect_b32 vcc_lo, -1, 0
	v_cmp_ne_u32_e64 s5, 0, v6
	v_dual_cndmask_b32 v6, -1, v7 :: v_dual_mov_b32 v7, s19
	s_delay_alu instid0(VALU_DEP_2) | instskip(NEXT) | instid1(VALU_DEP_2)
	v_cndmask_b32_e64 v4, v4, v5, s5
	v_cmp_ne_u32_e32 vcc_lo, 0, v6
	s_delay_alu instid0(VALU_DEP_3) | instskip(NEXT) | instid1(VALU_DEP_3)
	v_cndmask_b32_e64 v5, s18, v7, s5
	v_cndmask_b32_e32 v2, v2, v4, vcc_lo
	s_delay_alu instid0(VALU_DEP_2) | instskip(NEXT) | instid1(VALU_DEP_2)
	v_cndmask_b32_e32 v4, s17, v5, vcc_lo
	v_xor_b32_e32 v2, s16, v2
	s_delay_alu instid0(VALU_DEP_2) | instskip(NEXT) | instid1(VALU_DEP_2)
	v_xor_b32_e32 v5, s16, v4
	v_sub_co_u32 v4, vcc_lo, v2, s16
	s_delay_alu instid0(VALU_DEP_2)
	v_subrev_co_ci_u32_e32 v5, vcc_lo, s16, v5, vcc_lo
	s_cbranch_execnz .LBB46_206
.LBB46_205:                             ;   in Loop: Header=BB46_33 Depth=1
	v_cvt_f32_u32_e32 v2, s27
	s_sub_i32 s5, 0, s27
	s_delay_alu instid0(VALU_DEP_1) | instskip(SKIP_2) | instid1(VALU_DEP_1)
	v_rcp_iflag_f32_e32 v2, v2
	s_waitcnt_depctr 0xfff
	v_mul_f32_e32 v2, 0x4f7ffffe, v2
	v_cvt_u32_f32_e32 v2, v2
	s_delay_alu instid0(VALU_DEP_1) | instskip(NEXT) | instid1(VALU_DEP_1)
	v_mul_lo_u32 v4, s5, v2
	v_mul_hi_u32 v4, v2, v4
	s_delay_alu instid0(VALU_DEP_1) | instskip(NEXT) | instid1(VALU_DEP_1)
	v_add_nc_u32_e32 v2, v2, v4
	v_mul_hi_u32 v2, s99, v2
	s_delay_alu instid0(VALU_DEP_1) | instskip(NEXT) | instid1(VALU_DEP_1)
	v_mul_lo_u32 v2, v2, s27
	v_sub_nc_u32_e32 v2, s99, v2
	s_delay_alu instid0(VALU_DEP_1) | instskip(SKIP_1) | instid1(VALU_DEP_2)
	v_subrev_nc_u32_e32 v4, s27, v2
	v_cmp_le_u32_e32 vcc_lo, s27, v2
	v_cndmask_b32_e32 v2, v2, v4, vcc_lo
	s_delay_alu instid0(VALU_DEP_1) | instskip(SKIP_1) | instid1(VALU_DEP_2)
	v_subrev_nc_u32_e32 v4, s27, v2
	v_cmp_le_u32_e32 vcc_lo, s27, v2
	v_cndmask_b32_e32 v18, v2, v4, vcc_lo
	s_delay_alu instid0(VALU_DEP_1)
	v_dual_mov_b32 v4, v18 :: v_dual_mov_b32 v5, v19
.LBB46_206:                             ;   in Loop: Header=BB46_33 Depth=1
	s_delay_alu instid0(VALU_DEP_1) | instskip(NEXT) | instid1(VALU_DEP_2)
	v_sub_co_u32 v8, vcc_lo, s99, v4
	v_sub_co_ci_u32_e32 v9, vcc_lo, s25, v5, vcc_lo
	s_mov_b32 s16, 0
	s_mov_b32 s17, exec_lo
                                        ; implicit-def: $vgpr6_vgpr7
	s_delay_alu instid0(VALU_DEP_1)
	v_cmpx_gt_i64_e64 v[8:9], v[0:1]
	s_cbranch_execz .LBB46_219
; %bb.207:                              ;   in Loop: Header=BB46_33 Depth=1
	v_dual_mov_b32 v10, v16 :: v_dual_mov_b32 v11, v17
	v_dual_mov_b32 v13, v1 :: v_dual_mov_b32 v12, v0
	s_mov_b32 s18, 0
                                        ; implicit-def: $sgpr16
	s_branch .LBB46_209
.LBB46_208:                             ;   in Loop: Header=BB46_209 Depth=2
	s_or_b32 exec_lo, exec_lo, s5
	s_waitcnt vmcnt(0) lgkmcnt(0)
	s_barrier
	buffer_gl0_inv
	ds_load_b128 v[4:7], v19 offset:3072
	v_add_co_u32 v12, s5, v12, s27
	s_delay_alu instid0(VALU_DEP_1)
	v_add_co_ci_u32_e64 v13, s5, 0, v13, s5
	s_waitcnt lgkmcnt(0)
	s_barrier
	buffer_gl0_inv
	v_cmp_ge_i64_e64 s5, v[12:13], v[8:9]
	v_cmp_neq_f64_e32 vcc_lo, 0, v[4:5]
	s_delay_alu instid0(VALU_DEP_2)
	s_or_b32 s19, vcc_lo, s5
	v_add_co_u32 v10, s5, v10, s70
	s_and_b32 s19, exec_lo, s19
	v_add_co_ci_u32_e64 v11, s5, s71, v11, s5
	s_or_b32 s18, s19, s18
	s_and_not1_b32 s5, s16, exec_lo
	s_and_b32 s16, vcc_lo, exec_lo
	s_delay_alu instid0(SALU_CYCLE_1)
	s_or_b32 s16, s5, s16
	s_and_not1_b32 exec_lo, exec_lo, s18
	s_cbranch_execz .LBB46_218
.LBB46_209:                             ;   Parent Loop BB46_33 Depth=1
                                        ; =>  This Inner Loop Header: Depth=2
	s_delay_alu instid0(VALU_DEP_1)
	v_cmp_gt_i64_e32 vcc_lo, s[36:37], v[12:13]
	v_mov_b32_e32 v4, 0
	v_mov_b32_e32 v5, 0
	s_and_saveexec_b32 s5, vcc_lo
	s_cbranch_execz .LBB46_211
; %bb.210:                              ;   in Loop: Header=BB46_209 Depth=2
	global_load_b64 v[4:5], v[10:11], off
.LBB46_211:                             ;   in Loop: Header=BB46_209 Depth=2
	s_or_b32 exec_lo, exec_lo, s5
	s_and_saveexec_b32 s5, vcc_lo
	s_cbranch_execz .LBB46_208
; %bb.212:                              ;   in Loop: Header=BB46_209 Depth=2
	s_waitcnt vmcnt(0)
	v_cmp_o_f64_e32 vcc_lo, v[4:5], v[4:5]
	v_ashrrev_i32_e32 v2, 31, v5
	s_delay_alu instid0(VALU_DEP_1) | instskip(SKIP_1) | instid1(VALU_DEP_2)
	v_or_b32_e32 v6, 0x80000000, v2
	v_xor_b32_e32 v2, v2, v4
	v_xor_b32_e32 v6, v6, v5
	s_delay_alu instid0(VALU_DEP_1) | instskip(NEXT) | instid1(VALU_DEP_3)
	v_cndmask_b32_e32 v6, -1, v6, vcc_lo
	v_cndmask_b32_e32 v2, -1, v2, vcc_lo
	s_delay_alu instid0(VALU_DEP_2) | instskip(NEXT) | instid1(VALU_DEP_2)
	v_and_b32_e32 v7, s85, v6
	v_and_b32_e32 v6, s84, v2
	s_delay_alu instid0(VALU_DEP_1)
	v_cmp_eq_u64_e32 vcc_lo, s[82:83], v[6:7]
	s_and_b32 exec_lo, exec_lo, vcc_lo
	s_cbranch_execz .LBB46_208
; %bb.213:                              ;   in Loop: Header=BB46_209 Depth=2
	v_mov_b32_e32 v2, v19
	ds_store_b128 v19, v[2:5] offset:3072
	s_branch .LBB46_208
.LBB46_214:                             ;   in Loop: Header=BB46_33 Depth=1
                                        ; implicit-def: $sgpr18
                                        ; implicit-def: $sgpr68
                                        ; implicit-def: $sgpr19
	s_branch .LBB46_233
.LBB46_215:                             ;   in Loop: Header=BB46_33 Depth=1
                                        ; implicit-def: $vgpr4_vgpr5
	s_branch .LBB46_158
.LBB46_216:                             ;   in Loop: Header=BB46_33 Depth=1
                                        ; implicit-def: $vgpr4_vgpr5
	s_branch .LBB46_175
.LBB46_217:                             ;   in Loop: Header=BB46_33 Depth=1
	s_mov_b32 s18, -1
	s_mov_b32 s16, 0
                                        ; implicit-def: $sgpr19
                                        ; implicit-def: $vgpr6_vgpr7
	s_mov_b32 s68, s18
	s_cbranch_execnz .LBB46_220
	s_branch .LBB46_233
.LBB46_218:                             ;   in Loop: Header=BB46_33 Depth=1
	s_or_b32 exec_lo, exec_lo, s18
	s_delay_alu instid0(SALU_CYCLE_1)
	s_and_b32 s16, s16, exec_lo
.LBB46_219:                             ;   in Loop: Header=BB46_33 Depth=1
	s_or_b32 exec_lo, exec_lo, s17
	s_mov_b32 s19, -1
	s_mov_b32 s18, 0
	s_delay_alu instid0(SALU_CYCLE_1)
	s_mov_b32 s68, s18
	s_branch .LBB46_233
.LBB46_220:                             ;   in Loop: Header=BB46_33 Depth=1
	s_add_u32 s18, s97, s14
	s_addc_u32 s17, s98, s15
	s_mov_b32 s16, s69
	s_delay_alu instid0(SALU_CYCLE_1)
	s_cmp_lg_u64 s[16:17], 0
	s_cbranch_scc0 .LBB46_263
; %bb.221:                              ;   in Loop: Header=BB46_33 Depth=1
	v_cvt_f32_u32_e32 v2, s27
	s_sub_u32 s19, 0, s27
	s_subb_u32 s24, 0, 0
	s_delay_alu instid0(VALU_DEP_1) | instskip(NEXT) | instid1(VALU_DEP_1)
	v_fmac_f32_e32 v2, 0x4f800000, v47
	v_rcp_f32_e32 v2, v2
	s_waitcnt_depctr 0xfff
	v_mul_f32_e32 v2, 0x5f7ffffc, v2
	s_delay_alu instid0(VALU_DEP_1) | instskip(NEXT) | instid1(VALU_DEP_1)
	v_mul_f32_e32 v4, 0x2f800000, v2
	v_trunc_f32_e32 v4, v4
	s_delay_alu instid0(VALU_DEP_1) | instskip(SKIP_1) | instid1(VALU_DEP_2)
	v_fmac_f32_e32 v2, 0xcf800000, v4
	v_cvt_u32_f32_e32 v4, v4
	v_cvt_u32_f32_e32 v2, v2
	s_delay_alu instid0(VALU_DEP_2) | instskip(NEXT) | instid1(VALU_DEP_2)
	v_readfirstlane_b32 s5, v4
	v_readfirstlane_b32 s16, v2
	s_delay_alu instid0(VALU_DEP_2) | instskip(NEXT) | instid1(VALU_DEP_1)
	s_mul_i32 s68, s19, s5
	s_mul_hi_u32 s88, s19, s16
	s_mul_i32 s86, s24, s16
	s_add_i32 s68, s88, s68
	s_mul_i32 s89, s19, s16
	s_add_i32 s68, s68, s86
	s_mul_hi_u32 s88, s16, s89
	s_mul_hi_u32 s90, s5, s89
	s_mul_i32 s86, s5, s89
	s_mul_hi_u32 s89, s16, s68
	s_mul_i32 s16, s16, s68
	s_mul_hi_u32 s91, s5, s68
	s_add_u32 s16, s88, s16
	s_addc_u32 s88, 0, s89
	s_add_u32 s16, s16, s86
	s_mul_i32 s68, s5, s68
	s_addc_u32 s16, s88, s90
	s_addc_u32 s86, s91, 0
	s_add_u32 s16, s16, s68
	s_addc_u32 s68, 0, s86
	v_add_co_u32 v2, s16, v2, s16
	s_delay_alu instid0(VALU_DEP_1) | instskip(SKIP_1) | instid1(VALU_DEP_1)
	s_cmp_lg_u32 s16, 0
	s_addc_u32 s5, s5, s68
	v_readfirstlane_b32 s16, v2
	s_mul_i32 s68, s19, s5
	s_delay_alu instid0(VALU_DEP_1)
	s_mul_hi_u32 s86, s19, s16
	s_mul_i32 s24, s24, s16
	s_add_i32 s68, s86, s68
	s_mul_i32 s19, s19, s16
	s_add_i32 s68, s68, s24
	s_mul_hi_u32 s86, s5, s19
	s_mul_i32 s88, s5, s19
	s_mul_hi_u32 s19, s16, s19
	s_mul_hi_u32 s89, s16, s68
	s_mul_i32 s16, s16, s68
	s_mul_hi_u32 s24, s5, s68
	s_add_u32 s16, s19, s16
	s_addc_u32 s19, 0, s89
	s_add_u32 s16, s16, s88
	s_mul_i32 s68, s5, s68
	s_addc_u32 s16, s19, s86
	s_addc_u32 s19, s24, 0
	s_add_u32 s16, s16, s68
	s_addc_u32 s19, 0, s19
	v_add_co_u32 v2, s16, v2, s16
	s_delay_alu instid0(VALU_DEP_1) | instskip(SKIP_2) | instid1(VALU_DEP_1)
	s_cmp_lg_u32 s16, 0
	s_addc_u32 s5, s5, s19
	s_ashr_i32 s88, s17, 31
	v_readfirstlane_b32 s16, v2
	s_add_u32 s90, s18, s88
	s_mov_b32 s89, s88
	s_addc_u32 s91, s17, s88
	s_delay_alu instid0(SALU_CYCLE_1) | instskip(NEXT) | instid1(SALU_CYCLE_1)
	s_xor_b64 s[90:91], s[90:91], s[88:89]
	s_mul_i32 s24, s90, s5
	s_mul_hi_u32 s68, s90, s16
	s_mul_hi_u32 s19, s90, s5
	;; [unrolled: 1-line block ×3, first 2 shown]
	s_mul_i32 s16, s91, s16
	s_add_u32 s24, s68, s24
	s_addc_u32 s19, 0, s19
	s_mul_hi_u32 s86, s91, s5
	s_add_u32 s16, s24, s16
	s_mul_i32 s5, s91, s5
	s_addc_u32 s16, s19, s89
	s_addc_u32 s19, s86, 0
	s_add_u32 s5, s16, s5
	s_addc_u32 s16, 0, s19
	s_mul_hi_u32 s19, s27, s5
	s_mul_i32 s5, s27, s5
	s_mul_i32 s16, s27, s16
	v_sub_co_u32 v2, s5, s90, s5
	s_add_i32 s19, s19, s16
	s_cmp_lg_u32 s5, 0
	s_delay_alu instid0(VALU_DEP_1) | instskip(SKIP_2) | instid1(VALU_DEP_1)
	v_sub_co_u32 v4, s5, v2, s27
	s_subb_u32 s16, s91, s19
	s_cmp_lg_u32 s5, 0
	v_cmp_le_u32_e32 vcc_lo, s27, v4
	v_sub_co_u32 v5, s5, v4, s27
	s_subb_u32 s19, s16, 0
	s_cmp_lg_u32 s5, 0
	v_cmp_le_u32_e64 s5, s27, v2
	s_subb_u32 s24, s19, 0
	v_cndmask_b32_e64 v6, 0, -1, vcc_lo
	s_cmp_eq_u32 s19, 0
	s_cselect_b32 vcc_lo, -1, 0
	v_cndmask_b32_e64 v7, 0, -1, s5
	s_delay_alu instid0(VALU_DEP_2) | instskip(SKIP_2) | instid1(VALU_DEP_1)
	v_cndmask_b32_e32 v6, -1, v6, vcc_lo
	s_cmp_eq_u32 s16, 0
	s_cselect_b32 vcc_lo, -1, 0
	v_cmp_ne_u32_e64 s5, 0, v6
	v_dual_cndmask_b32 v6, -1, v7 :: v_dual_mov_b32 v7, s24
	s_delay_alu instid0(VALU_DEP_2) | instskip(NEXT) | instid1(VALU_DEP_2)
	v_cndmask_b32_e64 v4, v4, v5, s5
	v_cmp_ne_u32_e32 vcc_lo, 0, v6
	s_delay_alu instid0(VALU_DEP_3) | instskip(NEXT) | instid1(VALU_DEP_3)
	v_cndmask_b32_e64 v5, s19, v7, s5
	v_cndmask_b32_e32 v2, v2, v4, vcc_lo
	s_delay_alu instid0(VALU_DEP_2) | instskip(NEXT) | instid1(VALU_DEP_2)
	v_cndmask_b32_e32 v4, s16, v5, vcc_lo
	v_xor_b32_e32 v2, s88, v2
	s_delay_alu instid0(VALU_DEP_2) | instskip(NEXT) | instid1(VALU_DEP_2)
	v_xor_b32_e32 v5, s88, v4
	v_sub_co_u32 v4, vcc_lo, v2, s88
	s_delay_alu instid0(VALU_DEP_2)
	v_subrev_co_ci_u32_e32 v5, vcc_lo, s88, v5, vcc_lo
	s_cbranch_execnz .LBB46_223
.LBB46_222:                             ;   in Loop: Header=BB46_33 Depth=1
	v_cvt_f32_u32_e32 v2, s27
	s_sub_i32 s5, 0, s27
	s_delay_alu instid0(VALU_DEP_1) | instskip(SKIP_2) | instid1(VALU_DEP_1)
	v_rcp_iflag_f32_e32 v2, v2
	s_waitcnt_depctr 0xfff
	v_mul_f32_e32 v2, 0x4f7ffffe, v2
	v_cvt_u32_f32_e32 v2, v2
	s_delay_alu instid0(VALU_DEP_1) | instskip(NEXT) | instid1(VALU_DEP_1)
	v_mul_lo_u32 v4, s5, v2
	v_mul_hi_u32 v4, v2, v4
	s_delay_alu instid0(VALU_DEP_1) | instskip(NEXT) | instid1(VALU_DEP_1)
	v_add_nc_u32_e32 v2, v2, v4
	v_mul_hi_u32 v2, s18, v2
	s_delay_alu instid0(VALU_DEP_1) | instskip(NEXT) | instid1(VALU_DEP_1)
	v_mul_lo_u32 v2, v2, s27
	v_sub_nc_u32_e32 v2, s18, v2
	s_delay_alu instid0(VALU_DEP_1) | instskip(SKIP_1) | instid1(VALU_DEP_2)
	v_subrev_nc_u32_e32 v4, s27, v2
	v_cmp_le_u32_e32 vcc_lo, s27, v2
	v_cndmask_b32_e32 v2, v2, v4, vcc_lo
	s_delay_alu instid0(VALU_DEP_1) | instskip(SKIP_1) | instid1(VALU_DEP_2)
	v_subrev_nc_u32_e32 v4, s27, v2
	v_cmp_le_u32_e32 vcc_lo, s27, v2
	v_cndmask_b32_e32 v18, v2, v4, vcc_lo
	s_delay_alu instid0(VALU_DEP_1)
	v_dual_mov_b32 v4, v18 :: v_dual_mov_b32 v5, v19
.LBB46_223:                             ;   in Loop: Header=BB46_33 Depth=1
	s_delay_alu instid0(VALU_DEP_1) | instskip(NEXT) | instid1(VALU_DEP_2)
	v_sub_co_u32 v8, vcc_lo, s18, v4
	v_sub_co_ci_u32_e32 v9, vcc_lo, s17, v5, vcc_lo
	s_mov_b32 s16, 0
	s_mov_b32 s17, exec_lo
                                        ; implicit-def: $vgpr6_vgpr7
	s_delay_alu instid0(VALU_DEP_1)
	v_cmpx_gt_i64_e64 v[8:9], v[0:1]
	s_cbranch_execz .LBB46_232
; %bb.224:                              ;   in Loop: Header=BB46_33 Depth=1
	v_dual_mov_b32 v12, v38 :: v_dual_mov_b32 v11, v1
	v_mov_b32_e32 v10, v0
	s_mov_b32 s18, 0
                                        ; implicit-def: $sgpr16
	s_set_inst_prefetch_distance 0x1
	s_branch .LBB46_226
	.p2align	6
.LBB46_225:                             ;   in Loop: Header=BB46_226 Depth=2
	s_or_b32 exec_lo, exec_lo, s5
	s_waitcnt lgkmcnt(0)
	s_barrier
	buffer_gl0_inv
	ds_load_b128 v[4:7], v19 offset:3072
	v_add_co_u32 v10, s5, v10, s27
	s_delay_alu instid0(VALU_DEP_1)
	v_add_co_ci_u32_e64 v11, s5, 0, v11, s5
	s_waitcnt lgkmcnt(0)
	s_barrier
	buffer_gl0_inv
	v_cmp_ge_i64_e64 s5, v[10:11], v[8:9]
	v_cmp_neq_f64_e32 vcc_lo, 0, v[4:5]
	s_delay_alu instid0(VALU_DEP_2) | instskip(SKIP_2) | instid1(SALU_CYCLE_1)
	s_or_b32 s5, vcc_lo, s5
	v_add_nc_u32_e32 v12, vcc_hi, v12
	s_and_b32 s5, exec_lo, s5
	s_or_b32 s18, s5, s18
	s_and_not1_b32 s5, s16, exec_lo
	s_and_b32 s16, vcc_lo, exec_lo
	s_delay_alu instid0(SALU_CYCLE_1)
	s_or_b32 s16, s5, s16
	s_and_not1_b32 exec_lo, exec_lo, s18
	s_cbranch_execz .LBB46_231
.LBB46_226:                             ;   Parent Loop BB46_33 Depth=1
                                        ; =>  This Inner Loop Header: Depth=2
	s_delay_alu instid0(VALU_DEP_1)
	v_cmp_gt_i64_e32 vcc_lo, s[14:15], v[10:11]
	v_mov_b32_e32 v4, 0
	v_mov_b32_e32 v5, 0
	s_and_saveexec_b32 s5, vcc_lo
	s_cbranch_execz .LBB46_228
; %bb.227:                              ;   in Loop: Header=BB46_226 Depth=2
	ds_load_b64 v[4:5], v12
.LBB46_228:                             ;   in Loop: Header=BB46_226 Depth=2
	s_or_b32 exec_lo, exec_lo, s5
	s_and_saveexec_b32 s5, vcc_lo
	s_cbranch_execz .LBB46_225
; %bb.229:                              ;   in Loop: Header=BB46_226 Depth=2
	s_waitcnt lgkmcnt(0)
	v_cmp_o_f64_e32 vcc_lo, v[4:5], v[4:5]
	v_ashrrev_i32_e32 v2, 31, v5
	s_delay_alu instid0(VALU_DEP_1) | instskip(SKIP_1) | instid1(VALU_DEP_2)
	v_or_b32_e32 v6, 0x80000000, v2
	v_xor_b32_e32 v2, v2, v4
	v_xor_b32_e32 v6, v6, v5
	s_delay_alu instid0(VALU_DEP_1) | instskip(NEXT) | instid1(VALU_DEP_3)
	v_cndmask_b32_e32 v6, -1, v6, vcc_lo
	v_cndmask_b32_e32 v2, -1, v2, vcc_lo
	s_delay_alu instid0(VALU_DEP_2) | instskip(NEXT) | instid1(VALU_DEP_2)
	v_and_b32_e32 v7, s85, v6
	v_and_b32_e32 v6, s84, v2
	s_delay_alu instid0(VALU_DEP_1)
	v_cmp_eq_u64_e32 vcc_lo, s[82:83], v[6:7]
	s_and_b32 exec_lo, exec_lo, vcc_lo
	s_cbranch_execz .LBB46_225
; %bb.230:                              ;   in Loop: Header=BB46_226 Depth=2
	v_mov_b32_e32 v2, v19
	ds_store_b128 v19, v[2:5] offset:3072
	s_branch .LBB46_225
.LBB46_231:                             ;   in Loop: Header=BB46_33 Depth=1
	s_set_inst_prefetch_distance 0x2
	s_or_b32 exec_lo, exec_lo, s18
	s_delay_alu instid0(SALU_CYCLE_1)
	s_and_b32 s16, s16, exec_lo
.LBB46_232:                             ;   in Loop: Header=BB46_33 Depth=1
	s_or_b32 exec_lo, exec_lo, s17
	s_mov_b32 s68, -1
	s_mov_b32 s18, 0
	s_mov_b32 s19, 0
.LBB46_233:                             ;   in Loop: Header=BB46_33 Depth=1
	s_mov_b32 s14, 0
                                        ; implicit-def: $sgpr5
	s_and_saveexec_b32 s86, s16
	s_cbranch_execz .LBB46_295
; %bb.234:                              ;   in Loop: Header=BB46_33 Depth=1
	s_xor_b32 s5, s87, -1
	s_delay_alu instid0(SALU_CYCLE_1)
	s_and_not1_b32 vcc_lo, exec_lo, s5
	s_mov_b32 s5, 1
	s_cbranch_vccnz .LBB46_245
; %bb.235:                              ;   in Loop: Header=BB46_33 Depth=1
	v_cmp_gt_i64_e64 s5, s[38:39], s[10:11]
	s_mov_b32 s24, -1
                                        ; implicit-def: $sgpr14_sgpr15
                                        ; implicit-def: $sgpr16_sgpr17
	s_delay_alu instid0(VALU_DEP_1)
	s_and_b32 vcc_lo, exec_lo, s5
                                        ; implicit-def: $sgpr5
	s_cbranch_vccnz .LBB46_241
; %bb.236:                              ;   in Loop: Header=BB46_33 Depth=1
	ds_load_b64 v[4:5], v19 offset:5120
	s_waitcnt lgkmcnt(0)
	v_cmp_ne_u64_e32 vcc_lo, 0, v[4:5]
	s_cbranch_vccnz .LBB46_240
; %bb.237:                              ;   in Loop: Header=BB46_33 Depth=1
	s_and_saveexec_b32 s5, s0
	s_cbranch_execz .LBB46_239
; %bb.238:                              ;   in Loop: Header=BB46_33 Depth=1
	v_dual_mov_b32 v4, s10 :: v_dual_mov_b32 v5, s11
	ds_store_b64 v19, v[4:5] offset:5128
.LBB46_239:                             ;   in Loop: Header=BB46_33 Depth=1
	s_or_b32 exec_lo, exec_lo, s5
	s_waitcnt lgkmcnt(0)
	s_barrier
	buffer_gl0_inv
.LBB46_240:                             ;   in Loop: Header=BB46_33 Depth=1
	s_lshl_b64 s[14:15], 2, s23
	s_and_b64 s[12:13], s[82:83], s[12:13]
	s_or_b64 s[16:17], s[84:85], s[8:9]
	s_or_b64 s[14:15], s[12:13], s[14:15]
	s_mov_b32 s24, 0
	s_mov_b32 s5, 8
.LBB46_241:                             ;   in Loop: Header=BB46_33 Depth=1
	s_and_not1_b32 vcc_lo, exec_lo, s24
	s_cbranch_vccnz .LBB46_243
; %bb.242:                              ;   in Loop: Header=BB46_33 Depth=1
	s_sub_u32 s38, s38, s10
	s_subb_u32 s39, s39, s11
	s_mov_b32 s24, -1
	s_mov_b32 s5, 0
	s_mov_b64 s[14:15], s[82:83]
	s_mov_b64 s[16:17], s[84:85]
.LBB46_243:                             ;   in Loop: Header=BB46_33 Depth=1
	s_delay_alu instid0(SALU_CYCLE_1)
	s_mov_b64 s[84:85], s[16:17]
	s_mov_b64 s[82:83], s[14:15]
	s_and_not1_b32 vcc_lo, exec_lo, s24
	s_mov_b32 s13, -1
	s_cbranch_vccz .LBB46_246
.LBB46_244:                             ;   in Loop: Header=BB46_33 Depth=1
                                        ; implicit-def: $sgpr15
                                        ; implicit-def: $sgpr17
                                        ; implicit-def: $sgpr16
	s_branch .LBB46_294
.LBB46_245:                             ;   in Loop: Header=BB46_33 Depth=1
	s_mov_b64 s[38:39], 1
	s_mov_b32 s13, -1
	s_cbranch_execnz .LBB46_244
.LBB46_246:                             ;   in Loop: Header=BB46_33 Depth=1
	s_cmp_eq_u64 s[6:7], 1
	s_mov_b32 s12, -1
	s_cselect_b32 s5, -1, 0
	s_cmp_eq_u64 s[38:39], 1
	s_cselect_b32 s10, -1, 0
	s_delay_alu instid0(SALU_CYCLE_1) | instskip(NEXT) | instid1(SALU_CYCLE_1)
	s_and_b32 s14, s5, s10
	s_and_b32 vcc_lo, exec_lo, s14
	s_cbranch_vccz .LBB46_261
; %bb.247:                              ;   in Loop: Header=BB46_33 Depth=1
	ds_load_b64 v[4:5], v19 offset:5120
	s_waitcnt lgkmcnt(0)
	s_barrier
	buffer_gl0_inv
	v_readfirstlane_b32 s10, v4
	v_readfirstlane_b32 s11, v5
	s_and_saveexec_b32 s5, s3
	s_cbranch_execz .LBB46_249
; %bb.248:                              ;   in Loop: Header=BB46_33 Depth=1
	v_mov_b32_e32 v18, v19
	ds_store_b64 v39, v[18:19]
.LBB46_249:                             ;   in Loop: Header=BB46_33 Depth=1
	s_or_b32 exec_lo, exec_lo, s5
	s_delay_alu instid0(VALU_DEP_1)
	v_cmp_gt_i64_e64 s5, s[10:11], 0
	s_or_b64 s[82:83], s[82:83], s[8:9]
	s_or_b64 s[84:85], s[84:85], s[8:9]
	s_waitcnt lgkmcnt(0)
	s_barrier
	buffer_gl0_inv
	s_and_b32 vcc_lo, exec_lo, s5
	s_cbranch_vccnz .LBB46_264
; %bb.250:                              ;   in Loop: Header=BB46_33 Depth=1
	s_mov_b32 s24, s69
	s_delay_alu instid0(SALU_CYCLE_1)
	s_cmp_lg_u64 s[24:25], 0
	s_cbranch_scc0 .LBB46_300
; %bb.251:                              ;   in Loop: Header=BB46_33 Depth=1
	v_cvt_f32_u32_e32 v2, s27
	s_sub_u32 s13, 0, s27
	s_subb_u32 s15, 0, 0
	s_delay_alu instid0(VALU_DEP_1) | instskip(NEXT) | instid1(VALU_DEP_1)
	v_fmac_f32_e32 v2, 0x4f800000, v47
	v_rcp_f32_e32 v2, v2
	s_waitcnt_depctr 0xfff
	v_mul_f32_e32 v2, 0x5f7ffffc, v2
	s_delay_alu instid0(VALU_DEP_1) | instskip(NEXT) | instid1(VALU_DEP_1)
	v_mul_f32_e32 v4, 0x2f800000, v2
	v_trunc_f32_e32 v4, v4
	s_delay_alu instid0(VALU_DEP_1) | instskip(SKIP_1) | instid1(VALU_DEP_2)
	v_fmac_f32_e32 v2, 0xcf800000, v4
	v_cvt_u32_f32_e32 v4, v4
	v_cvt_u32_f32_e32 v2, v2
	s_delay_alu instid0(VALU_DEP_2) | instskip(NEXT) | instid1(VALU_DEP_2)
	v_readfirstlane_b32 s5, v4
	v_readfirstlane_b32 s12, v2
	s_delay_alu instid0(VALU_DEP_2) | instskip(NEXT) | instid1(VALU_DEP_1)
	s_mul_i32 s16, s13, s5
	s_mul_hi_u32 s23, s13, s12
	s_mul_i32 s17, s15, s12
	s_add_i32 s16, s23, s16
	s_mul_i32 s24, s13, s12
	s_add_i32 s16, s16, s17
	s_mul_hi_u32 s23, s12, s24
	s_mul_hi_u32 s87, s5, s24
	s_mul_i32 s17, s5, s24
	s_mul_hi_u32 s24, s12, s16
	s_mul_i32 s12, s12, s16
	s_mul_hi_u32 s88, s5, s16
	s_add_u32 s12, s23, s12
	s_addc_u32 s23, 0, s24
	s_add_u32 s12, s12, s17
	s_mul_i32 s16, s5, s16
	s_addc_u32 s12, s23, s87
	s_addc_u32 s17, s88, 0
	s_add_u32 s12, s12, s16
	s_addc_u32 s16, 0, s17
	v_add_co_u32 v2, s12, v2, s12
	s_delay_alu instid0(VALU_DEP_1) | instskip(SKIP_1) | instid1(VALU_DEP_1)
	s_cmp_lg_u32 s12, 0
	s_addc_u32 s5, s5, s16
	v_readfirstlane_b32 s12, v2
	s_mul_i32 s16, s13, s5
	s_delay_alu instid0(VALU_DEP_1)
	s_mul_hi_u32 s17, s13, s12
	s_mul_i32 s15, s15, s12
	s_add_i32 s16, s17, s16
	s_mul_i32 s13, s13, s12
	s_add_i32 s16, s16, s15
	s_mul_hi_u32 s17, s5, s13
	s_mul_i32 s23, s5, s13
	s_mul_hi_u32 s13, s12, s13
	s_mul_hi_u32 s24, s12, s16
	s_mul_i32 s12, s12, s16
	s_mul_hi_u32 s15, s5, s16
	s_add_u32 s12, s13, s12
	s_addc_u32 s13, 0, s24
	s_add_u32 s12, s12, s23
	s_mul_i32 s16, s5, s16
	s_addc_u32 s12, s13, s17
	s_addc_u32 s13, s15, 0
	s_add_u32 s12, s12, s16
	s_addc_u32 s13, 0, s13
	v_add_co_u32 v2, s12, v2, s12
	s_delay_alu instid0(VALU_DEP_1) | instskip(SKIP_2) | instid1(VALU_DEP_1)
	s_cmp_lg_u32 s12, 0
	s_addc_u32 s5, s5, s13
	s_ashr_i32 s12, s25, 31
	v_readfirstlane_b32 s15, v2
	s_add_u32 s16, s99, s12
	s_mov_b32 s13, s12
	s_addc_u32 s17, s25, s12
	s_delay_alu instid0(SALU_CYCLE_1) | instskip(NEXT) | instid1(SALU_CYCLE_1)
	s_xor_b64 s[16:17], s[16:17], s[12:13]
	s_mul_i32 s23, s16, s5
	s_mul_hi_u32 s24, s16, s15
	s_mul_hi_u32 s13, s16, s5
	s_mul_hi_u32 s88, s17, s15
	s_mul_i32 s15, s17, s15
	s_add_u32 s23, s24, s23
	s_addc_u32 s13, 0, s13
	s_mul_hi_u32 s87, s17, s5
	s_add_u32 s15, s23, s15
	s_mul_i32 s5, s17, s5
	s_addc_u32 s13, s13, s88
	s_addc_u32 s15, s87, 0
	s_add_u32 s5, s13, s5
	s_addc_u32 s13, 0, s15
	s_mul_hi_u32 s15, s27, s5
	s_mul_i32 s5, s27, s5
	s_mul_i32 s13, s27, s13
	v_sub_co_u32 v2, s5, s16, s5
	s_add_i32 s15, s15, s13
	s_cmp_lg_u32 s5, 0
	s_delay_alu instid0(VALU_DEP_1) | instskip(SKIP_2) | instid1(VALU_DEP_1)
	v_sub_co_u32 v4, s5, v2, s27
	s_subb_u32 s13, s17, s15
	s_cmp_lg_u32 s5, 0
	v_cmp_le_u32_e32 vcc_lo, s27, v4
	v_sub_co_u32 v5, s5, v4, s27
	s_subb_u32 s15, s13, 0
	s_cmp_lg_u32 s5, 0
	v_cmp_le_u32_e64 s5, s27, v2
	s_subb_u32 s16, s15, 0
	v_cndmask_b32_e64 v6, 0, -1, vcc_lo
	s_cmp_eq_u32 s15, 0
	s_cselect_b32 vcc_lo, -1, 0
	v_cndmask_b32_e64 v7, 0, -1, s5
	s_delay_alu instid0(VALU_DEP_2) | instskip(SKIP_2) | instid1(VALU_DEP_1)
	v_cndmask_b32_e32 v6, -1, v6, vcc_lo
	s_cmp_eq_u32 s13, 0
	s_cselect_b32 vcc_lo, -1, 0
	v_cmp_ne_u32_e64 s5, 0, v6
	v_dual_cndmask_b32 v6, -1, v7 :: v_dual_mov_b32 v7, s16
	s_delay_alu instid0(VALU_DEP_2) | instskip(NEXT) | instid1(VALU_DEP_2)
	v_cndmask_b32_e64 v4, v4, v5, s5
	v_cmp_ne_u32_e32 vcc_lo, 0, v6
	s_delay_alu instid0(VALU_DEP_3) | instskip(NEXT) | instid1(VALU_DEP_3)
	v_cndmask_b32_e64 v5, s15, v7, s5
	v_cndmask_b32_e32 v2, v2, v4, vcc_lo
	s_delay_alu instid0(VALU_DEP_2) | instskip(NEXT) | instid1(VALU_DEP_2)
	v_cndmask_b32_e32 v4, s13, v5, vcc_lo
	v_xor_b32_e32 v2, s12, v2
	s_delay_alu instid0(VALU_DEP_2) | instskip(NEXT) | instid1(VALU_DEP_2)
	v_xor_b32_e32 v5, s12, v4
	v_sub_co_u32 v4, vcc_lo, v2, s12
	s_delay_alu instid0(VALU_DEP_2)
	v_subrev_co_ci_u32_e32 v5, vcc_lo, s12, v5, vcc_lo
	s_cbranch_execnz .LBB46_253
.LBB46_252:                             ;   in Loop: Header=BB46_33 Depth=1
	v_cvt_f32_u32_e32 v2, s27
	s_sub_i32 s5, 0, s27
	s_delay_alu instid0(VALU_DEP_1) | instskip(SKIP_2) | instid1(VALU_DEP_1)
	v_rcp_iflag_f32_e32 v2, v2
	s_waitcnt_depctr 0xfff
	v_mul_f32_e32 v2, 0x4f7ffffe, v2
	v_cvt_u32_f32_e32 v2, v2
	s_delay_alu instid0(VALU_DEP_1) | instskip(NEXT) | instid1(VALU_DEP_1)
	v_mul_lo_u32 v4, s5, v2
	v_mul_hi_u32 v4, v2, v4
	s_delay_alu instid0(VALU_DEP_1) | instskip(NEXT) | instid1(VALU_DEP_1)
	v_add_nc_u32_e32 v2, v2, v4
	v_mul_hi_u32 v2, s99, v2
	s_delay_alu instid0(VALU_DEP_1) | instskip(NEXT) | instid1(VALU_DEP_1)
	v_mul_lo_u32 v2, v2, s27
	v_sub_nc_u32_e32 v2, s99, v2
	s_delay_alu instid0(VALU_DEP_1) | instskip(SKIP_1) | instid1(VALU_DEP_2)
	v_subrev_nc_u32_e32 v4, s27, v2
	v_cmp_le_u32_e32 vcc_lo, s27, v2
	v_cndmask_b32_e32 v2, v2, v4, vcc_lo
	s_delay_alu instid0(VALU_DEP_1) | instskip(SKIP_1) | instid1(VALU_DEP_2)
	v_subrev_nc_u32_e32 v4, s27, v2
	v_cmp_le_u32_e32 vcc_lo, s27, v2
	v_cndmask_b32_e32 v18, v2, v4, vcc_lo
	s_delay_alu instid0(VALU_DEP_1)
	v_dual_mov_b32 v4, v18 :: v_dual_mov_b32 v5, v19
.LBB46_253:                             ;   in Loop: Header=BB46_33 Depth=1
	s_delay_alu instid0(VALU_DEP_1) | instskip(NEXT) | instid1(VALU_DEP_2)
	v_sub_co_u32 v8, vcc_lo, s99, v4
	v_sub_co_ci_u32_e32 v9, vcc_lo, s25, v5, vcc_lo
	s_mov_b32 s12, 0
	s_mov_b32 s13, exec_lo
                                        ; implicit-def: $vgpr6_vgpr7
	s_delay_alu instid0(VALU_DEP_1)
	v_cmpx_gt_i64_e64 v[8:9], v[0:1]
	s_cbranch_execz .LBB46_266
; %bb.254:                              ;   in Loop: Header=BB46_33 Depth=1
	v_dual_mov_b32 v10, v16 :: v_dual_mov_b32 v11, v17
	v_dual_mov_b32 v13, v1 :: v_dual_mov_b32 v12, v0
	s_mov_b32 s15, 0
                                        ; implicit-def: $sgpr12
	s_branch .LBB46_256
.LBB46_255:                             ;   in Loop: Header=BB46_256 Depth=2
	s_or_b32 exec_lo, exec_lo, s5
	s_waitcnt vmcnt(0) lgkmcnt(0)
	s_barrier
	buffer_gl0_inv
	ds_load_b128 v[4:7], v19 offset:3072
	v_add_co_u32 v12, s5, v12, s27
	s_delay_alu instid0(VALU_DEP_1)
	v_add_co_ci_u32_e64 v13, s5, 0, v13, s5
	s_waitcnt lgkmcnt(0)
	s_barrier
	buffer_gl0_inv
	v_cmp_ge_i64_e64 s5, v[12:13], v[8:9]
	v_cmp_neq_f64_e32 vcc_lo, 0, v[4:5]
	s_delay_alu instid0(VALU_DEP_2)
	s_or_b32 s16, vcc_lo, s5
	v_add_co_u32 v10, s5, v10, s70
	s_and_b32 s16, exec_lo, s16
	v_add_co_ci_u32_e64 v11, s5, s71, v11, s5
	s_or_b32 s15, s16, s15
	s_and_not1_b32 s5, s12, exec_lo
	s_and_b32 s12, vcc_lo, exec_lo
	s_delay_alu instid0(SALU_CYCLE_1)
	s_or_b32 s12, s5, s12
	s_and_not1_b32 exec_lo, exec_lo, s15
	s_cbranch_execz .LBB46_265
.LBB46_256:                             ;   Parent Loop BB46_33 Depth=1
                                        ; =>  This Inner Loop Header: Depth=2
	s_delay_alu instid0(VALU_DEP_1)
	v_cmp_gt_i64_e32 vcc_lo, s[36:37], v[12:13]
	v_mov_b32_e32 v4, 0
	v_mov_b32_e32 v5, 0
	s_and_saveexec_b32 s5, vcc_lo
	s_cbranch_execz .LBB46_258
; %bb.257:                              ;   in Loop: Header=BB46_256 Depth=2
	global_load_b64 v[4:5], v[10:11], off
.LBB46_258:                             ;   in Loop: Header=BB46_256 Depth=2
	s_or_b32 exec_lo, exec_lo, s5
	s_and_saveexec_b32 s5, vcc_lo
	s_cbranch_execz .LBB46_255
; %bb.259:                              ;   in Loop: Header=BB46_256 Depth=2
	s_waitcnt vmcnt(0)
	v_cmp_o_f64_e32 vcc_lo, v[4:5], v[4:5]
	v_ashrrev_i32_e32 v2, 31, v5
	s_delay_alu instid0(VALU_DEP_1) | instskip(SKIP_1) | instid1(VALU_DEP_2)
	v_or_b32_e32 v6, 0x80000000, v2
	v_xor_b32_e32 v2, v2, v4
	v_xor_b32_e32 v6, v6, v5
	s_delay_alu instid0(VALU_DEP_1) | instskip(NEXT) | instid1(VALU_DEP_3)
	v_cndmask_b32_e32 v6, -1, v6, vcc_lo
	v_cndmask_b32_e32 v2, -1, v2, vcc_lo
	s_delay_alu instid0(VALU_DEP_2) | instskip(NEXT) | instid1(VALU_DEP_2)
	v_and_b32_e32 v7, s85, v6
	v_and_b32_e32 v6, s84, v2
	s_delay_alu instid0(VALU_DEP_1)
	v_cmp_eq_u64_e32 vcc_lo, s[82:83], v[6:7]
	s_and_b32 exec_lo, exec_lo, vcc_lo
	s_cbranch_execz .LBB46_255
; %bb.260:                              ;   in Loop: Header=BB46_256 Depth=2
	v_mov_b32_e32 v2, v19
	ds_store_b128 v19, v[2:5] offset:3072
	s_branch .LBB46_255
.LBB46_261:                             ;   in Loop: Header=BB46_33 Depth=1
                                        ; implicit-def: $sgpr15
                                        ; implicit-def: $sgpr17
                                        ; implicit-def: $sgpr16
	s_branch .LBB46_280
.LBB46_262:                             ;   in Loop: Header=BB46_33 Depth=1
                                        ; implicit-def: $vgpr4_vgpr5
	s_branch .LBB46_205
.LBB46_263:                             ;   in Loop: Header=BB46_33 Depth=1
                                        ; implicit-def: $vgpr4_vgpr5
	s_branch .LBB46_222
.LBB46_264:                             ;   in Loop: Header=BB46_33 Depth=1
	s_mov_b32 s15, -1
	s_mov_b32 s12, 0
                                        ; implicit-def: $sgpr16
                                        ; implicit-def: $vgpr6_vgpr7
	s_mov_b32 s17, s15
	s_cbranch_execnz .LBB46_267
	s_branch .LBB46_280
.LBB46_265:                             ;   in Loop: Header=BB46_33 Depth=1
	s_or_b32 exec_lo, exec_lo, s15
	s_delay_alu instid0(SALU_CYCLE_1)
	s_and_b32 s12, s12, exec_lo
.LBB46_266:                             ;   in Loop: Header=BB46_33 Depth=1
	s_or_b32 exec_lo, exec_lo, s13
	s_mov_b32 s16, -1
	s_mov_b32 s15, 0
	s_delay_alu instid0(SALU_CYCLE_1)
	s_mov_b32 s17, s15
	s_branch .LBB46_280
.LBB46_267:                             ;   in Loop: Header=BB46_33 Depth=1
	s_add_u32 s15, s97, s10
	s_addc_u32 s13, s98, s11
	s_mov_b32 s12, s69
	s_delay_alu instid0(SALU_CYCLE_1)
	s_cmp_lg_u64 s[12:13], 0
	s_cbranch_scc0 .LBB46_301
; %bb.268:                              ;   in Loop: Header=BB46_33 Depth=1
	v_cvt_f32_u32_e32 v2, s27
	s_sub_u32 s16, 0, s27
	s_subb_u32 s17, 0, 0
	s_delay_alu instid0(VALU_DEP_1) | instskip(NEXT) | instid1(VALU_DEP_1)
	v_fmac_f32_e32 v2, 0x4f800000, v47
	v_rcp_f32_e32 v2, v2
	s_waitcnt_depctr 0xfff
	v_mul_f32_e32 v2, 0x5f7ffffc, v2
	s_delay_alu instid0(VALU_DEP_1) | instskip(NEXT) | instid1(VALU_DEP_1)
	v_mul_f32_e32 v4, 0x2f800000, v2
	v_trunc_f32_e32 v4, v4
	s_delay_alu instid0(VALU_DEP_1) | instskip(SKIP_1) | instid1(VALU_DEP_2)
	v_fmac_f32_e32 v2, 0xcf800000, v4
	v_cvt_u32_f32_e32 v4, v4
	v_cvt_u32_f32_e32 v2, v2
	s_delay_alu instid0(VALU_DEP_2) | instskip(NEXT) | instid1(VALU_DEP_2)
	v_readfirstlane_b32 s5, v4
	v_readfirstlane_b32 s12, v2
	s_delay_alu instid0(VALU_DEP_2) | instskip(NEXT) | instid1(VALU_DEP_1)
	s_mul_i32 s23, s16, s5
	s_mul_hi_u32 s87, s16, s12
	s_mul_i32 s24, s17, s12
	s_add_i32 s23, s87, s23
	s_mul_i32 s88, s16, s12
	s_add_i32 s23, s23, s24
	s_mul_hi_u32 s87, s12, s88
	s_mul_hi_u32 s89, s5, s88
	s_mul_i32 s24, s5, s88
	s_mul_hi_u32 s88, s12, s23
	s_mul_i32 s12, s12, s23
	s_mul_hi_u32 s90, s5, s23
	s_add_u32 s12, s87, s12
	s_addc_u32 s87, 0, s88
	s_add_u32 s12, s12, s24
	s_mul_i32 s23, s5, s23
	s_addc_u32 s12, s87, s89
	s_addc_u32 s24, s90, 0
	s_add_u32 s12, s12, s23
	s_addc_u32 s23, 0, s24
	v_add_co_u32 v2, s12, v2, s12
	s_delay_alu instid0(VALU_DEP_1) | instskip(SKIP_1) | instid1(VALU_DEP_1)
	s_cmp_lg_u32 s12, 0
	s_addc_u32 s5, s5, s23
	v_readfirstlane_b32 s12, v2
	s_mul_i32 s23, s16, s5
	s_delay_alu instid0(VALU_DEP_1)
	s_mul_hi_u32 s24, s16, s12
	s_mul_i32 s17, s17, s12
	s_add_i32 s23, s24, s23
	s_mul_i32 s16, s16, s12
	s_add_i32 s23, s23, s17
	s_mul_hi_u32 s24, s5, s16
	s_mul_i32 s87, s5, s16
	s_mul_hi_u32 s16, s12, s16
	s_mul_hi_u32 s88, s12, s23
	s_mul_i32 s12, s12, s23
	s_mul_hi_u32 s17, s5, s23
	s_add_u32 s12, s16, s12
	s_addc_u32 s16, 0, s88
	s_add_u32 s12, s12, s87
	s_mul_i32 s23, s5, s23
	s_addc_u32 s12, s16, s24
	s_addc_u32 s16, s17, 0
	s_add_u32 s12, s12, s23
	s_addc_u32 s16, 0, s16
	v_add_co_u32 v2, s12, v2, s12
	s_delay_alu instid0(VALU_DEP_1) | instskip(SKIP_2) | instid1(VALU_DEP_1)
	s_cmp_lg_u32 s12, 0
	s_addc_u32 s5, s5, s16
	s_ashr_i32 s16, s13, 31
	v_readfirstlane_b32 s12, v2
	s_add_u32 s88, s15, s16
	s_mov_b32 s17, s16
	s_addc_u32 s89, s13, s16
	s_delay_alu instid0(SALU_CYCLE_1) | instskip(NEXT) | instid1(SALU_CYCLE_1)
	s_xor_b64 s[88:89], s[88:89], s[16:17]
	s_mul_i32 s23, s88, s5
	s_mul_hi_u32 s24, s88, s12
	s_mul_hi_u32 s17, s88, s5
	;; [unrolled: 1-line block ×3, first 2 shown]
	s_mul_i32 s12, s89, s12
	s_add_u32 s23, s24, s23
	s_addc_u32 s17, 0, s17
	s_mul_hi_u32 s87, s89, s5
	s_add_u32 s12, s23, s12
	s_mul_i32 s5, s89, s5
	s_addc_u32 s12, s17, s90
	s_addc_u32 s17, s87, 0
	s_add_u32 s5, s12, s5
	s_addc_u32 s12, 0, s17
	s_mul_hi_u32 s17, s27, s5
	s_mul_i32 s5, s27, s5
	s_mul_i32 s12, s27, s12
	v_sub_co_u32 v2, s5, s88, s5
	s_add_i32 s17, s17, s12
	s_cmp_lg_u32 s5, 0
	s_delay_alu instid0(VALU_DEP_1) | instskip(SKIP_2) | instid1(VALU_DEP_1)
	v_sub_co_u32 v4, s5, v2, s27
	s_subb_u32 s12, s89, s17
	s_cmp_lg_u32 s5, 0
	v_cmp_le_u32_e32 vcc_lo, s27, v4
	v_sub_co_u32 v5, s5, v4, s27
	s_subb_u32 s17, s12, 0
	s_cmp_lg_u32 s5, 0
	v_cmp_le_u32_e64 s5, s27, v2
	s_subb_u32 s23, s17, 0
	v_cndmask_b32_e64 v6, 0, -1, vcc_lo
	s_cmp_eq_u32 s17, 0
	s_cselect_b32 vcc_lo, -1, 0
	v_cndmask_b32_e64 v7, 0, -1, s5
	s_delay_alu instid0(VALU_DEP_2) | instskip(SKIP_2) | instid1(VALU_DEP_1)
	v_cndmask_b32_e32 v6, -1, v6, vcc_lo
	s_cmp_eq_u32 s12, 0
	s_cselect_b32 vcc_lo, -1, 0
	v_cmp_ne_u32_e64 s5, 0, v6
	v_dual_cndmask_b32 v6, -1, v7 :: v_dual_mov_b32 v7, s23
	s_delay_alu instid0(VALU_DEP_2) | instskip(NEXT) | instid1(VALU_DEP_2)
	v_cndmask_b32_e64 v4, v4, v5, s5
	v_cmp_ne_u32_e32 vcc_lo, 0, v6
	s_delay_alu instid0(VALU_DEP_3) | instskip(NEXT) | instid1(VALU_DEP_3)
	v_cndmask_b32_e64 v5, s17, v7, s5
	v_cndmask_b32_e32 v2, v2, v4, vcc_lo
	s_delay_alu instid0(VALU_DEP_2) | instskip(NEXT) | instid1(VALU_DEP_2)
	v_cndmask_b32_e32 v4, s12, v5, vcc_lo
	v_xor_b32_e32 v2, s16, v2
	s_delay_alu instid0(VALU_DEP_2) | instskip(NEXT) | instid1(VALU_DEP_2)
	v_xor_b32_e32 v5, s16, v4
	v_sub_co_u32 v4, vcc_lo, v2, s16
	s_delay_alu instid0(VALU_DEP_2)
	v_subrev_co_ci_u32_e32 v5, vcc_lo, s16, v5, vcc_lo
	s_cbranch_execnz .LBB46_270
.LBB46_269:                             ;   in Loop: Header=BB46_33 Depth=1
	v_cvt_f32_u32_e32 v2, s27
	s_sub_i32 s5, 0, s27
	s_delay_alu instid0(VALU_DEP_1) | instskip(SKIP_2) | instid1(VALU_DEP_1)
	v_rcp_iflag_f32_e32 v2, v2
	s_waitcnt_depctr 0xfff
	v_mul_f32_e32 v2, 0x4f7ffffe, v2
	v_cvt_u32_f32_e32 v2, v2
	s_delay_alu instid0(VALU_DEP_1) | instskip(NEXT) | instid1(VALU_DEP_1)
	v_mul_lo_u32 v4, s5, v2
	v_mul_hi_u32 v4, v2, v4
	s_delay_alu instid0(VALU_DEP_1) | instskip(NEXT) | instid1(VALU_DEP_1)
	v_add_nc_u32_e32 v2, v2, v4
	v_mul_hi_u32 v2, s15, v2
	s_delay_alu instid0(VALU_DEP_1) | instskip(NEXT) | instid1(VALU_DEP_1)
	v_mul_lo_u32 v2, v2, s27
	v_sub_nc_u32_e32 v2, s15, v2
	s_delay_alu instid0(VALU_DEP_1) | instskip(SKIP_1) | instid1(VALU_DEP_2)
	v_subrev_nc_u32_e32 v4, s27, v2
	v_cmp_le_u32_e32 vcc_lo, s27, v2
	v_cndmask_b32_e32 v2, v2, v4, vcc_lo
	s_delay_alu instid0(VALU_DEP_1) | instskip(SKIP_1) | instid1(VALU_DEP_2)
	v_subrev_nc_u32_e32 v4, s27, v2
	v_cmp_le_u32_e32 vcc_lo, s27, v2
	v_cndmask_b32_e32 v18, v2, v4, vcc_lo
	s_delay_alu instid0(VALU_DEP_1)
	v_dual_mov_b32 v4, v18 :: v_dual_mov_b32 v5, v19
.LBB46_270:                             ;   in Loop: Header=BB46_33 Depth=1
	s_delay_alu instid0(VALU_DEP_1) | instskip(NEXT) | instid1(VALU_DEP_2)
	v_sub_co_u32 v8, vcc_lo, s15, v4
	v_sub_co_ci_u32_e32 v9, vcc_lo, s13, v5, vcc_lo
	s_mov_b32 s12, 0
	s_mov_b32 s13, exec_lo
                                        ; implicit-def: $vgpr6_vgpr7
	s_delay_alu instid0(VALU_DEP_1)
	v_cmpx_gt_i64_e64 v[8:9], v[0:1]
	s_cbranch_execz .LBB46_279
; %bb.271:                              ;   in Loop: Header=BB46_33 Depth=1
	v_dual_mov_b32 v12, v38 :: v_dual_mov_b32 v11, v1
	v_mov_b32_e32 v10, v0
	s_mov_b32 s15, 0
                                        ; implicit-def: $sgpr12
	s_set_inst_prefetch_distance 0x1
	s_branch .LBB46_273
	.p2align	6
.LBB46_272:                             ;   in Loop: Header=BB46_273 Depth=2
	s_or_b32 exec_lo, exec_lo, s5
	s_waitcnt lgkmcnt(0)
	s_barrier
	buffer_gl0_inv
	ds_load_b128 v[4:7], v19 offset:3072
	v_add_co_u32 v10, s5, v10, s27
	s_delay_alu instid0(VALU_DEP_1)
	v_add_co_ci_u32_e64 v11, s5, 0, v11, s5
	s_waitcnt lgkmcnt(0)
	s_barrier
	buffer_gl0_inv
	v_cmp_ge_i64_e64 s5, v[10:11], v[8:9]
	v_cmp_neq_f64_e32 vcc_lo, 0, v[4:5]
	s_delay_alu instid0(VALU_DEP_2) | instskip(SKIP_2) | instid1(SALU_CYCLE_1)
	s_or_b32 s5, vcc_lo, s5
	v_add_nc_u32_e32 v12, vcc_hi, v12
	s_and_b32 s5, exec_lo, s5
	s_or_b32 s15, s5, s15
	s_and_not1_b32 s5, s12, exec_lo
	s_and_b32 s12, vcc_lo, exec_lo
	s_delay_alu instid0(SALU_CYCLE_1)
	s_or_b32 s12, s5, s12
	s_and_not1_b32 exec_lo, exec_lo, s15
	s_cbranch_execz .LBB46_278
.LBB46_273:                             ;   Parent Loop BB46_33 Depth=1
                                        ; =>  This Inner Loop Header: Depth=2
	s_delay_alu instid0(VALU_DEP_1)
	v_cmp_gt_i64_e32 vcc_lo, s[10:11], v[10:11]
	v_mov_b32_e32 v4, 0
	v_mov_b32_e32 v5, 0
	s_and_saveexec_b32 s5, vcc_lo
	s_cbranch_execz .LBB46_275
; %bb.274:                              ;   in Loop: Header=BB46_273 Depth=2
	ds_load_b64 v[4:5], v12
.LBB46_275:                             ;   in Loop: Header=BB46_273 Depth=2
	s_or_b32 exec_lo, exec_lo, s5
	s_and_saveexec_b32 s5, vcc_lo
	s_cbranch_execz .LBB46_272
; %bb.276:                              ;   in Loop: Header=BB46_273 Depth=2
	s_waitcnt lgkmcnt(0)
	v_cmp_o_f64_e32 vcc_lo, v[4:5], v[4:5]
	v_ashrrev_i32_e32 v2, 31, v5
	s_delay_alu instid0(VALU_DEP_1) | instskip(SKIP_1) | instid1(VALU_DEP_2)
	v_or_b32_e32 v6, 0x80000000, v2
	v_xor_b32_e32 v2, v2, v4
	v_xor_b32_e32 v6, v6, v5
	s_delay_alu instid0(VALU_DEP_1) | instskip(NEXT) | instid1(VALU_DEP_3)
	v_cndmask_b32_e32 v6, -1, v6, vcc_lo
	v_cndmask_b32_e32 v2, -1, v2, vcc_lo
	s_delay_alu instid0(VALU_DEP_2) | instskip(NEXT) | instid1(VALU_DEP_2)
	v_and_b32_e32 v7, s85, v6
	v_and_b32_e32 v6, s84, v2
	s_delay_alu instid0(VALU_DEP_1)
	v_cmp_eq_u64_e32 vcc_lo, s[82:83], v[6:7]
	s_and_b32 exec_lo, exec_lo, vcc_lo
	s_cbranch_execz .LBB46_272
; %bb.277:                              ;   in Loop: Header=BB46_273 Depth=2
	v_mov_b32_e32 v2, v19
	ds_store_b128 v19, v[2:5] offset:3072
	s_branch .LBB46_272
.LBB46_278:                             ;   in Loop: Header=BB46_33 Depth=1
	s_set_inst_prefetch_distance 0x2
	s_or_b32 exec_lo, exec_lo, s15
	s_delay_alu instid0(SALU_CYCLE_1)
	s_and_b32 s12, s12, exec_lo
.LBB46_279:                             ;   in Loop: Header=BB46_33 Depth=1
	s_or_b32 exec_lo, exec_lo, s13
	s_mov_b32 s17, -1
	s_mov_b32 s15, 0
	s_mov_b32 s16, 0
.LBB46_280:                             ;   in Loop: Header=BB46_33 Depth=1
	s_mov_b32 s13, 0
                                        ; implicit-def: $sgpr5
                                        ; implicit-def: $sgpr10_sgpr11
	s_and_saveexec_b32 s23, s12
	s_cbranch_execz .LBB46_293
; %bb.281:                              ;   in Loop: Header=BB46_33 Depth=1
	s_xor_b32 s5, s14, -1
	s_mov_b64 s[10:11], 1
	s_and_not1_b32 vcc_lo, exec_lo, s5
	s_mov_b32 s5, 1
	s_cbranch_vccnz .LBB46_292
; %bb.282:                              ;   in Loop: Header=BB46_33 Depth=1
	v_cmp_gt_i64_e64 s5, s[38:39], s[6:7]
	s_delay_alu instid0(VALU_DEP_1)
	s_and_b32 vcc_lo, exec_lo, s5
	s_cbranch_vccnz .LBB46_288
; %bb.283:                              ;   in Loop: Header=BB46_33 Depth=1
	ds_load_b64 v[4:5], v19 offset:5120
	s_waitcnt lgkmcnt(0)
	v_cmp_ne_u64_e32 vcc_lo, 0, v[4:5]
	s_cbranch_vccnz .LBB46_287
; %bb.284:                              ;   in Loop: Header=BB46_33 Depth=1
	s_and_saveexec_b32 s5, s0
	s_cbranch_execz .LBB46_286
; %bb.285:                              ;   in Loop: Header=BB46_33 Depth=1
	v_dual_mov_b32 v4, s6 :: v_dual_mov_b32 v5, s7
	ds_store_b64 v19, v[4:5] offset:5128
.LBB46_286:                             ;   in Loop: Header=BB46_33 Depth=1
	s_or_b32 exec_lo, exec_lo, s5
	s_waitcnt lgkmcnt(0)
	s_barrier
	buffer_gl0_inv
.LBB46_287:                             ;   in Loop: Header=BB46_33 Depth=1
	s_or_b64 s[12:13], s[82:83], s[8:9]
	s_or_b64 s[8:9], s[84:85], s[8:9]
	s_mov_b32 s10, 0
	s_mov_b32 s5, 8
	s_branch .LBB46_289
.LBB46_288:                             ;   in Loop: Header=BB46_33 Depth=1
	s_mov_b32 s10, -1
                                        ; implicit-def: $sgpr5
                                        ; implicit-def: $sgpr12_sgpr13
                                        ; implicit-def: $sgpr8_sgpr9
.LBB46_289:                             ;   in Loop: Header=BB46_33 Depth=1
	s_delay_alu instid0(SALU_CYCLE_1)
	s_and_not1_b32 vcc_lo, exec_lo, s10
	s_cbranch_vccnz .LBB46_291
; %bb.290:                              ;   in Loop: Header=BB46_33 Depth=1
	s_sub_u32 s38, s38, s6
	s_subb_u32 s39, s39, s7
	s_mov_b32 s5, 8
	s_mov_b64 s[12:13], s[82:83]
	s_mov_b64 s[8:9], s[84:85]
.LBB46_291:                             ;   in Loop: Header=BB46_33 Depth=1
	s_mov_b64 s[10:11], s[38:39]
	s_mov_b64 s[82:83], s[12:13]
	;; [unrolled: 1-line block ×3, first 2 shown]
.LBB46_292:                             ;   in Loop: Header=BB46_33 Depth=1
	s_mov_b32 s13, exec_lo
.LBB46_293:                             ;   in Loop: Header=BB46_33 Depth=1
	s_or_b32 exec_lo, exec_lo, s23
	s_mov_b64 s[38:39], s[10:11]
.LBB46_294:                             ;   in Loop: Header=BB46_33 Depth=1
	s_and_not1_b32 s6, s18, exec_lo
	s_and_b32 s7, s15, exec_lo
	s_and_not1_b32 s8, s19, exec_lo
	s_or_b32 s18, s6, s7
	s_and_not1_b32 s6, s68, exec_lo
	s_and_b32 s7, s17, exec_lo
	s_and_b32 s9, s16, exec_lo
	s_or_b32 s68, s6, s7
	s_or_b32 s19, s8, s9
	s_and_b32 s14, s13, exec_lo
.LBB46_295:                             ;   in Loop: Header=BB46_33 Depth=1
	s_or_b32 exec_lo, exec_lo, s86
.LBB46_296:                             ;   in Loop: Header=BB46_33 Depth=1
	s_delay_alu instid0(SALU_CYCLE_1)
	s_and_not1_b32 s6, s49, exec_lo
	s_and_b32 s7, s18, exec_lo
	s_and_not1_b32 s8, s21, exec_lo
	s_or_b32 s49, s6, s7
	s_and_not1_b32 s6, s50, exec_lo
	s_and_b32 s7, s68, exec_lo
	s_and_b32 s9, s19, exec_lo
	s_or_b32 s50, s6, s7
	s_or_b32 s21, s8, s9
	s_and_b32 s16, s14, exec_lo
.LBB46_297:                             ;   in Loop: Header=BB46_33 Depth=1
	s_or_b32 exec_lo, exec_lo, s51
	s_and_saveexec_b32 s6, s16
	s_delay_alu instid0(SALU_CYCLE_1)
	s_xor_b32 s6, exec_lo, s6
	s_cbranch_execz .LBB46_31
.LBB46_298:                             ;   in Loop: Header=BB46_33 Depth=1
	s_and_b32 s5, s5, -9
	s_delay_alu instid0(SALU_CYCLE_1)
	s_cmp_eq_u32 s5, 0
	s_cbranch_scc1 .LBB46_29
; %bb.299:                              ;   in Loop: Header=BB46_33 Depth=1
	s_mov_b32 s5, -1
	s_mov_b32 s7, -1
                                        ; implicit-def: $sgpr84_sgpr85
                                        ; implicit-def: $sgpr67
                                        ; implicit-def: $sgpr59
	s_branch .LBB46_30
.LBB46_300:                             ;   in Loop: Header=BB46_33 Depth=1
                                        ; implicit-def: $vgpr4_vgpr5
	s_branch .LBB46_252
.LBB46_301:                             ;   in Loop: Header=BB46_33 Depth=1
                                        ; implicit-def: $vgpr4_vgpr5
	s_branch .LBB46_269
.LBB46_302:
	s_or_b32 exec_lo, exec_lo, s64
	s_xor_b32 s5, s58, -1
	s_xor_b32 s2, s65, -1
	;; [unrolled: 1-line block ×3, first 2 shown]
	s_mov_b32 s3, 0
	s_and_saveexec_b32 s6, s2
	s_delay_alu instid0(SALU_CYCLE_1)
	s_xor_b32 s2, exec_lo, s6
	s_cbranch_execz .LBB46_325
; %bb.303:
	s_and_saveexec_b32 s3, s5
	s_delay_alu instid0(SALU_CYCLE_1)
	s_xor_b32 s3, exec_lo, s3
	s_cbranch_execz .LBB46_323
; %bb.304:
	s_and_saveexec_b32 s5, s4
	s_delay_alu instid0(SALU_CYCLE_1)
	s_xor_b32 s4, exec_lo, s5
; %bb.305:
	v_lshrrev_b32_e32 v2, 31, v5
	s_delay_alu instid0(VALU_DEP_1) | instskip(NEXT) | instid1(VALU_DEP_1)
	v_add_co_u32 v2, s5, v2, -1
	v_add_co_ci_u32_e64 v3, null, 0, -1, s5
	s_delay_alu instid0(VALU_DEP_2) | instskip(NEXT) | instid1(VALU_DEP_2)
	v_xor_b32_e32 v6, v2, v4
	v_or_b32_e32 v3, 0x80000000, v3
	s_delay_alu instid0(VALU_DEP_1)
	v_xor_b32_e32 v7, v3, v5
; %bb.306:
	s_or_b32 exec_lo, exec_lo, s4
	s_and_saveexec_b32 s4, s0
	s_cbranch_execz .LBB46_308
; %bb.307:
	v_dual_mov_b32 v2, 0 :: v_dual_mov_b32 v3, s36
	ds_store_b32 v2, v3 offset:5140
.LBB46_308:
	s_or_b32 exec_lo, exec_lo, s4
	s_waitcnt lgkmcnt(0)
	s_barrier
	buffer_gl0_inv
	s_and_saveexec_b32 s4, s1
	s_cbranch_execz .LBB46_320
; %bb.309:
	v_cmp_u_f64_e32 vcc_lo, v[6:7], v[6:7]
	v_mov_b32_e32 v2, 0
	s_mov_b32 s5, 0
                                        ; implicit-def: $sgpr7
                                        ; implicit-def: $sgpr8
                                        ; implicit-def: $sgpr9
	ds_load_b32 v4, v2 offset:5140
	s_waitcnt lgkmcnt(0)
	v_ashrrev_i32_e32 v5, 31, v4
	s_xor_b32 s6, vcc_lo, -1
	s_set_inst_prefetch_distance 0x1
	s_branch .LBB46_312
	.p2align	6
.LBB46_310:                             ;   in Loop: Header=BB46_312 Depth=1
	s_or_b32 exec_lo, exec_lo, s13
	s_delay_alu instid0(SALU_CYCLE_1)
	s_and_not1_b32 s1, s9, exec_lo
	s_and_b32 s9, s11, exec_lo
	s_and_not1_b32 s8, s8, exec_lo
	s_and_b32 s11, s12, exec_lo
	s_or_b32 s9, s1, s9
	s_or_b32 s8, s8, s11
.LBB46_311:                             ;   in Loop: Header=BB46_312 Depth=1
	s_or_b32 exec_lo, exec_lo, s10
	s_delay_alu instid0(SALU_CYCLE_1) | instskip(NEXT) | instid1(SALU_CYCLE_1)
	s_and_b32 s1, exec_lo, s8
	s_or_b32 s5, s1, s5
	s_and_not1_b32 s1, s7, exec_lo
	s_and_b32 s7, s9, exec_lo
	s_delay_alu instid0(SALU_CYCLE_1)
	s_or_b32 s7, s1, s7
	s_and_not1_b32 exec_lo, exec_lo, s5
	s_cbranch_execz .LBB46_315
.LBB46_312:                             ; =>This Inner Loop Header: Depth=1
	v_dual_mov_b32 v3, v1 :: v_dual_mov_b32 v2, v0
	s_or_b32 s9, s9, exec_lo
	s_or_b32 s8, s8, exec_lo
	s_mov_b32 s10, exec_lo
                                        ; implicit-def: $vgpr0_vgpr1
	s_delay_alu instid0(VALU_DEP_1)
	v_cmpx_lt_i64_e64 v[2:3], v[4:5]
	s_cbranch_execz .LBB46_311
; %bb.313:                              ;   in Loop: Header=BB46_312 Depth=1
	global_load_b64 v[0:1], v[16:17], off
	s_mov_b32 s12, -1
	s_waitcnt vmcnt(0)
	v_cmp_o_f64_e32 vcc_lo, v[0:1], v[0:1]
	v_cmp_neq_f64_e64 s1, v[0:1], v[6:7]
                                        ; implicit-def: $vgpr0_vgpr1
	s_or_b32 s11, vcc_lo, s6
	s_delay_alu instid0(VALU_DEP_1) | instid1(SALU_CYCLE_1)
	s_and_b32 s1, s1, s11
	s_mov_b32 s11, 0
	s_and_saveexec_b32 s13, s1
	s_cbranch_execz .LBB46_310
; %bb.314:                              ;   in Loop: Header=BB46_312 Depth=1
	v_add_co_u32 v0, vcc_lo, v2, s27
	v_add_co_ci_u32_e32 v1, vcc_lo, 0, v3, vcc_lo
	v_add_co_u32 v16, s1, v16, s70
	s_mov_b32 s11, exec_lo
	s_delay_alu instid0(VALU_DEP_2)
	v_cmp_le_i64_e32 vcc_lo, s[36:37], v[0:1]
	v_add_co_ci_u32_e64 v17, s1, s71, v17, s1
	s_or_not1_b32 s12, vcc_lo, exec_lo
	s_branch .LBB46_310
.LBB46_315:
	s_set_inst_prefetch_distance 0x2
	s_or_b32 exec_lo, exec_lo, s5
	s_xor_b32 s1, s7, -1
	s_delay_alu instid0(SALU_CYCLE_1) | instskip(NEXT) | instid1(SALU_CYCLE_1)
	s_and_saveexec_b32 s5, s1
	s_xor_b32 s5, exec_lo, s5
	s_cbranch_execz .LBB46_320
; %bb.316:
	s_mov_b32 s5, exec_lo
	s_brev_b32 s1, -2
.LBB46_317:                             ; =>This Inner Loop Header: Depth=1
	s_ctz_i32_b32 s6, s5
	s_delay_alu instid0(SALU_CYCLE_1) | instskip(SKIP_1) | instid1(SALU_CYCLE_1)
	v_readlane_b32 s7, v2, s6
	s_lshl_b32 s6, 1, s6
	s_and_not1_b32 s5, s5, s6
	s_delay_alu instid0(VALU_DEP_1)
	s_min_i32 s1, s1, s7
	s_cmp_lg_u32 s5, 0
	s_cbranch_scc1 .LBB46_317
; %bb.318:
	v_mbcnt_lo_u32_b32 v0, exec_lo, 0
	s_mov_b32 s5, exec_lo
	s_delay_alu instid0(VALU_DEP_1)
	v_cmpx_eq_u32_e32 0, v0
	s_xor_b32 s5, exec_lo, s5
	s_cbranch_execz .LBB46_320
; %bb.319:
	v_dual_mov_b32 v0, 0 :: v_dual_mov_b32 v1, s1
	ds_min_i32 v0, v1 offset:5140
.LBB46_320:
	s_or_b32 exec_lo, exec_lo, s4
	s_waitcnt lgkmcnt(0)
	s_barrier
	buffer_gl0_inv
	s_and_saveexec_b32 s4, s0
	s_cbranch_execz .LBB46_322
; %bb.321:
	s_mul_i32 s0, s56, s47
	s_mul_hi_u32 s1, s56, s46
	v_readlane_b32 s16, v52, 0
	s_add_i32 s0, s1, s0
	s_mul_i32 s1, s57, s46
	v_readlane_b32 s17, v52, 1
	s_mul_i32 s5, s56, s46
	s_add_i32 s0, s0, s1
	s_sub_u32 s5, s26, s5
	s_subb_u32 s0, 0, s0
	s_mul_i32 s1, s5, s17
	s_mul_hi_u32 s6, s5, s16
	s_mul_i32 s0, s0, s16
	s_add_i32 s1, s6, s1
	s_mul_i32 s6, s40, s29
	s_mul_hi_u32 s7, s40, s28
	s_add_i32 s1, s1, s0
	s_add_i32 s0, s7, s6
	s_mul_i32 s6, s41, s28
	s_mul_i32 s7, s40, s28
	s_add_i32 s0, s0, s6
	s_sub_u32 s6, s34, s7
	s_subb_u32 s0, s35, s0
	s_mul_i32 s7, s6, s55
	s_mul_hi_u32 s8, s6, s54
	s_mul_i32 s0, s0, s54
	s_add_i32 s7, s8, s7
	s_mul_i32 s8, s40, s53
	s_mul_hi_u32 s9, s40, s52
	s_add_i32 s7, s7, s0
	s_add_i32 s0, s9, s8
	s_mul_i32 s8, s41, s52
	s_mul_i32 s10, s34, s31
	s_mul_hi_u32 s11, s34, s30
	v_readlane_b32 s18, v52, 6
	s_add_i32 s9, s0, s8
	s_add_i32 s0, s11, s10
	s_mul_i32 s8, s35, s30
	v_readlane_b32 s19, v52, 7
	s_mul_i32 s10, s34, s30
	s_add_i32 s0, s0, s8
	s_sub_u32 s10, s26, s10
	s_subb_u32 s0, 0, s0
	s_mul_i32 s8, s10, s19
	s_mul_hi_u32 s11, s10, s18
	s_mul_i32 s0, s0, s18
	s_add_i32 s8, s11, s8
	s_mul_i32 s12, s62, s45
	s_mul_hi_u32 s13, s62, s44
	v_readlane_b32 s20, v52, 2
	s_add_i32 s11, s8, s0
	s_add_i32 s0, s13, s12
	s_mul_i32 s8, s63, s44
	v_readlane_b32 s22, v52, 4
	v_readlane_b32 s23, v52, 5
	v_mov_b32_e32 v2, 0
	s_mul_i32 s12, s62, s44
	s_add_i32 s0, s0, s8
	v_readlane_b32 s21, v52, 3
	s_sub_u32 s12, s56, s12
	ds_load_b32 v0, v2 offset:5140
	s_mul_i32 s13, s12, s23
	s_mul_hi_u32 s14, s12, s22
	s_subb_u32 s0, s57, s0
	s_add_i32 s13, s14, s13
	s_mul_i32 s14, s62, s21
	s_mul_hi_u32 s15, s62, s20
	v_readlane_b32 s24, v52, 10
	s_mul_i32 s8, s40, s52
	v_readlane_b32 s25, v52, 11
	s_mul_i32 s0, s0, s22
	s_add_i32 s14, s15, s14
	s_mul_i32 s15, s63, s20
	s_lshl_b64 s[8:9], s[8:9], 3
	s_mul_i32 s6, s6, s54
	s_add_i32 s13, s13, s0
	s_add_i32 s15, s14, s15
	s_add_u32 s0, s24, s8
	s_addc_u32 s8, s25, s9
	s_lshl_b64 s[6:7], s[6:7], 3
	s_mul_i32 s10, s10, s18
	s_add_u32 s0, s0, s6
	s_addc_u32 s8, s8, s7
	s_lshl_b64 s[6:7], s[10:11], 3
	v_readlane_b32 s10, v52, 8
	s_mul_i32 s14, s62, s20
	v_readlane_b32 s11, v52, 9
	s_add_u32 s6, s0, s6
	s_addc_u32 s7, s8, s7
	s_lshl_b64 s[8:9], s[14:15], 3
	s_mul_i32 s12, s12, s22
	s_add_u32 s10, s10, s8
	s_addc_u32 s11, s11, s9
	s_lshl_b64 s[8:9], s[12:13], 3
	s_mul_i32 s0, s5, s16
	s_add_u32 s5, s10, s8
	s_addc_u32 s8, s11, s9
	s_lshl_b64 s[0:1], s[0:1], 3
	s_waitcnt lgkmcnt(0)
	v_ashrrev_i32_e32 v1, 31, v0
	s_add_u32 s0, s5, s0
	s_addc_u32 s1, s8, s1
	s_clause 0x1
	global_store_b64 v2, v[0:1], s[0:1]
	global_store_b64 v2, v[6:7], s[6:7]
.LBB46_322:
	s_or_b32 exec_lo, exec_lo, s4
.LBB46_323:
	s_or_saveexec_b32 s0, s3
	s_mov_b32 s1, 0
	s_xor_b32 exec_lo, exec_lo, s0
	s_cbranch_execnz .LBB46_331
.LBB46_324:
	s_or_b32 exec_lo, exec_lo, s0
	s_delay_alu instid0(SALU_CYCLE_1)
	s_and_b32 s3, s1, exec_lo
.LBB46_325:
	s_and_not1_saveexec_b32 s0, s2
	s_cbranch_execnz .LBB46_329
; %bb.326:
	s_or_b32 exec_lo, exec_lo, s0
	s_and_saveexec_b32 s0, s3
.LBB46_327:
	; divergent unreachable
.LBB46_328:
	s_nop 0
	s_sendmsg sendmsg(MSG_DEALLOC_VGPRS)
	s_endpgm
.LBB46_329:
	s_cbranch_execnz .LBB46_333
; %bb.330:
	s_or_b32 s3, s3, exec_lo
	s_or_b32 exec_lo, exec_lo, s0
	s_and_saveexec_b32 s0, s3
	s_cbranch_execnz .LBB46_327
	s_branch .LBB46_328
.LBB46_331:
	s_cbranch_execnz .LBB46_335
; %bb.332:
	s_mov_b32 s1, exec_lo
	s_branch .LBB46_324
.LBB46_333:
	s_trap 2
	s_sendmsg_rtn_b32 s0, sendmsg(MSG_RTN_GET_DOORBELL)
	s_mov_b32 ttmp2, m0
	s_waitcnt lgkmcnt(0)
	s_and_b32 s0, s0, 0x3ff
	s_delay_alu instid0(SALU_CYCLE_1) | instskip(NEXT) | instid1(SALU_CYCLE_1)
	s_bitset1_b32 s0, 10
	s_mov_b32 m0, s0
	s_sendmsg sendmsg(MSG_INTERRUPT)
	s_mov_b32 m0, ttmp2
.LBB46_334:                             ; =>This Inner Loop Header: Depth=1
	s_sethalt 5
	s_branch .LBB46_334
.LBB46_335:
	s_trap 2
	s_sendmsg_rtn_b32 s0, sendmsg(MSG_RTN_GET_DOORBELL)
	s_mov_b32 ttmp2, m0
	s_waitcnt lgkmcnt(0)
	s_and_b32 s0, s0, 0x3ff
	s_delay_alu instid0(SALU_CYCLE_1) | instskip(NEXT) | instid1(SALU_CYCLE_1)
	s_bitset1_b32 s0, 10
	s_mov_b32 m0, s0
	s_sendmsg sendmsg(MSG_INTERRUPT)
	s_mov_b32 m0, ttmp2
.LBB46_336:                             ; =>This Inner Loop Header: Depth=1
	s_sethalt 5
	s_branch .LBB46_336
	.section	.rodata,"a",@progbits
	.p2align	6, 0x0
	.amdhsa_kernel _ZN2at6native12_GLOBAL__N_114gatherKthValueIdlLi3EEEvNS_4cuda6detail10TensorInfoIKT_T0_EES8_S8_S8_S8_NS5_IS6_S8_EENS5_IlS8_EE
		.amdhsa_group_segment_fixed_size 5144
		.amdhsa_private_segment_fixed_size 0
		.amdhsa_kernarg_size 1536
		.amdhsa_user_sgpr_count 13
		.amdhsa_user_sgpr_dispatch_ptr 0
		.amdhsa_user_sgpr_queue_ptr 0
		.amdhsa_user_sgpr_kernarg_segment_ptr 1
		.amdhsa_user_sgpr_dispatch_id 0
		.amdhsa_user_sgpr_private_segment_size 0
		.amdhsa_wavefront_size32 1
		.amdhsa_uses_dynamic_stack 0
		.amdhsa_enable_private_segment 0
		.amdhsa_system_sgpr_workgroup_id_x 1
		.amdhsa_system_sgpr_workgroup_id_y 1
		.amdhsa_system_sgpr_workgroup_id_z 1
		.amdhsa_system_sgpr_workgroup_info 0
		.amdhsa_system_vgpr_workitem_id 0
		.amdhsa_next_free_vgpr 53
		.amdhsa_next_free_sgpr 105
		.amdhsa_reserve_vcc 1
		.amdhsa_float_round_mode_32 0
		.amdhsa_float_round_mode_16_64 0
		.amdhsa_float_denorm_mode_32 3
		.amdhsa_float_denorm_mode_16_64 3
		.amdhsa_dx10_clamp 1
		.amdhsa_ieee_mode 1
		.amdhsa_fp16_overflow 0
		.amdhsa_workgroup_processor_mode 1
		.amdhsa_memory_ordered 1
		.amdhsa_forward_progress 0
		.amdhsa_shared_vgpr_count 0
		.amdhsa_exception_fp_ieee_invalid_op 0
		.amdhsa_exception_fp_denorm_src 0
		.amdhsa_exception_fp_ieee_div_zero 0
		.amdhsa_exception_fp_ieee_overflow 0
		.amdhsa_exception_fp_ieee_underflow 0
		.amdhsa_exception_fp_ieee_inexact 0
		.amdhsa_exception_int_div_zero 0
	.end_amdhsa_kernel
	.section	.text._ZN2at6native12_GLOBAL__N_114gatherKthValueIdlLi3EEEvNS_4cuda6detail10TensorInfoIKT_T0_EES8_S8_S8_S8_NS5_IS6_S8_EENS5_IlS8_EE,"axG",@progbits,_ZN2at6native12_GLOBAL__N_114gatherKthValueIdlLi3EEEvNS_4cuda6detail10TensorInfoIKT_T0_EES8_S8_S8_S8_NS5_IS6_S8_EENS5_IlS8_EE,comdat
.Lfunc_end46:
	.size	_ZN2at6native12_GLOBAL__N_114gatherKthValueIdlLi3EEEvNS_4cuda6detail10TensorInfoIKT_T0_EES8_S8_S8_S8_NS5_IS6_S8_EENS5_IlS8_EE, .Lfunc_end46-_ZN2at6native12_GLOBAL__N_114gatherKthValueIdlLi3EEEvNS_4cuda6detail10TensorInfoIKT_T0_EES8_S8_S8_S8_NS5_IS6_S8_EENS5_IlS8_EE
                                        ; -- End function
	.section	.AMDGPU.csdata,"",@progbits
; Kernel info:
; codeLenInByte = 23516
; NumSgprs: 107
; NumVgprs: 53
; ScratchSize: 0
; MemoryBound: 0
; FloatMode: 240
; IeeeMode: 1
; LDSByteSize: 5144 bytes/workgroup (compile time only)
; SGPRBlocks: 13
; VGPRBlocks: 6
; NumSGPRsForWavesPerEU: 107
; NumVGPRsForWavesPerEU: 53
; Occupancy: 16
; WaveLimiterHint : 1
; COMPUTE_PGM_RSRC2:SCRATCH_EN: 0
; COMPUTE_PGM_RSRC2:USER_SGPR: 13
; COMPUTE_PGM_RSRC2:TRAP_HANDLER: 0
; COMPUTE_PGM_RSRC2:TGID_X_EN: 1
; COMPUTE_PGM_RSRC2:TGID_Y_EN: 1
; COMPUTE_PGM_RSRC2:TGID_Z_EN: 1
; COMPUTE_PGM_RSRC2:TIDIG_COMP_CNT: 0
	.section	.text._ZN2at6native12_GLOBAL__N_114gatherKthValueIdlLin1EEEvNS_4cuda6detail10TensorInfoIKT_T0_EES8_S8_S8_S8_NS5_IS6_S8_EENS5_IlS8_EE,"axG",@progbits,_ZN2at6native12_GLOBAL__N_114gatherKthValueIdlLin1EEEvNS_4cuda6detail10TensorInfoIKT_T0_EES8_S8_S8_S8_NS5_IS6_S8_EENS5_IlS8_EE,comdat
	.globl	_ZN2at6native12_GLOBAL__N_114gatherKthValueIdlLin1EEEvNS_4cuda6detail10TensorInfoIKT_T0_EES8_S8_S8_S8_NS5_IS6_S8_EENS5_IlS8_EE ; -- Begin function _ZN2at6native12_GLOBAL__N_114gatherKthValueIdlLin1EEEvNS_4cuda6detail10TensorInfoIKT_T0_EES8_S8_S8_S8_NS5_IS6_S8_EENS5_IlS8_EE
	.p2align	8
	.type	_ZN2at6native12_GLOBAL__N_114gatherKthValueIdlLin1EEEvNS_4cuda6detail10TensorInfoIKT_T0_EES8_S8_S8_S8_NS5_IS6_S8_EENS5_IlS8_EE,@function
_ZN2at6native12_GLOBAL__N_114gatherKthValueIdlLin1EEEvNS_4cuda6detail10TensorInfoIKT_T0_EES8_S8_S8_S8_NS5_IS6_S8_EENS5_IlS8_EE: ; @_ZN2at6native12_GLOBAL__N_114gatherKthValueIdlLin1EEEvNS_4cuda6detail10TensorInfoIKT_T0_EES8_S8_S8_S8_NS5_IS6_S8_EENS5_IlS8_EE
; %bb.0:
	s_clause 0x1
	s_load_b64 s[8:9], s[0:1], 0x500
	s_load_b256 s[36:43], s[0:1], 0x1a0
	s_add_u32 s6, s0, 0x500
	s_addc_u32 s7, s1, 0
	s_mov_b32 s5, 0
	s_waitcnt lgkmcnt(0)
	s_mul_i32 s2, s9, s15
	s_delay_alu instid0(SALU_CYCLE_1) | instskip(NEXT) | instid1(SALU_CYCLE_1)
	s_add_i32 s2, s2, s14
	s_mul_i32 s2, s2, s8
	s_delay_alu instid0(SALU_CYCLE_1) | instskip(NEXT) | instid1(SALU_CYCLE_1)
	s_add_i32 s4, s2, s13
	v_cmp_ge_i64_e64 s2, s[4:5], s[40:41]
	s_delay_alu instid0(VALU_DEP_1)
	s_and_b32 vcc_lo, exec_lo, s2
	s_cbranch_vccnz .LBB47_328
; %bb.1:
	s_load_b32 s9, s[0:1], 0x198
	s_mov_b64 s[2:3], 0
	s_mov_b64 s[10:11], s[4:5]
	s_waitcnt lgkmcnt(0)
	s_cmp_lt_i32 s9, 2
	s_cbranch_scc1 .LBB47_9
; %bb.2:
	s_mov_b32 s14, 0
	s_add_i32 s2, s9, -1
	s_mov_b32 s3, s14
	s_add_i32 s9, s9, 1
	s_lshl_b64 s[10:11], s[2:3], 3
	s_mov_b64 s[2:3], 0
	s_add_u32 s10, s10, s0
	s_addc_u32 s11, s11, s1
	s_add_u32 s16, s10, 8
	s_addc_u32 s17, s11, 0
	s_mov_b64 s[18:19], s[4:5]
.LBB47_3:                               ; =>This Inner Loop Header: Depth=1
	s_load_b64 s[20:21], s[16:17], 0x0
	s_mov_b32 s12, -1
	s_waitcnt lgkmcnt(0)
	s_or_b64 s[10:11], s[18:19], s[20:21]
	s_delay_alu instid0(SALU_CYCLE_1) | instskip(NEXT) | instid1(SALU_CYCLE_1)
	s_mov_b32 s15, s11
                                        ; implicit-def: $sgpr10_sgpr11
	s_cmp_lg_u64 s[14:15], 0
	s_cbranch_scc0 .LBB47_5
; %bb.4:                                ;   in Loop: Header=BB47_3 Depth=1
	s_ashr_i32 s10, s21, 31
	s_delay_alu instid0(SALU_CYCLE_1) | instskip(SKIP_2) | instid1(SALU_CYCLE_1)
	s_add_u32 s22, s20, s10
	s_mov_b32 s11, s10
	s_addc_u32 s23, s21, s10
	s_xor_b64 s[22:23], s[22:23], s[10:11]
	s_delay_alu instid0(SALU_CYCLE_1)
	v_cvt_f32_u32_e32 v1, s22
	v_cvt_f32_u32_e32 v2, s23
	s_sub_u32 s24, 0, s22
	s_subb_u32 s25, 0, s23
	s_waitcnt_depctr 0xfff
	v_fmac_f32_e32 v1, 0x4f800000, v2
	s_delay_alu instid0(VALU_DEP_1) | instskip(SKIP_2) | instid1(VALU_DEP_1)
	v_rcp_f32_e32 v1, v1
	s_waitcnt_depctr 0xfff
	v_mul_f32_e32 v1, 0x5f7ffffc, v1
	v_mul_f32_e32 v2, 0x2f800000, v1
	s_delay_alu instid0(VALU_DEP_1) | instskip(NEXT) | instid1(VALU_DEP_1)
	v_trunc_f32_e32 v2, v2
	v_fmac_f32_e32 v1, 0xcf800000, v2
	v_cvt_u32_f32_e32 v2, v2
	s_delay_alu instid0(VALU_DEP_2) | instskip(NEXT) | instid1(VALU_DEP_2)
	v_cvt_u32_f32_e32 v1, v1
	v_readfirstlane_b32 s12, v2
	s_delay_alu instid0(VALU_DEP_2) | instskip(NEXT) | instid1(VALU_DEP_2)
	v_readfirstlane_b32 s15, v1
	s_mul_i32 s26, s24, s12
	s_delay_alu instid0(VALU_DEP_1)
	s_mul_hi_u32 s28, s24, s15
	s_mul_i32 s27, s25, s15
	s_add_i32 s26, s28, s26
	s_mul_i32 s29, s24, s15
	s_add_i32 s26, s26, s27
	s_mul_hi_u32 s28, s15, s29
	s_mul_hi_u32 s30, s12, s29
	s_mul_i32 s27, s12, s29
	s_mul_hi_u32 s29, s15, s26
	s_mul_i32 s15, s15, s26
	s_mul_hi_u32 s31, s12, s26
	s_add_u32 s15, s28, s15
	s_addc_u32 s28, 0, s29
	s_add_u32 s15, s15, s27
	s_mul_i32 s26, s12, s26
	s_addc_u32 s15, s28, s30
	s_addc_u32 s27, s31, 0
	s_add_u32 s15, s15, s26
	s_addc_u32 s26, 0, s27
	v_add_co_u32 v1, s15, v1, s15
	s_delay_alu instid0(VALU_DEP_1) | instskip(SKIP_1) | instid1(VALU_DEP_1)
	s_cmp_lg_u32 s15, 0
	s_addc_u32 s12, s12, s26
	v_readfirstlane_b32 s15, v1
	s_mul_i32 s26, s24, s12
	s_delay_alu instid0(VALU_DEP_1)
	s_mul_hi_u32 s27, s24, s15
	s_mul_i32 s25, s25, s15
	s_add_i32 s26, s27, s26
	s_mul_i32 s24, s24, s15
	s_add_i32 s26, s26, s25
	s_mul_hi_u32 s27, s12, s24
	s_mul_i32 s28, s12, s24
	s_mul_hi_u32 s24, s15, s24
	s_mul_hi_u32 s29, s15, s26
	s_mul_i32 s15, s15, s26
	s_mul_hi_u32 s25, s12, s26
	s_add_u32 s15, s24, s15
	s_addc_u32 s24, 0, s29
	s_add_u32 s15, s15, s28
	s_mul_i32 s26, s12, s26
	s_addc_u32 s15, s24, s27
	s_addc_u32 s24, s25, 0
	s_add_u32 s15, s15, s26
	s_addc_u32 s24, 0, s24
	v_add_co_u32 v1, s15, v1, s15
	s_delay_alu instid0(VALU_DEP_1) | instskip(SKIP_2) | instid1(VALU_DEP_1)
	s_cmp_lg_u32 s15, 0
	s_addc_u32 s12, s12, s24
	s_ashr_i32 s24, s19, 31
	v_readfirstlane_b32 s15, v1
	s_add_u32 s26, s18, s24
	s_mov_b32 s25, s24
	s_addc_u32 s27, s19, s24
	s_delay_alu instid0(SALU_CYCLE_1) | instskip(NEXT) | instid1(SALU_CYCLE_1)
	s_xor_b64 s[26:27], s[26:27], s[24:25]
	s_mul_i32 s29, s26, s12
	s_mul_hi_u32 s30, s26, s15
	s_mul_hi_u32 s28, s26, s12
	;; [unrolled: 1-line block ×3, first 2 shown]
	s_mul_i32 s15, s27, s15
	s_add_u32 s29, s30, s29
	s_addc_u32 s28, 0, s28
	s_mul_hi_u32 s31, s27, s12
	s_add_u32 s15, s29, s15
	s_mul_i32 s12, s27, s12
	s_addc_u32 s15, s28, s33
	s_addc_u32 s28, s31, 0
	s_add_u32 s12, s15, s12
	s_addc_u32 s15, 0, s28
	s_mul_i32 s31, s22, s12
	s_mul_hi_u32 s28, s22, s12
	s_mul_i32 s30, s22, s15
	v_sub_co_u32 v1, s26, s26, s31
	s_mul_i32 s29, s23, s12
	s_add_i32 s28, s28, s30
	s_delay_alu instid0(SALU_CYCLE_1) | instskip(NEXT) | instid1(VALU_DEP_1)
	s_add_i32 s28, s28, s29
	v_sub_co_u32 v2, s30, v1, s22
	s_sub_i32 s29, s27, s28
	s_cmp_lg_u32 s26, 0
	s_subb_u32 s29, s29, s23
	s_cmp_lg_u32 s30, 0
	v_readfirstlane_b32 s30, v2
	s_subb_u32 s29, s29, 0
	s_delay_alu instid0(SALU_CYCLE_1) | instskip(SKIP_1) | instid1(VALU_DEP_1)
	s_cmp_ge_u32 s29, s23
	s_cselect_b32 s31, -1, 0
	s_cmp_ge_u32 s30, s22
	s_cselect_b32 s30, -1, 0
	s_cmp_eq_u32 s29, s23
	s_cselect_b32 s29, s30, s31
	s_add_u32 s30, s12, 1
	s_addc_u32 s31, s15, 0
	s_add_u32 s33, s12, 2
	s_addc_u32 s34, s15, 0
	s_cmp_lg_u32 s29, 0
	s_cselect_b32 s29, s33, s30
	s_cselect_b32 s30, s34, s31
	s_cmp_lg_u32 s26, 0
	v_readfirstlane_b32 s26, v1
	s_subb_u32 s27, s27, s28
	s_delay_alu instid0(SALU_CYCLE_1) | instskip(SKIP_1) | instid1(VALU_DEP_1)
	s_cmp_ge_u32 s27, s23
	s_cselect_b32 s28, -1, 0
	s_cmp_ge_u32 s26, s22
	s_cselect_b32 s22, -1, 0
	s_cmp_eq_u32 s27, s23
	s_cselect_b32 s22, s22, s28
	s_delay_alu instid0(SALU_CYCLE_1)
	s_cmp_lg_u32 s22, 0
	s_cselect_b32 s23, s30, s15
	s_cselect_b32 s22, s29, s12
	s_xor_b64 s[10:11], s[24:25], s[10:11]
	s_mov_b32 s12, 0
	s_xor_b64 s[22:23], s[22:23], s[10:11]
	s_delay_alu instid0(SALU_CYCLE_1)
	s_sub_u32 s10, s22, s10
	s_subb_u32 s11, s23, s11
.LBB47_5:                               ;   in Loop: Header=BB47_3 Depth=1
	s_and_not1_b32 vcc_lo, exec_lo, s12
	s_cbranch_vccnz .LBB47_7
; %bb.6:                                ;   in Loop: Header=BB47_3 Depth=1
	v_cvt_f32_u32_e32 v1, s20
	s_sub_i32 s11, 0, s20
	s_waitcnt_depctr 0xfff
	v_rcp_iflag_f32_e32 v1, v1
	s_waitcnt_depctr 0xfff
	v_mul_f32_e32 v1, 0x4f7ffffe, v1
	s_delay_alu instid0(VALU_DEP_1) | instskip(NEXT) | instid1(VALU_DEP_1)
	v_cvt_u32_f32_e32 v1, v1
	v_readfirstlane_b32 s10, v1
	s_delay_alu instid0(VALU_DEP_1) | instskip(NEXT) | instid1(SALU_CYCLE_1)
	s_mul_i32 s11, s11, s10
	s_mul_hi_u32 s11, s10, s11
	s_delay_alu instid0(SALU_CYCLE_1) | instskip(NEXT) | instid1(SALU_CYCLE_1)
	s_add_i32 s10, s10, s11
	s_mul_hi_u32 s10, s18, s10
	s_delay_alu instid0(SALU_CYCLE_1) | instskip(SKIP_2) | instid1(SALU_CYCLE_1)
	s_mul_i32 s11, s10, s20
	s_add_i32 s12, s10, 1
	s_sub_i32 s11, s18, s11
	s_sub_i32 s15, s11, s20
	s_cmp_ge_u32 s11, s20
	s_cselect_b32 s10, s12, s10
	s_cselect_b32 s11, s15, s11
	s_add_i32 s12, s10, 1
	s_cmp_ge_u32 s11, s20
	s_mov_b32 s11, s14
	s_cselect_b32 s10, s12, s10
.LBB47_7:                               ;   in Loop: Header=BB47_3 Depth=1
	s_load_b64 s[22:23], s[16:17], 0xc8
	s_mul_i32 s12, s10, s21
	s_mul_hi_u32 s15, s10, s20
	s_mul_i32 s21, s11, s20
	s_add_i32 s12, s15, s12
	s_mul_i32 s15, s10, s20
	s_add_i32 s12, s12, s21
	s_sub_u32 s15, s18, s15
	s_subb_u32 s12, s19, s12
	s_waitcnt lgkmcnt(0)
	s_mul_i32 s12, s22, s12
	s_mul_hi_u32 s18, s22, s15
	s_mul_i32 s19, s23, s15
	s_add_i32 s12, s18, s12
	s_mul_i32 s15, s22, s15
	s_add_i32 s12, s12, s19
	s_add_u32 s2, s15, s2
	s_addc_u32 s3, s12, s3
	s_add_i32 s9, s9, -1
	s_add_u32 s16, s16, -8
	s_addc_u32 s17, s17, -1
	s_cmp_gt_u32 s9, 2
	s_cbranch_scc0 .LBB47_9
; %bb.8:                                ;   in Loop: Header=BB47_3 Depth=1
	s_mov_b64 s[18:19], s[10:11]
	s_branch .LBB47_3
.LBB47_9:
	s_clause 0x1
	s_load_b32 s9, s[0:1], 0x358
	s_load_b64 s[14:15], s[0:1], 0xd0
	s_add_u32 s16, s0, 0x1c0
	s_addc_u32 s17, s1, 0
	s_mov_b64 s[26:27], 0
	s_mov_b64 s[28:29], s[4:5]
	s_waitcnt lgkmcnt(0)
	s_cmp_lt_i32 s9, 2
	s_cbranch_scc1 .LBB47_17
; %bb.10:
	s_mov_b32 s18, 0
	s_add_i32 s20, s9, -1
	s_mov_b32 s21, s18
	s_add_i32 s9, s9, 1
	s_lshl_b64 s[20:21], s[20:21], 3
	s_mov_b64 s[22:23], s[4:5]
	s_add_u32 s12, s20, s16
	s_addc_u32 s19, s21, s17
	s_add_u32 s20, s12, 8
	s_addc_u32 s21, s19, 0
.LBB47_11:                              ; =>This Inner Loop Header: Depth=1
	s_load_b64 s[24:25], s[20:21], 0x0
	s_mov_b32 s12, -1
	s_waitcnt lgkmcnt(0)
	s_or_b64 s[28:29], s[22:23], s[24:25]
	s_delay_alu instid0(SALU_CYCLE_1) | instskip(NEXT) | instid1(SALU_CYCLE_1)
	s_mov_b32 s19, s29
                                        ; implicit-def: $sgpr28_sgpr29
	s_cmp_lg_u64 s[18:19], 0
	s_cbranch_scc0 .LBB47_13
; %bb.12:                               ;   in Loop: Header=BB47_11 Depth=1
	s_ashr_i32 s28, s25, 31
	s_delay_alu instid0(SALU_CYCLE_1) | instskip(SKIP_2) | instid1(SALU_CYCLE_1)
	s_add_u32 s30, s24, s28
	s_mov_b32 s29, s28
	s_addc_u32 s31, s25, s28
	s_xor_b64 s[30:31], s[30:31], s[28:29]
	s_delay_alu instid0(SALU_CYCLE_1)
	v_cvt_f32_u32_e32 v1, s30
	v_cvt_f32_u32_e32 v2, s31
	s_sub_u32 s33, 0, s30
	s_subb_u32 s34, 0, s31
	s_waitcnt_depctr 0xfff
	v_fmac_f32_e32 v1, 0x4f800000, v2
	s_delay_alu instid0(VALU_DEP_1) | instskip(SKIP_2) | instid1(VALU_DEP_1)
	v_rcp_f32_e32 v1, v1
	s_waitcnt_depctr 0xfff
	v_mul_f32_e32 v1, 0x5f7ffffc, v1
	v_mul_f32_e32 v2, 0x2f800000, v1
	s_delay_alu instid0(VALU_DEP_1) | instskip(NEXT) | instid1(VALU_DEP_1)
	v_trunc_f32_e32 v2, v2
	v_fmac_f32_e32 v1, 0xcf800000, v2
	v_cvt_u32_f32_e32 v2, v2
	s_delay_alu instid0(VALU_DEP_2) | instskip(NEXT) | instid1(VALU_DEP_2)
	v_cvt_u32_f32_e32 v1, v1
	v_readfirstlane_b32 s12, v2
	s_delay_alu instid0(VALU_DEP_2) | instskip(NEXT) | instid1(VALU_DEP_2)
	v_readfirstlane_b32 s19, v1
	s_mul_i32 s35, s33, s12
	s_delay_alu instid0(VALU_DEP_1)
	s_mul_hi_u32 s41, s33, s19
	s_mul_i32 s40, s34, s19
	s_add_i32 s35, s41, s35
	s_mul_i32 s44, s33, s19
	s_add_i32 s35, s35, s40
	s_mul_hi_u32 s41, s19, s44
	s_mul_hi_u32 s45, s12, s44
	s_mul_i32 s40, s12, s44
	s_mul_hi_u32 s44, s19, s35
	s_mul_i32 s19, s19, s35
	s_mul_hi_u32 s46, s12, s35
	s_add_u32 s19, s41, s19
	s_addc_u32 s41, 0, s44
	s_add_u32 s19, s19, s40
	s_mul_i32 s35, s12, s35
	s_addc_u32 s19, s41, s45
	s_addc_u32 s40, s46, 0
	s_add_u32 s19, s19, s35
	s_addc_u32 s35, 0, s40
	v_add_co_u32 v1, s19, v1, s19
	s_delay_alu instid0(VALU_DEP_1) | instskip(SKIP_1) | instid1(VALU_DEP_1)
	s_cmp_lg_u32 s19, 0
	s_addc_u32 s12, s12, s35
	v_readfirstlane_b32 s19, v1
	s_mul_i32 s35, s33, s12
	s_delay_alu instid0(VALU_DEP_1)
	s_mul_hi_u32 s40, s33, s19
	s_mul_i32 s34, s34, s19
	s_add_i32 s35, s40, s35
	s_mul_i32 s33, s33, s19
	s_add_i32 s35, s35, s34
	s_mul_hi_u32 s40, s12, s33
	s_mul_i32 s41, s12, s33
	s_mul_hi_u32 s33, s19, s33
	s_mul_hi_u32 s44, s19, s35
	s_mul_i32 s19, s19, s35
	s_mul_hi_u32 s34, s12, s35
	s_add_u32 s19, s33, s19
	s_addc_u32 s33, 0, s44
	s_add_u32 s19, s19, s41
	s_mul_i32 s35, s12, s35
	s_addc_u32 s19, s33, s40
	s_addc_u32 s33, s34, 0
	s_add_u32 s19, s19, s35
	s_addc_u32 s33, 0, s33
	v_add_co_u32 v1, s19, v1, s19
	s_delay_alu instid0(VALU_DEP_1) | instskip(SKIP_2) | instid1(VALU_DEP_1)
	s_cmp_lg_u32 s19, 0
	s_addc_u32 s12, s12, s33
	s_ashr_i32 s34, s23, 31
	v_readfirstlane_b32 s19, v1
	s_add_u32 s40, s22, s34
	s_mov_b32 s35, s34
	s_addc_u32 s41, s23, s34
	s_delay_alu instid0(SALU_CYCLE_1) | instskip(NEXT) | instid1(SALU_CYCLE_1)
	s_xor_b64 s[40:41], s[40:41], s[34:35]
	s_mul_i32 s44, s40, s12
	s_mul_hi_u32 s45, s40, s19
	s_mul_hi_u32 s33, s40, s12
	;; [unrolled: 1-line block ×3, first 2 shown]
	s_mul_i32 s19, s41, s19
	s_add_u32 s44, s45, s44
	s_addc_u32 s33, 0, s33
	s_mul_hi_u32 s46, s41, s12
	s_add_u32 s19, s44, s19
	s_mul_i32 s12, s41, s12
	s_addc_u32 s19, s33, s47
	s_addc_u32 s33, s46, 0
	s_add_u32 s12, s19, s12
	s_addc_u32 s19, 0, s33
	s_mul_i32 s46, s30, s12
	s_mul_hi_u32 s33, s30, s12
	s_mul_i32 s45, s30, s19
	v_sub_co_u32 v1, s40, s40, s46
	s_mul_i32 s44, s31, s12
	s_add_i32 s33, s33, s45
	s_delay_alu instid0(SALU_CYCLE_1) | instskip(NEXT) | instid1(VALU_DEP_1)
	s_add_i32 s33, s33, s44
	v_sub_co_u32 v2, s45, v1, s30
	s_sub_i32 s44, s41, s33
	s_cmp_lg_u32 s40, 0
	s_subb_u32 s44, s44, s31
	s_cmp_lg_u32 s45, 0
	v_readfirstlane_b32 s45, v2
	s_subb_u32 s44, s44, 0
	s_delay_alu instid0(SALU_CYCLE_1) | instskip(SKIP_1) | instid1(VALU_DEP_1)
	s_cmp_ge_u32 s44, s31
	s_cselect_b32 s46, -1, 0
	s_cmp_ge_u32 s45, s30
	s_cselect_b32 s45, -1, 0
	s_cmp_eq_u32 s44, s31
	s_cselect_b32 s44, s45, s46
	s_add_u32 s45, s12, 1
	s_addc_u32 s46, s19, 0
	s_add_u32 s47, s12, 2
	s_addc_u32 s48, s19, 0
	s_cmp_lg_u32 s44, 0
	s_cselect_b32 s44, s47, s45
	s_cselect_b32 s45, s48, s46
	s_cmp_lg_u32 s40, 0
	v_readfirstlane_b32 s40, v1
	s_subb_u32 s33, s41, s33
	s_delay_alu instid0(SALU_CYCLE_1) | instskip(SKIP_1) | instid1(VALU_DEP_1)
	s_cmp_ge_u32 s33, s31
	s_cselect_b32 s41, -1, 0
	s_cmp_ge_u32 s40, s30
	s_cselect_b32 s30, -1, 0
	s_cmp_eq_u32 s33, s31
	s_cselect_b32 s30, s30, s41
	s_delay_alu instid0(SALU_CYCLE_1)
	s_cmp_lg_u32 s30, 0
	s_cselect_b32 s31, s45, s19
	s_cselect_b32 s30, s44, s12
	s_xor_b64 s[28:29], s[34:35], s[28:29]
	s_mov_b32 s12, 0
	s_xor_b64 s[30:31], s[30:31], s[28:29]
	s_delay_alu instid0(SALU_CYCLE_1)
	s_sub_u32 s28, s30, s28
	s_subb_u32 s29, s31, s29
.LBB47_13:                              ;   in Loop: Header=BB47_11 Depth=1
	s_and_not1_b32 vcc_lo, exec_lo, s12
	s_cbranch_vccnz .LBB47_15
; %bb.14:                               ;   in Loop: Header=BB47_11 Depth=1
	v_cvt_f32_u32_e32 v1, s24
	s_sub_i32 s19, 0, s24
	s_waitcnt_depctr 0xfff
	v_rcp_iflag_f32_e32 v1, v1
	s_waitcnt_depctr 0xfff
	v_mul_f32_e32 v1, 0x4f7ffffe, v1
	s_delay_alu instid0(VALU_DEP_1) | instskip(NEXT) | instid1(VALU_DEP_1)
	v_cvt_u32_f32_e32 v1, v1
	v_readfirstlane_b32 s12, v1
	s_delay_alu instid0(VALU_DEP_1) | instskip(NEXT) | instid1(SALU_CYCLE_1)
	s_mul_i32 s19, s19, s12
	s_mul_hi_u32 s19, s12, s19
	s_delay_alu instid0(SALU_CYCLE_1) | instskip(NEXT) | instid1(SALU_CYCLE_1)
	s_add_i32 s12, s12, s19
	s_mul_hi_u32 s12, s22, s12
	s_delay_alu instid0(SALU_CYCLE_1) | instskip(SKIP_2) | instid1(SALU_CYCLE_1)
	s_mul_i32 s19, s12, s24
	s_add_i32 s28, s12, 1
	s_sub_i32 s19, s22, s19
	s_sub_i32 s29, s19, s24
	s_cmp_ge_u32 s19, s24
	s_cselect_b32 s12, s28, s12
	s_cselect_b32 s19, s29, s19
	s_add_i32 s28, s12, 1
	s_cmp_ge_u32 s19, s24
	s_mov_b32 s29, s18
	s_cselect_b32 s28, s28, s12
.LBB47_15:                              ;   in Loop: Header=BB47_11 Depth=1
	s_load_b64 s[30:31], s[20:21], 0xc8
	s_mul_i32 s12, s28, s25
	s_mul_hi_u32 s19, s28, s24
	s_mul_i32 s25, s29, s24
	s_add_i32 s12, s19, s12
	s_mul_i32 s19, s28, s24
	s_add_i32 s12, s12, s25
	s_sub_u32 s19, s22, s19
	s_subb_u32 s12, s23, s12
	s_waitcnt lgkmcnt(0)
	s_mul_i32 s12, s30, s12
	s_mul_hi_u32 s22, s30, s19
	s_mul_i32 s23, s31, s19
	s_add_i32 s12, s22, s12
	s_mul_i32 s19, s30, s19
	s_add_i32 s12, s12, s23
	s_add_u32 s26, s19, s26
	s_addc_u32 s27, s12, s27
	s_add_i32 s9, s9, -1
	s_add_u32 s20, s20, -8
	s_addc_u32 s21, s21, -1
	s_cmp_gt_u32 s9, 2
	s_cbranch_scc0 .LBB47_17
; %bb.16:                               ;   in Loop: Header=BB47_11 Depth=1
	s_mov_b64 s[22:23], s[28:29]
	s_branch .LBB47_11
.LBB47_17:
	s_clause 0x1
	s_load_b32 s9, s[0:1], 0x4f8
	s_load_b64 s[30:31], s[16:17], 0xd0
	s_add_u32 s12, s0, 0x360
	s_addc_u32 s17, s1, 0
	s_mov_b64 s[34:35], 0
	s_waitcnt lgkmcnt(0)
	s_cmp_lt_i32 s9, 2
	s_cbranch_scc1 .LBB47_25
; %bb.18:
	s_mov_b32 s16, 0
	s_add_i32 s18, s9, -1
	s_mov_b32 s19, s16
	s_add_i32 s9, s9, 1
	s_lshl_b64 s[18:19], s[18:19], 3
	s_delay_alu instid0(SALU_CYCLE_1)
	s_add_u32 s12, s18, s12
	s_addc_u32 s17, s19, s17
	s_add_u32 s18, s12, 8
	s_addc_u32 s19, s17, 0
.LBB47_19:                              ; =>This Inner Loop Header: Depth=1
	s_load_b64 s[20:21], s[18:19], 0x0
	s_mov_b32 s12, -1
                                        ; implicit-def: $sgpr40_sgpr41
	s_waitcnt lgkmcnt(0)
	s_or_b64 s[22:23], s[4:5], s[20:21]
	s_delay_alu instid0(SALU_CYCLE_1) | instskip(NEXT) | instid1(SALU_CYCLE_1)
	s_mov_b32 s17, s23
	s_cmp_lg_u64 s[16:17], 0
	s_cbranch_scc0 .LBB47_21
; %bb.20:                               ;   in Loop: Header=BB47_19 Depth=1
	s_ashr_i32 s22, s21, 31
	s_delay_alu instid0(SALU_CYCLE_1) | instskip(SKIP_2) | instid1(SALU_CYCLE_1)
	s_add_u32 s24, s20, s22
	s_mov_b32 s23, s22
	s_addc_u32 s25, s21, s22
	s_xor_b64 s[24:25], s[24:25], s[22:23]
	s_delay_alu instid0(SALU_CYCLE_1)
	v_cvt_f32_u32_e32 v1, s24
	v_cvt_f32_u32_e32 v2, s25
	s_sub_u32 s33, 0, s24
	s_subb_u32 s40, 0, s25
	s_waitcnt_depctr 0xfff
	v_fmac_f32_e32 v1, 0x4f800000, v2
	s_delay_alu instid0(VALU_DEP_1) | instskip(SKIP_2) | instid1(VALU_DEP_1)
	v_rcp_f32_e32 v1, v1
	s_waitcnt_depctr 0xfff
	v_mul_f32_e32 v1, 0x5f7ffffc, v1
	v_mul_f32_e32 v2, 0x2f800000, v1
	s_delay_alu instid0(VALU_DEP_1) | instskip(NEXT) | instid1(VALU_DEP_1)
	v_trunc_f32_e32 v2, v2
	v_fmac_f32_e32 v1, 0xcf800000, v2
	v_cvt_u32_f32_e32 v2, v2
	s_delay_alu instid0(VALU_DEP_2) | instskip(NEXT) | instid1(VALU_DEP_2)
	v_cvt_u32_f32_e32 v1, v1
	v_readfirstlane_b32 s12, v2
	s_delay_alu instid0(VALU_DEP_2) | instskip(NEXT) | instid1(VALU_DEP_2)
	v_readfirstlane_b32 s17, v1
	s_mul_i32 s41, s33, s12
	s_delay_alu instid0(VALU_DEP_1)
	s_mul_hi_u32 s45, s33, s17
	s_mul_i32 s44, s40, s17
	s_add_i32 s41, s45, s41
	s_mul_i32 s46, s33, s17
	s_add_i32 s41, s41, s44
	s_mul_hi_u32 s45, s17, s46
	s_mul_hi_u32 s47, s12, s46
	s_mul_i32 s44, s12, s46
	s_mul_hi_u32 s46, s17, s41
	s_mul_i32 s17, s17, s41
	s_mul_hi_u32 s48, s12, s41
	s_add_u32 s17, s45, s17
	s_addc_u32 s45, 0, s46
	s_add_u32 s17, s17, s44
	s_mul_i32 s41, s12, s41
	s_addc_u32 s17, s45, s47
	s_addc_u32 s44, s48, 0
	s_add_u32 s17, s17, s41
	s_addc_u32 s41, 0, s44
	v_add_co_u32 v1, s17, v1, s17
	s_delay_alu instid0(VALU_DEP_1) | instskip(SKIP_1) | instid1(VALU_DEP_1)
	s_cmp_lg_u32 s17, 0
	s_addc_u32 s12, s12, s41
	v_readfirstlane_b32 s17, v1
	s_mul_i32 s41, s33, s12
	s_delay_alu instid0(VALU_DEP_1)
	s_mul_hi_u32 s44, s33, s17
	s_mul_i32 s40, s40, s17
	s_add_i32 s41, s44, s41
	s_mul_i32 s33, s33, s17
	s_add_i32 s41, s41, s40
	s_mul_hi_u32 s44, s12, s33
	s_mul_i32 s45, s12, s33
	s_mul_hi_u32 s33, s17, s33
	s_mul_hi_u32 s46, s17, s41
	s_mul_i32 s17, s17, s41
	s_mul_hi_u32 s40, s12, s41
	s_add_u32 s17, s33, s17
	s_addc_u32 s33, 0, s46
	s_add_u32 s17, s17, s45
	s_mul_i32 s41, s12, s41
	s_addc_u32 s17, s33, s44
	s_addc_u32 s33, s40, 0
	s_add_u32 s17, s17, s41
	s_addc_u32 s33, 0, s33
	v_add_co_u32 v1, s17, v1, s17
	s_delay_alu instid0(VALU_DEP_1) | instskip(SKIP_2) | instid1(VALU_DEP_1)
	s_cmp_lg_u32 s17, 0
	s_addc_u32 s12, s12, s33
	s_ashr_i32 s40, s5, 31
	v_readfirstlane_b32 s17, v1
	s_add_u32 s44, s4, s40
	s_mov_b32 s41, s40
	s_addc_u32 s45, s5, s40
	s_delay_alu instid0(SALU_CYCLE_1) | instskip(NEXT) | instid1(SALU_CYCLE_1)
	s_xor_b64 s[44:45], s[44:45], s[40:41]
	s_mul_i32 s46, s44, s12
	s_mul_hi_u32 s47, s44, s17
	s_mul_hi_u32 s33, s44, s12
	;; [unrolled: 1-line block ×3, first 2 shown]
	s_mul_i32 s17, s45, s17
	s_add_u32 s46, s47, s46
	s_addc_u32 s33, 0, s33
	s_mul_hi_u32 s48, s45, s12
	s_add_u32 s17, s46, s17
	s_mul_i32 s12, s45, s12
	s_addc_u32 s17, s33, s49
	s_addc_u32 s33, s48, 0
	s_add_u32 s12, s17, s12
	s_addc_u32 s17, 0, s33
	s_mul_i32 s48, s24, s12
	s_mul_hi_u32 s33, s24, s12
	s_mul_i32 s47, s24, s17
	v_sub_co_u32 v1, s44, s44, s48
	s_mul_i32 s46, s25, s12
	s_add_i32 s33, s33, s47
	s_delay_alu instid0(SALU_CYCLE_1) | instskip(NEXT) | instid1(VALU_DEP_1)
	s_add_i32 s33, s33, s46
	v_sub_co_u32 v2, s47, v1, s24
	s_sub_i32 s46, s45, s33
	s_cmp_lg_u32 s44, 0
	s_subb_u32 s46, s46, s25
	s_cmp_lg_u32 s47, 0
	v_readfirstlane_b32 s47, v2
	s_subb_u32 s46, s46, 0
	s_delay_alu instid0(SALU_CYCLE_1) | instskip(SKIP_1) | instid1(VALU_DEP_1)
	s_cmp_ge_u32 s46, s25
	s_cselect_b32 s48, -1, 0
	s_cmp_ge_u32 s47, s24
	s_cselect_b32 s47, -1, 0
	s_cmp_eq_u32 s46, s25
	s_cselect_b32 s46, s47, s48
	s_add_u32 s47, s12, 1
	s_addc_u32 s48, s17, 0
	s_add_u32 s49, s12, 2
	s_addc_u32 s50, s17, 0
	s_cmp_lg_u32 s46, 0
	s_cselect_b32 s46, s49, s47
	s_cselect_b32 s47, s50, s48
	s_cmp_lg_u32 s44, 0
	v_readfirstlane_b32 s44, v1
	s_subb_u32 s33, s45, s33
	s_delay_alu instid0(SALU_CYCLE_1) | instskip(SKIP_1) | instid1(VALU_DEP_1)
	s_cmp_ge_u32 s33, s25
	s_cselect_b32 s45, -1, 0
	s_cmp_ge_u32 s44, s24
	s_cselect_b32 s24, -1, 0
	s_cmp_eq_u32 s33, s25
	s_cselect_b32 s24, s24, s45
	s_delay_alu instid0(SALU_CYCLE_1)
	s_cmp_lg_u32 s24, 0
	s_cselect_b32 s25, s47, s17
	s_cselect_b32 s24, s46, s12
	s_xor_b64 s[22:23], s[40:41], s[22:23]
	s_mov_b32 s12, 0
	s_xor_b64 s[24:25], s[24:25], s[22:23]
	s_delay_alu instid0(SALU_CYCLE_1)
	s_sub_u32 s40, s24, s22
	s_subb_u32 s41, s25, s23
.LBB47_21:                              ;   in Loop: Header=BB47_19 Depth=1
	s_and_not1_b32 vcc_lo, exec_lo, s12
	s_cbranch_vccnz .LBB47_23
; %bb.22:                               ;   in Loop: Header=BB47_19 Depth=1
	v_cvt_f32_u32_e32 v1, s20
	s_sub_i32 s17, 0, s20
	s_mov_b32 s41, s16
	s_waitcnt_depctr 0xfff
	v_rcp_iflag_f32_e32 v1, v1
	s_waitcnt_depctr 0xfff
	v_mul_f32_e32 v1, 0x4f7ffffe, v1
	s_delay_alu instid0(VALU_DEP_1) | instskip(NEXT) | instid1(VALU_DEP_1)
	v_cvt_u32_f32_e32 v1, v1
	v_readfirstlane_b32 s12, v1
	s_delay_alu instid0(VALU_DEP_1) | instskip(NEXT) | instid1(SALU_CYCLE_1)
	s_mul_i32 s17, s17, s12
	s_mul_hi_u32 s17, s12, s17
	s_delay_alu instid0(SALU_CYCLE_1) | instskip(NEXT) | instid1(SALU_CYCLE_1)
	s_add_i32 s12, s12, s17
	s_mul_hi_u32 s12, s4, s12
	s_delay_alu instid0(SALU_CYCLE_1) | instskip(SKIP_2) | instid1(SALU_CYCLE_1)
	s_mul_i32 s17, s12, s20
	s_add_i32 s22, s12, 1
	s_sub_i32 s17, s4, s17
	s_sub_i32 s23, s17, s20
	s_cmp_ge_u32 s17, s20
	s_cselect_b32 s12, s22, s12
	s_cselect_b32 s17, s23, s17
	s_add_i32 s22, s12, 1
	s_cmp_ge_u32 s17, s20
	s_cselect_b32 s40, s22, s12
.LBB47_23:                              ;   in Loop: Header=BB47_19 Depth=1
	s_load_b64 s[22:23], s[18:19], 0xc8
	s_mul_i32 s12, s40, s21
	s_mul_hi_u32 s17, s40, s20
	s_mul_i32 s21, s41, s20
	s_add_i32 s12, s17, s12
	s_mul_i32 s17, s40, s20
	s_add_i32 s12, s12, s21
	s_sub_u32 s4, s4, s17
	s_subb_u32 s5, s5, s12
	s_waitcnt lgkmcnt(0)
	s_mul_i32 s5, s22, s5
	s_mul_hi_u32 s12, s22, s4
	s_mul_i32 s17, s23, s4
	s_add_i32 s5, s12, s5
	s_mul_i32 s4, s22, s4
	s_add_i32 s5, s5, s17
	s_add_u32 s34, s4, s34
	s_addc_u32 s35, s5, s35
	s_add_i32 s9, s9, -1
	s_add_u32 s18, s18, -8
	s_addc_u32 s19, s19, -1
	s_cmp_gt_u32 s9, 2
	s_cbranch_scc0 .LBB47_26
; %bb.24:                               ;   in Loop: Header=BB47_19 Depth=1
	s_mov_b64 s[4:5], s[40:41]
	s_branch .LBB47_19
.LBB47_25:
	s_mov_b64 s[40:41], s[4:5]
.LBB47_26:
	s_clause 0x3
	s_load_b64 s[16:17], s[0:1], 0x0
	s_load_b64 s[48:49], s[0:1], 0x1c0
	s_load_b64 s[46:47], s[0:1], 0x430
	s_load_b64 s[44:45], s[0:1], 0x360
	v_cmp_eq_u32_e64 s0, 0, v0
	s_mov_b32 s51, 0
	s_delay_alu instid0(VALU_DEP_1)
	s_and_saveexec_b32 s1, s0
	s_cbranch_execz .LBB47_28
; %bb.27:
	v_dual_mov_b32 v1, 0 :: v_dual_mov_b32 v4, s37
	s_delay_alu instid0(VALU_DEP_1)
	v_dual_mov_b32 v3, s36 :: v_dual_mov_b32 v2, v1
	ds_store_b32 v1, v1 offset:5136
	ds_store_b128 v1, v[1:4] offset:5120
.LBB47_28:
	s_or_b32 exec_lo, exec_lo, s1
	s_mul_i32 s1, s14, s11
	s_mul_hi_u32 s4, s14, s10
	v_dual_mov_b32 v19, 0 :: v_dual_lshlrev_b32 v22, 2, v0
	s_add_i32 s1, s4, s1
	s_mul_i32 s4, s15, s10
	s_waitcnt lgkmcnt(0)
	s_add_i32 s5, s1, s4
	s_mul_i32 s4, s14, s10
	s_barrier
	s_lshl_b64 s[10:11], s[4:5], 3
	buffer_gl0_inv
	s_load_b32 s5, s[6:7], 0xc
	v_dual_mov_b32 v23, v19 :: v_dual_lshlrev_b32 v48, 5, v0
	s_lshl_b64 s[54:55], s[2:3], 3
	s_add_u32 s14, s16, s10
	v_mbcnt_lo_u32_b32 v44, -1, 0
	v_lshrrev_b32_e32 v6, 3, v0
	v_or_b32_e32 v11, 24, v48
	s_addc_u32 s15, s17, s11
	v_mad_u64_u32 v[2:3], null, v0, s42, 0
	v_or_b32_e32 v12, 16, v48
	s_delay_alu instid0(VALU_DEP_3)
	v_mad_u64_u32 v[24:25], null, s42, v11, s[14:15]
	v_and_b32_e32 v47, 0x7c, v6
	v_lshlrev_b64 v[6:7], v44, -1
	v_cmp_gt_u32_e32 vcc_lo, 32, v0
	v_cmp_gt_i32_e64 s1, 4, v44
	v_mad_u64_u32 v[26:27], null, s42, v12, s[14:15]
	s_add_u32 s78, s14, s54
	s_addc_u32 s79, s15, s55
	s_waitcnt lgkmcnt(0)
	s_and_b32 s33, s5, 0xffff
	v_lshlrev_b32_e32 v45, 3, v0
	s_and_b32 s80, vcc_lo, s1
	s_bfe_u32 s9, s5, 0xb0005
	v_not_b32_e32 v49, v6
	v_dual_mov_b32 v6, v25 :: v_dual_mov_b32 v1, v3
	v_add_nc_u32_e32 v46, 0xc00, v45
	v_or_b32_e32 v13, 8, v48
	s_add_u32 s82, s33, -1
	s_addc_u32 s83, 0, -1
	s_add_u32 s84, s82, s36
	s_addc_u32 s25, s83, s37
	v_mad_u64_u32 v[3:4], null, v0, s43, v[1:2]
	s_cmp_lt_u32 s13, s8
	v_mad_u64_u32 v[28:29], null, s42, v13, s[14:15]
	v_mov_b32_e32 v7, v27
	s_cselect_b32 s8, 12, 18
	v_mov_b32_e32 v1, v19
	s_add_u32 s56, s6, s8
	s_addc_u32 s57, s7, 0
	s_add_i32 s6, s9, -1
	s_delay_alu instid0(VALU_DEP_3)
	v_mov_b32_e32 v8, v29
	v_mad_u64_u32 v[9:10], null, s43, v11, v[6:7]
	s_bfe_u32 s85, s33, 0x30005
	s_cmp_gt_u32 s6, 6
	v_lshlrev_b64 v[4:5], 3, v[2:3]
	s_cselect_b32 s86, -1, 0
	s_and_b32 s87, s9, 0x7f8
	s_cmp_lg_u32 s85, 0
	v_lshlrev_b64 v[2:3], 5, v[2:3]
	v_cmp_gt_u16_e64 s88, s5, 31
	s_cselect_b32 s89, -1, 0
	s_add_u32 s5, s10, s54
	s_addc_u32 s6, s11, s55
	v_mad_u64_u32 v[10:11], null, s43, v12, v[7:8]
	v_mad_u64_u32 v[6:7], null, s43, v13, v[8:9]
	v_add_co_u32 v20, vcc_lo, s78, v4
	s_add_u32 s58, s16, s5
	v_add_co_u32 v50, s5, s36, v0
	s_addc_u32 s59, s17, s6
	s_lshl_b64 s[60:61], s[42:43], 3
	s_lshl_b64 s[62:63], s[42:43], 5
	v_add_co_ci_u32_e32 v21, vcc_lo, s79, v5, vcc_lo
	v_add_co_ci_u32_e64 v51, null, s37, 0, s5
	s_add_u32 s5, s16, s54
	v_add_co_u32 v30, vcc_lo, s14, v2
	s_addc_u32 s6, s17, s55
	s_add_u32 s5, s5, s10
	v_add_co_ci_u32_e32 v31, vcc_lo, s15, v3, vcc_lo
	s_addc_u32 s9, s6, s11
	v_add_co_u32 v16, vcc_lo, s5, v4
	v_cmp_lt_i64_e64 s81, 0x180, s[36:37]
	v_cmp_gt_u64_e64 s4, s[36:37], v[0:1]
	v_cmp_gt_i64_e64 s1, s[36:37], v[0:1]
	v_mov_b32_e32 v29, v6
	s_mul_i32 s7, s43, s33
	s_mul_hi_u32 s8, s42, s33
	v_mov_b32_e32 v6, 0
	v_cmp_eq_u32_e64 s2, 0, v44
	v_cmp_gt_u32_e64 s3, 2, v0
	v_mov_b32_e32 v25, v9
	v_mov_b32_e32 v27, v10
	v_lshl_or_b32 v52, v44, 3, 0xc00
	v_add_co_ci_u32_e32 v17, vcc_lo, s9, v5, vcc_lo
	v_mov_b32_e32 v7, 0
	v_mov_b32_e32 v3, 0x3ff00000
	v_cvt_f32_ubyte0_e32 v53, 0
	s_add_i32 s7, s8, s7
	s_mul_i32 s6, s42, s33
	s_lshl_b32 s90, s33, 3
	s_lshl_b64 s[52:53], s[6:7], 3
	s_mov_b64 s[64:65], 0
	s_mov_b32 s94, 62
	s_mov_b32 s91, 0
	s_mov_b32 s96, 0
	s_mov_b64 s[66:67], 0
                                        ; implicit-def: $sgpr92
                                        ; implicit-def: $sgpr95
                                        ; implicit-def: $sgpr93
                                        ; implicit-def: $sgpr98
                                        ; implicit-def: $sgpr99
                                        ; implicit-def: $sgpr97
	s_branch .LBB47_33
.LBB47_29:                              ;   in Loop: Header=BB47_33 Depth=1
	s_xor_b32 s96, s96, 1
	s_add_i32 s8, s94, -2
	s_cmp_eq_u32 s94, 0
	s_mov_b32 s5, 0
	s_cselect_b32 s7, -1, 0
	s_mov_b32 s94, s8
.LBB47_30:                              ;   in Loop: Header=BB47_33 Depth=1
	s_and_not1_b32 s8, s50, exec_lo
	s_and_b32 s5, s5, exec_lo
	s_and_not1_b32 s68, s68, exec_lo
	s_or_b32 s50, s8, s5
	s_and_not1_b32 s21, s21, exec_lo
	s_or_not1_b32 s20, s7, exec_lo
.LBB47_31:                              ;   in Loop: Header=BB47_33 Depth=1
	s_or_b32 exec_lo, exec_lo, s6
	s_delay_alu instid0(SALU_CYCLE_1)
	s_and_not1_b32 s5, s97, exec_lo
	s_and_b32 s6, s50, exec_lo
	s_and_not1_b32 s7, s98, exec_lo
	s_or_b32 s97, s5, s6
	s_and_not1_b32 s5, s99, exec_lo
	s_and_b32 s6, s68, exec_lo
	s_and_b32 s8, s21, exec_lo
	s_or_b32 s99, s5, s6
	s_or_b32 s98, s7, s8
	s_or_not1_b32 s50, s20, exec_lo
.LBB47_32:                              ;   in Loop: Header=BB47_33 Depth=1
	s_or_b32 exec_lo, exec_lo, s22
	s_delay_alu instid0(SALU_CYCLE_1)
	s_and_b32 s5, exec_lo, s50
	v_dual_mov_b32 v4, s64 :: v_dual_mov_b32 v5, s65
	s_or_b32 s91, s5, s91
	s_and_not1_b32 s5, s93, exec_lo
	s_and_b32 s6, s97, exec_lo
	s_and_not1_b32 s7, s92, exec_lo
	s_or_b32 s93, s5, s6
	s_and_not1_b32 s5, s95, exec_lo
	s_and_b32 s6, s99, exec_lo
	s_and_b32 s8, s98, exec_lo
	s_or_b32 s95, s5, s6
	s_or_b32 s92, s7, s8
	s_and_not1_b32 exec_lo, exec_lo, s91
	s_cbranch_execz .LBB47_302
.LBB47_33:                              ; =>This Loop Header: Depth=1
                                        ;     Child Loop BB47_41 Depth 2
                                        ;     Child Loop BB47_60 Depth 2
                                        ;     Child Loop BB47_87 Depth 2
                                        ;     Child Loop BB47_91 Depth 2
                                        ;     Child Loop BB47_73 Depth 2
                                        ;     Child Loop BB47_80 Depth 2
                                        ;     Child Loop BB47_100 Depth 2
                                        ;     Child Loop BB47_105 Depth 2
                                        ;     Child Loop BB47_132 Depth 2
                                        ;     Child Loop BB47_117 Depth 2
                                        ;     Child Loop BB47_179 Depth 2
                                        ;     Child Loop BB47_162 Depth 2
                                        ;     Child Loop BB47_226 Depth 2
                                        ;     Child Loop BB47_209 Depth 2
                                        ;     Child Loop BB47_273 Depth 2
                                        ;     Child Loop BB47_256 Depth 2
	ds_load_b128 v[8:11], v19 offset:5120
	s_waitcnt lgkmcnt(0)
	v_readfirstlane_b32 s69, v9
	v_readfirstlane_b32 s68, v8
	s_delay_alu instid0(VALU_DEP_1) | instskip(NEXT) | instid1(VALU_DEP_1)
	v_cmp_gt_i64_e64 s5, s[68:69], 0
	s_and_b32 vcc_lo, exec_lo, s5
	s_cbranch_vccnz .LBB47_67
; %bb.34:                               ;   in Loop: Header=BB47_33 Depth=1
	s_and_b32 vcc_lo, exec_lo, s81
	s_cbranch_vccz .LBB47_49
; %bb.35:                               ;   in Loop: Header=BB47_33 Depth=1
	v_cmp_gt_i64_e32 vcc_lo, 0x181, v[10:11]
	s_mov_b32 s7, 0
	s_mov_b32 s5, 0
	s_cbranch_vccz .LBB47_54
; %bb.36:                               ;   in Loop: Header=BB47_33 Depth=1
	v_mov_b32_e32 v4, 0
	v_mov_b32_e32 v5, 0
	s_and_saveexec_b32 s5, s4
	s_cbranch_execz .LBB47_38
; %bb.37:                               ;   in Loop: Header=BB47_33 Depth=1
	global_load_b64 v[4:5], v[20:21], off
.LBB47_38:                              ;   in Loop: Header=BB47_33 Depth=1
	s_or_b32 exec_lo, exec_lo, s5
	s_and_saveexec_b32 s8, s4
	s_cbranch_execz .LBB47_50
; %bb.39:                               ;   in Loop: Header=BB47_33 Depth=1
	global_load_u16 v11, v19, s[56:57]
	s_mov_b32 s11, 0
	s_waitcnt vmcnt(0)
	v_readfirstlane_b32 s5, v11
	s_delay_alu instid0(VALU_DEP_1) | instskip(NEXT) | instid1(SALU_CYCLE_1)
	s_and_b32 s5, 0xffff, s5
	v_add_nc_u32_e32 v12, s5, v0
	s_mul_i32 s6, s61, s5
	s_mul_hi_u32 s9, s60, s5
	s_mul_i32 s10, s60, s5
	s_add_i32 s9, s9, s6
	v_mad_u64_u32 v[8:9], null, s60, v12, s[58:59]
	s_delay_alu instid0(VALU_DEP_1) | instskip(NEXT) | instid1(VALU_DEP_1)
	v_mov_b32_e32 v2, v9
	v_mad_u64_u32 v[9:10], null, s61, v12, v[2:3]
	v_dual_mov_b32 v11, v1 :: v_dual_and_b32 v2, 0xffff, v11
	v_mov_b32_e32 v10, v0
	s_branch .LBB47_41
.LBB47_40:                              ;   in Loop: Header=BB47_41 Depth=2
	s_or_b32 exec_lo, exec_lo, s6
	v_add_co_u32 v8, vcc_lo, v8, s10
	v_add_co_ci_u32_e32 v9, vcc_lo, s9, v9, vcc_lo
	s_waitcnt vmcnt(0)
	v_dual_mov_b32 v4, v12 :: v_dual_mov_b32 v5, v13
	s_and_not1_b32 exec_lo, exec_lo, s11
	s_cbranch_execz .LBB47_50
.LBB47_41:                              ;   Parent Loop BB47_33 Depth=1
                                        ; =>  This Inner Loop Header: Depth=2
	s_delay_alu instid0(VALU_DEP_1) | instskip(NEXT) | instid1(VALU_DEP_3)
	v_add_co_u32 v10, vcc_lo, v10, v2
	v_add_co_ci_u32_e32 v11, vcc_lo, 0, v11, vcc_lo
	v_mov_b32_e32 v12, 0
	v_mov_b32_e32 v13, 0
	s_mov_b32 s6, exec_lo
	s_delay_alu instid0(VALU_DEP_3)
	v_cmp_le_i64_e32 vcc_lo, s[36:37], v[10:11]
	v_cmpx_gt_i64_e64 s[36:37], v[10:11]
	s_cbranch_execz .LBB47_43
; %bb.42:                               ;   in Loop: Header=BB47_41 Depth=2
	global_load_b64 v[12:13], v[8:9], off
.LBB47_43:                              ;   in Loop: Header=BB47_41 Depth=2
	s_or_b32 exec_lo, exec_lo, s6
	v_cmp_o_f64_e64 s5, v[4:5], v[4:5]
	s_waitcnt lgkmcnt(0)
	v_ashrrev_i32_e32 v14, 31, v5
	s_delay_alu instid0(VALU_DEP_1) | instskip(SKIP_1) | instid1(VALU_DEP_2)
	v_or_b32_e32 v15, 0x80000000, v14
	v_xor_b32_e32 v14, v14, v4
	v_xor_b32_e32 v15, v15, v5
	s_delay_alu instid0(VALU_DEP_1) | instskip(NEXT) | instid1(VALU_DEP_3)
	v_cndmask_b32_e64 v15, -1, v15, s5
	v_cndmask_b32_e64 v14, -1, v14, s5
	s_delay_alu instid0(VALU_DEP_2) | instskip(NEXT) | instid1(VALU_DEP_2)
	v_and_b32_e32 v15, s67, v15
	v_and_b32_e32 v14, s66, v14
	s_delay_alu instid0(VALU_DEP_1) | instskip(SKIP_1) | instid1(VALU_DEP_2)
	v_cmp_eq_u64_e64 s5, s[64:65], v[14:15]
	v_mov_b32_e32 v14, 0
	s_cmp_lg_u32 s5, 0
	s_cselect_b32 s6, -1, 0
	s_delay_alu instid0(SALU_CYCLE_1) | instskip(NEXT) | instid1(SALU_CYCLE_1)
	s_and_b32 s6, s2, s6
	s_and_saveexec_b32 s12, s6
	s_cbranch_execz .LBB47_47
; %bb.44:                               ;   in Loop: Header=BB47_41 Depth=2
	s_mov_b32 s15, exec_lo
	s_bcnt1_i32_b32 s13, s5
	v_mbcnt_lo_u32_b32 v14, s15, 0
	s_mov_b32 s14, exec_lo
                                        ; implicit-def: $vgpr15
	s_delay_alu instid0(VALU_DEP_1)
	v_cmpx_eq_u32_e32 0, v14
	s_cbranch_execz .LBB47_46
; %bb.45:                               ;   in Loop: Header=BB47_41 Depth=2
	s_bcnt1_i32_b32 s6, s15
	s_delay_alu instid0(SALU_CYCLE_1) | instskip(NEXT) | instid1(SALU_CYCLE_1)
	s_mul_i32 s6, s13, s6
	v_mov_b32_e32 v15, s6
	ds_add_rtn_u32 v15, v19, v15 offset:5136
.LBB47_46:                              ;   in Loop: Header=BB47_41 Depth=2
	s_or_b32 exec_lo, exec_lo, s14
	s_waitcnt lgkmcnt(0)
	v_readfirstlane_b32 s6, v15
	s_delay_alu instid0(VALU_DEP_1)
	v_mad_u32_u24 v14, s13, v14, s6
.LBB47_47:                              ;   in Loop: Header=BB47_41 Depth=2
	s_or_b32 exec_lo, exec_lo, s12
	ds_bpermute_b32 v14, v19, v14
	s_and_b32 s6, exec_lo, vcc_lo
	s_delay_alu instid0(SALU_CYCLE_1)
	s_or_b32 s11, s6, s11
	s_and_saveexec_b32 s6, s5
	s_cbranch_execz .LBB47_40
; %bb.48:                               ;   in Loop: Header=BB47_41 Depth=2
	v_and_b32_e32 v15, s5, v49
	s_delay_alu instid0(VALU_DEP_1) | instskip(NEXT) | instid1(VALU_DEP_1)
	v_bcnt_u32_b32 v15, v15, 0
	v_lshlrev_b32_e32 v15, 3, v15
	s_waitcnt lgkmcnt(0)
	s_delay_alu instid0(VALU_DEP_1)
	v_lshl_add_u32 v14, v14, 3, v15
	ds_store_b64 v14, v[4:5]
	s_branch .LBB47_40
.LBB47_49:                              ;   in Loop: Header=BB47_33 Depth=1
	s_mov_b32 s7, -1
	s_mov_b32 s5, 0
	s_branch .LBB47_53
.LBB47_50:                              ;   in Loop: Header=BB47_33 Depth=1
	s_or_b32 exec_lo, exec_lo, s8
	s_waitcnt vmcnt(0) lgkmcnt(0)
	s_barrier
	buffer_gl0_inv
	s_and_saveexec_b32 s5, s0
	s_cbranch_execz .LBB47_52
; %bb.51:                               ;   in Loop: Header=BB47_33 Depth=1
	ds_load_b32 v4, v19 offset:5136
	s_waitcnt lgkmcnt(0)
	v_ashrrev_i32_e32 v5, 31, v4
	ds_store_b64 v19, v[4:5] offset:5120
.LBB47_52:                              ;   in Loop: Header=BB47_33 Depth=1
	s_or_b32 exec_lo, exec_lo, s5
	s_waitcnt lgkmcnt(0)
	s_mov_b32 s5, -1
	s_barrier
.LBB47_53:                              ;   in Loop: Header=BB47_33 Depth=1
                                        ; implicit-def: $sgpr68_sgpr69
.LBB47_54:                              ;   in Loop: Header=BB47_33 Depth=1
	s_and_b32 vcc_lo, exec_lo, s7
	s_cbranch_vccz .LBB47_65
; %bb.55:                               ;   in Loop: Header=BB47_33 Depth=1
	v_mov_b32_e32 v4, 0
	v_mov_b32_e32 v5, 0
	s_and_saveexec_b32 s5, s1
	s_cbranch_execz .LBB47_57
; %bb.56:                               ;   in Loop: Header=BB47_33 Depth=1
	global_load_b64 v[4:5], v[20:21], off
.LBB47_57:                              ;   in Loop: Header=BB47_33 Depth=1
	s_or_b32 exec_lo, exec_lo, s5
	s_and_saveexec_b32 s6, s1
	s_cbranch_execz .LBB47_62
; %bb.58:                               ;   in Loop: Header=BB47_33 Depth=1
	global_load_u16 v11, v19, s[56:57]
	s_mov_b32 s10, 0
	s_waitcnt vmcnt(0)
	v_readfirstlane_b32 s5, v11
	v_and_b32_e32 v14, 0xffff, v11
	s_delay_alu instid0(VALU_DEP_2) | instskip(NEXT) | instid1(SALU_CYCLE_1)
	s_and_b32 s5, 0xffff, s5
	v_add_nc_u32_e32 v12, s5, v0
	s_mul_i32 s8, s61, s5
	s_mul_hi_u32 s9, s60, s5
	s_lshl_b32 s7, s5, 3
	s_add_i32 s8, s9, s8
	v_mad_u64_u32 v[8:9], null, s60, v12, s[58:59]
	s_mul_i32 s9, s60, s5
	s_delay_alu instid0(VALU_DEP_1) | instskip(NEXT) | instid1(VALU_DEP_1)
	v_mov_b32_e32 v2, v9
	v_mad_u64_u32 v[9:10], null, s61, v12, v[2:3]
	v_mov_b32_e32 v11, v1
	v_mov_b32_e32 v2, v45
	;; [unrolled: 1-line block ×3, first 2 shown]
	s_set_inst_prefetch_distance 0x1
	s_branch .LBB47_60
	.p2align	6
.LBB47_59:                              ;   in Loop: Header=BB47_60 Depth=2
	s_or_b32 exec_lo, exec_lo, s11
	s_delay_alu instid0(SALU_CYCLE_1)
	s_and_b32 s5, exec_lo, vcc_lo
	v_add_co_u32 v8, vcc_lo, v8, s9
	ds_store_b64 v2, v[4:5]
	s_waitcnt vmcnt(0)
	v_mov_b32_e32 v4, v12
	v_dual_mov_b32 v5, v13 :: v_dual_add_nc_u32 v2, s7, v2
	v_add_co_ci_u32_e32 v9, vcc_lo, s8, v9, vcc_lo
	s_or_b32 s10, s5, s10
	s_delay_alu instid0(SALU_CYCLE_1)
	s_and_not1_b32 exec_lo, exec_lo, s10
	s_cbranch_execz .LBB47_62
.LBB47_60:                              ;   Parent Loop BB47_33 Depth=1
                                        ; =>  This Inner Loop Header: Depth=2
	s_delay_alu instid0(VALU_DEP_1) | instskip(SKIP_4) | instid1(VALU_DEP_3)
	v_add_co_u32 v10, vcc_lo, v10, v14
	v_add_co_ci_u32_e32 v11, vcc_lo, 0, v11, vcc_lo
	v_mov_b32_e32 v12, 0
	v_mov_b32_e32 v13, 0
	s_mov_b32 s11, exec_lo
	v_cmp_le_i64_e32 vcc_lo, s[36:37], v[10:11]
	v_cmpx_gt_i64_e64 s[36:37], v[10:11]
	s_cbranch_execz .LBB47_59
; %bb.61:                               ;   in Loop: Header=BB47_60 Depth=2
	global_load_b64 v[12:13], v[8:9], off
	s_branch .LBB47_59
.LBB47_62:                              ;   in Loop: Header=BB47_33 Depth=1
	s_set_inst_prefetch_distance 0x2
	s_or_b32 exec_lo, exec_lo, s6
	s_waitcnt vmcnt(0) lgkmcnt(0)
	s_barrier
	buffer_gl0_inv
	s_and_saveexec_b32 s5, s0
	s_cbranch_execz .LBB47_64
; %bb.63:                               ;   in Loop: Header=BB47_33 Depth=1
	v_dual_mov_b32 v4, s36 :: v_dual_mov_b32 v5, s37
	ds_store_b64 v19, v[4:5] offset:5120
.LBB47_64:                              ;   in Loop: Header=BB47_33 Depth=1
	s_or_b32 exec_lo, exec_lo, s5
	s_mov_b32 s5, -1
	s_waitcnt lgkmcnt(0)
	s_barrier
                                        ; implicit-def: $sgpr68_sgpr69
.LBB47_65:                              ;   in Loop: Header=BB47_33 Depth=1
	s_and_b32 vcc_lo, exec_lo, s5
	s_cbranch_vccz .LBB47_67
; %bb.66:                               ;   in Loop: Header=BB47_33 Depth=1
	buffer_gl0_inv
	ds_load_b64 v[4:5], v19 offset:5120
	s_waitcnt lgkmcnt(0)
	v_readfirstlane_b32 s68, v4
.LBB47_67:                              ;   in Loop: Header=BB47_33 Depth=1
	s_delay_alu instid0(VALU_DEP_1)
	s_cmp_lt_i32 s68, 1
	s_cbranch_scc0 .LBB47_82
; %bb.68:                               ;   in Loop: Header=BB47_33 Depth=1
	global_load_u16 v2, v19, s[56:57]
	s_mov_b32 s6, s51
	s_mov_b32 s7, s37
	s_waitcnt vmcnt(0)
	v_readfirstlane_b32 s5, v2
	s_delay_alu instid0(VALU_DEP_1) | instskip(NEXT) | instid1(SALU_CYCLE_1)
	s_and_b32 s50, s5, 0xffff
	s_lshl_b32 s69, s50, 2
	s_cmp_lg_u64 s[6:7], 0
	s_cbranch_scc0 .LBB47_102
; %bb.69:                               ;   in Loop: Header=BB47_33 Depth=1
	v_cvt_f32_u32_e32 v2, s69
	s_sub_u32 s7, 0, s69
	s_subb_u32 s8, 0, 0
	s_delay_alu instid0(VALU_DEP_1) | instskip(NEXT) | instid1(VALU_DEP_1)
	v_fmac_f32_e32 v2, 0x4f800000, v53
	v_rcp_f32_e32 v2, v2
	s_waitcnt_depctr 0xfff
	v_mul_f32_e32 v2, 0x5f7ffffc, v2
	s_delay_alu instid0(VALU_DEP_1) | instskip(NEXT) | instid1(VALU_DEP_1)
	v_mul_f32_e32 v4, 0x2f800000, v2
	v_trunc_f32_e32 v4, v4
	s_delay_alu instid0(VALU_DEP_1) | instskip(SKIP_1) | instid1(VALU_DEP_2)
	v_fmac_f32_e32 v2, 0xcf800000, v4
	v_cvt_u32_f32_e32 v4, v4
	v_cvt_u32_f32_e32 v2, v2
	s_delay_alu instid0(VALU_DEP_2) | instskip(NEXT) | instid1(VALU_DEP_2)
	v_readfirstlane_b32 s5, v4
	v_readfirstlane_b32 s6, v2
	s_delay_alu instid0(VALU_DEP_2) | instskip(NEXT) | instid1(VALU_DEP_1)
	s_mul_i32 s9, s7, s5
	s_mul_hi_u32 s11, s7, s6
	s_mul_i32 s10, s8, s6
	s_add_i32 s9, s11, s9
	s_mul_i32 s12, s7, s6
	s_add_i32 s9, s9, s10
	s_mul_hi_u32 s11, s6, s12
	s_mul_hi_u32 s13, s5, s12
	s_mul_i32 s10, s5, s12
	s_mul_hi_u32 s12, s6, s9
	s_mul_i32 s6, s6, s9
	s_mul_hi_u32 s14, s5, s9
	s_add_u32 s6, s11, s6
	s_addc_u32 s11, 0, s12
	s_add_u32 s6, s6, s10
	s_mul_i32 s9, s5, s9
	s_addc_u32 s6, s11, s13
	s_addc_u32 s10, s14, 0
	s_add_u32 s6, s6, s9
	s_addc_u32 s9, 0, s10
	v_add_co_u32 v2, s6, v2, s6
	s_delay_alu instid0(VALU_DEP_1) | instskip(SKIP_1) | instid1(VALU_DEP_1)
	s_cmp_lg_u32 s6, 0
	s_addc_u32 s5, s5, s9
	v_readfirstlane_b32 s6, v2
	s_mul_i32 s9, s7, s5
	s_delay_alu instid0(VALU_DEP_1)
	s_mul_hi_u32 s10, s7, s6
	s_mul_i32 s8, s8, s6
	s_add_i32 s9, s10, s9
	s_mul_i32 s7, s7, s6
	s_add_i32 s9, s9, s8
	s_mul_hi_u32 s10, s5, s7
	s_mul_i32 s11, s5, s7
	s_mul_hi_u32 s7, s6, s7
	s_mul_hi_u32 s12, s6, s9
	s_mul_i32 s6, s6, s9
	s_mul_hi_u32 s8, s5, s9
	s_add_u32 s6, s7, s6
	s_addc_u32 s7, 0, s12
	s_add_u32 s6, s6, s11
	s_mul_i32 s9, s5, s9
	s_addc_u32 s6, s7, s10
	s_addc_u32 s7, s8, 0
	s_add_u32 s6, s6, s9
	s_addc_u32 s7, 0, s7
	v_add_co_u32 v2, s6, v2, s6
	s_delay_alu instid0(VALU_DEP_1) | instskip(SKIP_2) | instid1(VALU_DEP_1)
	s_cmp_lg_u32 s6, 0
	s_addc_u32 s5, s5, s7
	s_ashr_i32 s6, s37, 31
	v_readfirstlane_b32 s10, v2
	s_add_u32 s8, s36, s6
	s_mov_b32 s7, s6
	s_addc_u32 s9, s37, s6
	s_delay_alu instid0(SALU_CYCLE_1) | instskip(NEXT) | instid1(SALU_CYCLE_1)
	s_xor_b64 s[8:9], s[8:9], s[6:7]
	s_mul_i32 s11, s8, s5
	s_mul_hi_u32 s12, s8, s10
	s_mul_hi_u32 s7, s8, s5
	;; [unrolled: 1-line block ×3, first 2 shown]
	s_mul_i32 s10, s9, s10
	s_add_u32 s11, s12, s11
	s_addc_u32 s7, 0, s7
	s_mul_hi_u32 s13, s9, s5
	s_add_u32 s10, s11, s10
	s_mul_i32 s5, s9, s5
	s_addc_u32 s7, s7, s14
	s_addc_u32 s10, s13, 0
	s_add_u32 s5, s7, s5
	s_addc_u32 s7, 0, s10
	s_mul_hi_u32 s10, s69, s5
	s_mul_i32 s5, s69, s5
	s_mul_i32 s7, s69, s7
	v_sub_co_u32 v2, s5, s8, s5
	s_add_i32 s10, s10, s7
	s_cmp_lg_u32 s5, 0
	s_delay_alu instid0(VALU_DEP_1) | instskip(SKIP_2) | instid1(VALU_DEP_1)
	v_sub_co_u32 v4, s5, v2, s69
	s_subb_u32 s7, s9, s10
	s_cmp_lg_u32 s5, 0
	v_cmp_le_u32_e32 vcc_lo, s69, v4
	v_sub_co_u32 v5, s5, v4, s69
	s_subb_u32 s8, s7, 0
	s_cmp_lg_u32 s5, 0
	v_cndmask_b32_e64 v8, 0, -1, vcc_lo
	s_subb_u32 s5, s8, 0
	s_cmp_eq_u32 s8, 0
	v_mov_b32_e32 v10, s5
	s_cselect_b32 vcc_lo, -1, 0
	s_cmp_eq_u32 s7, 0
	v_cndmask_b32_e32 v8, -1, v8, vcc_lo
	v_cmp_le_u32_e32 vcc_lo, s69, v2
	s_cselect_b32 s5, -1, 0
	v_cndmask_b32_e64 v9, 0, -1, vcc_lo
	s_delay_alu instid0(VALU_DEP_3) | instskip(NEXT) | instid1(VALU_DEP_2)
	v_cmp_ne_u32_e32 vcc_lo, 0, v8
	v_cndmask_b32_e64 v8, -1, v9, s5
	v_cndmask_b32_e32 v9, s8, v10, vcc_lo
	v_cndmask_b32_e32 v4, v4, v5, vcc_lo
	s_delay_alu instid0(VALU_DEP_3) | instskip(NEXT) | instid1(VALU_DEP_2)
	v_cmp_ne_u32_e32 vcc_lo, 0, v8
	v_cndmask_b32_e32 v2, v2, v4, vcc_lo
	s_delay_alu instid0(VALU_DEP_4) | instskip(NEXT) | instid1(VALU_DEP_2)
	v_cndmask_b32_e32 v5, s7, v9, vcc_lo
	v_xor_b32_e32 v2, s6, v2
	s_delay_alu instid0(VALU_DEP_2) | instskip(NEXT) | instid1(VALU_DEP_2)
	v_xor_b32_e32 v5, s6, v5
	v_sub_co_u32 v4, vcc_lo, v2, s6
	s_delay_alu instid0(VALU_DEP_2)
	v_subrev_co_ci_u32_e32 v5, vcc_lo, s6, v5, vcc_lo
	s_cbranch_execnz .LBB47_71
.LBB47_70:                              ;   in Loop: Header=BB47_33 Depth=1
	v_cvt_f32_u32_e32 v2, s69
	s_sub_i32 s5, 0, s69
	s_delay_alu instid0(VALU_DEP_1) | instskip(SKIP_2) | instid1(VALU_DEP_1)
	v_rcp_iflag_f32_e32 v2, v2
	s_waitcnt_depctr 0xfff
	v_mul_f32_e32 v2, 0x4f7ffffe, v2
	v_cvt_u32_f32_e32 v2, v2
	s_delay_alu instid0(VALU_DEP_1) | instskip(NEXT) | instid1(VALU_DEP_1)
	v_mul_lo_u32 v4, s5, v2
	v_mul_hi_u32 v4, v2, v4
	s_delay_alu instid0(VALU_DEP_1) | instskip(NEXT) | instid1(VALU_DEP_1)
	v_add_nc_u32_e32 v2, v2, v4
	v_mul_hi_u32 v2, s36, v2
	s_delay_alu instid0(VALU_DEP_1) | instskip(NEXT) | instid1(VALU_DEP_1)
	v_mul_lo_u32 v2, v2, s69
	v_sub_nc_u32_e32 v2, s36, v2
	s_delay_alu instid0(VALU_DEP_1) | instskip(SKIP_1) | instid1(VALU_DEP_2)
	v_subrev_nc_u32_e32 v4, s69, v2
	v_cmp_le_u32_e32 vcc_lo, s69, v2
	v_cndmask_b32_e32 v2, v2, v4, vcc_lo
	s_delay_alu instid0(VALU_DEP_1) | instskip(SKIP_1) | instid1(VALU_DEP_2)
	v_subrev_nc_u32_e32 v4, s69, v2
	v_cmp_le_u32_e32 vcc_lo, s69, v2
	v_cndmask_b32_e32 v18, v2, v4, vcc_lo
	s_delay_alu instid0(VALU_DEP_1)
	v_dual_mov_b32 v4, v18 :: v_dual_mov_b32 v5, v19
.LBB47_71:                              ;   in Loop: Header=BB47_33 Depth=1
	v_mov_b32_e32 v8, 0
	v_mov_b32_e32 v9, 0
	s_delay_alu instid0(VALU_DEP_3) | instskip(NEXT) | instid1(VALU_DEP_4)
	v_sub_co_u32 v32, vcc_lo, s36, v4
	v_sub_co_ci_u32_e32 v33, vcc_lo, s37, v5, vcc_lo
	s_delay_alu instid0(VALU_DEP_3)
	v_dual_mov_b32 v11, v9 :: v_dual_mov_b32 v10, v8
	v_dual_mov_b32 v13, v9 :: v_dual_mov_b32 v12, v8
	;; [unrolled: 1-line block ×3, first 2 shown]
	s_mov_b64 s[70:71], 0
	s_mov_b32 s100, exec_lo
	v_cmpx_gt_i64_e64 v[32:33], v[22:23]
	s_cbranch_execz .LBB47_75
; %bb.72:                               ;   in Loop: Header=BB47_33 Depth=1
	v_dual_mov_b32 v35, v31 :: v_dual_mov_b32 v34, v30
	v_dual_mov_b32 v37, v29 :: v_dual_mov_b32 v36, v28
	;; [unrolled: 1-line block ×5, first 2 shown]
	s_mul_i32 s5, s63, s50
	s_mul_hi_u32 s6, s62, s50
	s_and_b32 s101, s94, 0xfe
	s_add_i32 s102, s6, s5
	s_mul_i32 s103, s62, s50
	s_mov_b32 s104, 0
	s_mov_b64 s[72:73], 0
	s_mov_b64 s[74:75], 0
	;; [unrolled: 1-line block ×3, first 2 shown]
.LBB47_73:                              ;   Parent Loop BB47_33 Depth=1
                                        ; =>  This Inner Loop Header: Depth=2
	v_add_co_u32 v8, vcc_lo, v34, s54
	v_add_co_ci_u32_e32 v9, vcc_lo, s55, v35, vcc_lo
	v_add_co_u32 v10, vcc_lo, v36, s54
	v_add_co_ci_u32_e32 v11, vcc_lo, s55, v37, vcc_lo
	;; [unrolled: 2-line block ×4, first 2 shown]
	global_load_b64 v[8:9], v[8:9], off
	global_load_b64 v[10:11], v[10:11], off
	;; [unrolled: 1-line block ×4, first 2 shown]
	v_add_co_u32 v42, vcc_lo, v42, s69
	v_add_co_ci_u32_e32 v43, vcc_lo, 0, v43, vcc_lo
	v_add_co_u32 v40, vcc_lo, v40, s103
	v_add_co_ci_u32_e32 v41, vcc_lo, s102, v41, vcc_lo
	;; [unrolled: 2-line block ×5, first 2 shown]
	v_cmp_ge_i64_e32 vcc_lo, v[42:43], v[32:33]
	s_waitcnt vmcnt(3)
	v_cmp_o_f64_e64 s6, v[8:9], v[8:9]
	s_waitcnt vmcnt(2)
	v_cmp_o_f64_e64 s5, v[10:11], v[10:11]
	;; [unrolled: 2-line block ×4, first 2 shown]
	v_ashrrev_i32_e32 v2, 31, v9
	v_ashrrev_i32_e32 v56, 31, v15
	;; [unrolled: 1-line block ×4, first 2 shown]
	s_delay_alu instid0(VALU_DEP_4) | instskip(NEXT) | instid1(VALU_DEP_4)
	v_or_b32_e32 v58, 0x80000000, v2
	v_or_b32_e32 v62, 0x80000000, v56
	s_delay_alu instid0(VALU_DEP_4) | instskip(NEXT) | instid1(VALU_DEP_4)
	v_or_b32_e32 v60, 0x80000000, v18
	v_or_b32_e32 v61, 0x80000000, v54
	v_xor_b32_e32 v2, v2, v8
	v_xor_b32_e32 v58, v58, v9
	;; [unrolled: 1-line block ×8, first 2 shown]
	v_cndmask_b32_e64 v9, -1, v58, s6
	v_cndmask_b32_e64 v11, -1, v60, s5
	v_cndmask_b32_e64 v13, -1, v10, s7
	v_cndmask_b32_e64 v15, -1, v8, s8
	v_cndmask_b32_e64 v8, -1, v2, s6
	v_cndmask_b32_e64 v10, -1, v18, s5
	v_cndmask_b32_e64 v12, -1, v54, s7
	v_mov_b32_e32 v55, v19
	v_and_b32_e32 v61, s67, v9
	v_and_b32_e32 v60, s66, v8
	v_lshrrev_b64 v[8:9], s101, v[8:9]
	v_cndmask_b32_e64 v14, -1, v56, s8
	v_dual_mov_b32 v57, v19 :: v_dual_and_b32 v62, s66, v10
	v_lshrrev_b64 v[9:10], s101, v[10:11]
	v_and_b32_e32 v63, s67, v11
	v_lshrrev_b64 v[10:11], s101, v[12:13]
	v_dual_mov_b32 v59, v19 :: v_dual_and_b32 v64, s66, v12
	v_lshrrev_b64 v[11:12], s101, v[14:15]
	v_and_b32_e32 v18, 3, v8
	v_and_b32_e32 v54, 3, v9
	;; [unrolled: 1-line block ×4, first 2 shown]
	v_cmp_eq_u64_e64 s5, s[64:65], v[60:61]
	v_cmp_eq_u64_e64 s9, 0, v[18:19]
	v_and_b32_e32 v67, s67, v15
	v_and_b32_e32 v66, s66, v14
	;; [unrolled: 1-line block ×3, first 2 shown]
	v_cmp_eq_u64_e64 s6, s[64:65], v[62:63]
	v_cmp_eq_u64_e64 s10, 0, v[54:55]
	v_cmp_eq_u64_e64 s7, s[64:65], v[64:65]
	v_cmp_eq_u64_e64 s11, 0, v[56:57]
	v_cmp_eq_u64_e64 s8, s[64:65], v[66:67]
	v_cmp_eq_u64_e64 s12, 0, v[58:59]
	s_and_b32 s9, s5, s9
	v_cmp_eq_u64_e64 s13, 1, v[18:19]
	v_cndmask_b32_e64 v2, 0, 1, s9
	s_and_b32 s9, s6, s10
	v_cmp_eq_u64_e64 s14, 1, v[54:55]
	v_cndmask_b32_e64 v8, 0, 1, s9
	;; [unrolled: 3-line block ×3, first 2 shown]
	s_and_b32 s9, s8, s12
	v_cmp_ne_u32_e64 s10, 0, v8
	v_cndmask_b32_e64 v10, 0, 1, s9
	v_cmp_ne_u32_e64 s9, 0, v2
	v_cmp_ne_u32_e64 s11, 0, v9
	v_cmp_eq_u64_e64 s16, 1, v[58:59]
	s_bcnt1_i32_b32 s10, s10
	v_cmp_ne_u32_e64 s12, 0, v10
	s_bcnt1_i32_b32 s9, s9
	s_bcnt1_i32_b32 s11, s11
	s_add_i32 s9, s10, s9
	v_cmp_eq_u64_e64 s17, 2, v[18:19]
	s_bcnt1_i32_b32 s12, s12
	s_add_i32 s9, s9, s11
	v_cmp_eq_u64_e64 s18, 2, v[54:55]
	s_add_i32 s9, s9, s12
	v_cmp_eq_u64_e64 s19, 2, v[56:57]
	s_add_u32 s76, s76, s9
	s_addc_u32 s77, s77, 0
	s_and_b32 s9, s5, s13
	v_cmp_eq_u64_e64 s20, 2, v[58:59]
	v_cndmask_b32_e64 v2, 0, 1, s9
	s_and_b32 s9, s6, s14
	v_cmp_eq_u64_e64 s21, 3, v[18:19]
	v_cndmask_b32_e64 v8, 0, 1, s9
	;; [unrolled: 3-line block ×3, first 2 shown]
	s_and_b32 s9, s8, s16
	v_cmp_ne_u32_e64 s10, 0, v8
	v_cndmask_b32_e64 v10, 0, 1, s9
	v_cmp_ne_u32_e64 s9, 0, v2
	v_cmp_ne_u32_e64 s11, 0, v9
	v_cmp_eq_u64_e64 s24, 3, v[58:59]
	s_bcnt1_i32_b32 s10, s10
	v_cmp_ne_u32_e64 s12, 0, v10
	s_bcnt1_i32_b32 s9, s9
	s_bcnt1_i32_b32 s11, s11
	s_add_i32 s9, s10, s9
	s_delay_alu instid0(VALU_DEP_1) | instskip(SKIP_1) | instid1(SALU_CYCLE_1)
	s_bcnt1_i32_b32 s12, s12
	s_add_i32 s9, s9, s11
	s_add_i32 s9, s9, s12
	s_delay_alu instid0(SALU_CYCLE_1) | instskip(SKIP_2) | instid1(SALU_CYCLE_1)
	s_add_u32 s74, s74, s9
	s_addc_u32 s75, s75, 0
	s_and_b32 s9, s5, s17
	v_cndmask_b32_e64 v2, 0, 1, s9
	s_and_b32 s9, s6, s18
	s_delay_alu instid0(SALU_CYCLE_1) | instskip(SKIP_1) | instid1(SALU_CYCLE_1)
	v_cndmask_b32_e64 v8, 0, 1, s9
	s_and_b32 s9, s7, s19
	v_cndmask_b32_e64 v9, 0, 1, s9
	s_and_b32 s9, s8, s20
	s_delay_alu instid0(VALU_DEP_2) | instskip(SKIP_3) | instid1(VALU_DEP_4)
	v_cmp_ne_u32_e64 s10, 0, v8
	v_cndmask_b32_e64 v10, 0, 1, s9
	v_cmp_ne_u32_e64 s9, 0, v2
	v_cmp_ne_u32_e64 s11, 0, v9
	s_bcnt1_i32_b32 s10, s10
	s_delay_alu instid0(VALU_DEP_3) | instskip(NEXT) | instid1(VALU_DEP_3)
	v_cmp_ne_u32_e64 s12, 0, v10
	s_bcnt1_i32_b32 s9, s9
	s_delay_alu instid0(VALU_DEP_2) | instskip(SKIP_1) | instid1(VALU_DEP_1)
	s_bcnt1_i32_b32 s11, s11
	s_add_i32 s9, s10, s9
	s_bcnt1_i32_b32 s12, s12
	s_add_i32 s9, s9, s11
	s_delay_alu instid0(SALU_CYCLE_1) | instskip(NEXT) | instid1(SALU_CYCLE_1)
	s_add_i32 s9, s9, s12
	s_add_u32 s72, s72, s9
	s_addc_u32 s73, s73, 0
	s_delay_alu instid0(SALU_CYCLE_1) | instskip(SKIP_2) | instid1(SALU_CYCLE_1)
	v_dual_mov_b32 v12, s72 :: v_dual_mov_b32 v13, s73
	v_cmp_eq_u64_e64 s22, 3, v[54:55]
	s_and_b32 s5, s5, s21
	v_cndmask_b32_e64 v2, 0, 1, s5
	s_delay_alu instid0(VALU_DEP_2) | instskip(NEXT) | instid1(SALU_CYCLE_1)
	s_and_b32 s5, s6, s22
	v_cndmask_b32_e64 v8, 0, 1, s5
	s_and_b32 s5, s7, s23
	s_delay_alu instid0(SALU_CYCLE_1) | instskip(SKIP_1) | instid1(VALU_DEP_2)
	v_cndmask_b32_e64 v9, 0, 1, s5
	s_and_b32 s5, s8, s24
	v_cmp_ne_u32_e64 s6, 0, v8
	v_cndmask_b32_e64 v10, 0, 1, s5
	v_cmp_ne_u32_e64 s5, 0, v2
	v_cmp_ne_u32_e64 s7, 0, v9
	v_dual_mov_b32 v8, s76 :: v_dual_mov_b32 v9, s77
	s_delay_alu instid0(VALU_DEP_4) | instskip(NEXT) | instid1(VALU_DEP_4)
	v_cmp_ne_u32_e64 s8, 0, v10
	s_bcnt1_i32_b32 s5, s5
	s_bcnt1_i32_b32 s6, s6
	;; [unrolled: 1-line block ×3, first 2 shown]
	s_add_i32 s5, s6, s5
	s_bcnt1_i32_b32 s6, s8
	s_add_i32 s5, s5, s7
	v_mov_b32_e32 v10, s74
	s_add_i32 s5, s5, s6
	v_mov_b32_e32 v11, s75
	s_add_u32 s70, s70, s5
	s_addc_u32 s71, s71, 0
	s_delay_alu instid0(SALU_CYCLE_1) | instskip(SKIP_1) | instid1(SALU_CYCLE_1)
	v_dual_mov_b32 v14, s70 :: v_dual_mov_b32 v15, s71
	s_or_b32 s104, vcc_lo, s104
	s_and_not1_b32 exec_lo, exec_lo, s104
	s_cbranch_execnz .LBB47_73
; %bb.74:                               ;   in Loop: Header=BB47_33 Depth=1
	s_or_b32 exec_lo, exec_lo, s104
.LBB47_75:                              ;   in Loop: Header=BB47_33 Depth=1
	s_delay_alu instid0(SALU_CYCLE_1) | instskip(SKIP_4) | instid1(VALU_DEP_3)
	s_or_b32 exec_lo, exec_lo, s100
	v_add_co_u32 v32, vcc_lo, v32, v0
	v_add_co_ci_u32_e32 v33, vcc_lo, 0, v33, vcc_lo
	v_mov_b32_e32 v36, 0
	v_mov_b32_e32 v37, 0
	v_cmp_gt_i64_e32 vcc_lo, s[36:37], v[32:33]
	s_and_saveexec_b32 s6, vcc_lo
	s_cbranch_execz .LBB47_77
; %bb.76:                               ;   in Loop: Header=BB47_33 Depth=1
	v_mul_lo_u32 v2, v33, s42
	v_mul_lo_u32 v18, v32, s43
	v_mad_u64_u32 v[34:35], null, v32, s42, 0
	s_delay_alu instid0(VALU_DEP_1) | instskip(NEXT) | instid1(VALU_DEP_1)
	v_add3_u32 v35, v35, v18, v2
	v_lshlrev_b64 v[34:35], 3, v[34:35]
	s_delay_alu instid0(VALU_DEP_1) | instskip(NEXT) | instid1(VALU_DEP_1)
	v_add_co_u32 v34, s5, s78, v34
	v_add_co_ci_u32_e64 v35, s5, s79, v35, s5
	global_load_b64 v[36:37], v[34:35], off
.LBB47_77:                              ;   in Loop: Header=BB47_33 Depth=1
	s_or_b32 exec_lo, exec_lo, s6
	s_and_saveexec_b32 s9, vcc_lo
	s_cbranch_execz .LBB47_84
; %bb.78:                               ;   in Loop: Header=BB47_33 Depth=1
	v_add_co_u32 v2, vcc_lo, v50, s50
	v_add_co_ci_u32_e32 v18, vcc_lo, 0, v51, vcc_lo
	s_mul_i32 s5, s61, s50
	s_delay_alu instid0(VALU_DEP_2) | instskip(NEXT) | instid1(VALU_DEP_2)
	v_sub_co_u32 v2, vcc_lo, v2, v4
	v_sub_co_ci_u32_e32 v4, vcc_lo, v18, v5, vcc_lo
	s_mul_hi_u32 s6, s60, s50
	s_delay_alu instid0(VALU_DEP_2) | instskip(SKIP_1) | instid1(VALU_DEP_2)
	v_mul_lo_u32 v34, s61, v2
	s_and_b32 s10, s94, 0xfe
	v_mul_lo_u32 v18, s60, v4
	v_mad_u64_u32 v[4:5], null, s60, v2, s[58:59]
	s_add_i32 s11, s6, s5
	s_mul_i32 s12, s60, s50
	s_mov_b32 s13, 0
	s_delay_alu instid0(VALU_DEP_1)
	v_add3_u32 v5, v34, v5, v18
	s_branch .LBB47_80
.LBB47_79:                              ;   in Loop: Header=BB47_80 Depth=2
	s_or_b32 exec_lo, exec_lo, s6
	s_waitcnt vmcnt(0)
	v_cmp_o_f64_e64 s5, v[36:37], v[36:37]
	v_ashrrev_i32_e32 v2, 31, v37
	s_and_b32 s7, exec_lo, vcc_lo
	s_delay_alu instid0(SALU_CYCLE_1) | instskip(NEXT) | instid1(VALU_DEP_1)
	s_or_b32 s13, s7, s13
	v_or_b32_e32 v18, 0x80000000, v2
	v_xor_b32_e32 v2, v2, v36
	s_delay_alu instid0(VALU_DEP_2) | instskip(NEXT) | instid1(VALU_DEP_1)
	v_xor_b32_e32 v18, v18, v37
	v_cndmask_b32_e64 v37, -1, v18, s5
	s_delay_alu instid0(VALU_DEP_3) | instskip(NEXT) | instid1(VALU_DEP_1)
	v_cndmask_b32_e64 v36, -1, v2, s5
	v_lshrrev_b64 v[38:39], s10, v[36:37]
	v_and_b32_e32 v37, s67, v37
	v_and_b32_e32 v36, s66, v36
	s_delay_alu instid0(VALU_DEP_3) | instskip(NEXT) | instid1(VALU_DEP_2)
	v_and_b32_e32 v18, 3, v38
	v_cmp_eq_u64_e64 s5, s[64:65], v[36:37]
	s_delay_alu instid0(VALU_DEP_2) | instskip(SKIP_3) | instid1(VALU_DEP_4)
	v_cmp_eq_u64_e64 s6, 0, v[18:19]
	v_cmp_eq_u64_e32 vcc_lo, 1, v[18:19]
	v_cmp_eq_u64_e64 s7, 2, v[18:19]
	v_cmp_eq_u64_e64 s8, 3, v[18:19]
	s_and_b32 s6, s5, s6
	s_delay_alu instid0(SALU_CYCLE_1) | instskip(SKIP_1) | instid1(SALU_CYCLE_1)
	v_cndmask_b32_e64 v2, 0, 1, s6
	s_and_b32 s6, s5, vcc_lo
	v_cndmask_b32_e64 v18, 0, 1, s6
	s_and_b32 s6, s5, s7
	s_delay_alu instid0(VALU_DEP_2)
	v_cmp_ne_u32_e32 vcc_lo, 0, v2
	v_cndmask_b32_e64 v36, 0, 1, s6
	s_and_b32 s5, s5, s8
	v_add_co_u32 v4, s8, v4, s12
	v_cndmask_b32_e64 v37, 0, 1, s5
	v_cmp_ne_u32_e64 s5, 0, v18
	v_add_co_ci_u32_e64 v5, s8, s11, v5, s8
	s_bcnt1_i32_b32 s8, vcc_lo
	v_cmp_ne_u32_e64 s6, 0, v36
	v_add_co_u32 v8, vcc_lo, v8, s8
	s_bcnt1_i32_b32 s5, s5
	v_cmp_ne_u32_e64 s7, 0, v37
	v_mov_b32_e32 v37, v35
	v_add_co_ci_u32_e32 v9, vcc_lo, 0, v9, vcc_lo
	v_add_co_u32 v10, vcc_lo, v10, s5
	s_bcnt1_i32_b32 s6, s6
	v_add_co_ci_u32_e32 v11, vcc_lo, 0, v11, vcc_lo
	v_add_co_u32 v12, vcc_lo, v12, s6
	s_bcnt1_i32_b32 s7, s7
	v_add_co_ci_u32_e32 v13, vcc_lo, 0, v13, vcc_lo
	v_add_co_u32 v14, vcc_lo, v14, s7
	v_add_co_ci_u32_e32 v15, vcc_lo, 0, v15, vcc_lo
	v_mov_b32_e32 v36, v34
	s_and_not1_b32 exec_lo, exec_lo, s13
	s_cbranch_execz .LBB47_83
.LBB47_80:                              ;   Parent Loop BB47_33 Depth=1
                                        ; =>  This Inner Loop Header: Depth=2
	v_add_co_u32 v32, vcc_lo, v32, s50
	v_add_co_ci_u32_e32 v33, vcc_lo, 0, v33, vcc_lo
	v_mov_b32_e32 v34, 0
	v_mov_b32_e32 v35, 0
	s_mov_b32 s6, exec_lo
	s_delay_alu instid0(VALU_DEP_3)
	v_cmp_le_i64_e32 vcc_lo, s[36:37], v[32:33]
	v_cmpx_gt_i64_e64 s[36:37], v[32:33]
	s_cbranch_execz .LBB47_79
; %bb.81:                               ;   in Loop: Header=BB47_80 Depth=2
	global_load_b64 v[34:35], v[4:5], off
	s_branch .LBB47_79
.LBB47_82:                              ;   in Loop: Header=BB47_33 Depth=1
                                        ; implicit-def: $vgpr14_vgpr15
                                        ; implicit-def: $vgpr10_vgpr11
	s_cbranch_execnz .LBB47_85
	s_branch .LBB47_94
.LBB47_83:                              ;   in Loop: Header=BB47_33 Depth=1
	s_or_b32 exec_lo, exec_lo, s13
.LBB47_84:                              ;   in Loop: Header=BB47_33 Depth=1
	s_delay_alu instid0(SALU_CYCLE_1)
	s_or_b32 exec_lo, exec_lo, s9
	s_branch .LBB47_94
.LBB47_85:                              ;   in Loop: Header=BB47_33 Depth=1
	global_load_u16 v2, v19, s[56:57]
	v_mov_b32_e32 v8, 0
	s_mov_b64 s[70:71], 0
	s_mov_b32 s100, exec_lo
	v_mov_b32_e32 v9, 0
	s_delay_alu instid0(VALU_DEP_1)
	v_mov_b32_e32 v15, v9
	v_dual_mov_b32 v11, v9 :: v_dual_mov_b32 v10, v8
	v_dual_mov_b32 v13, v9 :: v_dual_mov_b32 v12, v8
	v_mov_b32_e32 v14, v8
	s_waitcnt vmcnt(0)
	v_readfirstlane_b32 s5, v2
	v_and_b32_e32 v2, 0xffff, v2
	s_delay_alu instid0(VALU_DEP_2) | instskip(NEXT) | instid1(SALU_CYCLE_1)
	s_and_b32 s5, 0xffff, s5
	s_lshl_b32 s69, s5, 2
	s_delay_alu instid0(SALU_CYCLE_1) | instskip(SKIP_1) | instid1(VALU_DEP_1)
	v_cvt_f32_u32_e32 v4, s69
	s_sub_i32 s6, 0, s69
	v_rcp_iflag_f32_e32 v4, v4
	s_waitcnt_depctr 0xfff
	v_mul_f32_e32 v4, 0x4f7ffffe, v4
	s_delay_alu instid0(VALU_DEP_1) | instskip(NEXT) | instid1(VALU_DEP_1)
	v_cvt_u32_f32_e32 v4, v4
	v_readfirstlane_b32 s5, v4
	s_delay_alu instid0(VALU_DEP_1) | instskip(NEXT) | instid1(SALU_CYCLE_1)
	s_mul_i32 s6, s6, s5
	s_mul_hi_u32 s6, s5, s6
	s_delay_alu instid0(SALU_CYCLE_1) | instskip(NEXT) | instid1(SALU_CYCLE_1)
	s_add_i32 s5, s5, s6
	s_mul_hi_u32 s5, s68, s5
	s_delay_alu instid0(SALU_CYCLE_1) | instskip(NEXT) | instid1(SALU_CYCLE_1)
	s_mul_i32 s5, s5, s69
	s_sub_i32 s5, s68, s5
	s_delay_alu instid0(SALU_CYCLE_1) | instskip(SKIP_2) | instid1(SALU_CYCLE_1)
	s_sub_i32 s6, s5, s69
	s_cmp_ge_u32 s5, s69
	s_cselect_b32 s5, s6, s5
	s_sub_i32 s6, s5, s69
	s_cmp_ge_u32 s5, s69
	s_cselect_b32 s5, s6, s5
	s_delay_alu instid0(SALU_CYCLE_1) | instskip(NEXT) | instid1(SALU_CYCLE_1)
	s_sub_i32 s50, s68, s5
	v_cmpx_gt_u32_e64 s50, v22
	s_cbranch_execz .LBB47_89
; %bb.86:                               ;   in Loop: Header=BB47_33 Depth=1
	v_dual_mov_b32 v33, v48 :: v_dual_lshlrev_b32 v32, 5, v2
	v_dual_mov_b32 v4, v22 :: v_dual_mov_b32 v5, v23
	s_and_b32 s101, s94, 0xfe
	s_mov_b32 s102, 0
	s_mov_b64 s[72:73], 0
	s_mov_b64 s[74:75], 0
	;; [unrolled: 1-line block ×3, first 2 shown]
.LBB47_87:                              ;   Parent Loop BB47_33 Depth=1
                                        ; =>  This Inner Loop Header: Depth=2
	ds_load_b128 v[8:11], v33
	ds_load_b128 v[12:15], v33 offset:16
	v_add_co_u32 v4, vcc_lo, v4, s69
	v_add_co_ci_u32_e32 v5, vcc_lo, 0, v5, vcc_lo
	s_delay_alu instid0(VALU_DEP_1)
	v_cmp_le_u64_e32 vcc_lo, s[50:51], v[4:5]
	s_waitcnt lgkmcnt(1)
	v_cmp_o_f64_e64 s6, v[8:9], v[8:9]
	s_waitcnt lgkmcnt(0)
	v_cmp_o_f64_e64 s8, v[14:15], v[14:15]
	v_cmp_o_f64_e64 s5, v[10:11], v[10:11]
	;; [unrolled: 1-line block ×3, first 2 shown]
	v_ashrrev_i32_e32 v18, 31, v9
	v_ashrrev_i32_e32 v38, 31, v15
	;; [unrolled: 1-line block ×4, first 2 shown]
	s_delay_alu instid0(VALU_DEP_4) | instskip(NEXT) | instid1(VALU_DEP_4)
	v_or_b32_e32 v40, 0x80000000, v18
	v_or_b32_e32 v43, 0x80000000, v38
	s_delay_alu instid0(VALU_DEP_4) | instskip(NEXT) | instid1(VALU_DEP_4)
	v_or_b32_e32 v41, 0x80000000, v34
	v_or_b32_e32 v42, 0x80000000, v36
	v_xor_b32_e32 v18, v18, v8
	v_xor_b32_e32 v40, v40, v9
	;; [unrolled: 1-line block ×8, first 2 shown]
	v_cndmask_b32_e64 v9, -1, v40, s6
	v_cndmask_b32_e64 v15, -1, v8, s8
	;; [unrolled: 1-line block ×7, first 2 shown]
	v_dual_mov_b32 v35, v19 :: v_dual_and_b32 v40, s66, v8
	v_and_b32_e32 v41, s67, v9
	v_lshrrev_b64 v[8:9], s101, v[8:9]
	v_cndmask_b32_e64 v14, -1, v38, s8
	v_dual_mov_b32 v37, v19 :: v_dual_and_b32 v42, s66, v10
	v_lshrrev_b64 v[9:10], s101, v[10:11]
	v_and_b32_e32 v43, s67, v11
	v_lshrrev_b64 v[10:11], s101, v[12:13]
	v_dual_mov_b32 v39, v19 :: v_dual_and_b32 v54, s66, v12
	v_lshrrev_b64 v[11:12], s101, v[14:15]
	v_and_b32_e32 v18, 3, v8
	v_and_b32_e32 v34, 3, v9
	;; [unrolled: 1-line block ×4, first 2 shown]
	v_cmp_eq_u64_e64 s5, s[64:65], v[40:41]
	v_cmp_eq_u64_e64 s9, 0, v[18:19]
	v_and_b32_e32 v57, s67, v15
	v_and_b32_e32 v56, s66, v14
	;; [unrolled: 1-line block ×3, first 2 shown]
	v_cmp_eq_u64_e64 s6, s[64:65], v[42:43]
	v_cmp_eq_u64_e64 s10, 0, v[34:35]
	;; [unrolled: 1-line block ×6, first 2 shown]
	s_and_b32 s9, s5, s9
	v_cmp_eq_u64_e64 s13, 1, v[18:19]
	v_cndmask_b32_e64 v8, 0, 1, s9
	s_and_b32 s9, s6, s10
	v_cmp_eq_u64_e64 s14, 1, v[34:35]
	v_cndmask_b32_e64 v9, 0, 1, s9
	;; [unrolled: 3-line block ×3, first 2 shown]
	s_and_b32 s9, s8, s12
	v_cmp_ne_u32_e64 s10, 0, v9
	v_cndmask_b32_e64 v11, 0, 1, s9
	v_cmp_ne_u32_e64 s9, 0, v8
	v_cmp_ne_u32_e64 s11, 0, v10
	v_cmp_eq_u64_e64 s16, 1, v[38:39]
	s_bcnt1_i32_b32 s10, s10
	v_cmp_ne_u32_e64 s12, 0, v11
	s_bcnt1_i32_b32 s9, s9
	s_bcnt1_i32_b32 s11, s11
	s_add_i32 s9, s10, s9
	v_cmp_eq_u64_e64 s17, 2, v[18:19]
	s_bcnt1_i32_b32 s12, s12
	s_add_i32 s9, s9, s11
	v_cmp_eq_u64_e64 s18, 2, v[34:35]
	s_add_i32 s9, s9, s12
	v_cmp_eq_u64_e64 s19, 2, v[36:37]
	s_add_u32 s76, s76, s9
	s_addc_u32 s77, s77, 0
	s_and_b32 s9, s5, s13
	v_cmp_eq_u64_e64 s20, 2, v[38:39]
	v_cndmask_b32_e64 v8, 0, 1, s9
	s_and_b32 s9, s6, s14
	v_cmp_eq_u64_e64 s21, 3, v[18:19]
	v_cndmask_b32_e64 v9, 0, 1, s9
	s_and_b32 s9, s7, s15
	v_cmp_eq_u64_e64 s23, 3, v[36:37]
	v_cndmask_b32_e64 v10, 0, 1, s9
	s_and_b32 s9, s8, s16
	v_cmp_ne_u32_e64 s10, 0, v9
	v_cndmask_b32_e64 v11, 0, 1, s9
	v_cmp_ne_u32_e64 s9, 0, v8
	v_cmp_ne_u32_e64 s11, 0, v10
	v_cmp_eq_u64_e64 s24, 3, v[38:39]
	s_bcnt1_i32_b32 s10, s10
	v_cmp_ne_u32_e64 s12, 0, v11
	s_bcnt1_i32_b32 s9, s9
	s_bcnt1_i32_b32 s11, s11
	s_add_i32 s9, s10, s9
	v_add_nc_u32_e32 v33, v33, v32
	s_bcnt1_i32_b32 s12, s12
	s_add_i32 s9, s9, s11
	s_delay_alu instid0(SALU_CYCLE_1) | instskip(NEXT) | instid1(SALU_CYCLE_1)
	s_add_i32 s9, s9, s12
	s_add_u32 s74, s74, s9
	s_addc_u32 s75, s75, 0
	s_and_b32 s9, s5, s17
	s_delay_alu instid0(SALU_CYCLE_1) | instskip(SKIP_1) | instid1(SALU_CYCLE_1)
	v_cndmask_b32_e64 v8, 0, 1, s9
	s_and_b32 s9, s6, s18
	v_cndmask_b32_e64 v9, 0, 1, s9
	s_and_b32 s9, s7, s19
	s_delay_alu instid0(SALU_CYCLE_1) | instskip(SKIP_1) | instid1(VALU_DEP_2)
	v_cndmask_b32_e64 v10, 0, 1, s9
	s_and_b32 s9, s8, s20
	v_cmp_ne_u32_e64 s10, 0, v9
	v_cndmask_b32_e64 v11, 0, 1, s9
	v_cmp_ne_u32_e64 s9, 0, v8
	v_cmp_ne_u32_e64 s11, 0, v10
	s_delay_alu instid0(VALU_DEP_4) | instskip(NEXT) | instid1(VALU_DEP_3)
	s_bcnt1_i32_b32 s10, s10
	v_cmp_ne_u32_e64 s12, 0, v11
	s_delay_alu instid0(VALU_DEP_3) | instskip(NEXT) | instid1(VALU_DEP_2)
	s_bcnt1_i32_b32 s9, s9
	s_bcnt1_i32_b32 s11, s11
	s_add_i32 s9, s10, s9
	s_delay_alu instid0(VALU_DEP_1) | instskip(SKIP_1) | instid1(SALU_CYCLE_1)
	s_bcnt1_i32_b32 s12, s12
	s_add_i32 s9, s9, s11
	s_add_i32 s9, s9, s12
	s_delay_alu instid0(SALU_CYCLE_1) | instskip(SKIP_1) | instid1(SALU_CYCLE_1)
	s_add_u32 s72, s72, s9
	s_addc_u32 s73, s73, 0
	v_dual_mov_b32 v12, s72 :: v_dual_mov_b32 v13, s73
	v_cmp_eq_u64_e64 s22, 3, v[34:35]
	s_and_b32 s5, s5, s21
	s_delay_alu instid0(SALU_CYCLE_1) | instskip(NEXT) | instid1(VALU_DEP_2)
	v_cndmask_b32_e64 v8, 0, 1, s5
	s_and_b32 s5, s6, s22
	s_delay_alu instid0(SALU_CYCLE_1) | instskip(SKIP_1) | instid1(SALU_CYCLE_1)
	v_cndmask_b32_e64 v9, 0, 1, s5
	s_and_b32 s5, s7, s23
	v_cndmask_b32_e64 v10, 0, 1, s5
	s_and_b32 s5, s8, s24
	s_delay_alu instid0(VALU_DEP_2)
	v_cmp_ne_u32_e64 s6, 0, v9
	v_cndmask_b32_e64 v11, 0, 1, s5
	v_cmp_ne_u32_e64 s5, 0, v8
	v_mov_b32_e32 v8, s76
	v_cmp_ne_u32_e64 s7, 0, v10
	s_bcnt1_i32_b32 s6, s6
	v_cmp_ne_u32_e64 s8, 0, v11
	s_bcnt1_i32_b32 s5, s5
	v_mov_b32_e32 v10, s74
	s_bcnt1_i32_b32 s7, s7
	s_add_i32 s5, s6, s5
	s_bcnt1_i32_b32 s6, s8
	s_add_i32 s5, s5, s7
	v_mov_b32_e32 v9, s77
	s_add_i32 s5, s5, s6
	v_mov_b32_e32 v11, s75
	s_add_u32 s70, s70, s5
	s_addc_u32 s71, s71, 0
	s_delay_alu instid0(SALU_CYCLE_1) | instskip(SKIP_1) | instid1(SALU_CYCLE_1)
	v_dual_mov_b32 v14, s70 :: v_dual_mov_b32 v15, s71
	s_or_b32 s102, vcc_lo, s102
	s_and_not1_b32 exec_lo, exec_lo, s102
	s_cbranch_execnz .LBB47_87
; %bb.88:                               ;   in Loop: Header=BB47_33 Depth=1
	s_or_b32 exec_lo, exec_lo, s102
.LBB47_89:                              ;   in Loop: Header=BB47_33 Depth=1
	s_delay_alu instid0(SALU_CYCLE_1) | instskip(SKIP_2) | instid1(VALU_DEP_1)
	s_or_b32 exec_lo, exec_lo, s100
	v_add_nc_u32_e32 v18, s50, v0
	s_mov_b32 s12, exec_lo
	v_cmpx_gt_u32_e64 s68, v18
	s_cbranch_execz .LBB47_93
; %bb.90:                               ;   in Loop: Header=BB47_33 Depth=1
	v_dual_mov_b32 v4, v18 :: v_dual_lshlrev_b32 v33, 3, v2
	v_dual_mov_b32 v5, v19 :: v_dual_lshlrev_b32 v32, 3, v18
	s_mov_b32 s11, 0
	s_and_b32 s10, s68, 0x7fffffff
	s_and_b32 s14, s94, 0xfe
	s_mov_b32 s13, s11
.LBB47_91:                              ;   Parent Loop BB47_33 Depth=1
                                        ; =>  This Inner Loop Header: Depth=2
	ds_load_b64 v[34:35], v32
	v_add_co_u32 v4, s5, v4, v2
	s_delay_alu instid0(VALU_DEP_1) | instskip(NEXT) | instid1(VALU_DEP_1)
	v_add_co_ci_u32_e64 v5, s5, 0, v5, s5
	v_cmp_le_u64_e64 s5, s[10:11], v[4:5]
	s_waitcnt lgkmcnt(0)
	v_cmp_o_f64_e32 vcc_lo, v[34:35], v[34:35]
	v_ashrrev_i32_e32 v18, 31, v35
	s_delay_alu instid0(VALU_DEP_1) | instskip(SKIP_1) | instid1(VALU_DEP_2)
	v_or_b32_e32 v36, 0x80000000, v18
	v_xor_b32_e32 v18, v18, v34
	v_xor_b32_e32 v36, v36, v35
	s_delay_alu instid0(VALU_DEP_1) | instskip(NEXT) | instid1(VALU_DEP_1)
	v_dual_cndmask_b32 v35, -1, v36 :: v_dual_add_nc_u32 v32, v32, v33
	v_dual_cndmask_b32 v34, -1, v18 :: v_dual_and_b32 v37, s67, v35
	s_delay_alu instid0(VALU_DEP_1) | instskip(SKIP_1) | instid1(VALU_DEP_2)
	v_and_b32_e32 v36, s66, v34
	v_lshrrev_b64 v[34:35], s14, v[34:35]
	v_cmp_eq_u64_e32 vcc_lo, s[64:65], v[36:37]
	s_delay_alu instid0(VALU_DEP_2) | instskip(NEXT) | instid1(VALU_DEP_1)
	v_and_b32_e32 v18, 3, v34
	v_cmp_eq_u64_e64 s6, 0, v[18:19]
	v_cmp_eq_u64_e64 s7, 1, v[18:19]
	;; [unrolled: 1-line block ×4, first 2 shown]
	s_delay_alu instid0(VALU_DEP_4) | instskip(NEXT) | instid1(SALU_CYCLE_1)
	s_and_b32 s6, vcc_lo, s6
	v_cndmask_b32_e64 v18, 0, 1, s6
	s_delay_alu instid0(VALU_DEP_4) | instskip(NEXT) | instid1(SALU_CYCLE_1)
	s_and_b32 s6, vcc_lo, s7
	v_cndmask_b32_e64 v34, 0, 1, s6
	s_and_b32 s6, vcc_lo, s8
	s_delay_alu instid0(SALU_CYCLE_1)
	v_cndmask_b32_e64 v35, 0, 1, s6
	s_and_b32 s6, vcc_lo, s9
	v_cmp_ne_u32_e32 vcc_lo, 0, v18
	v_cndmask_b32_e64 v36, 0, 1, s6
	v_cmp_ne_u32_e64 s6, 0, v34
	v_cmp_ne_u32_e64 s7, 0, v35
	s_bcnt1_i32_b32 s9, vcc_lo
	s_delay_alu instid0(VALU_DEP_3)
	v_cmp_ne_u32_e64 s8, 0, v36
	v_add_co_u32 v8, vcc_lo, v8, s9
	s_bcnt1_i32_b32 s6, s6
	v_add_co_ci_u32_e32 v9, vcc_lo, 0, v9, vcc_lo
	v_add_co_u32 v10, vcc_lo, v10, s6
	s_bcnt1_i32_b32 s7, s7
	v_add_co_ci_u32_e32 v11, vcc_lo, 0, v11, vcc_lo
	;; [unrolled: 3-line block ×3, first 2 shown]
	v_add_co_u32 v14, vcc_lo, v14, s8
	v_add_co_ci_u32_e32 v15, vcc_lo, 0, v15, vcc_lo
	s_or_b32 s13, s5, s13
	s_delay_alu instid0(SALU_CYCLE_1)
	s_and_not1_b32 exec_lo, exec_lo, s13
	s_cbranch_execnz .LBB47_91
; %bb.92:                               ;   in Loop: Header=BB47_33 Depth=1
	s_or_b32 exec_lo, exec_lo, s13
.LBB47_93:                              ;   in Loop: Header=BB47_33 Depth=1
	s_delay_alu instid0(SALU_CYCLE_1)
	s_or_b32 exec_lo, exec_lo, s12
.LBB47_94:                              ;   in Loop: Header=BB47_33 Depth=1
	s_lshl_b32 s5, s96, 7
	s_and_saveexec_b32 s6, s2
	s_cbranch_execz .LBB47_96
; %bb.95:                               ;   in Loop: Header=BB47_33 Depth=1
	v_or_b32_e32 v2, s5, v47
	s_delay_alu instid0(VALU_DEP_1)
	v_lshlrev_b32_e32 v2, 3, v2
	ds_store_b128 v2, v[8:11] offset:3072
	ds_store_b128 v2, v[12:15] offset:3088
.LBB47_96:                              ;   in Loop: Header=BB47_33 Depth=1
	s_or_b32 exec_lo, exec_lo, s6
	s_waitcnt vmcnt(0) lgkmcnt(0)
	s_barrier
	buffer_gl0_inv
	s_and_saveexec_b32 s6, s80
	s_cbranch_execz .LBB47_107
; %bb.97:                               ;   in Loop: Header=BB47_33 Depth=1
	v_mov_b32_e32 v4, 0
	v_mov_b32_e32 v5, 0
	s_and_not1_b32 vcc_lo, exec_lo, s88
	s_cbranch_vccnz .LBB47_106
; %bb.98:                               ;   in Loop: Header=BB47_33 Depth=1
	v_mov_b32_e32 v4, 0
	v_mov_b32_e32 v5, 0
	s_and_not1_b32 vcc_lo, exec_lo, s86
	s_cbranch_vccnz .LBB47_103
; %bb.99:                               ;   in Loop: Header=BB47_33 Depth=1
	v_lshl_add_u32 v2, s96, 10, v52
	s_mov_b32 s7, 0
	s_set_inst_prefetch_distance 0x1
	.p2align	6
.LBB47_100:                             ;   Parent Loop BB47_33 Depth=1
                                        ; =>  This Inner Loop Header: Depth=2
	ds_load_2addr_b64 v[8:11], v2 offset1:4
	ds_load_2addr_b64 v[12:15], v2 offset0:8 offset1:12
	ds_load_2addr_b64 v[32:35], v2 offset0:16 offset1:20
	s_add_i32 s7, s7, 8
	s_delay_alu instid0(SALU_CYCLE_1) | instskip(SKIP_3) | instid1(VALU_DEP_2)
	s_cmp_eq_u32 s87, s7
	s_waitcnt lgkmcnt(2)
	v_add_co_u32 v4, vcc_lo, v8, v4
	v_add_co_ci_u32_e32 v5, vcc_lo, v9, v5, vcc_lo
	v_add_co_u32 v4, vcc_lo, v10, v4
	s_delay_alu instid0(VALU_DEP_2)
	v_add_co_ci_u32_e32 v5, vcc_lo, v11, v5, vcc_lo
	ds_load_2addr_b64 v[8:11], v2 offset0:24 offset1:28
	s_waitcnt lgkmcnt(2)
	v_add_co_u32 v4, vcc_lo, v12, v4
	v_add_co_ci_u32_e32 v5, vcc_lo, v13, v5, vcc_lo
	v_add_nc_u32_e32 v2, 0x100, v2
	s_delay_alu instid0(VALU_DEP_3) | instskip(NEXT) | instid1(VALU_DEP_3)
	v_add_co_u32 v4, vcc_lo, v14, v4
	v_add_co_ci_u32_e32 v5, vcc_lo, v15, v5, vcc_lo
	s_waitcnt lgkmcnt(1)
	s_delay_alu instid0(VALU_DEP_2) | instskip(NEXT) | instid1(VALU_DEP_2)
	v_add_co_u32 v4, vcc_lo, v32, v4
	v_add_co_ci_u32_e32 v5, vcc_lo, v33, v5, vcc_lo
	s_delay_alu instid0(VALU_DEP_2) | instskip(NEXT) | instid1(VALU_DEP_2)
	v_add_co_u32 v4, vcc_lo, v34, v4
	v_add_co_ci_u32_e32 v5, vcc_lo, v35, v5, vcc_lo
	s_waitcnt lgkmcnt(0)
	s_delay_alu instid0(VALU_DEP_2) | instskip(NEXT) | instid1(VALU_DEP_2)
	v_add_co_u32 v4, vcc_lo, v8, v4
	v_add_co_ci_u32_e32 v5, vcc_lo, v9, v5, vcc_lo
	s_delay_alu instid0(VALU_DEP_2) | instskip(NEXT) | instid1(VALU_DEP_2)
	v_add_co_u32 v4, vcc_lo, v10, v4
	v_add_co_ci_u32_e32 v5, vcc_lo, v11, v5, vcc_lo
	s_cbranch_scc0 .LBB47_100
; %bb.101:                              ;   in Loop: Header=BB47_33 Depth=1
	s_set_inst_prefetch_distance 0x2
	s_mov_b32 s7, s87
	s_and_not1_b32 vcc_lo, exec_lo, s89
	s_cbranch_vccz .LBB47_104
	s_branch .LBB47_106
.LBB47_102:                             ;   in Loop: Header=BB47_33 Depth=1
                                        ; implicit-def: $vgpr4_vgpr5
	s_branch .LBB47_70
.LBB47_103:                             ;   in Loop: Header=BB47_33 Depth=1
	s_mov_b32 s7, 0
	s_and_not1_b32 vcc_lo, exec_lo, s89
	s_cbranch_vccnz .LBB47_106
.LBB47_104:                             ;   in Loop: Header=BB47_33 Depth=1
	s_lshl_b32 s8, s96, 10
	s_lshl_b32 s7, s7, 5
	s_delay_alu instid0(SALU_CYCLE_1)
	v_add3_u32 v2, s8, s7, v52
	s_mov_b32 s7, s85
.LBB47_105:                             ;   Parent Loop BB47_33 Depth=1
                                        ; =>  This Inner Loop Header: Depth=2
	ds_load_b64 v[8:9], v2
	v_add_nc_u32_e32 v2, 32, v2
	s_add_i32 s7, s7, -1
	s_delay_alu instid0(SALU_CYCLE_1)
	s_cmp_lg_u32 s7, 0
	s_waitcnt lgkmcnt(0)
	v_add_co_u32 v4, vcc_lo, v8, v4
	v_add_co_ci_u32_e32 v5, vcc_lo, v9, v5, vcc_lo
	s_cbranch_scc1 .LBB47_105
.LBB47_106:                             ;   in Loop: Header=BB47_33 Depth=1
	v_add_lshl_u32 v2, s5, v44, 3
	ds_store_b64 v2, v[4:5] offset:3072
.LBB47_107:                             ;   in Loop: Header=BB47_33 Depth=1
	s_or_b32 exec_lo, exec_lo, s6
	s_lshl_b32 s5, s5, 3
	s_waitcnt lgkmcnt(0)
	v_mov_b32_e32 v2, s5
	s_barrier
	buffer_gl0_inv
	s_and_b32 s23, s94, 0xfe
	s_mov_b32 s50, -1
	ds_load_b128 v[8:11], v2 offset:3072
	ds_load_b128 v[12:15], v2 offset:3088
	s_lshl_b64 s[8:9], 3, s23
	s_delay_alu instid0(SALU_CYCLE_1)
	s_not_b64 s[12:13], s[8:9]
	s_waitcnt lgkmcnt(1)
	v_readfirstlane_b32 s17, v9
	v_readfirstlane_b32 s16, v8
	v_readfirstlane_b32 s14, v10
	v_readfirstlane_b32 s15, v11
	s_waitcnt lgkmcnt(0)
	v_readfirstlane_b32 s10, v12
	v_readfirstlane_b32 s11, v13
	s_cmp_eq_u64 s[16:17], 1
	v_readfirstlane_b32 s6, v14
	s_cselect_b32 s5, -1, 0
	s_cmp_eq_u64 s[38:39], 1
	s_cselect_b32 s7, -1, 0
	s_delay_alu instid0(SALU_CYCLE_1)
	s_and_b32 s68, s5, s7
	v_readfirstlane_b32 s7, v15
	s_and_b32 vcc_lo, exec_lo, s68
	s_cbranch_vccz .LBB47_122
; %bb.108:                              ;   in Loop: Header=BB47_33 Depth=1
	ds_load_b64 v[4:5], v19 offset:5120
	s_waitcnt lgkmcnt(0)
	s_barrier
	buffer_gl0_inv
	v_readfirstlane_b32 s18, v4
	v_readfirstlane_b32 s19, v5
	s_and_saveexec_b32 s5, s3
	s_cbranch_execz .LBB47_110
; %bb.109:                              ;   in Loop: Header=BB47_33 Depth=1
	v_mov_b32_e32 v18, v19
	ds_store_b64 v46, v[18:19]
.LBB47_110:                             ;   in Loop: Header=BB47_33 Depth=1
	s_or_b32 exec_lo, exec_lo, s5
	s_delay_alu instid0(VALU_DEP_1)
	v_cmp_lt_i64_e64 s5, s[18:19], 1
	s_and_b64 s[64:65], s[64:65], s[12:13]
	s_or_b64 s[66:67], s[66:67], s[8:9]
	s_waitcnt lgkmcnt(0)
	s_barrier
	buffer_gl0_inv
	s_and_b32 vcc_lo, exec_lo, s5
	s_cbranch_vccz .LBB47_123
; %bb.111:                              ;   in Loop: Header=BB47_33 Depth=1
	s_mov_b32 s24, s51
	s_delay_alu instid0(SALU_CYCLE_1)
	s_cmp_lg_u64 s[24:25], 0
	s_cbranch_scc0 .LBB47_168
; %bb.112:                              ;   in Loop: Header=BB47_33 Depth=1
	v_cvt_f32_u32_e32 v2, s33
	s_sub_u32 s21, 0, s33
	s_subb_u32 s22, 0, 0
	s_delay_alu instid0(VALU_DEP_1) | instskip(NEXT) | instid1(VALU_DEP_1)
	v_fmac_f32_e32 v2, 0x4f800000, v53
	v_rcp_f32_e32 v2, v2
	s_waitcnt_depctr 0xfff
	v_mul_f32_e32 v2, 0x5f7ffffc, v2
	s_delay_alu instid0(VALU_DEP_1) | instskip(NEXT) | instid1(VALU_DEP_1)
	v_mul_f32_e32 v4, 0x2f800000, v2
	v_trunc_f32_e32 v4, v4
	s_delay_alu instid0(VALU_DEP_1) | instskip(SKIP_1) | instid1(VALU_DEP_2)
	v_fmac_f32_e32 v2, 0xcf800000, v4
	v_cvt_u32_f32_e32 v4, v4
	v_cvt_u32_f32_e32 v2, v2
	s_delay_alu instid0(VALU_DEP_2) | instskip(NEXT) | instid1(VALU_DEP_2)
	v_readfirstlane_b32 s5, v4
	v_readfirstlane_b32 s20, v2
	s_delay_alu instid0(VALU_DEP_2) | instskip(NEXT) | instid1(VALU_DEP_1)
	s_mul_i32 s24, s21, s5
	s_mul_hi_u32 s70, s21, s20
	s_mul_i32 s69, s22, s20
	s_add_i32 s24, s70, s24
	s_mul_i32 s71, s21, s20
	s_add_i32 s24, s24, s69
	s_mul_hi_u32 s70, s20, s71
	s_mul_hi_u32 s72, s5, s71
	s_mul_i32 s69, s5, s71
	s_mul_hi_u32 s71, s20, s24
	s_mul_i32 s20, s20, s24
	s_mul_hi_u32 s73, s5, s24
	s_add_u32 s20, s70, s20
	s_addc_u32 s70, 0, s71
	s_add_u32 s20, s20, s69
	s_mul_i32 s24, s5, s24
	s_addc_u32 s20, s70, s72
	s_addc_u32 s69, s73, 0
	s_add_u32 s20, s20, s24
	s_addc_u32 s24, 0, s69
	v_add_co_u32 v2, s20, v2, s20
	s_delay_alu instid0(VALU_DEP_1) | instskip(SKIP_1) | instid1(VALU_DEP_1)
	s_cmp_lg_u32 s20, 0
	s_addc_u32 s5, s5, s24
	v_readfirstlane_b32 s20, v2
	s_mul_i32 s24, s21, s5
	s_delay_alu instid0(VALU_DEP_1)
	s_mul_hi_u32 s69, s21, s20
	s_mul_i32 s22, s22, s20
	s_add_i32 s24, s69, s24
	s_mul_i32 s21, s21, s20
	s_add_i32 s24, s24, s22
	s_mul_hi_u32 s69, s5, s21
	s_mul_i32 s70, s5, s21
	s_mul_hi_u32 s21, s20, s21
	s_mul_hi_u32 s71, s20, s24
	s_mul_i32 s20, s20, s24
	s_mul_hi_u32 s22, s5, s24
	s_add_u32 s20, s21, s20
	s_addc_u32 s21, 0, s71
	s_add_u32 s20, s20, s70
	s_mul_i32 s24, s5, s24
	s_addc_u32 s20, s21, s69
	s_addc_u32 s21, s22, 0
	s_add_u32 s20, s20, s24
	s_addc_u32 s21, 0, s21
	v_add_co_u32 v2, s20, v2, s20
	s_delay_alu instid0(VALU_DEP_1) | instskip(SKIP_2) | instid1(VALU_DEP_1)
	s_cmp_lg_u32 s20, 0
	s_addc_u32 s5, s5, s21
	s_ashr_i32 s20, s25, 31
	v_readfirstlane_b32 s22, v2
	s_add_u32 s70, s84, s20
	s_mov_b32 s21, s20
	s_addc_u32 s71, s25, s20
	s_delay_alu instid0(SALU_CYCLE_1) | instskip(NEXT) | instid1(SALU_CYCLE_1)
	s_xor_b64 s[70:71], s[70:71], s[20:21]
	s_mul_i32 s24, s70, s5
	s_mul_hi_u32 s69, s70, s22
	s_mul_hi_u32 s21, s70, s5
	;; [unrolled: 1-line block ×3, first 2 shown]
	s_mul_i32 s22, s71, s22
	s_add_u32 s24, s69, s24
	s_addc_u32 s21, 0, s21
	s_mul_hi_u32 s72, s71, s5
	s_add_u32 s22, s24, s22
	s_mul_i32 s5, s71, s5
	s_addc_u32 s21, s21, s73
	s_addc_u32 s22, s72, 0
	s_add_u32 s5, s21, s5
	s_addc_u32 s21, 0, s22
	s_mul_hi_u32 s22, s33, s5
	s_mul_i32 s5, s33, s5
	s_mul_i32 s21, s33, s21
	v_sub_co_u32 v2, s5, s70, s5
	s_add_i32 s22, s22, s21
	s_cmp_lg_u32 s5, 0
	s_delay_alu instid0(VALU_DEP_1) | instskip(SKIP_2) | instid1(VALU_DEP_1)
	v_sub_co_u32 v4, s5, v2, s33
	s_subb_u32 s21, s71, s22
	s_cmp_lg_u32 s5, 0
	v_cmp_le_u32_e32 vcc_lo, s33, v4
	v_sub_co_u32 v5, s5, v4, s33
	s_subb_u32 s22, s21, 0
	s_cmp_lg_u32 s5, 0
	v_cndmask_b32_e64 v6, 0, -1, vcc_lo
	s_subb_u32 s5, s22, 0
	s_cmp_eq_u32 s22, 0
	v_mov_b32_e32 v8, s5
	s_cselect_b32 vcc_lo, -1, 0
	s_cmp_eq_u32 s21, 0
	v_cndmask_b32_e32 v6, -1, v6, vcc_lo
	v_cmp_le_u32_e32 vcc_lo, s33, v2
	s_cselect_b32 s5, -1, 0
	v_cndmask_b32_e64 v7, 0, -1, vcc_lo
	s_delay_alu instid0(VALU_DEP_3) | instskip(NEXT) | instid1(VALU_DEP_2)
	v_cmp_ne_u32_e32 vcc_lo, 0, v6
	v_cndmask_b32_e64 v6, -1, v7, s5
	v_cndmask_b32_e32 v7, s22, v8, vcc_lo
	v_cndmask_b32_e32 v4, v4, v5, vcc_lo
	s_delay_alu instid0(VALU_DEP_3) | instskip(NEXT) | instid1(VALU_DEP_2)
	v_cmp_ne_u32_e32 vcc_lo, 0, v6
	v_cndmask_b32_e32 v2, v2, v4, vcc_lo
	s_delay_alu instid0(VALU_DEP_4) | instskip(NEXT) | instid1(VALU_DEP_2)
	v_cndmask_b32_e32 v5, s21, v7, vcc_lo
	v_xor_b32_e32 v2, s20, v2
	s_delay_alu instid0(VALU_DEP_2) | instskip(NEXT) | instid1(VALU_DEP_2)
	v_xor_b32_e32 v5, s20, v5
	v_sub_co_u32 v4, vcc_lo, v2, s20
	s_delay_alu instid0(VALU_DEP_2)
	v_subrev_co_ci_u32_e32 v5, vcc_lo, s20, v5, vcc_lo
	s_cbranch_execnz .LBB47_114
.LBB47_113:                             ;   in Loop: Header=BB47_33 Depth=1
	v_cvt_f32_u32_e32 v2, s33
	s_sub_i32 s5, 0, s33
	s_delay_alu instid0(VALU_DEP_1) | instskip(SKIP_2) | instid1(VALU_DEP_1)
	v_rcp_iflag_f32_e32 v2, v2
	s_waitcnt_depctr 0xfff
	v_mul_f32_e32 v2, 0x4f7ffffe, v2
	v_cvt_u32_f32_e32 v2, v2
	s_delay_alu instid0(VALU_DEP_1) | instskip(NEXT) | instid1(VALU_DEP_1)
	v_mul_lo_u32 v4, s5, v2
	v_mul_hi_u32 v4, v2, v4
	s_delay_alu instid0(VALU_DEP_1) | instskip(NEXT) | instid1(VALU_DEP_1)
	v_add_nc_u32_e32 v2, v2, v4
	v_mul_hi_u32 v2, s84, v2
	s_delay_alu instid0(VALU_DEP_1) | instskip(NEXT) | instid1(VALU_DEP_1)
	v_mul_lo_u32 v2, v2, s33
	v_sub_nc_u32_e32 v2, s84, v2
	s_delay_alu instid0(VALU_DEP_1) | instskip(SKIP_1) | instid1(VALU_DEP_2)
	v_subrev_nc_u32_e32 v4, s33, v2
	v_cmp_le_u32_e32 vcc_lo, s33, v2
	v_cndmask_b32_e32 v2, v2, v4, vcc_lo
	s_delay_alu instid0(VALU_DEP_1) | instskip(SKIP_1) | instid1(VALU_DEP_2)
	v_subrev_nc_u32_e32 v4, s33, v2
	v_cmp_le_u32_e32 vcc_lo, s33, v2
	v_cndmask_b32_e32 v18, v2, v4, vcc_lo
	s_delay_alu instid0(VALU_DEP_1)
	v_dual_mov_b32 v4, v18 :: v_dual_mov_b32 v5, v19
.LBB47_114:                             ;   in Loop: Header=BB47_33 Depth=1
	s_delay_alu instid0(VALU_DEP_1) | instskip(NEXT) | instid1(VALU_DEP_2)
	v_sub_co_u32 v8, vcc_lo, s84, v4
	v_sub_co_ci_u32_e32 v9, vcc_lo, s25, v5, vcc_lo
	s_mov_b32 s5, 0
	s_mov_b32 s20, exec_lo
                                        ; implicit-def: $vgpr6_vgpr7
	s_delay_alu instid0(VALU_DEP_1)
	v_cmpx_gt_i64_e64 v[8:9], v[0:1]
	s_cbranch_execz .LBB47_125
; %bb.115:                              ;   in Loop: Header=BB47_33 Depth=1
	v_dual_mov_b32 v10, v16 :: v_dual_mov_b32 v11, v17
	v_dual_mov_b32 v13, v1 :: v_dual_mov_b32 v12, v0
	s_mov_b32 s22, 0
                                        ; implicit-def: $sgpr21
	s_branch .LBB47_117
.LBB47_116:                             ;   in Loop: Header=BB47_117 Depth=2
	s_or_b32 exec_lo, exec_lo, s5
	s_waitcnt vmcnt(0) lgkmcnt(0)
	s_barrier
	buffer_gl0_inv
	ds_load_b128 v[4:7], v19 offset:3072
	v_add_co_u32 v12, s5, v12, s33
	s_delay_alu instid0(VALU_DEP_1)
	v_add_co_ci_u32_e64 v13, s5, 0, v13, s5
	s_waitcnt lgkmcnt(0)
	s_barrier
	buffer_gl0_inv
	v_cmp_ge_i64_e64 s5, v[12:13], v[8:9]
	v_cmp_neq_f64_e32 vcc_lo, 0, v[4:5]
	s_delay_alu instid0(VALU_DEP_2) | instskip(NEXT) | instid1(SALU_CYCLE_1)
	s_or_b32 s5, vcc_lo, s5
	s_and_b32 s24, exec_lo, s5
	v_add_co_u32 v10, s5, v10, s52
	s_delay_alu instid0(VALU_DEP_1) | instskip(SKIP_3) | instid1(SALU_CYCLE_1)
	v_add_co_ci_u32_e64 v11, s5, s53, v11, s5
	s_or_b32 s22, s24, s22
	s_and_not1_b32 s5, s21, exec_lo
	s_and_b32 s21, vcc_lo, exec_lo
	s_or_b32 s21, s5, s21
	s_and_not1_b32 exec_lo, exec_lo, s22
	s_cbranch_execz .LBB47_124
.LBB47_117:                             ;   Parent Loop BB47_33 Depth=1
                                        ; =>  This Inner Loop Header: Depth=2
	s_delay_alu instid0(VALU_DEP_1)
	v_cmp_gt_i64_e32 vcc_lo, s[36:37], v[12:13]
	v_mov_b32_e32 v4, 0
	v_mov_b32_e32 v5, 0
	s_and_saveexec_b32 s5, vcc_lo
	s_cbranch_execz .LBB47_119
; %bb.118:                              ;   in Loop: Header=BB47_117 Depth=2
	global_load_b64 v[4:5], v[10:11], off
.LBB47_119:                             ;   in Loop: Header=BB47_117 Depth=2
	s_or_b32 exec_lo, exec_lo, s5
	s_and_saveexec_b32 s5, vcc_lo
	s_cbranch_execz .LBB47_116
; %bb.120:                              ;   in Loop: Header=BB47_117 Depth=2
	s_waitcnt vmcnt(0)
	v_cmp_o_f64_e32 vcc_lo, v[4:5], v[4:5]
	v_ashrrev_i32_e32 v2, 31, v5
	s_delay_alu instid0(VALU_DEP_1) | instskip(SKIP_1) | instid1(VALU_DEP_2)
	v_or_b32_e32 v6, 0x80000000, v2
	v_xor_b32_e32 v2, v2, v4
	v_xor_b32_e32 v6, v6, v5
	s_delay_alu instid0(VALU_DEP_1) | instskip(NEXT) | instid1(VALU_DEP_3)
	v_cndmask_b32_e32 v6, -1, v6, vcc_lo
	v_cndmask_b32_e32 v2, -1, v2, vcc_lo
	s_delay_alu instid0(VALU_DEP_2) | instskip(NEXT) | instid1(VALU_DEP_2)
	v_and_b32_e32 v7, s67, v6
	v_and_b32_e32 v6, s66, v2
	s_delay_alu instid0(VALU_DEP_1)
	v_cmp_eq_u64_e32 vcc_lo, s[64:65], v[6:7]
	s_and_b32 exec_lo, exec_lo, vcc_lo
	s_cbranch_execz .LBB47_116
; %bb.121:                              ;   in Loop: Header=BB47_117 Depth=2
	v_mov_b32_e32 v2, v19
	ds_store_b128 v19, v[2:5] offset:3072
	s_branch .LBB47_116
.LBB47_122:                             ;   in Loop: Header=BB47_33 Depth=1
	s_mov_b32 s5, -1
                                        ; implicit-def: $sgpr20
                                        ; implicit-def: $sgpr22
                                        ; implicit-def: $sgpr21
	s_branch .LBB47_139
.LBB47_123:                             ;   in Loop: Header=BB47_33 Depth=1
	s_mov_b32 s20, -1
	s_mov_b32 s5, 0
                                        ; implicit-def: $sgpr21
                                        ; implicit-def: $vgpr6_vgpr7
	s_mov_b32 s22, s20
	s_cbranch_execnz .LBB47_126
	s_branch .LBB47_139
.LBB47_124:                             ;   in Loop: Header=BB47_33 Depth=1
	s_or_b32 exec_lo, exec_lo, s22
	s_delay_alu instid0(SALU_CYCLE_1)
	s_and_b32 s5, s21, exec_lo
.LBB47_125:                             ;   in Loop: Header=BB47_33 Depth=1
	s_or_b32 exec_lo, exec_lo, s20
	s_mov_b32 s21, -1
	s_mov_b32 s20, 0
	s_delay_alu instid0(SALU_CYCLE_1)
	s_mov_b32 s22, s20
	s_branch .LBB47_139
.LBB47_126:                             ;   in Loop: Header=BB47_33 Depth=1
	s_add_u32 s22, s82, s18
	s_addc_u32 s21, s83, s19
	s_mov_b32 s20, s51
	s_delay_alu instid0(SALU_CYCLE_1)
	s_cmp_lg_u64 s[20:21], 0
	s_cbranch_scc0 .LBB47_169
; %bb.127:                              ;   in Loop: Header=BB47_33 Depth=1
	v_cvt_f32_u32_e32 v2, s33
	s_sub_u32 s24, 0, s33
	s_subb_u32 s69, 0, 0
	s_delay_alu instid0(VALU_DEP_1) | instskip(NEXT) | instid1(VALU_DEP_1)
	v_fmac_f32_e32 v2, 0x4f800000, v53
	v_rcp_f32_e32 v2, v2
	s_waitcnt_depctr 0xfff
	v_mul_f32_e32 v2, 0x5f7ffffc, v2
	s_delay_alu instid0(VALU_DEP_1) | instskip(NEXT) | instid1(VALU_DEP_1)
	v_mul_f32_e32 v4, 0x2f800000, v2
	v_trunc_f32_e32 v4, v4
	s_delay_alu instid0(VALU_DEP_1) | instskip(SKIP_1) | instid1(VALU_DEP_2)
	v_fmac_f32_e32 v2, 0xcf800000, v4
	v_cvt_u32_f32_e32 v4, v4
	v_cvt_u32_f32_e32 v2, v2
	s_delay_alu instid0(VALU_DEP_2) | instskip(NEXT) | instid1(VALU_DEP_2)
	v_readfirstlane_b32 s5, v4
	v_readfirstlane_b32 s20, v2
	s_delay_alu instid0(VALU_DEP_2) | instskip(NEXT) | instid1(VALU_DEP_1)
	s_mul_i32 s70, s24, s5
	s_mul_hi_u32 s72, s24, s20
	s_mul_i32 s71, s69, s20
	s_add_i32 s70, s72, s70
	s_mul_i32 s73, s24, s20
	s_add_i32 s70, s70, s71
	s_mul_hi_u32 s72, s20, s73
	s_mul_hi_u32 s74, s5, s73
	s_mul_i32 s71, s5, s73
	s_mul_hi_u32 s73, s20, s70
	s_mul_i32 s20, s20, s70
	s_mul_hi_u32 s75, s5, s70
	s_add_u32 s20, s72, s20
	s_addc_u32 s72, 0, s73
	s_add_u32 s20, s20, s71
	s_mul_i32 s70, s5, s70
	s_addc_u32 s20, s72, s74
	s_addc_u32 s71, s75, 0
	s_add_u32 s20, s20, s70
	s_addc_u32 s70, 0, s71
	v_add_co_u32 v2, s20, v2, s20
	s_delay_alu instid0(VALU_DEP_1) | instskip(SKIP_1) | instid1(VALU_DEP_1)
	s_cmp_lg_u32 s20, 0
	s_addc_u32 s5, s5, s70
	v_readfirstlane_b32 s20, v2
	s_mul_i32 s70, s24, s5
	s_delay_alu instid0(VALU_DEP_1)
	s_mul_hi_u32 s71, s24, s20
	s_mul_i32 s69, s69, s20
	s_add_i32 s70, s71, s70
	s_mul_i32 s24, s24, s20
	s_add_i32 s70, s70, s69
	s_mul_hi_u32 s71, s5, s24
	s_mul_i32 s72, s5, s24
	s_mul_hi_u32 s24, s20, s24
	s_mul_hi_u32 s73, s20, s70
	s_mul_i32 s20, s20, s70
	s_mul_hi_u32 s69, s5, s70
	s_add_u32 s20, s24, s20
	s_addc_u32 s24, 0, s73
	s_add_u32 s20, s20, s72
	s_mul_i32 s70, s5, s70
	s_addc_u32 s20, s24, s71
	s_addc_u32 s24, s69, 0
	s_add_u32 s20, s20, s70
	s_addc_u32 s24, 0, s24
	v_add_co_u32 v2, s20, v2, s20
	s_delay_alu instid0(VALU_DEP_1) | instskip(SKIP_2) | instid1(VALU_DEP_1)
	s_cmp_lg_u32 s20, 0
	s_addc_u32 s5, s5, s24
	s_ashr_i32 s70, s21, 31
	v_readfirstlane_b32 s20, v2
	s_add_u32 s72, s22, s70
	s_mov_b32 s71, s70
	s_addc_u32 s73, s21, s70
	s_delay_alu instid0(SALU_CYCLE_1) | instskip(NEXT) | instid1(SALU_CYCLE_1)
	s_xor_b64 s[72:73], s[72:73], s[70:71]
	s_mul_i32 s69, s72, s5
	s_mul_hi_u32 s71, s72, s20
	s_mul_hi_u32 s24, s72, s5
	;; [unrolled: 1-line block ×3, first 2 shown]
	s_mul_i32 s20, s73, s20
	s_add_u32 s69, s71, s69
	s_addc_u32 s24, 0, s24
	s_mul_hi_u32 s74, s73, s5
	s_add_u32 s20, s69, s20
	s_mul_i32 s5, s73, s5
	s_addc_u32 s20, s24, s75
	s_addc_u32 s24, s74, 0
	s_add_u32 s5, s20, s5
	s_addc_u32 s20, 0, s24
	s_mul_hi_u32 s24, s33, s5
	s_mul_i32 s5, s33, s5
	s_mul_i32 s20, s33, s20
	v_sub_co_u32 v2, s5, s72, s5
	s_add_i32 s24, s24, s20
	s_cmp_lg_u32 s5, 0
	s_delay_alu instid0(VALU_DEP_1) | instskip(SKIP_2) | instid1(VALU_DEP_1)
	v_sub_co_u32 v4, s5, v2, s33
	s_subb_u32 s20, s73, s24
	s_cmp_lg_u32 s5, 0
	v_cmp_le_u32_e32 vcc_lo, s33, v4
	v_sub_co_u32 v5, s5, v4, s33
	s_subb_u32 s24, s20, 0
	s_cmp_lg_u32 s5, 0
	v_cndmask_b32_e64 v6, 0, -1, vcc_lo
	s_subb_u32 s5, s24, 0
	s_cmp_eq_u32 s24, 0
	v_mov_b32_e32 v8, s5
	s_cselect_b32 vcc_lo, -1, 0
	s_cmp_eq_u32 s20, 0
	v_cndmask_b32_e32 v6, -1, v6, vcc_lo
	v_cmp_le_u32_e32 vcc_lo, s33, v2
	s_cselect_b32 s5, -1, 0
	v_cndmask_b32_e64 v7, 0, -1, vcc_lo
	s_delay_alu instid0(VALU_DEP_3) | instskip(NEXT) | instid1(VALU_DEP_2)
	v_cmp_ne_u32_e32 vcc_lo, 0, v6
	v_cndmask_b32_e64 v6, -1, v7, s5
	v_cndmask_b32_e32 v7, s24, v8, vcc_lo
	v_cndmask_b32_e32 v4, v4, v5, vcc_lo
	s_delay_alu instid0(VALU_DEP_3) | instskip(NEXT) | instid1(VALU_DEP_2)
	v_cmp_ne_u32_e32 vcc_lo, 0, v6
	v_cndmask_b32_e32 v2, v2, v4, vcc_lo
	s_delay_alu instid0(VALU_DEP_4) | instskip(NEXT) | instid1(VALU_DEP_2)
	v_cndmask_b32_e32 v5, s20, v7, vcc_lo
	v_xor_b32_e32 v2, s70, v2
	s_delay_alu instid0(VALU_DEP_2) | instskip(NEXT) | instid1(VALU_DEP_2)
	v_xor_b32_e32 v5, s70, v5
	v_sub_co_u32 v4, vcc_lo, v2, s70
	s_delay_alu instid0(VALU_DEP_2)
	v_subrev_co_ci_u32_e32 v5, vcc_lo, s70, v5, vcc_lo
	s_cbranch_execnz .LBB47_129
.LBB47_128:                             ;   in Loop: Header=BB47_33 Depth=1
	v_cvt_f32_u32_e32 v2, s33
	s_sub_i32 s5, 0, s33
	s_delay_alu instid0(VALU_DEP_1) | instskip(SKIP_2) | instid1(VALU_DEP_1)
	v_rcp_iflag_f32_e32 v2, v2
	s_waitcnt_depctr 0xfff
	v_mul_f32_e32 v2, 0x4f7ffffe, v2
	v_cvt_u32_f32_e32 v2, v2
	s_delay_alu instid0(VALU_DEP_1) | instskip(NEXT) | instid1(VALU_DEP_1)
	v_mul_lo_u32 v4, s5, v2
	v_mul_hi_u32 v4, v2, v4
	s_delay_alu instid0(VALU_DEP_1) | instskip(NEXT) | instid1(VALU_DEP_1)
	v_add_nc_u32_e32 v2, v2, v4
	v_mul_hi_u32 v2, s22, v2
	s_delay_alu instid0(VALU_DEP_1) | instskip(NEXT) | instid1(VALU_DEP_1)
	v_mul_lo_u32 v2, v2, s33
	v_sub_nc_u32_e32 v2, s22, v2
	s_delay_alu instid0(VALU_DEP_1) | instskip(SKIP_1) | instid1(VALU_DEP_2)
	v_subrev_nc_u32_e32 v4, s33, v2
	v_cmp_le_u32_e32 vcc_lo, s33, v2
	v_cndmask_b32_e32 v2, v2, v4, vcc_lo
	s_delay_alu instid0(VALU_DEP_1) | instskip(SKIP_1) | instid1(VALU_DEP_2)
	v_subrev_nc_u32_e32 v4, s33, v2
	v_cmp_le_u32_e32 vcc_lo, s33, v2
	v_cndmask_b32_e32 v18, v2, v4, vcc_lo
	s_delay_alu instid0(VALU_DEP_1)
	v_dual_mov_b32 v4, v18 :: v_dual_mov_b32 v5, v19
.LBB47_129:                             ;   in Loop: Header=BB47_33 Depth=1
	s_delay_alu instid0(VALU_DEP_1) | instskip(NEXT) | instid1(VALU_DEP_2)
	v_sub_co_u32 v8, vcc_lo, s22, v4
	v_sub_co_ci_u32_e32 v9, vcc_lo, s21, v5, vcc_lo
	s_mov_b32 s5, 0
	s_mov_b32 s20, exec_lo
                                        ; implicit-def: $vgpr6_vgpr7
	s_delay_alu instid0(VALU_DEP_1)
	v_cmpx_gt_i64_e64 v[8:9], v[0:1]
	s_cbranch_execz .LBB47_138
; %bb.130:                              ;   in Loop: Header=BB47_33 Depth=1
	v_mov_b32_e32 v12, v45
	v_dual_mov_b32 v11, v1 :: v_dual_mov_b32 v10, v0
	s_mov_b32 s22, 0
                                        ; implicit-def: $sgpr21
	s_set_inst_prefetch_distance 0x1
	s_branch .LBB47_132
	.p2align	6
.LBB47_131:                             ;   in Loop: Header=BB47_132 Depth=2
	s_or_b32 exec_lo, exec_lo, s5
	s_waitcnt lgkmcnt(0)
	s_barrier
	buffer_gl0_inv
	ds_load_b128 v[4:7], v19 offset:3072
	v_add_co_u32 v10, s5, v10, s33
	s_delay_alu instid0(VALU_DEP_1) | instskip(SKIP_3) | instid1(VALU_DEP_2)
	v_add_co_ci_u32_e64 v11, s5, 0, v11, s5
	v_add_nc_u32_e32 v12, s90, v12
	s_waitcnt lgkmcnt(0)
	s_barrier
	v_cmp_ge_i64_e64 s5, v[10:11], v[8:9]
	buffer_gl0_inv
	v_cmp_neq_f64_e32 vcc_lo, 0, v[4:5]
	s_or_b32 s5, vcc_lo, s5
	s_delay_alu instid0(SALU_CYCLE_1) | instskip(NEXT) | instid1(SALU_CYCLE_1)
	s_and_b32 s5, exec_lo, s5
	s_or_b32 s22, s5, s22
	s_and_not1_b32 s5, s21, exec_lo
	s_and_b32 s21, vcc_lo, exec_lo
	s_delay_alu instid0(SALU_CYCLE_1)
	s_or_b32 s21, s5, s21
	s_and_not1_b32 exec_lo, exec_lo, s22
	s_cbranch_execz .LBB47_137
.LBB47_132:                             ;   Parent Loop BB47_33 Depth=1
                                        ; =>  This Inner Loop Header: Depth=2
	s_delay_alu instid0(VALU_DEP_1)
	v_cmp_gt_i64_e32 vcc_lo, s[18:19], v[10:11]
	v_mov_b32_e32 v4, 0
	v_mov_b32_e32 v5, 0
	s_and_saveexec_b32 s5, vcc_lo
	s_cbranch_execz .LBB47_134
; %bb.133:                              ;   in Loop: Header=BB47_132 Depth=2
	ds_load_b64 v[4:5], v12
.LBB47_134:                             ;   in Loop: Header=BB47_132 Depth=2
	s_or_b32 exec_lo, exec_lo, s5
	s_and_saveexec_b32 s5, vcc_lo
	s_cbranch_execz .LBB47_131
; %bb.135:                              ;   in Loop: Header=BB47_132 Depth=2
	s_waitcnt lgkmcnt(0)
	v_cmp_o_f64_e32 vcc_lo, v[4:5], v[4:5]
	v_ashrrev_i32_e32 v2, 31, v5
	s_delay_alu instid0(VALU_DEP_1) | instskip(SKIP_1) | instid1(VALU_DEP_2)
	v_or_b32_e32 v6, 0x80000000, v2
	v_xor_b32_e32 v2, v2, v4
	v_xor_b32_e32 v6, v6, v5
	s_delay_alu instid0(VALU_DEP_1) | instskip(NEXT) | instid1(VALU_DEP_3)
	v_cndmask_b32_e32 v6, -1, v6, vcc_lo
	v_cndmask_b32_e32 v2, -1, v2, vcc_lo
	s_delay_alu instid0(VALU_DEP_2) | instskip(NEXT) | instid1(VALU_DEP_2)
	v_and_b32_e32 v7, s67, v6
	v_and_b32_e32 v6, s66, v2
	s_delay_alu instid0(VALU_DEP_1)
	v_cmp_eq_u64_e32 vcc_lo, s[64:65], v[6:7]
	s_and_b32 exec_lo, exec_lo, vcc_lo
	s_cbranch_execz .LBB47_131
; %bb.136:                              ;   in Loop: Header=BB47_132 Depth=2
	v_mov_b32_e32 v2, v19
	ds_store_b128 v19, v[2:5] offset:3072
	s_branch .LBB47_131
.LBB47_137:                             ;   in Loop: Header=BB47_33 Depth=1
	s_set_inst_prefetch_distance 0x2
	s_or_b32 exec_lo, exec_lo, s22
	s_delay_alu instid0(SALU_CYCLE_1)
	s_and_b32 s5, s21, exec_lo
.LBB47_138:                             ;   in Loop: Header=BB47_33 Depth=1
	s_or_b32 exec_lo, exec_lo, s20
	s_mov_b32 s22, -1
	s_mov_b32 s20, 0
	s_mov_b32 s21, 0
.LBB47_139:                             ;   in Loop: Header=BB47_33 Depth=1
	s_and_not1_b32 s18, s97, exec_lo
	s_and_b32 s19, s20, exec_lo
	s_and_not1_b32 s20, s98, exec_lo
	s_or_b32 s97, s18, s19
	s_and_not1_b32 s18, s99, exec_lo
	s_and_b32 s19, s22, exec_lo
	s_and_b32 s21, s21, exec_lo
	s_or_b32 s99, s18, s19
	s_or_b32 s98, s20, s21
	s_and_saveexec_b32 s22, s5
	s_cbranch_execz .LBB47_32
; %bb.140:                              ;   in Loop: Header=BB47_33 Depth=1
	s_xor_b32 s5, s68, -1
	s_delay_alu instid0(SALU_CYCLE_1)
	s_and_not1_b32 vcc_lo, exec_lo, s5
	s_mov_b32 s5, 1
	s_cbranch_vccnz .LBB47_151
; %bb.141:                              ;   in Loop: Header=BB47_33 Depth=1
	v_cmp_gt_i64_e64 s5, s[38:39], s[16:17]
	s_mov_b32 s24, -1
                                        ; implicit-def: $sgpr18_sgpr19
                                        ; implicit-def: $sgpr20_sgpr21
	s_delay_alu instid0(VALU_DEP_1)
	s_and_b32 vcc_lo, exec_lo, s5
                                        ; implicit-def: $sgpr5
	s_cbranch_vccnz .LBB47_147
; %bb.142:                              ;   in Loop: Header=BB47_33 Depth=1
	ds_load_b64 v[4:5], v19 offset:5120
	s_waitcnt lgkmcnt(0)
	v_cmp_ne_u64_e32 vcc_lo, 0, v[4:5]
	s_cbranch_vccnz .LBB47_146
; %bb.143:                              ;   in Loop: Header=BB47_33 Depth=1
	s_and_saveexec_b32 s5, s0
	s_cbranch_execz .LBB47_145
; %bb.144:                              ;   in Loop: Header=BB47_33 Depth=1
	v_dual_mov_b32 v4, s16 :: v_dual_mov_b32 v5, s17
	ds_store_b64 v19, v[4:5] offset:5128
.LBB47_145:                             ;   in Loop: Header=BB47_33 Depth=1
	s_or_b32 exec_lo, exec_lo, s5
	s_waitcnt lgkmcnt(0)
	s_barrier
	buffer_gl0_inv
.LBB47_146:                             ;   in Loop: Header=BB47_33 Depth=1
	s_and_b64 s[18:19], s[64:65], s[12:13]
	s_or_b64 s[20:21], s[66:67], s[8:9]
	s_mov_b32 s24, 0
	s_mov_b32 s5, 8
.LBB47_147:                             ;   in Loop: Header=BB47_33 Depth=1
	s_and_not1_b32 vcc_lo, exec_lo, s24
	s_cbranch_vccnz .LBB47_149
; %bb.148:                              ;   in Loop: Header=BB47_33 Depth=1
	s_sub_u32 s38, s38, s16
	s_subb_u32 s39, s39, s17
	s_mov_b32 s24, -1
	s_mov_b32 s5, 0
	s_mov_b64 s[18:19], s[64:65]
	s_mov_b64 s[20:21], s[66:67]
.LBB47_149:                             ;   in Loop: Header=BB47_33 Depth=1
	s_delay_alu instid0(SALU_CYCLE_1)
	s_mov_b64 s[66:67], s[20:21]
	s_mov_b64 s[64:65], s[18:19]
	s_and_b32 vcc_lo, exec_lo, s24
	s_mov_b32 s20, -1
	s_cbranch_vccnz .LBB47_152
.LBB47_150:                             ;   in Loop: Header=BB47_33 Depth=1
	s_mov_b32 s16, -1
                                        ; implicit-def: $sgpr21
                                        ; implicit-def: $sgpr68
                                        ; implicit-def: $sgpr50
	s_delay_alu instid0(SALU_CYCLE_1) | instskip(NEXT) | instid1(SALU_CYCLE_1)
	s_and_saveexec_b32 s6, s16
	s_xor_b32 s6, exec_lo, s6
	s_cbranch_execz .LBB47_31
	s_branch .LBB47_298
.LBB47_151:                             ;   in Loop: Header=BB47_33 Depth=1
	s_mov_b64 s[38:39], 1
	s_mov_b32 s20, -1
	s_branch .LBB47_150
.LBB47_152:                             ;   in Loop: Header=BB47_33 Depth=1
	s_cmp_eq_u64 s[14:15], 1
	s_mov_b32 s18, -1
	s_cselect_b32 s5, -1, 0
	s_cmp_eq_u64 s[38:39], 1
	s_cselect_b32 s16, -1, 0
	s_delay_alu instid0(SALU_CYCLE_1) | instskip(NEXT) | instid1(SALU_CYCLE_1)
	s_and_b32 s70, s5, s16
	s_and_b32 vcc_lo, exec_lo, s70
	s_cbranch_vccz .LBB47_167
; %bb.153:                              ;   in Loop: Header=BB47_33 Depth=1
	ds_load_b64 v[4:5], v19 offset:5120
	s_waitcnt lgkmcnt(0)
	s_barrier
	buffer_gl0_inv
	v_readfirstlane_b32 s16, v4
	v_readfirstlane_b32 s17, v5
	s_and_saveexec_b32 s5, s3
	s_cbranch_execz .LBB47_155
; %bb.154:                              ;   in Loop: Header=BB47_33 Depth=1
	v_mov_b32_e32 v18, v19
	ds_store_b64 v46, v[18:19]
.LBB47_155:                             ;   in Loop: Header=BB47_33 Depth=1
	s_or_b32 exec_lo, exec_lo, s5
	s_delay_alu instid0(VALU_DEP_1)
	v_cmp_gt_i64_e64 s5, s[16:17], 0
	s_lshl_b64 s[18:19], 1, s23
	s_and_b64 s[64:65], s[64:65], s[12:13]
	s_or_b64 s[66:67], s[66:67], s[8:9]
	s_or_b64 s[64:65], s[64:65], s[18:19]
	s_waitcnt lgkmcnt(0)
	s_and_b32 vcc_lo, exec_lo, s5
	s_barrier
	buffer_gl0_inv
	s_cbranch_vccnz .LBB47_170
; %bb.156:                              ;   in Loop: Header=BB47_33 Depth=1
	s_mov_b32 s24, s51
	s_delay_alu instid0(SALU_CYCLE_1)
	s_cmp_lg_u64 s[24:25], 0
	s_cbranch_scc0 .LBB47_215
; %bb.157:                              ;   in Loop: Header=BB47_33 Depth=1
	v_cvt_f32_u32_e32 v2, s33
	s_sub_u32 s19, 0, s33
	s_subb_u32 s21, 0, 0
	s_delay_alu instid0(VALU_DEP_1) | instskip(NEXT) | instid1(VALU_DEP_1)
	v_fmac_f32_e32 v2, 0x4f800000, v53
	v_rcp_f32_e32 v2, v2
	s_waitcnt_depctr 0xfff
	v_mul_f32_e32 v2, 0x5f7ffffc, v2
	s_delay_alu instid0(VALU_DEP_1) | instskip(NEXT) | instid1(VALU_DEP_1)
	v_mul_f32_e32 v4, 0x2f800000, v2
	v_trunc_f32_e32 v4, v4
	s_delay_alu instid0(VALU_DEP_1) | instskip(SKIP_1) | instid1(VALU_DEP_2)
	v_fmac_f32_e32 v2, 0xcf800000, v4
	v_cvt_u32_f32_e32 v4, v4
	v_cvt_u32_f32_e32 v2, v2
	s_delay_alu instid0(VALU_DEP_2) | instskip(NEXT) | instid1(VALU_DEP_2)
	v_readfirstlane_b32 s5, v4
	v_readfirstlane_b32 s18, v2
	s_delay_alu instid0(VALU_DEP_2) | instskip(NEXT) | instid1(VALU_DEP_1)
	s_mul_i32 s24, s19, s5
	s_mul_hi_u32 s68, s19, s18
	s_mul_i32 s50, s21, s18
	s_add_i32 s24, s68, s24
	s_mul_i32 s69, s19, s18
	s_add_i32 s24, s24, s50
	s_mul_hi_u32 s68, s18, s69
	s_mul_hi_u32 s71, s5, s69
	s_mul_i32 s50, s5, s69
	s_mul_hi_u32 s69, s18, s24
	s_mul_i32 s18, s18, s24
	s_mul_hi_u32 s72, s5, s24
	s_add_u32 s18, s68, s18
	s_addc_u32 s68, 0, s69
	s_add_u32 s18, s18, s50
	s_mul_i32 s24, s5, s24
	s_addc_u32 s18, s68, s71
	s_addc_u32 s50, s72, 0
	s_add_u32 s18, s18, s24
	s_addc_u32 s24, 0, s50
	v_add_co_u32 v2, s18, v2, s18
	s_delay_alu instid0(VALU_DEP_1) | instskip(SKIP_1) | instid1(VALU_DEP_1)
	s_cmp_lg_u32 s18, 0
	s_addc_u32 s5, s5, s24
	v_readfirstlane_b32 s18, v2
	s_mul_i32 s24, s19, s5
	s_delay_alu instid0(VALU_DEP_1)
	s_mul_hi_u32 s50, s19, s18
	s_mul_i32 s21, s21, s18
	s_add_i32 s24, s50, s24
	s_mul_i32 s19, s19, s18
	s_add_i32 s24, s24, s21
	s_mul_hi_u32 s50, s5, s19
	s_mul_i32 s68, s5, s19
	s_mul_hi_u32 s19, s18, s19
	s_mul_hi_u32 s69, s18, s24
	s_mul_i32 s18, s18, s24
	s_mul_hi_u32 s21, s5, s24
	s_add_u32 s18, s19, s18
	s_addc_u32 s19, 0, s69
	s_add_u32 s18, s18, s68
	s_mul_i32 s24, s5, s24
	s_addc_u32 s18, s19, s50
	s_addc_u32 s19, s21, 0
	s_add_u32 s18, s18, s24
	s_addc_u32 s19, 0, s19
	v_add_co_u32 v2, s18, v2, s18
	s_delay_alu instid0(VALU_DEP_1) | instskip(SKIP_2) | instid1(VALU_DEP_1)
	s_cmp_lg_u32 s18, 0
	s_addc_u32 s5, s5, s19
	s_ashr_i32 s18, s25, 31
	v_readfirstlane_b32 s21, v2
	s_add_u32 s68, s84, s18
	s_mov_b32 s19, s18
	s_addc_u32 s69, s25, s18
	s_delay_alu instid0(SALU_CYCLE_1) | instskip(NEXT) | instid1(SALU_CYCLE_1)
	s_xor_b64 s[68:69], s[68:69], s[18:19]
	s_mul_i32 s24, s68, s5
	s_mul_hi_u32 s50, s68, s21
	s_mul_hi_u32 s19, s68, s5
	s_mul_hi_u32 s72, s69, s21
	s_mul_i32 s21, s69, s21
	s_add_u32 s24, s50, s24
	s_addc_u32 s19, 0, s19
	s_mul_hi_u32 s71, s69, s5
	s_add_u32 s21, s24, s21
	s_mul_i32 s5, s69, s5
	s_addc_u32 s19, s19, s72
	s_addc_u32 s21, s71, 0
	s_add_u32 s5, s19, s5
	s_addc_u32 s19, 0, s21
	s_mul_hi_u32 s21, s33, s5
	s_mul_i32 s5, s33, s5
	s_mul_i32 s19, s33, s19
	v_sub_co_u32 v2, s5, s68, s5
	s_add_i32 s21, s21, s19
	s_cmp_lg_u32 s5, 0
	s_delay_alu instid0(VALU_DEP_1) | instskip(SKIP_2) | instid1(VALU_DEP_1)
	v_sub_co_u32 v4, s5, v2, s33
	s_subb_u32 s19, s69, s21
	s_cmp_lg_u32 s5, 0
	v_cmp_le_u32_e32 vcc_lo, s33, v4
	v_sub_co_u32 v5, s5, v4, s33
	s_subb_u32 s21, s19, 0
	s_cmp_lg_u32 s5, 0
	v_cndmask_b32_e64 v6, 0, -1, vcc_lo
	s_subb_u32 s5, s21, 0
	s_cmp_eq_u32 s21, 0
	v_mov_b32_e32 v8, s5
	s_cselect_b32 vcc_lo, -1, 0
	s_cmp_eq_u32 s19, 0
	v_cndmask_b32_e32 v6, -1, v6, vcc_lo
	v_cmp_le_u32_e32 vcc_lo, s33, v2
	s_cselect_b32 s5, -1, 0
	v_cndmask_b32_e64 v7, 0, -1, vcc_lo
	s_delay_alu instid0(VALU_DEP_3) | instskip(NEXT) | instid1(VALU_DEP_2)
	v_cmp_ne_u32_e32 vcc_lo, 0, v6
	v_cndmask_b32_e64 v6, -1, v7, s5
	v_cndmask_b32_e32 v7, s21, v8, vcc_lo
	v_cndmask_b32_e32 v4, v4, v5, vcc_lo
	s_delay_alu instid0(VALU_DEP_3) | instskip(NEXT) | instid1(VALU_DEP_2)
	v_cmp_ne_u32_e32 vcc_lo, 0, v6
	v_cndmask_b32_e32 v2, v2, v4, vcc_lo
	s_delay_alu instid0(VALU_DEP_4) | instskip(NEXT) | instid1(VALU_DEP_2)
	v_cndmask_b32_e32 v5, s19, v7, vcc_lo
	v_xor_b32_e32 v2, s18, v2
	s_delay_alu instid0(VALU_DEP_2) | instskip(NEXT) | instid1(VALU_DEP_2)
	v_xor_b32_e32 v5, s18, v5
	v_sub_co_u32 v4, vcc_lo, v2, s18
	s_delay_alu instid0(VALU_DEP_2)
	v_subrev_co_ci_u32_e32 v5, vcc_lo, s18, v5, vcc_lo
	s_cbranch_execnz .LBB47_159
.LBB47_158:                             ;   in Loop: Header=BB47_33 Depth=1
	v_cvt_f32_u32_e32 v2, s33
	s_sub_i32 s5, 0, s33
	s_delay_alu instid0(VALU_DEP_1) | instskip(SKIP_2) | instid1(VALU_DEP_1)
	v_rcp_iflag_f32_e32 v2, v2
	s_waitcnt_depctr 0xfff
	v_mul_f32_e32 v2, 0x4f7ffffe, v2
	v_cvt_u32_f32_e32 v2, v2
	s_delay_alu instid0(VALU_DEP_1) | instskip(NEXT) | instid1(VALU_DEP_1)
	v_mul_lo_u32 v4, s5, v2
	v_mul_hi_u32 v4, v2, v4
	s_delay_alu instid0(VALU_DEP_1) | instskip(NEXT) | instid1(VALU_DEP_1)
	v_add_nc_u32_e32 v2, v2, v4
	v_mul_hi_u32 v2, s84, v2
	s_delay_alu instid0(VALU_DEP_1) | instskip(NEXT) | instid1(VALU_DEP_1)
	v_mul_lo_u32 v2, v2, s33
	v_sub_nc_u32_e32 v2, s84, v2
	s_delay_alu instid0(VALU_DEP_1) | instskip(SKIP_1) | instid1(VALU_DEP_2)
	v_subrev_nc_u32_e32 v4, s33, v2
	v_cmp_le_u32_e32 vcc_lo, s33, v2
	v_cndmask_b32_e32 v2, v2, v4, vcc_lo
	s_delay_alu instid0(VALU_DEP_1) | instskip(SKIP_1) | instid1(VALU_DEP_2)
	v_subrev_nc_u32_e32 v4, s33, v2
	v_cmp_le_u32_e32 vcc_lo, s33, v2
	v_cndmask_b32_e32 v18, v2, v4, vcc_lo
	s_delay_alu instid0(VALU_DEP_1)
	v_dual_mov_b32 v4, v18 :: v_dual_mov_b32 v5, v19
.LBB47_159:                             ;   in Loop: Header=BB47_33 Depth=1
	s_delay_alu instid0(VALU_DEP_1) | instskip(NEXT) | instid1(VALU_DEP_2)
	v_sub_co_u32 v8, vcc_lo, s84, v4
	v_sub_co_ci_u32_e32 v9, vcc_lo, s25, v5, vcc_lo
	s_mov_b32 s18, 0
	s_mov_b32 s19, exec_lo
                                        ; implicit-def: $vgpr6_vgpr7
	s_delay_alu instid0(VALU_DEP_1)
	v_cmpx_gt_i64_e64 v[8:9], v[0:1]
	s_cbranch_execz .LBB47_172
; %bb.160:                              ;   in Loop: Header=BB47_33 Depth=1
	v_dual_mov_b32 v10, v16 :: v_dual_mov_b32 v11, v17
	v_dual_mov_b32 v13, v1 :: v_dual_mov_b32 v12, v0
	s_mov_b32 s21, 0
                                        ; implicit-def: $sgpr18
	s_branch .LBB47_162
.LBB47_161:                             ;   in Loop: Header=BB47_162 Depth=2
	s_or_b32 exec_lo, exec_lo, s5
	s_waitcnt vmcnt(0) lgkmcnt(0)
	s_barrier
	buffer_gl0_inv
	ds_load_b128 v[4:7], v19 offset:3072
	v_add_co_u32 v12, s5, v12, s33
	s_delay_alu instid0(VALU_DEP_1)
	v_add_co_ci_u32_e64 v13, s5, 0, v13, s5
	s_waitcnt lgkmcnt(0)
	s_barrier
	buffer_gl0_inv
	v_cmp_ge_i64_e64 s5, v[12:13], v[8:9]
	v_cmp_neq_f64_e32 vcc_lo, 0, v[4:5]
	s_delay_alu instid0(VALU_DEP_2) | instskip(NEXT) | instid1(SALU_CYCLE_1)
	s_or_b32 s5, vcc_lo, s5
	s_and_b32 s24, exec_lo, s5
	v_add_co_u32 v10, s5, v10, s52
	s_delay_alu instid0(VALU_DEP_1) | instskip(SKIP_3) | instid1(SALU_CYCLE_1)
	v_add_co_ci_u32_e64 v11, s5, s53, v11, s5
	s_or_b32 s21, s24, s21
	s_and_not1_b32 s5, s18, exec_lo
	s_and_b32 s18, vcc_lo, exec_lo
	s_or_b32 s18, s5, s18
	s_and_not1_b32 exec_lo, exec_lo, s21
	s_cbranch_execz .LBB47_171
.LBB47_162:                             ;   Parent Loop BB47_33 Depth=1
                                        ; =>  This Inner Loop Header: Depth=2
	s_delay_alu instid0(VALU_DEP_1)
	v_cmp_gt_i64_e32 vcc_lo, s[36:37], v[12:13]
	v_mov_b32_e32 v4, 0
	v_mov_b32_e32 v5, 0
	s_and_saveexec_b32 s5, vcc_lo
	s_cbranch_execz .LBB47_164
; %bb.163:                              ;   in Loop: Header=BB47_162 Depth=2
	global_load_b64 v[4:5], v[10:11], off
.LBB47_164:                             ;   in Loop: Header=BB47_162 Depth=2
	s_or_b32 exec_lo, exec_lo, s5
	s_and_saveexec_b32 s5, vcc_lo
	s_cbranch_execz .LBB47_161
; %bb.165:                              ;   in Loop: Header=BB47_162 Depth=2
	s_waitcnt vmcnt(0)
	v_cmp_o_f64_e32 vcc_lo, v[4:5], v[4:5]
	v_ashrrev_i32_e32 v2, 31, v5
	s_delay_alu instid0(VALU_DEP_1) | instskip(SKIP_1) | instid1(VALU_DEP_2)
	v_or_b32_e32 v6, 0x80000000, v2
	v_xor_b32_e32 v2, v2, v4
	v_xor_b32_e32 v6, v6, v5
	s_delay_alu instid0(VALU_DEP_1) | instskip(NEXT) | instid1(VALU_DEP_3)
	v_cndmask_b32_e32 v6, -1, v6, vcc_lo
	v_cndmask_b32_e32 v2, -1, v2, vcc_lo
	s_delay_alu instid0(VALU_DEP_2) | instskip(NEXT) | instid1(VALU_DEP_2)
	v_and_b32_e32 v7, s67, v6
	v_and_b32_e32 v6, s66, v2
	s_delay_alu instid0(VALU_DEP_1)
	v_cmp_eq_u64_e32 vcc_lo, s[64:65], v[6:7]
	s_and_b32 exec_lo, exec_lo, vcc_lo
	s_cbranch_execz .LBB47_161
; %bb.166:                              ;   in Loop: Header=BB47_162 Depth=2
	v_mov_b32_e32 v2, v19
	ds_store_b128 v19, v[2:5] offset:3072
	s_branch .LBB47_161
.LBB47_167:                             ;   in Loop: Header=BB47_33 Depth=1
                                        ; implicit-def: $sgpr50
                                        ; implicit-def: $sgpr68
                                        ; implicit-def: $sgpr21
	s_branch .LBB47_186
.LBB47_168:                             ;   in Loop: Header=BB47_33 Depth=1
                                        ; implicit-def: $vgpr4_vgpr5
	s_branch .LBB47_113
.LBB47_169:                             ;   in Loop: Header=BB47_33 Depth=1
                                        ; implicit-def: $vgpr4_vgpr5
	s_branch .LBB47_128
.LBB47_170:                             ;   in Loop: Header=BB47_33 Depth=1
	s_mov_b32 s50, -1
	s_mov_b32 s18, 0
                                        ; implicit-def: $sgpr21
                                        ; implicit-def: $vgpr6_vgpr7
	s_mov_b32 s68, s50
	s_cbranch_execnz .LBB47_173
	s_branch .LBB47_186
.LBB47_171:                             ;   in Loop: Header=BB47_33 Depth=1
	s_or_b32 exec_lo, exec_lo, s21
	s_delay_alu instid0(SALU_CYCLE_1)
	s_and_b32 s18, s18, exec_lo
.LBB47_172:                             ;   in Loop: Header=BB47_33 Depth=1
	s_or_b32 exec_lo, exec_lo, s19
	s_mov_b32 s21, -1
	s_mov_b32 s50, 0
	s_delay_alu instid0(SALU_CYCLE_1)
	s_mov_b32 s68, s50
	s_branch .LBB47_186
.LBB47_173:                             ;   in Loop: Header=BB47_33 Depth=1
	s_add_u32 s21, s82, s16
	s_addc_u32 s19, s83, s17
	s_mov_b32 s18, s51
	s_delay_alu instid0(SALU_CYCLE_1)
	s_cmp_lg_u64 s[18:19], 0
	s_cbranch_scc0 .LBB47_216
; %bb.174:                              ;   in Loop: Header=BB47_33 Depth=1
	v_cvt_f32_u32_e32 v2, s33
	s_sub_u32 s24, 0, s33
	s_subb_u32 s50, 0, 0
	s_delay_alu instid0(VALU_DEP_1) | instskip(NEXT) | instid1(VALU_DEP_1)
	v_fmac_f32_e32 v2, 0x4f800000, v53
	v_rcp_f32_e32 v2, v2
	s_waitcnt_depctr 0xfff
	v_mul_f32_e32 v2, 0x5f7ffffc, v2
	s_delay_alu instid0(VALU_DEP_1) | instskip(NEXT) | instid1(VALU_DEP_1)
	v_mul_f32_e32 v4, 0x2f800000, v2
	v_trunc_f32_e32 v4, v4
	s_delay_alu instid0(VALU_DEP_1) | instskip(SKIP_1) | instid1(VALU_DEP_2)
	v_fmac_f32_e32 v2, 0xcf800000, v4
	v_cvt_u32_f32_e32 v4, v4
	v_cvt_u32_f32_e32 v2, v2
	s_delay_alu instid0(VALU_DEP_2) | instskip(NEXT) | instid1(VALU_DEP_2)
	v_readfirstlane_b32 s5, v4
	v_readfirstlane_b32 s18, v2
	s_delay_alu instid0(VALU_DEP_2) | instskip(NEXT) | instid1(VALU_DEP_1)
	s_mul_i32 s68, s24, s5
	s_mul_hi_u32 s71, s24, s18
	s_mul_i32 s69, s50, s18
	s_add_i32 s68, s71, s68
	s_mul_i32 s72, s24, s18
	s_add_i32 s68, s68, s69
	s_mul_hi_u32 s71, s18, s72
	s_mul_hi_u32 s73, s5, s72
	s_mul_i32 s69, s5, s72
	s_mul_hi_u32 s72, s18, s68
	s_mul_i32 s18, s18, s68
	s_mul_hi_u32 s74, s5, s68
	s_add_u32 s18, s71, s18
	s_addc_u32 s71, 0, s72
	s_add_u32 s18, s18, s69
	s_mul_i32 s68, s5, s68
	s_addc_u32 s18, s71, s73
	s_addc_u32 s69, s74, 0
	s_add_u32 s18, s18, s68
	s_addc_u32 s68, 0, s69
	v_add_co_u32 v2, s18, v2, s18
	s_delay_alu instid0(VALU_DEP_1) | instskip(SKIP_1) | instid1(VALU_DEP_1)
	s_cmp_lg_u32 s18, 0
	s_addc_u32 s5, s5, s68
	v_readfirstlane_b32 s18, v2
	s_mul_i32 s68, s24, s5
	s_delay_alu instid0(VALU_DEP_1)
	s_mul_hi_u32 s69, s24, s18
	s_mul_i32 s50, s50, s18
	s_add_i32 s68, s69, s68
	s_mul_i32 s24, s24, s18
	s_add_i32 s68, s68, s50
	s_mul_hi_u32 s69, s5, s24
	s_mul_i32 s71, s5, s24
	s_mul_hi_u32 s24, s18, s24
	s_mul_hi_u32 s72, s18, s68
	s_mul_i32 s18, s18, s68
	s_mul_hi_u32 s50, s5, s68
	s_add_u32 s18, s24, s18
	s_addc_u32 s24, 0, s72
	s_add_u32 s18, s18, s71
	s_mul_i32 s68, s5, s68
	s_addc_u32 s18, s24, s69
	s_addc_u32 s24, s50, 0
	s_add_u32 s18, s18, s68
	s_addc_u32 s24, 0, s24
	v_add_co_u32 v2, s18, v2, s18
	s_delay_alu instid0(VALU_DEP_1) | instskip(SKIP_2) | instid1(VALU_DEP_1)
	s_cmp_lg_u32 s18, 0
	s_addc_u32 s5, s5, s24
	s_ashr_i32 s68, s19, 31
	v_readfirstlane_b32 s18, v2
	s_add_u32 s72, s21, s68
	s_mov_b32 s69, s68
	s_addc_u32 s73, s19, s68
	s_delay_alu instid0(SALU_CYCLE_1) | instskip(NEXT) | instid1(SALU_CYCLE_1)
	s_xor_b64 s[72:73], s[72:73], s[68:69]
	s_mul_i32 s50, s72, s5
	s_mul_hi_u32 s69, s72, s18
	s_mul_hi_u32 s24, s72, s5
	;; [unrolled: 1-line block ×3, first 2 shown]
	s_mul_i32 s18, s73, s18
	s_add_u32 s50, s69, s50
	s_addc_u32 s24, 0, s24
	s_mul_hi_u32 s71, s73, s5
	s_add_u32 s18, s50, s18
	s_mul_i32 s5, s73, s5
	s_addc_u32 s18, s24, s74
	s_addc_u32 s24, s71, 0
	s_add_u32 s5, s18, s5
	s_addc_u32 s18, 0, s24
	s_mul_hi_u32 s24, s33, s5
	s_mul_i32 s5, s33, s5
	s_mul_i32 s18, s33, s18
	v_sub_co_u32 v2, s5, s72, s5
	s_add_i32 s24, s24, s18
	s_cmp_lg_u32 s5, 0
	s_delay_alu instid0(VALU_DEP_1) | instskip(SKIP_2) | instid1(VALU_DEP_1)
	v_sub_co_u32 v4, s5, v2, s33
	s_subb_u32 s18, s73, s24
	s_cmp_lg_u32 s5, 0
	v_cmp_le_u32_e32 vcc_lo, s33, v4
	v_sub_co_u32 v5, s5, v4, s33
	s_subb_u32 s24, s18, 0
	s_cmp_lg_u32 s5, 0
	v_cndmask_b32_e64 v6, 0, -1, vcc_lo
	s_subb_u32 s5, s24, 0
	s_cmp_eq_u32 s24, 0
	v_mov_b32_e32 v8, s5
	s_cselect_b32 vcc_lo, -1, 0
	s_cmp_eq_u32 s18, 0
	v_cndmask_b32_e32 v6, -1, v6, vcc_lo
	v_cmp_le_u32_e32 vcc_lo, s33, v2
	s_cselect_b32 s5, -1, 0
	v_cndmask_b32_e64 v7, 0, -1, vcc_lo
	s_delay_alu instid0(VALU_DEP_3) | instskip(NEXT) | instid1(VALU_DEP_2)
	v_cmp_ne_u32_e32 vcc_lo, 0, v6
	v_cndmask_b32_e64 v6, -1, v7, s5
	v_cndmask_b32_e32 v7, s24, v8, vcc_lo
	v_cndmask_b32_e32 v4, v4, v5, vcc_lo
	s_delay_alu instid0(VALU_DEP_3) | instskip(NEXT) | instid1(VALU_DEP_2)
	v_cmp_ne_u32_e32 vcc_lo, 0, v6
	v_cndmask_b32_e32 v2, v2, v4, vcc_lo
	s_delay_alu instid0(VALU_DEP_4) | instskip(NEXT) | instid1(VALU_DEP_2)
	v_cndmask_b32_e32 v5, s18, v7, vcc_lo
	v_xor_b32_e32 v2, s68, v2
	s_delay_alu instid0(VALU_DEP_2) | instskip(NEXT) | instid1(VALU_DEP_2)
	v_xor_b32_e32 v5, s68, v5
	v_sub_co_u32 v4, vcc_lo, v2, s68
	s_delay_alu instid0(VALU_DEP_2)
	v_subrev_co_ci_u32_e32 v5, vcc_lo, s68, v5, vcc_lo
	s_cbranch_execnz .LBB47_176
.LBB47_175:                             ;   in Loop: Header=BB47_33 Depth=1
	v_cvt_f32_u32_e32 v2, s33
	s_sub_i32 s5, 0, s33
	s_delay_alu instid0(VALU_DEP_1) | instskip(SKIP_2) | instid1(VALU_DEP_1)
	v_rcp_iflag_f32_e32 v2, v2
	s_waitcnt_depctr 0xfff
	v_mul_f32_e32 v2, 0x4f7ffffe, v2
	v_cvt_u32_f32_e32 v2, v2
	s_delay_alu instid0(VALU_DEP_1) | instskip(NEXT) | instid1(VALU_DEP_1)
	v_mul_lo_u32 v4, s5, v2
	v_mul_hi_u32 v4, v2, v4
	s_delay_alu instid0(VALU_DEP_1) | instskip(NEXT) | instid1(VALU_DEP_1)
	v_add_nc_u32_e32 v2, v2, v4
	v_mul_hi_u32 v2, s21, v2
	s_delay_alu instid0(VALU_DEP_1) | instskip(NEXT) | instid1(VALU_DEP_1)
	v_mul_lo_u32 v2, v2, s33
	v_sub_nc_u32_e32 v2, s21, v2
	s_delay_alu instid0(VALU_DEP_1) | instskip(SKIP_1) | instid1(VALU_DEP_2)
	v_subrev_nc_u32_e32 v4, s33, v2
	v_cmp_le_u32_e32 vcc_lo, s33, v2
	v_cndmask_b32_e32 v2, v2, v4, vcc_lo
	s_delay_alu instid0(VALU_DEP_1) | instskip(SKIP_1) | instid1(VALU_DEP_2)
	v_subrev_nc_u32_e32 v4, s33, v2
	v_cmp_le_u32_e32 vcc_lo, s33, v2
	v_cndmask_b32_e32 v18, v2, v4, vcc_lo
	s_delay_alu instid0(VALU_DEP_1)
	v_dual_mov_b32 v4, v18 :: v_dual_mov_b32 v5, v19
.LBB47_176:                             ;   in Loop: Header=BB47_33 Depth=1
	s_delay_alu instid0(VALU_DEP_1) | instskip(NEXT) | instid1(VALU_DEP_2)
	v_sub_co_u32 v8, vcc_lo, s21, v4
	v_sub_co_ci_u32_e32 v9, vcc_lo, s19, v5, vcc_lo
	s_mov_b32 s18, 0
	s_mov_b32 s19, exec_lo
                                        ; implicit-def: $vgpr6_vgpr7
	s_delay_alu instid0(VALU_DEP_1)
	v_cmpx_gt_i64_e64 v[8:9], v[0:1]
	s_cbranch_execz .LBB47_185
; %bb.177:                              ;   in Loop: Header=BB47_33 Depth=1
	v_mov_b32_e32 v12, v45
	v_dual_mov_b32 v11, v1 :: v_dual_mov_b32 v10, v0
	s_mov_b32 s21, 0
                                        ; implicit-def: $sgpr18
	s_set_inst_prefetch_distance 0x1
	s_branch .LBB47_179
	.p2align	6
.LBB47_178:                             ;   in Loop: Header=BB47_179 Depth=2
	s_or_b32 exec_lo, exec_lo, s5
	s_waitcnt lgkmcnt(0)
	s_barrier
	buffer_gl0_inv
	ds_load_b128 v[4:7], v19 offset:3072
	v_add_co_u32 v10, s5, v10, s33
	s_delay_alu instid0(VALU_DEP_1) | instskip(SKIP_3) | instid1(VALU_DEP_2)
	v_add_co_ci_u32_e64 v11, s5, 0, v11, s5
	v_add_nc_u32_e32 v12, s90, v12
	s_waitcnt lgkmcnt(0)
	s_barrier
	v_cmp_ge_i64_e64 s5, v[10:11], v[8:9]
	buffer_gl0_inv
	v_cmp_neq_f64_e32 vcc_lo, 0, v[4:5]
	s_or_b32 s5, vcc_lo, s5
	s_delay_alu instid0(SALU_CYCLE_1) | instskip(NEXT) | instid1(SALU_CYCLE_1)
	s_and_b32 s5, exec_lo, s5
	s_or_b32 s21, s5, s21
	s_and_not1_b32 s5, s18, exec_lo
	s_and_b32 s18, vcc_lo, exec_lo
	s_delay_alu instid0(SALU_CYCLE_1)
	s_or_b32 s18, s5, s18
	s_and_not1_b32 exec_lo, exec_lo, s21
	s_cbranch_execz .LBB47_184
.LBB47_179:                             ;   Parent Loop BB47_33 Depth=1
                                        ; =>  This Inner Loop Header: Depth=2
	s_delay_alu instid0(VALU_DEP_1)
	v_cmp_gt_i64_e32 vcc_lo, s[16:17], v[10:11]
	v_mov_b32_e32 v4, 0
	v_mov_b32_e32 v5, 0
	s_and_saveexec_b32 s5, vcc_lo
	s_cbranch_execz .LBB47_181
; %bb.180:                              ;   in Loop: Header=BB47_179 Depth=2
	ds_load_b64 v[4:5], v12
.LBB47_181:                             ;   in Loop: Header=BB47_179 Depth=2
	s_or_b32 exec_lo, exec_lo, s5
	s_and_saveexec_b32 s5, vcc_lo
	s_cbranch_execz .LBB47_178
; %bb.182:                              ;   in Loop: Header=BB47_179 Depth=2
	s_waitcnt lgkmcnt(0)
	v_cmp_o_f64_e32 vcc_lo, v[4:5], v[4:5]
	v_ashrrev_i32_e32 v2, 31, v5
	s_delay_alu instid0(VALU_DEP_1) | instskip(SKIP_1) | instid1(VALU_DEP_2)
	v_or_b32_e32 v6, 0x80000000, v2
	v_xor_b32_e32 v2, v2, v4
	v_xor_b32_e32 v6, v6, v5
	s_delay_alu instid0(VALU_DEP_1) | instskip(NEXT) | instid1(VALU_DEP_3)
	v_cndmask_b32_e32 v6, -1, v6, vcc_lo
	v_cndmask_b32_e32 v2, -1, v2, vcc_lo
	s_delay_alu instid0(VALU_DEP_2) | instskip(NEXT) | instid1(VALU_DEP_2)
	v_and_b32_e32 v7, s67, v6
	v_and_b32_e32 v6, s66, v2
	s_delay_alu instid0(VALU_DEP_1)
	v_cmp_eq_u64_e32 vcc_lo, s[64:65], v[6:7]
	s_and_b32 exec_lo, exec_lo, vcc_lo
	s_cbranch_execz .LBB47_178
; %bb.183:                              ;   in Loop: Header=BB47_179 Depth=2
	v_mov_b32_e32 v2, v19
	ds_store_b128 v19, v[2:5] offset:3072
	s_branch .LBB47_178
.LBB47_184:                             ;   in Loop: Header=BB47_33 Depth=1
	s_set_inst_prefetch_distance 0x2
	s_or_b32 exec_lo, exec_lo, s21
	s_delay_alu instid0(SALU_CYCLE_1)
	s_and_b32 s18, s18, exec_lo
.LBB47_185:                             ;   in Loop: Header=BB47_33 Depth=1
	s_or_b32 exec_lo, exec_lo, s19
	s_mov_b32 s68, -1
	s_mov_b32 s50, 0
	s_mov_b32 s21, 0
.LBB47_186:                             ;   in Loop: Header=BB47_33 Depth=1
	s_mov_b32 s16, 0
                                        ; implicit-def: $sgpr5
	s_and_saveexec_b32 s69, s18
	s_cbranch_execz .LBB47_297
; %bb.187:                              ;   in Loop: Header=BB47_33 Depth=1
	s_xor_b32 s5, s70, -1
	s_delay_alu instid0(SALU_CYCLE_1)
	s_and_not1_b32 vcc_lo, exec_lo, s5
	s_mov_b32 s5, 1
	s_cbranch_vccnz .LBB47_198
; %bb.188:                              ;   in Loop: Header=BB47_33 Depth=1
	v_cmp_gt_i64_e64 s5, s[38:39], s[14:15]
	s_mov_b32 s24, -1
                                        ; implicit-def: $sgpr16_sgpr17
                                        ; implicit-def: $sgpr18_sgpr19
	s_delay_alu instid0(VALU_DEP_1)
	s_and_b32 vcc_lo, exec_lo, s5
                                        ; implicit-def: $sgpr5
	s_cbranch_vccnz .LBB47_194
; %bb.189:                              ;   in Loop: Header=BB47_33 Depth=1
	ds_load_b64 v[4:5], v19 offset:5120
	s_waitcnt lgkmcnt(0)
	v_cmp_ne_u64_e32 vcc_lo, 0, v[4:5]
	s_cbranch_vccnz .LBB47_193
; %bb.190:                              ;   in Loop: Header=BB47_33 Depth=1
	s_and_saveexec_b32 s5, s0
	s_cbranch_execz .LBB47_192
; %bb.191:                              ;   in Loop: Header=BB47_33 Depth=1
	v_dual_mov_b32 v4, s14 :: v_dual_mov_b32 v5, s15
	ds_store_b64 v19, v[4:5] offset:5128
.LBB47_192:                             ;   in Loop: Header=BB47_33 Depth=1
	s_or_b32 exec_lo, exec_lo, s5
	s_waitcnt lgkmcnt(0)
	s_barrier
	buffer_gl0_inv
.LBB47_193:                             ;   in Loop: Header=BB47_33 Depth=1
	s_lshl_b64 s[16:17], 1, s23
	s_and_b64 s[18:19], s[64:65], s[12:13]
	s_mov_b32 s24, 0
	s_or_b64 s[16:17], s[18:19], s[16:17]
	s_or_b64 s[18:19], s[66:67], s[8:9]
	s_mov_b32 s5, 8
.LBB47_194:                             ;   in Loop: Header=BB47_33 Depth=1
	s_and_not1_b32 vcc_lo, exec_lo, s24
	s_cbranch_vccnz .LBB47_196
; %bb.195:                              ;   in Loop: Header=BB47_33 Depth=1
	s_sub_u32 s38, s38, s14
	s_subb_u32 s39, s39, s15
	s_mov_b32 s24, -1
	s_mov_b32 s5, 0
	s_mov_b64 s[16:17], s[64:65]
	s_mov_b64 s[18:19], s[66:67]
.LBB47_196:                             ;   in Loop: Header=BB47_33 Depth=1
	s_delay_alu instid0(SALU_CYCLE_1)
	s_mov_b64 s[66:67], s[18:19]
	s_mov_b64 s[64:65], s[16:17]
	s_and_not1_b32 vcc_lo, exec_lo, s24
	s_mov_b32 s14, -1
	s_cbranch_vccz .LBB47_199
.LBB47_197:                             ;   in Loop: Header=BB47_33 Depth=1
                                        ; implicit-def: $sgpr19
                                        ; implicit-def: $sgpr70
                                        ; implicit-def: $sgpr18
	s_branch .LBB47_296
.LBB47_198:                             ;   in Loop: Header=BB47_33 Depth=1
	s_mov_b64 s[38:39], 1
	s_mov_b32 s14, -1
	s_cbranch_execnz .LBB47_197
.LBB47_199:                             ;   in Loop: Header=BB47_33 Depth=1
	s_cmp_eq_u64 s[10:11], 1
	s_mov_b32 s16, -1
	s_cselect_b32 s5, -1, 0
	s_cmp_eq_u64 s[38:39], 1
	s_cselect_b32 s14, -1, 0
	s_delay_alu instid0(SALU_CYCLE_1) | instskip(NEXT) | instid1(SALU_CYCLE_1)
	s_and_b32 s72, s5, s14
	s_and_b32 vcc_lo, exec_lo, s72
	s_cbranch_vccz .LBB47_214
; %bb.200:                              ;   in Loop: Header=BB47_33 Depth=1
	ds_load_b64 v[4:5], v19 offset:5120
	s_waitcnt lgkmcnt(0)
	s_barrier
	buffer_gl0_inv
	v_readfirstlane_b32 s14, v4
	v_readfirstlane_b32 s15, v5
	s_and_saveexec_b32 s5, s3
	s_cbranch_execz .LBB47_202
; %bb.201:                              ;   in Loop: Header=BB47_33 Depth=1
	v_mov_b32_e32 v18, v19
	ds_store_b64 v46, v[18:19]
.LBB47_202:                             ;   in Loop: Header=BB47_33 Depth=1
	s_or_b32 exec_lo, exec_lo, s5
	s_delay_alu instid0(VALU_DEP_1)
	v_cmp_gt_i64_e64 s5, s[14:15], 0
	s_lshl_b64 s[16:17], 2, s23
	s_and_b64 s[18:19], s[64:65], s[12:13]
	s_or_b64 s[66:67], s[66:67], s[8:9]
	s_or_b64 s[64:65], s[18:19], s[16:17]
	s_waitcnt lgkmcnt(0)
	s_and_b32 vcc_lo, exec_lo, s5
	s_barrier
	buffer_gl0_inv
	s_cbranch_vccnz .LBB47_217
; %bb.203:                              ;   in Loop: Header=BB47_33 Depth=1
	s_mov_b32 s24, s51
	s_delay_alu instid0(SALU_CYCLE_1)
	s_cmp_lg_u64 s[24:25], 0
	s_cbranch_scc0 .LBB47_262
; %bb.204:                              ;   in Loop: Header=BB47_33 Depth=1
	v_cvt_f32_u32_e32 v2, s33
	s_sub_u32 s17, 0, s33
	s_subb_u32 s18, 0, 0
	s_delay_alu instid0(VALU_DEP_1) | instskip(NEXT) | instid1(VALU_DEP_1)
	v_fmac_f32_e32 v2, 0x4f800000, v53
	v_rcp_f32_e32 v2, v2
	s_waitcnt_depctr 0xfff
	v_mul_f32_e32 v2, 0x5f7ffffc, v2
	s_delay_alu instid0(VALU_DEP_1) | instskip(NEXT) | instid1(VALU_DEP_1)
	v_mul_f32_e32 v4, 0x2f800000, v2
	v_trunc_f32_e32 v4, v4
	s_delay_alu instid0(VALU_DEP_1) | instskip(SKIP_1) | instid1(VALU_DEP_2)
	v_fmac_f32_e32 v2, 0xcf800000, v4
	v_cvt_u32_f32_e32 v4, v4
	v_cvt_u32_f32_e32 v2, v2
	s_delay_alu instid0(VALU_DEP_2) | instskip(NEXT) | instid1(VALU_DEP_2)
	v_readfirstlane_b32 s5, v4
	v_readfirstlane_b32 s16, v2
	s_delay_alu instid0(VALU_DEP_2) | instskip(NEXT) | instid1(VALU_DEP_1)
	s_mul_i32 s19, s17, s5
	s_mul_hi_u32 s70, s17, s16
	s_mul_i32 s24, s18, s16
	s_add_i32 s19, s70, s19
	s_mul_i32 s71, s17, s16
	s_add_i32 s19, s19, s24
	s_mul_hi_u32 s70, s16, s71
	s_mul_hi_u32 s73, s5, s71
	s_mul_i32 s24, s5, s71
	s_mul_hi_u32 s71, s16, s19
	s_mul_i32 s16, s16, s19
	s_mul_hi_u32 s74, s5, s19
	s_add_u32 s16, s70, s16
	s_addc_u32 s70, 0, s71
	s_add_u32 s16, s16, s24
	s_mul_i32 s19, s5, s19
	s_addc_u32 s16, s70, s73
	s_addc_u32 s24, s74, 0
	s_add_u32 s16, s16, s19
	s_addc_u32 s19, 0, s24
	v_add_co_u32 v2, s16, v2, s16
	s_delay_alu instid0(VALU_DEP_1) | instskip(SKIP_1) | instid1(VALU_DEP_1)
	s_cmp_lg_u32 s16, 0
	s_addc_u32 s5, s5, s19
	v_readfirstlane_b32 s16, v2
	s_mul_i32 s19, s17, s5
	s_delay_alu instid0(VALU_DEP_1)
	s_mul_hi_u32 s24, s17, s16
	s_mul_i32 s18, s18, s16
	s_add_i32 s19, s24, s19
	s_mul_i32 s17, s17, s16
	s_add_i32 s19, s19, s18
	s_mul_hi_u32 s24, s5, s17
	s_mul_i32 s70, s5, s17
	s_mul_hi_u32 s17, s16, s17
	s_mul_hi_u32 s71, s16, s19
	s_mul_i32 s16, s16, s19
	s_mul_hi_u32 s18, s5, s19
	s_add_u32 s16, s17, s16
	s_addc_u32 s17, 0, s71
	s_add_u32 s16, s16, s70
	s_mul_i32 s19, s5, s19
	s_addc_u32 s16, s17, s24
	s_addc_u32 s17, s18, 0
	s_add_u32 s16, s16, s19
	s_addc_u32 s17, 0, s17
	v_add_co_u32 v2, s16, v2, s16
	s_delay_alu instid0(VALU_DEP_1) | instskip(SKIP_2) | instid1(VALU_DEP_1)
	s_cmp_lg_u32 s16, 0
	s_addc_u32 s5, s5, s17
	s_ashr_i32 s16, s25, 31
	v_readfirstlane_b32 s24, v2
	s_add_u32 s18, s84, s16
	s_mov_b32 s17, s16
	s_addc_u32 s19, s25, s16
	s_delay_alu instid0(SALU_CYCLE_1) | instskip(NEXT) | instid1(SALU_CYCLE_1)
	s_xor_b64 s[18:19], s[18:19], s[16:17]
	s_mul_i32 s70, s18, s5
	s_mul_hi_u32 s71, s18, s24
	s_mul_hi_u32 s17, s18, s5
	;; [unrolled: 1-line block ×3, first 2 shown]
	s_mul_i32 s24, s19, s24
	s_add_u32 s70, s71, s70
	s_addc_u32 s17, 0, s17
	s_mul_hi_u32 s73, s19, s5
	s_add_u32 s24, s70, s24
	s_mul_i32 s5, s19, s5
	s_addc_u32 s17, s17, s74
	s_addc_u32 s24, s73, 0
	s_add_u32 s5, s17, s5
	s_addc_u32 s17, 0, s24
	s_mul_hi_u32 s24, s33, s5
	s_mul_i32 s5, s33, s5
	s_mul_i32 s17, s33, s17
	v_sub_co_u32 v2, s5, s18, s5
	s_add_i32 s24, s24, s17
	s_cmp_lg_u32 s5, 0
	s_delay_alu instid0(VALU_DEP_1) | instskip(SKIP_2) | instid1(VALU_DEP_1)
	v_sub_co_u32 v4, s5, v2, s33
	s_subb_u32 s17, s19, s24
	s_cmp_lg_u32 s5, 0
	v_cmp_le_u32_e32 vcc_lo, s33, v4
	v_sub_co_u32 v5, s5, v4, s33
	s_subb_u32 s18, s17, 0
	s_cmp_lg_u32 s5, 0
	v_cndmask_b32_e64 v6, 0, -1, vcc_lo
	s_subb_u32 s5, s18, 0
	s_cmp_eq_u32 s18, 0
	v_mov_b32_e32 v8, s5
	s_cselect_b32 vcc_lo, -1, 0
	s_cmp_eq_u32 s17, 0
	v_cndmask_b32_e32 v6, -1, v6, vcc_lo
	v_cmp_le_u32_e32 vcc_lo, s33, v2
	s_cselect_b32 s5, -1, 0
	v_cndmask_b32_e64 v7, 0, -1, vcc_lo
	s_delay_alu instid0(VALU_DEP_3) | instskip(NEXT) | instid1(VALU_DEP_2)
	v_cmp_ne_u32_e32 vcc_lo, 0, v6
	v_cndmask_b32_e64 v6, -1, v7, s5
	v_cndmask_b32_e32 v7, s18, v8, vcc_lo
	v_cndmask_b32_e32 v4, v4, v5, vcc_lo
	s_delay_alu instid0(VALU_DEP_3) | instskip(NEXT) | instid1(VALU_DEP_2)
	v_cmp_ne_u32_e32 vcc_lo, 0, v6
	v_cndmask_b32_e32 v2, v2, v4, vcc_lo
	s_delay_alu instid0(VALU_DEP_4) | instskip(NEXT) | instid1(VALU_DEP_2)
	v_cndmask_b32_e32 v5, s17, v7, vcc_lo
	v_xor_b32_e32 v2, s16, v2
	s_delay_alu instid0(VALU_DEP_2) | instskip(NEXT) | instid1(VALU_DEP_2)
	v_xor_b32_e32 v5, s16, v5
	v_sub_co_u32 v4, vcc_lo, v2, s16
	s_delay_alu instid0(VALU_DEP_2)
	v_subrev_co_ci_u32_e32 v5, vcc_lo, s16, v5, vcc_lo
	s_cbranch_execnz .LBB47_206
.LBB47_205:                             ;   in Loop: Header=BB47_33 Depth=1
	v_cvt_f32_u32_e32 v2, s33
	s_sub_i32 s5, 0, s33
	s_delay_alu instid0(VALU_DEP_1) | instskip(SKIP_2) | instid1(VALU_DEP_1)
	v_rcp_iflag_f32_e32 v2, v2
	s_waitcnt_depctr 0xfff
	v_mul_f32_e32 v2, 0x4f7ffffe, v2
	v_cvt_u32_f32_e32 v2, v2
	s_delay_alu instid0(VALU_DEP_1) | instskip(NEXT) | instid1(VALU_DEP_1)
	v_mul_lo_u32 v4, s5, v2
	v_mul_hi_u32 v4, v2, v4
	s_delay_alu instid0(VALU_DEP_1) | instskip(NEXT) | instid1(VALU_DEP_1)
	v_add_nc_u32_e32 v2, v2, v4
	v_mul_hi_u32 v2, s84, v2
	s_delay_alu instid0(VALU_DEP_1) | instskip(NEXT) | instid1(VALU_DEP_1)
	v_mul_lo_u32 v2, v2, s33
	v_sub_nc_u32_e32 v2, s84, v2
	s_delay_alu instid0(VALU_DEP_1) | instskip(SKIP_1) | instid1(VALU_DEP_2)
	v_subrev_nc_u32_e32 v4, s33, v2
	v_cmp_le_u32_e32 vcc_lo, s33, v2
	v_cndmask_b32_e32 v2, v2, v4, vcc_lo
	s_delay_alu instid0(VALU_DEP_1) | instskip(SKIP_1) | instid1(VALU_DEP_2)
	v_subrev_nc_u32_e32 v4, s33, v2
	v_cmp_le_u32_e32 vcc_lo, s33, v2
	v_cndmask_b32_e32 v18, v2, v4, vcc_lo
	s_delay_alu instid0(VALU_DEP_1)
	v_dual_mov_b32 v4, v18 :: v_dual_mov_b32 v5, v19
.LBB47_206:                             ;   in Loop: Header=BB47_33 Depth=1
	s_delay_alu instid0(VALU_DEP_1) | instskip(NEXT) | instid1(VALU_DEP_2)
	v_sub_co_u32 v8, vcc_lo, s84, v4
	v_sub_co_ci_u32_e32 v9, vcc_lo, s25, v5, vcc_lo
	s_mov_b32 s16, 0
	s_mov_b32 s17, exec_lo
                                        ; implicit-def: $vgpr6_vgpr7
	s_delay_alu instid0(VALU_DEP_1)
	v_cmpx_gt_i64_e64 v[8:9], v[0:1]
	s_cbranch_execz .LBB47_219
; %bb.207:                              ;   in Loop: Header=BB47_33 Depth=1
	v_dual_mov_b32 v10, v16 :: v_dual_mov_b32 v11, v17
	v_dual_mov_b32 v13, v1 :: v_dual_mov_b32 v12, v0
	s_mov_b32 s18, 0
                                        ; implicit-def: $sgpr16
	s_branch .LBB47_209
.LBB47_208:                             ;   in Loop: Header=BB47_209 Depth=2
	s_or_b32 exec_lo, exec_lo, s5
	s_waitcnt vmcnt(0) lgkmcnt(0)
	s_barrier
	buffer_gl0_inv
	ds_load_b128 v[4:7], v19 offset:3072
	v_add_co_u32 v12, s5, v12, s33
	s_delay_alu instid0(VALU_DEP_1)
	v_add_co_ci_u32_e64 v13, s5, 0, v13, s5
	s_waitcnt lgkmcnt(0)
	s_barrier
	buffer_gl0_inv
	v_cmp_ge_i64_e64 s5, v[12:13], v[8:9]
	v_cmp_neq_f64_e32 vcc_lo, 0, v[4:5]
	s_delay_alu instid0(VALU_DEP_2) | instskip(NEXT) | instid1(SALU_CYCLE_1)
	s_or_b32 s5, vcc_lo, s5
	s_and_b32 s19, exec_lo, s5
	v_add_co_u32 v10, s5, v10, s52
	s_delay_alu instid0(VALU_DEP_1) | instskip(SKIP_3) | instid1(SALU_CYCLE_1)
	v_add_co_ci_u32_e64 v11, s5, s53, v11, s5
	s_or_b32 s18, s19, s18
	s_and_not1_b32 s5, s16, exec_lo
	s_and_b32 s16, vcc_lo, exec_lo
	s_or_b32 s16, s5, s16
	s_and_not1_b32 exec_lo, exec_lo, s18
	s_cbranch_execz .LBB47_218
.LBB47_209:                             ;   Parent Loop BB47_33 Depth=1
                                        ; =>  This Inner Loop Header: Depth=2
	s_delay_alu instid0(VALU_DEP_1)
	v_cmp_gt_i64_e32 vcc_lo, s[36:37], v[12:13]
	v_mov_b32_e32 v4, 0
	v_mov_b32_e32 v5, 0
	s_and_saveexec_b32 s5, vcc_lo
	s_cbranch_execz .LBB47_211
; %bb.210:                              ;   in Loop: Header=BB47_209 Depth=2
	global_load_b64 v[4:5], v[10:11], off
.LBB47_211:                             ;   in Loop: Header=BB47_209 Depth=2
	s_or_b32 exec_lo, exec_lo, s5
	s_and_saveexec_b32 s5, vcc_lo
	s_cbranch_execz .LBB47_208
; %bb.212:                              ;   in Loop: Header=BB47_209 Depth=2
	s_waitcnt vmcnt(0)
	v_cmp_o_f64_e32 vcc_lo, v[4:5], v[4:5]
	v_ashrrev_i32_e32 v2, 31, v5
	s_delay_alu instid0(VALU_DEP_1) | instskip(SKIP_1) | instid1(VALU_DEP_2)
	v_or_b32_e32 v6, 0x80000000, v2
	v_xor_b32_e32 v2, v2, v4
	v_xor_b32_e32 v6, v6, v5
	s_delay_alu instid0(VALU_DEP_1) | instskip(NEXT) | instid1(VALU_DEP_3)
	v_cndmask_b32_e32 v6, -1, v6, vcc_lo
	v_cndmask_b32_e32 v2, -1, v2, vcc_lo
	s_delay_alu instid0(VALU_DEP_2) | instskip(NEXT) | instid1(VALU_DEP_2)
	v_and_b32_e32 v7, s67, v6
	v_and_b32_e32 v6, s66, v2
	s_delay_alu instid0(VALU_DEP_1)
	v_cmp_eq_u64_e32 vcc_lo, s[64:65], v[6:7]
	s_and_b32 exec_lo, exec_lo, vcc_lo
	s_cbranch_execz .LBB47_208
; %bb.213:                              ;   in Loop: Header=BB47_209 Depth=2
	v_mov_b32_e32 v2, v19
	ds_store_b128 v19, v[2:5] offset:3072
	s_branch .LBB47_208
.LBB47_214:                             ;   in Loop: Header=BB47_33 Depth=1
                                        ; implicit-def: $sgpr18
                                        ; implicit-def: $sgpr70
                                        ; implicit-def: $sgpr19
	s_branch .LBB47_233
.LBB47_215:                             ;   in Loop: Header=BB47_33 Depth=1
                                        ; implicit-def: $vgpr4_vgpr5
	s_branch .LBB47_158
.LBB47_216:                             ;   in Loop: Header=BB47_33 Depth=1
                                        ; implicit-def: $vgpr4_vgpr5
	s_branch .LBB47_175
.LBB47_217:                             ;   in Loop: Header=BB47_33 Depth=1
	s_mov_b32 s18, -1
	s_mov_b32 s16, 0
                                        ; implicit-def: $sgpr19
                                        ; implicit-def: $vgpr6_vgpr7
	s_mov_b32 s70, s18
	s_cbranch_execnz .LBB47_220
	s_branch .LBB47_233
.LBB47_218:                             ;   in Loop: Header=BB47_33 Depth=1
	s_or_b32 exec_lo, exec_lo, s18
	s_delay_alu instid0(SALU_CYCLE_1)
	s_and_b32 s16, s16, exec_lo
.LBB47_219:                             ;   in Loop: Header=BB47_33 Depth=1
	s_or_b32 exec_lo, exec_lo, s17
	s_mov_b32 s19, -1
	s_mov_b32 s18, 0
	s_delay_alu instid0(SALU_CYCLE_1)
	s_mov_b32 s70, s18
	s_branch .LBB47_233
.LBB47_220:                             ;   in Loop: Header=BB47_33 Depth=1
	s_add_u32 s18, s82, s14
	s_addc_u32 s17, s83, s15
	s_mov_b32 s16, s51
	s_delay_alu instid0(SALU_CYCLE_1)
	s_cmp_lg_u64 s[16:17], 0
	s_cbranch_scc0 .LBB47_263
; %bb.221:                              ;   in Loop: Header=BB47_33 Depth=1
	v_cvt_f32_u32_e32 v2, s33
	s_sub_u32 s19, 0, s33
	s_subb_u32 s24, 0, 0
	s_delay_alu instid0(VALU_DEP_1) | instskip(NEXT) | instid1(VALU_DEP_1)
	v_fmac_f32_e32 v2, 0x4f800000, v53
	v_rcp_f32_e32 v2, v2
	s_waitcnt_depctr 0xfff
	v_mul_f32_e32 v2, 0x5f7ffffc, v2
	s_delay_alu instid0(VALU_DEP_1) | instskip(NEXT) | instid1(VALU_DEP_1)
	v_mul_f32_e32 v4, 0x2f800000, v2
	v_trunc_f32_e32 v4, v4
	s_delay_alu instid0(VALU_DEP_1) | instskip(SKIP_1) | instid1(VALU_DEP_2)
	v_fmac_f32_e32 v2, 0xcf800000, v4
	v_cvt_u32_f32_e32 v4, v4
	v_cvt_u32_f32_e32 v2, v2
	s_delay_alu instid0(VALU_DEP_2) | instskip(NEXT) | instid1(VALU_DEP_2)
	v_readfirstlane_b32 s5, v4
	v_readfirstlane_b32 s16, v2
	s_delay_alu instid0(VALU_DEP_2) | instskip(NEXT) | instid1(VALU_DEP_1)
	s_mul_i32 s70, s19, s5
	s_mul_hi_u32 s73, s19, s16
	s_mul_i32 s71, s24, s16
	s_add_i32 s70, s73, s70
	s_mul_i32 s74, s19, s16
	s_add_i32 s70, s70, s71
	s_mul_hi_u32 s73, s16, s74
	s_mul_hi_u32 s75, s5, s74
	s_mul_i32 s71, s5, s74
	s_mul_hi_u32 s74, s16, s70
	s_mul_i32 s16, s16, s70
	s_mul_hi_u32 s76, s5, s70
	s_add_u32 s16, s73, s16
	s_addc_u32 s73, 0, s74
	s_add_u32 s16, s16, s71
	s_mul_i32 s70, s5, s70
	s_addc_u32 s16, s73, s75
	s_addc_u32 s71, s76, 0
	s_add_u32 s16, s16, s70
	s_addc_u32 s70, 0, s71
	v_add_co_u32 v2, s16, v2, s16
	s_delay_alu instid0(VALU_DEP_1) | instskip(SKIP_1) | instid1(VALU_DEP_1)
	s_cmp_lg_u32 s16, 0
	s_addc_u32 s5, s5, s70
	v_readfirstlane_b32 s16, v2
	s_mul_i32 s70, s19, s5
	s_delay_alu instid0(VALU_DEP_1)
	s_mul_hi_u32 s71, s19, s16
	s_mul_i32 s24, s24, s16
	s_add_i32 s70, s71, s70
	s_mul_i32 s19, s19, s16
	s_add_i32 s70, s70, s24
	s_mul_hi_u32 s71, s5, s19
	s_mul_i32 s73, s5, s19
	s_mul_hi_u32 s19, s16, s19
	s_mul_hi_u32 s74, s16, s70
	s_mul_i32 s16, s16, s70
	s_mul_hi_u32 s24, s5, s70
	s_add_u32 s16, s19, s16
	s_addc_u32 s19, 0, s74
	s_add_u32 s16, s16, s73
	s_mul_i32 s70, s5, s70
	s_addc_u32 s16, s19, s71
	s_addc_u32 s19, s24, 0
	s_add_u32 s16, s16, s70
	s_addc_u32 s19, 0, s19
	v_add_co_u32 v2, s16, v2, s16
	s_delay_alu instid0(VALU_DEP_1) | instskip(SKIP_2) | instid1(VALU_DEP_1)
	s_cmp_lg_u32 s16, 0
	s_addc_u32 s5, s5, s19
	s_ashr_i32 s70, s17, 31
	v_readfirstlane_b32 s16, v2
	s_add_u32 s74, s18, s70
	s_mov_b32 s71, s70
	s_addc_u32 s75, s17, s70
	s_delay_alu instid0(SALU_CYCLE_1) | instskip(NEXT) | instid1(SALU_CYCLE_1)
	s_xor_b64 s[74:75], s[74:75], s[70:71]
	s_mul_i32 s24, s74, s5
	s_mul_hi_u32 s71, s74, s16
	s_mul_hi_u32 s19, s74, s5
	;; [unrolled: 1-line block ×3, first 2 shown]
	s_mul_i32 s16, s75, s16
	s_add_u32 s24, s71, s24
	s_addc_u32 s19, 0, s19
	s_mul_hi_u32 s73, s75, s5
	s_add_u32 s16, s24, s16
	s_mul_i32 s5, s75, s5
	s_addc_u32 s16, s19, s76
	s_addc_u32 s19, s73, 0
	s_add_u32 s5, s16, s5
	s_addc_u32 s16, 0, s19
	s_mul_hi_u32 s19, s33, s5
	s_mul_i32 s5, s33, s5
	s_mul_i32 s16, s33, s16
	v_sub_co_u32 v2, s5, s74, s5
	s_add_i32 s19, s19, s16
	s_cmp_lg_u32 s5, 0
	s_delay_alu instid0(VALU_DEP_1) | instskip(SKIP_2) | instid1(VALU_DEP_1)
	v_sub_co_u32 v4, s5, v2, s33
	s_subb_u32 s16, s75, s19
	s_cmp_lg_u32 s5, 0
	v_cmp_le_u32_e32 vcc_lo, s33, v4
	v_sub_co_u32 v5, s5, v4, s33
	s_subb_u32 s19, s16, 0
	s_cmp_lg_u32 s5, 0
	v_cndmask_b32_e64 v6, 0, -1, vcc_lo
	s_subb_u32 s5, s19, 0
	s_cmp_eq_u32 s19, 0
	v_mov_b32_e32 v8, s5
	s_cselect_b32 vcc_lo, -1, 0
	s_cmp_eq_u32 s16, 0
	v_cndmask_b32_e32 v6, -1, v6, vcc_lo
	v_cmp_le_u32_e32 vcc_lo, s33, v2
	s_cselect_b32 s5, -1, 0
	v_cndmask_b32_e64 v7, 0, -1, vcc_lo
	s_delay_alu instid0(VALU_DEP_3) | instskip(NEXT) | instid1(VALU_DEP_2)
	v_cmp_ne_u32_e32 vcc_lo, 0, v6
	v_cndmask_b32_e64 v6, -1, v7, s5
	v_cndmask_b32_e32 v7, s19, v8, vcc_lo
	v_cndmask_b32_e32 v4, v4, v5, vcc_lo
	s_delay_alu instid0(VALU_DEP_3) | instskip(NEXT) | instid1(VALU_DEP_2)
	v_cmp_ne_u32_e32 vcc_lo, 0, v6
	v_cndmask_b32_e32 v2, v2, v4, vcc_lo
	s_delay_alu instid0(VALU_DEP_4) | instskip(NEXT) | instid1(VALU_DEP_2)
	v_cndmask_b32_e32 v5, s16, v7, vcc_lo
	v_xor_b32_e32 v2, s70, v2
	s_delay_alu instid0(VALU_DEP_2) | instskip(NEXT) | instid1(VALU_DEP_2)
	v_xor_b32_e32 v5, s70, v5
	v_sub_co_u32 v4, vcc_lo, v2, s70
	s_delay_alu instid0(VALU_DEP_2)
	v_subrev_co_ci_u32_e32 v5, vcc_lo, s70, v5, vcc_lo
	s_cbranch_execnz .LBB47_223
.LBB47_222:                             ;   in Loop: Header=BB47_33 Depth=1
	v_cvt_f32_u32_e32 v2, s33
	s_sub_i32 s5, 0, s33
	s_delay_alu instid0(VALU_DEP_1) | instskip(SKIP_2) | instid1(VALU_DEP_1)
	v_rcp_iflag_f32_e32 v2, v2
	s_waitcnt_depctr 0xfff
	v_mul_f32_e32 v2, 0x4f7ffffe, v2
	v_cvt_u32_f32_e32 v2, v2
	s_delay_alu instid0(VALU_DEP_1) | instskip(NEXT) | instid1(VALU_DEP_1)
	v_mul_lo_u32 v4, s5, v2
	v_mul_hi_u32 v4, v2, v4
	s_delay_alu instid0(VALU_DEP_1) | instskip(NEXT) | instid1(VALU_DEP_1)
	v_add_nc_u32_e32 v2, v2, v4
	v_mul_hi_u32 v2, s18, v2
	s_delay_alu instid0(VALU_DEP_1) | instskip(NEXT) | instid1(VALU_DEP_1)
	v_mul_lo_u32 v2, v2, s33
	v_sub_nc_u32_e32 v2, s18, v2
	s_delay_alu instid0(VALU_DEP_1) | instskip(SKIP_1) | instid1(VALU_DEP_2)
	v_subrev_nc_u32_e32 v4, s33, v2
	v_cmp_le_u32_e32 vcc_lo, s33, v2
	v_cndmask_b32_e32 v2, v2, v4, vcc_lo
	s_delay_alu instid0(VALU_DEP_1) | instskip(SKIP_1) | instid1(VALU_DEP_2)
	v_subrev_nc_u32_e32 v4, s33, v2
	v_cmp_le_u32_e32 vcc_lo, s33, v2
	v_cndmask_b32_e32 v18, v2, v4, vcc_lo
	s_delay_alu instid0(VALU_DEP_1)
	v_dual_mov_b32 v4, v18 :: v_dual_mov_b32 v5, v19
.LBB47_223:                             ;   in Loop: Header=BB47_33 Depth=1
	s_delay_alu instid0(VALU_DEP_1) | instskip(NEXT) | instid1(VALU_DEP_2)
	v_sub_co_u32 v8, vcc_lo, s18, v4
	v_sub_co_ci_u32_e32 v9, vcc_lo, s17, v5, vcc_lo
	s_mov_b32 s16, 0
	s_mov_b32 s17, exec_lo
                                        ; implicit-def: $vgpr6_vgpr7
	s_delay_alu instid0(VALU_DEP_1)
	v_cmpx_gt_i64_e64 v[8:9], v[0:1]
	s_cbranch_execz .LBB47_232
; %bb.224:                              ;   in Loop: Header=BB47_33 Depth=1
	v_mov_b32_e32 v12, v45
	v_dual_mov_b32 v11, v1 :: v_dual_mov_b32 v10, v0
	s_mov_b32 s18, 0
                                        ; implicit-def: $sgpr16
	s_set_inst_prefetch_distance 0x1
	s_branch .LBB47_226
	.p2align	6
.LBB47_225:                             ;   in Loop: Header=BB47_226 Depth=2
	s_or_b32 exec_lo, exec_lo, s5
	s_waitcnt lgkmcnt(0)
	s_barrier
	buffer_gl0_inv
	ds_load_b128 v[4:7], v19 offset:3072
	v_add_co_u32 v10, s5, v10, s33
	s_delay_alu instid0(VALU_DEP_1) | instskip(SKIP_3) | instid1(VALU_DEP_2)
	v_add_co_ci_u32_e64 v11, s5, 0, v11, s5
	v_add_nc_u32_e32 v12, s90, v12
	s_waitcnt lgkmcnt(0)
	s_barrier
	v_cmp_ge_i64_e64 s5, v[10:11], v[8:9]
	buffer_gl0_inv
	v_cmp_neq_f64_e32 vcc_lo, 0, v[4:5]
	s_or_b32 s5, vcc_lo, s5
	s_delay_alu instid0(SALU_CYCLE_1) | instskip(NEXT) | instid1(SALU_CYCLE_1)
	s_and_b32 s5, exec_lo, s5
	s_or_b32 s18, s5, s18
	s_and_not1_b32 s5, s16, exec_lo
	s_and_b32 s16, vcc_lo, exec_lo
	s_delay_alu instid0(SALU_CYCLE_1)
	s_or_b32 s16, s5, s16
	s_and_not1_b32 exec_lo, exec_lo, s18
	s_cbranch_execz .LBB47_231
.LBB47_226:                             ;   Parent Loop BB47_33 Depth=1
                                        ; =>  This Inner Loop Header: Depth=2
	s_delay_alu instid0(VALU_DEP_1)
	v_cmp_gt_i64_e32 vcc_lo, s[14:15], v[10:11]
	v_mov_b32_e32 v4, 0
	v_mov_b32_e32 v5, 0
	s_and_saveexec_b32 s5, vcc_lo
	s_cbranch_execz .LBB47_228
; %bb.227:                              ;   in Loop: Header=BB47_226 Depth=2
	ds_load_b64 v[4:5], v12
.LBB47_228:                             ;   in Loop: Header=BB47_226 Depth=2
	s_or_b32 exec_lo, exec_lo, s5
	s_and_saveexec_b32 s5, vcc_lo
	s_cbranch_execz .LBB47_225
; %bb.229:                              ;   in Loop: Header=BB47_226 Depth=2
	s_waitcnt lgkmcnt(0)
	v_cmp_o_f64_e32 vcc_lo, v[4:5], v[4:5]
	v_ashrrev_i32_e32 v2, 31, v5
	s_delay_alu instid0(VALU_DEP_1) | instskip(SKIP_1) | instid1(VALU_DEP_2)
	v_or_b32_e32 v6, 0x80000000, v2
	v_xor_b32_e32 v2, v2, v4
	v_xor_b32_e32 v6, v6, v5
	s_delay_alu instid0(VALU_DEP_1) | instskip(NEXT) | instid1(VALU_DEP_3)
	v_cndmask_b32_e32 v6, -1, v6, vcc_lo
	v_cndmask_b32_e32 v2, -1, v2, vcc_lo
	s_delay_alu instid0(VALU_DEP_2) | instskip(NEXT) | instid1(VALU_DEP_2)
	v_and_b32_e32 v7, s67, v6
	v_and_b32_e32 v6, s66, v2
	s_delay_alu instid0(VALU_DEP_1)
	v_cmp_eq_u64_e32 vcc_lo, s[64:65], v[6:7]
	s_and_b32 exec_lo, exec_lo, vcc_lo
	s_cbranch_execz .LBB47_225
; %bb.230:                              ;   in Loop: Header=BB47_226 Depth=2
	v_mov_b32_e32 v2, v19
	ds_store_b128 v19, v[2:5] offset:3072
	s_branch .LBB47_225
.LBB47_231:                             ;   in Loop: Header=BB47_33 Depth=1
	s_set_inst_prefetch_distance 0x2
	s_or_b32 exec_lo, exec_lo, s18
	s_delay_alu instid0(SALU_CYCLE_1)
	s_and_b32 s16, s16, exec_lo
.LBB47_232:                             ;   in Loop: Header=BB47_33 Depth=1
	s_or_b32 exec_lo, exec_lo, s17
	s_mov_b32 s70, -1
	s_mov_b32 s18, 0
	s_mov_b32 s19, 0
.LBB47_233:                             ;   in Loop: Header=BB47_33 Depth=1
	s_mov_b32 s14, 0
                                        ; implicit-def: $sgpr5
	s_and_saveexec_b32 s71, s16
	s_cbranch_execz .LBB47_295
; %bb.234:                              ;   in Loop: Header=BB47_33 Depth=1
	s_xor_b32 s5, s72, -1
	s_delay_alu instid0(SALU_CYCLE_1)
	s_and_not1_b32 vcc_lo, exec_lo, s5
	s_mov_b32 s5, 1
	s_cbranch_vccnz .LBB47_245
; %bb.235:                              ;   in Loop: Header=BB47_33 Depth=1
	v_cmp_gt_i64_e64 s5, s[38:39], s[10:11]
	s_mov_b32 s24, -1
                                        ; implicit-def: $sgpr14_sgpr15
                                        ; implicit-def: $sgpr16_sgpr17
	s_delay_alu instid0(VALU_DEP_1)
	s_and_b32 vcc_lo, exec_lo, s5
                                        ; implicit-def: $sgpr5
	s_cbranch_vccnz .LBB47_241
; %bb.236:                              ;   in Loop: Header=BB47_33 Depth=1
	ds_load_b64 v[4:5], v19 offset:5120
	s_waitcnt lgkmcnt(0)
	v_cmp_ne_u64_e32 vcc_lo, 0, v[4:5]
	s_cbranch_vccnz .LBB47_240
; %bb.237:                              ;   in Loop: Header=BB47_33 Depth=1
	s_and_saveexec_b32 s5, s0
	s_cbranch_execz .LBB47_239
; %bb.238:                              ;   in Loop: Header=BB47_33 Depth=1
	v_dual_mov_b32 v4, s10 :: v_dual_mov_b32 v5, s11
	ds_store_b64 v19, v[4:5] offset:5128
.LBB47_239:                             ;   in Loop: Header=BB47_33 Depth=1
	s_or_b32 exec_lo, exec_lo, s5
	s_waitcnt lgkmcnt(0)
	s_barrier
	buffer_gl0_inv
.LBB47_240:                             ;   in Loop: Header=BB47_33 Depth=1
	s_lshl_b64 s[14:15], 2, s23
	s_and_b64 s[12:13], s[64:65], s[12:13]
	s_or_b64 s[16:17], s[66:67], s[8:9]
	s_or_b64 s[14:15], s[12:13], s[14:15]
	s_mov_b32 s24, 0
	s_mov_b32 s5, 8
.LBB47_241:                             ;   in Loop: Header=BB47_33 Depth=1
	s_and_not1_b32 vcc_lo, exec_lo, s24
	s_cbranch_vccnz .LBB47_243
; %bb.242:                              ;   in Loop: Header=BB47_33 Depth=1
	s_sub_u32 s38, s38, s10
	s_subb_u32 s39, s39, s11
	s_mov_b32 s24, -1
	s_mov_b32 s5, 0
	s_mov_b64 s[14:15], s[64:65]
	s_mov_b64 s[16:17], s[66:67]
.LBB47_243:                             ;   in Loop: Header=BB47_33 Depth=1
	s_delay_alu instid0(SALU_CYCLE_1)
	s_mov_b64 s[66:67], s[16:17]
	s_mov_b64 s[64:65], s[14:15]
	s_and_not1_b32 vcc_lo, exec_lo, s24
	s_mov_b32 s13, -1
	s_cbranch_vccz .LBB47_246
.LBB47_244:                             ;   in Loop: Header=BB47_33 Depth=1
                                        ; implicit-def: $sgpr15
                                        ; implicit-def: $sgpr17
                                        ; implicit-def: $sgpr16
	s_branch .LBB47_294
.LBB47_245:                             ;   in Loop: Header=BB47_33 Depth=1
	s_mov_b64 s[38:39], 1
	s_mov_b32 s13, -1
	s_cbranch_execnz .LBB47_244
.LBB47_246:                             ;   in Loop: Header=BB47_33 Depth=1
	s_cmp_eq_u64 s[6:7], 1
	s_mov_b32 s12, -1
	s_cselect_b32 s5, -1, 0
	s_cmp_eq_u64 s[38:39], 1
	s_cselect_b32 s10, -1, 0
	s_delay_alu instid0(SALU_CYCLE_1) | instskip(NEXT) | instid1(SALU_CYCLE_1)
	s_and_b32 s14, s5, s10
	s_and_b32 vcc_lo, exec_lo, s14
	s_cbranch_vccz .LBB47_261
; %bb.247:                              ;   in Loop: Header=BB47_33 Depth=1
	ds_load_b64 v[4:5], v19 offset:5120
	s_waitcnt lgkmcnt(0)
	s_barrier
	buffer_gl0_inv
	v_readfirstlane_b32 s10, v4
	v_readfirstlane_b32 s11, v5
	s_and_saveexec_b32 s5, s3
	s_cbranch_execz .LBB47_249
; %bb.248:                              ;   in Loop: Header=BB47_33 Depth=1
	v_mov_b32_e32 v18, v19
	ds_store_b64 v46, v[18:19]
.LBB47_249:                             ;   in Loop: Header=BB47_33 Depth=1
	s_or_b32 exec_lo, exec_lo, s5
	s_delay_alu instid0(VALU_DEP_1)
	v_cmp_gt_i64_e64 s5, s[10:11], 0
	s_or_b64 s[64:65], s[64:65], s[8:9]
	s_or_b64 s[66:67], s[66:67], s[8:9]
	s_waitcnt lgkmcnt(0)
	s_barrier
	buffer_gl0_inv
	s_and_b32 vcc_lo, exec_lo, s5
	s_cbranch_vccnz .LBB47_264
; %bb.250:                              ;   in Loop: Header=BB47_33 Depth=1
	s_mov_b32 s24, s51
	s_delay_alu instid0(SALU_CYCLE_1)
	s_cmp_lg_u64 s[24:25], 0
	s_cbranch_scc0 .LBB47_300
; %bb.251:                              ;   in Loop: Header=BB47_33 Depth=1
	v_cvt_f32_u32_e32 v2, s33
	s_sub_u32 s13, 0, s33
	s_subb_u32 s15, 0, 0
	s_delay_alu instid0(VALU_DEP_1) | instskip(NEXT) | instid1(VALU_DEP_1)
	v_fmac_f32_e32 v2, 0x4f800000, v53
	v_rcp_f32_e32 v2, v2
	s_waitcnt_depctr 0xfff
	v_mul_f32_e32 v2, 0x5f7ffffc, v2
	s_delay_alu instid0(VALU_DEP_1) | instskip(NEXT) | instid1(VALU_DEP_1)
	v_mul_f32_e32 v4, 0x2f800000, v2
	v_trunc_f32_e32 v4, v4
	s_delay_alu instid0(VALU_DEP_1) | instskip(SKIP_1) | instid1(VALU_DEP_2)
	v_fmac_f32_e32 v2, 0xcf800000, v4
	v_cvt_u32_f32_e32 v4, v4
	v_cvt_u32_f32_e32 v2, v2
	s_delay_alu instid0(VALU_DEP_2) | instskip(NEXT) | instid1(VALU_DEP_2)
	v_readfirstlane_b32 s5, v4
	v_readfirstlane_b32 s12, v2
	s_delay_alu instid0(VALU_DEP_2) | instskip(NEXT) | instid1(VALU_DEP_1)
	s_mul_i32 s16, s13, s5
	s_mul_hi_u32 s23, s13, s12
	s_mul_i32 s17, s15, s12
	s_add_i32 s16, s23, s16
	s_mul_i32 s24, s13, s12
	s_add_i32 s16, s16, s17
	s_mul_hi_u32 s23, s12, s24
	s_mul_hi_u32 s72, s5, s24
	s_mul_i32 s17, s5, s24
	s_mul_hi_u32 s24, s12, s16
	s_mul_i32 s12, s12, s16
	s_mul_hi_u32 s73, s5, s16
	s_add_u32 s12, s23, s12
	s_addc_u32 s23, 0, s24
	s_add_u32 s12, s12, s17
	s_mul_i32 s16, s5, s16
	s_addc_u32 s12, s23, s72
	s_addc_u32 s17, s73, 0
	s_add_u32 s12, s12, s16
	s_addc_u32 s16, 0, s17
	v_add_co_u32 v2, s12, v2, s12
	s_delay_alu instid0(VALU_DEP_1) | instskip(SKIP_1) | instid1(VALU_DEP_1)
	s_cmp_lg_u32 s12, 0
	s_addc_u32 s5, s5, s16
	v_readfirstlane_b32 s12, v2
	s_mul_i32 s16, s13, s5
	s_delay_alu instid0(VALU_DEP_1)
	s_mul_hi_u32 s17, s13, s12
	s_mul_i32 s15, s15, s12
	s_add_i32 s16, s17, s16
	s_mul_i32 s13, s13, s12
	s_add_i32 s16, s16, s15
	s_mul_hi_u32 s17, s5, s13
	s_mul_i32 s23, s5, s13
	s_mul_hi_u32 s13, s12, s13
	s_mul_hi_u32 s24, s12, s16
	s_mul_i32 s12, s12, s16
	s_mul_hi_u32 s15, s5, s16
	s_add_u32 s12, s13, s12
	s_addc_u32 s13, 0, s24
	s_add_u32 s12, s12, s23
	s_mul_i32 s16, s5, s16
	s_addc_u32 s12, s13, s17
	s_addc_u32 s13, s15, 0
	s_add_u32 s12, s12, s16
	s_addc_u32 s13, 0, s13
	v_add_co_u32 v2, s12, v2, s12
	s_delay_alu instid0(VALU_DEP_1) | instskip(SKIP_2) | instid1(VALU_DEP_1)
	s_cmp_lg_u32 s12, 0
	s_addc_u32 s5, s5, s13
	s_ashr_i32 s12, s25, 31
	v_readfirstlane_b32 s15, v2
	s_add_u32 s16, s84, s12
	s_mov_b32 s13, s12
	s_addc_u32 s17, s25, s12
	s_delay_alu instid0(SALU_CYCLE_1) | instskip(NEXT) | instid1(SALU_CYCLE_1)
	s_xor_b64 s[16:17], s[16:17], s[12:13]
	s_mul_i32 s23, s16, s5
	s_mul_hi_u32 s24, s16, s15
	s_mul_hi_u32 s13, s16, s5
	;; [unrolled: 1-line block ×3, first 2 shown]
	s_mul_i32 s15, s17, s15
	s_add_u32 s23, s24, s23
	s_addc_u32 s13, 0, s13
	s_mul_hi_u32 s72, s17, s5
	s_add_u32 s15, s23, s15
	s_mul_i32 s5, s17, s5
	s_addc_u32 s13, s13, s73
	s_addc_u32 s15, s72, 0
	s_add_u32 s5, s13, s5
	s_addc_u32 s13, 0, s15
	s_mul_hi_u32 s15, s33, s5
	s_mul_i32 s5, s33, s5
	s_mul_i32 s13, s33, s13
	v_sub_co_u32 v2, s5, s16, s5
	s_add_i32 s15, s15, s13
	s_cmp_lg_u32 s5, 0
	s_delay_alu instid0(VALU_DEP_1) | instskip(SKIP_2) | instid1(VALU_DEP_1)
	v_sub_co_u32 v4, s5, v2, s33
	s_subb_u32 s13, s17, s15
	s_cmp_lg_u32 s5, 0
	v_cmp_le_u32_e32 vcc_lo, s33, v4
	v_sub_co_u32 v5, s5, v4, s33
	s_subb_u32 s15, s13, 0
	s_cmp_lg_u32 s5, 0
	v_cndmask_b32_e64 v6, 0, -1, vcc_lo
	s_subb_u32 s5, s15, 0
	s_cmp_eq_u32 s15, 0
	v_mov_b32_e32 v8, s5
	s_cselect_b32 vcc_lo, -1, 0
	s_cmp_eq_u32 s13, 0
	v_cndmask_b32_e32 v6, -1, v6, vcc_lo
	v_cmp_le_u32_e32 vcc_lo, s33, v2
	s_cselect_b32 s5, -1, 0
	v_cndmask_b32_e64 v7, 0, -1, vcc_lo
	s_delay_alu instid0(VALU_DEP_3) | instskip(NEXT) | instid1(VALU_DEP_2)
	v_cmp_ne_u32_e32 vcc_lo, 0, v6
	v_cndmask_b32_e64 v6, -1, v7, s5
	v_cndmask_b32_e32 v7, s15, v8, vcc_lo
	v_cndmask_b32_e32 v4, v4, v5, vcc_lo
	s_delay_alu instid0(VALU_DEP_3) | instskip(NEXT) | instid1(VALU_DEP_2)
	v_cmp_ne_u32_e32 vcc_lo, 0, v6
	v_cndmask_b32_e32 v2, v2, v4, vcc_lo
	s_delay_alu instid0(VALU_DEP_4) | instskip(NEXT) | instid1(VALU_DEP_2)
	v_cndmask_b32_e32 v5, s13, v7, vcc_lo
	v_xor_b32_e32 v2, s12, v2
	s_delay_alu instid0(VALU_DEP_2) | instskip(NEXT) | instid1(VALU_DEP_2)
	v_xor_b32_e32 v5, s12, v5
	v_sub_co_u32 v4, vcc_lo, v2, s12
	s_delay_alu instid0(VALU_DEP_2)
	v_subrev_co_ci_u32_e32 v5, vcc_lo, s12, v5, vcc_lo
	s_cbranch_execnz .LBB47_253
.LBB47_252:                             ;   in Loop: Header=BB47_33 Depth=1
	v_cvt_f32_u32_e32 v2, s33
	s_sub_i32 s5, 0, s33
	s_delay_alu instid0(VALU_DEP_1) | instskip(SKIP_2) | instid1(VALU_DEP_1)
	v_rcp_iflag_f32_e32 v2, v2
	s_waitcnt_depctr 0xfff
	v_mul_f32_e32 v2, 0x4f7ffffe, v2
	v_cvt_u32_f32_e32 v2, v2
	s_delay_alu instid0(VALU_DEP_1) | instskip(NEXT) | instid1(VALU_DEP_1)
	v_mul_lo_u32 v4, s5, v2
	v_mul_hi_u32 v4, v2, v4
	s_delay_alu instid0(VALU_DEP_1) | instskip(NEXT) | instid1(VALU_DEP_1)
	v_add_nc_u32_e32 v2, v2, v4
	v_mul_hi_u32 v2, s84, v2
	s_delay_alu instid0(VALU_DEP_1) | instskip(NEXT) | instid1(VALU_DEP_1)
	v_mul_lo_u32 v2, v2, s33
	v_sub_nc_u32_e32 v2, s84, v2
	s_delay_alu instid0(VALU_DEP_1) | instskip(SKIP_1) | instid1(VALU_DEP_2)
	v_subrev_nc_u32_e32 v4, s33, v2
	v_cmp_le_u32_e32 vcc_lo, s33, v2
	v_cndmask_b32_e32 v2, v2, v4, vcc_lo
	s_delay_alu instid0(VALU_DEP_1) | instskip(SKIP_1) | instid1(VALU_DEP_2)
	v_subrev_nc_u32_e32 v4, s33, v2
	v_cmp_le_u32_e32 vcc_lo, s33, v2
	v_cndmask_b32_e32 v18, v2, v4, vcc_lo
	s_delay_alu instid0(VALU_DEP_1)
	v_dual_mov_b32 v4, v18 :: v_dual_mov_b32 v5, v19
.LBB47_253:                             ;   in Loop: Header=BB47_33 Depth=1
	s_delay_alu instid0(VALU_DEP_1) | instskip(NEXT) | instid1(VALU_DEP_2)
	v_sub_co_u32 v8, vcc_lo, s84, v4
	v_sub_co_ci_u32_e32 v9, vcc_lo, s25, v5, vcc_lo
	s_mov_b32 s12, 0
	s_mov_b32 s13, exec_lo
                                        ; implicit-def: $vgpr6_vgpr7
	s_delay_alu instid0(VALU_DEP_1)
	v_cmpx_gt_i64_e64 v[8:9], v[0:1]
	s_cbranch_execz .LBB47_266
; %bb.254:                              ;   in Loop: Header=BB47_33 Depth=1
	v_dual_mov_b32 v10, v16 :: v_dual_mov_b32 v11, v17
	v_dual_mov_b32 v13, v1 :: v_dual_mov_b32 v12, v0
	s_mov_b32 s15, 0
                                        ; implicit-def: $sgpr12
	s_branch .LBB47_256
.LBB47_255:                             ;   in Loop: Header=BB47_256 Depth=2
	s_or_b32 exec_lo, exec_lo, s5
	s_waitcnt vmcnt(0) lgkmcnt(0)
	s_barrier
	buffer_gl0_inv
	ds_load_b128 v[4:7], v19 offset:3072
	v_add_co_u32 v12, s5, v12, s33
	s_delay_alu instid0(VALU_DEP_1)
	v_add_co_ci_u32_e64 v13, s5, 0, v13, s5
	s_waitcnt lgkmcnt(0)
	s_barrier
	buffer_gl0_inv
	v_cmp_ge_i64_e64 s5, v[12:13], v[8:9]
	v_cmp_neq_f64_e32 vcc_lo, 0, v[4:5]
	s_delay_alu instid0(VALU_DEP_2) | instskip(NEXT) | instid1(SALU_CYCLE_1)
	s_or_b32 s5, vcc_lo, s5
	s_and_b32 s16, exec_lo, s5
	v_add_co_u32 v10, s5, v10, s52
	s_delay_alu instid0(VALU_DEP_1) | instskip(SKIP_3) | instid1(SALU_CYCLE_1)
	v_add_co_ci_u32_e64 v11, s5, s53, v11, s5
	s_or_b32 s15, s16, s15
	s_and_not1_b32 s5, s12, exec_lo
	s_and_b32 s12, vcc_lo, exec_lo
	s_or_b32 s12, s5, s12
	s_and_not1_b32 exec_lo, exec_lo, s15
	s_cbranch_execz .LBB47_265
.LBB47_256:                             ;   Parent Loop BB47_33 Depth=1
                                        ; =>  This Inner Loop Header: Depth=2
	s_delay_alu instid0(VALU_DEP_1)
	v_cmp_gt_i64_e32 vcc_lo, s[36:37], v[12:13]
	v_mov_b32_e32 v4, 0
	v_mov_b32_e32 v5, 0
	s_and_saveexec_b32 s5, vcc_lo
	s_cbranch_execz .LBB47_258
; %bb.257:                              ;   in Loop: Header=BB47_256 Depth=2
	global_load_b64 v[4:5], v[10:11], off
.LBB47_258:                             ;   in Loop: Header=BB47_256 Depth=2
	s_or_b32 exec_lo, exec_lo, s5
	s_and_saveexec_b32 s5, vcc_lo
	s_cbranch_execz .LBB47_255
; %bb.259:                              ;   in Loop: Header=BB47_256 Depth=2
	s_waitcnt vmcnt(0)
	v_cmp_o_f64_e32 vcc_lo, v[4:5], v[4:5]
	v_ashrrev_i32_e32 v2, 31, v5
	s_delay_alu instid0(VALU_DEP_1) | instskip(SKIP_1) | instid1(VALU_DEP_2)
	v_or_b32_e32 v6, 0x80000000, v2
	v_xor_b32_e32 v2, v2, v4
	v_xor_b32_e32 v6, v6, v5
	s_delay_alu instid0(VALU_DEP_1) | instskip(NEXT) | instid1(VALU_DEP_3)
	v_cndmask_b32_e32 v6, -1, v6, vcc_lo
	v_cndmask_b32_e32 v2, -1, v2, vcc_lo
	s_delay_alu instid0(VALU_DEP_2) | instskip(NEXT) | instid1(VALU_DEP_2)
	v_and_b32_e32 v7, s67, v6
	v_and_b32_e32 v6, s66, v2
	s_delay_alu instid0(VALU_DEP_1)
	v_cmp_eq_u64_e32 vcc_lo, s[64:65], v[6:7]
	s_and_b32 exec_lo, exec_lo, vcc_lo
	s_cbranch_execz .LBB47_255
; %bb.260:                              ;   in Loop: Header=BB47_256 Depth=2
	v_mov_b32_e32 v2, v19
	ds_store_b128 v19, v[2:5] offset:3072
	s_branch .LBB47_255
.LBB47_261:                             ;   in Loop: Header=BB47_33 Depth=1
                                        ; implicit-def: $sgpr15
                                        ; implicit-def: $sgpr17
                                        ; implicit-def: $sgpr16
	s_branch .LBB47_280
.LBB47_262:                             ;   in Loop: Header=BB47_33 Depth=1
                                        ; implicit-def: $vgpr4_vgpr5
	s_branch .LBB47_205
.LBB47_263:                             ;   in Loop: Header=BB47_33 Depth=1
                                        ; implicit-def: $vgpr4_vgpr5
	s_branch .LBB47_222
.LBB47_264:                             ;   in Loop: Header=BB47_33 Depth=1
	s_mov_b32 s15, -1
	s_mov_b32 s12, 0
                                        ; implicit-def: $sgpr16
                                        ; implicit-def: $vgpr6_vgpr7
	s_mov_b32 s17, s15
	s_cbranch_execnz .LBB47_267
	s_branch .LBB47_280
.LBB47_265:                             ;   in Loop: Header=BB47_33 Depth=1
	s_or_b32 exec_lo, exec_lo, s15
	s_delay_alu instid0(SALU_CYCLE_1)
	s_and_b32 s12, s12, exec_lo
.LBB47_266:                             ;   in Loop: Header=BB47_33 Depth=1
	s_or_b32 exec_lo, exec_lo, s13
	s_mov_b32 s16, -1
	s_mov_b32 s15, 0
	s_delay_alu instid0(SALU_CYCLE_1)
	s_mov_b32 s17, s15
	s_branch .LBB47_280
.LBB47_267:                             ;   in Loop: Header=BB47_33 Depth=1
	s_add_u32 s15, s82, s10
	s_addc_u32 s13, s83, s11
	s_mov_b32 s12, s51
	s_delay_alu instid0(SALU_CYCLE_1)
	s_cmp_lg_u64 s[12:13], 0
	s_cbranch_scc0 .LBB47_301
; %bb.268:                              ;   in Loop: Header=BB47_33 Depth=1
	v_cvt_f32_u32_e32 v2, s33
	s_sub_u32 s16, 0, s33
	s_subb_u32 s17, 0, 0
	s_delay_alu instid0(VALU_DEP_1) | instskip(NEXT) | instid1(VALU_DEP_1)
	v_fmac_f32_e32 v2, 0x4f800000, v53
	v_rcp_f32_e32 v2, v2
	s_waitcnt_depctr 0xfff
	v_mul_f32_e32 v2, 0x5f7ffffc, v2
	s_delay_alu instid0(VALU_DEP_1) | instskip(NEXT) | instid1(VALU_DEP_1)
	v_mul_f32_e32 v4, 0x2f800000, v2
	v_trunc_f32_e32 v4, v4
	s_delay_alu instid0(VALU_DEP_1) | instskip(SKIP_1) | instid1(VALU_DEP_2)
	v_fmac_f32_e32 v2, 0xcf800000, v4
	v_cvt_u32_f32_e32 v4, v4
	v_cvt_u32_f32_e32 v2, v2
	s_delay_alu instid0(VALU_DEP_2) | instskip(NEXT) | instid1(VALU_DEP_2)
	v_readfirstlane_b32 s5, v4
	v_readfirstlane_b32 s12, v2
	s_delay_alu instid0(VALU_DEP_2) | instskip(NEXT) | instid1(VALU_DEP_1)
	s_mul_i32 s23, s16, s5
	s_mul_hi_u32 s72, s16, s12
	s_mul_i32 s24, s17, s12
	s_add_i32 s23, s72, s23
	s_mul_i32 s73, s16, s12
	s_add_i32 s23, s23, s24
	s_mul_hi_u32 s72, s12, s73
	s_mul_hi_u32 s74, s5, s73
	s_mul_i32 s24, s5, s73
	s_mul_hi_u32 s73, s12, s23
	s_mul_i32 s12, s12, s23
	s_mul_hi_u32 s75, s5, s23
	s_add_u32 s12, s72, s12
	s_addc_u32 s72, 0, s73
	s_add_u32 s12, s12, s24
	s_mul_i32 s23, s5, s23
	s_addc_u32 s12, s72, s74
	s_addc_u32 s24, s75, 0
	s_add_u32 s12, s12, s23
	s_addc_u32 s23, 0, s24
	v_add_co_u32 v2, s12, v2, s12
	s_delay_alu instid0(VALU_DEP_1) | instskip(SKIP_1) | instid1(VALU_DEP_1)
	s_cmp_lg_u32 s12, 0
	s_addc_u32 s5, s5, s23
	v_readfirstlane_b32 s12, v2
	s_mul_i32 s23, s16, s5
	s_delay_alu instid0(VALU_DEP_1)
	s_mul_hi_u32 s24, s16, s12
	s_mul_i32 s17, s17, s12
	s_add_i32 s23, s24, s23
	s_mul_i32 s16, s16, s12
	s_add_i32 s23, s23, s17
	s_mul_hi_u32 s24, s5, s16
	s_mul_i32 s72, s5, s16
	s_mul_hi_u32 s16, s12, s16
	s_mul_hi_u32 s73, s12, s23
	s_mul_i32 s12, s12, s23
	s_mul_hi_u32 s17, s5, s23
	s_add_u32 s12, s16, s12
	s_addc_u32 s16, 0, s73
	s_add_u32 s12, s12, s72
	s_mul_i32 s23, s5, s23
	s_addc_u32 s12, s16, s24
	s_addc_u32 s16, s17, 0
	s_add_u32 s12, s12, s23
	s_addc_u32 s16, 0, s16
	v_add_co_u32 v2, s12, v2, s12
	s_delay_alu instid0(VALU_DEP_1) | instskip(SKIP_2) | instid1(VALU_DEP_1)
	s_cmp_lg_u32 s12, 0
	s_addc_u32 s5, s5, s16
	s_ashr_i32 s16, s13, 31
	v_readfirstlane_b32 s12, v2
	s_add_u32 s72, s15, s16
	s_mov_b32 s17, s16
	s_addc_u32 s73, s13, s16
	s_delay_alu instid0(SALU_CYCLE_1) | instskip(NEXT) | instid1(SALU_CYCLE_1)
	s_xor_b64 s[72:73], s[72:73], s[16:17]
	s_mul_i32 s23, s72, s5
	s_mul_hi_u32 s24, s72, s12
	s_mul_hi_u32 s17, s72, s5
	;; [unrolled: 1-line block ×3, first 2 shown]
	s_mul_i32 s12, s73, s12
	s_add_u32 s23, s24, s23
	s_addc_u32 s17, 0, s17
	s_mul_hi_u32 s74, s73, s5
	s_add_u32 s12, s23, s12
	s_mul_i32 s5, s73, s5
	s_addc_u32 s12, s17, s75
	s_addc_u32 s17, s74, 0
	s_add_u32 s5, s12, s5
	s_addc_u32 s12, 0, s17
	s_mul_hi_u32 s17, s33, s5
	s_mul_i32 s5, s33, s5
	s_mul_i32 s12, s33, s12
	v_sub_co_u32 v2, s5, s72, s5
	s_add_i32 s17, s17, s12
	s_cmp_lg_u32 s5, 0
	s_delay_alu instid0(VALU_DEP_1) | instskip(SKIP_2) | instid1(VALU_DEP_1)
	v_sub_co_u32 v4, s5, v2, s33
	s_subb_u32 s12, s73, s17
	s_cmp_lg_u32 s5, 0
	v_cmp_le_u32_e32 vcc_lo, s33, v4
	v_sub_co_u32 v5, s5, v4, s33
	s_subb_u32 s17, s12, 0
	s_cmp_lg_u32 s5, 0
	v_cndmask_b32_e64 v6, 0, -1, vcc_lo
	s_subb_u32 s5, s17, 0
	s_cmp_eq_u32 s17, 0
	v_mov_b32_e32 v8, s5
	s_cselect_b32 vcc_lo, -1, 0
	s_cmp_eq_u32 s12, 0
	v_cndmask_b32_e32 v6, -1, v6, vcc_lo
	v_cmp_le_u32_e32 vcc_lo, s33, v2
	s_cselect_b32 s5, -1, 0
	v_cndmask_b32_e64 v7, 0, -1, vcc_lo
	s_delay_alu instid0(VALU_DEP_3) | instskip(NEXT) | instid1(VALU_DEP_2)
	v_cmp_ne_u32_e32 vcc_lo, 0, v6
	v_cndmask_b32_e64 v6, -1, v7, s5
	v_cndmask_b32_e32 v7, s17, v8, vcc_lo
	v_cndmask_b32_e32 v4, v4, v5, vcc_lo
	s_delay_alu instid0(VALU_DEP_3) | instskip(NEXT) | instid1(VALU_DEP_2)
	v_cmp_ne_u32_e32 vcc_lo, 0, v6
	v_cndmask_b32_e32 v2, v2, v4, vcc_lo
	s_delay_alu instid0(VALU_DEP_4) | instskip(NEXT) | instid1(VALU_DEP_2)
	v_cndmask_b32_e32 v5, s12, v7, vcc_lo
	v_xor_b32_e32 v2, s16, v2
	s_delay_alu instid0(VALU_DEP_2) | instskip(NEXT) | instid1(VALU_DEP_2)
	v_xor_b32_e32 v5, s16, v5
	v_sub_co_u32 v4, vcc_lo, v2, s16
	s_delay_alu instid0(VALU_DEP_2)
	v_subrev_co_ci_u32_e32 v5, vcc_lo, s16, v5, vcc_lo
	s_cbranch_execnz .LBB47_270
.LBB47_269:                             ;   in Loop: Header=BB47_33 Depth=1
	v_cvt_f32_u32_e32 v2, s33
	s_sub_i32 s5, 0, s33
	s_delay_alu instid0(VALU_DEP_1) | instskip(SKIP_2) | instid1(VALU_DEP_1)
	v_rcp_iflag_f32_e32 v2, v2
	s_waitcnt_depctr 0xfff
	v_mul_f32_e32 v2, 0x4f7ffffe, v2
	v_cvt_u32_f32_e32 v2, v2
	s_delay_alu instid0(VALU_DEP_1) | instskip(NEXT) | instid1(VALU_DEP_1)
	v_mul_lo_u32 v4, s5, v2
	v_mul_hi_u32 v4, v2, v4
	s_delay_alu instid0(VALU_DEP_1) | instskip(NEXT) | instid1(VALU_DEP_1)
	v_add_nc_u32_e32 v2, v2, v4
	v_mul_hi_u32 v2, s15, v2
	s_delay_alu instid0(VALU_DEP_1) | instskip(NEXT) | instid1(VALU_DEP_1)
	v_mul_lo_u32 v2, v2, s33
	v_sub_nc_u32_e32 v2, s15, v2
	s_delay_alu instid0(VALU_DEP_1) | instskip(SKIP_1) | instid1(VALU_DEP_2)
	v_subrev_nc_u32_e32 v4, s33, v2
	v_cmp_le_u32_e32 vcc_lo, s33, v2
	v_cndmask_b32_e32 v2, v2, v4, vcc_lo
	s_delay_alu instid0(VALU_DEP_1) | instskip(SKIP_1) | instid1(VALU_DEP_2)
	v_subrev_nc_u32_e32 v4, s33, v2
	v_cmp_le_u32_e32 vcc_lo, s33, v2
	v_cndmask_b32_e32 v18, v2, v4, vcc_lo
	s_delay_alu instid0(VALU_DEP_1)
	v_dual_mov_b32 v4, v18 :: v_dual_mov_b32 v5, v19
.LBB47_270:                             ;   in Loop: Header=BB47_33 Depth=1
	s_delay_alu instid0(VALU_DEP_1) | instskip(NEXT) | instid1(VALU_DEP_2)
	v_sub_co_u32 v8, vcc_lo, s15, v4
	v_sub_co_ci_u32_e32 v9, vcc_lo, s13, v5, vcc_lo
	s_mov_b32 s12, 0
	s_mov_b32 s13, exec_lo
                                        ; implicit-def: $vgpr6_vgpr7
	s_delay_alu instid0(VALU_DEP_1)
	v_cmpx_gt_i64_e64 v[8:9], v[0:1]
	s_cbranch_execz .LBB47_279
; %bb.271:                              ;   in Loop: Header=BB47_33 Depth=1
	v_mov_b32_e32 v12, v45
	v_dual_mov_b32 v11, v1 :: v_dual_mov_b32 v10, v0
	s_mov_b32 s15, 0
                                        ; implicit-def: $sgpr12
	s_set_inst_prefetch_distance 0x1
	s_branch .LBB47_273
	.p2align	6
.LBB47_272:                             ;   in Loop: Header=BB47_273 Depth=2
	s_or_b32 exec_lo, exec_lo, s5
	s_waitcnt lgkmcnt(0)
	s_barrier
	buffer_gl0_inv
	ds_load_b128 v[4:7], v19 offset:3072
	v_add_co_u32 v10, s5, v10, s33
	s_delay_alu instid0(VALU_DEP_1) | instskip(SKIP_3) | instid1(VALU_DEP_2)
	v_add_co_ci_u32_e64 v11, s5, 0, v11, s5
	v_add_nc_u32_e32 v12, s90, v12
	s_waitcnt lgkmcnt(0)
	s_barrier
	v_cmp_ge_i64_e64 s5, v[10:11], v[8:9]
	buffer_gl0_inv
	v_cmp_neq_f64_e32 vcc_lo, 0, v[4:5]
	s_or_b32 s5, vcc_lo, s5
	s_delay_alu instid0(SALU_CYCLE_1) | instskip(NEXT) | instid1(SALU_CYCLE_1)
	s_and_b32 s5, exec_lo, s5
	s_or_b32 s15, s5, s15
	s_and_not1_b32 s5, s12, exec_lo
	s_and_b32 s12, vcc_lo, exec_lo
	s_delay_alu instid0(SALU_CYCLE_1)
	s_or_b32 s12, s5, s12
	s_and_not1_b32 exec_lo, exec_lo, s15
	s_cbranch_execz .LBB47_278
.LBB47_273:                             ;   Parent Loop BB47_33 Depth=1
                                        ; =>  This Inner Loop Header: Depth=2
	s_delay_alu instid0(VALU_DEP_1)
	v_cmp_gt_i64_e32 vcc_lo, s[10:11], v[10:11]
	v_mov_b32_e32 v4, 0
	v_mov_b32_e32 v5, 0
	s_and_saveexec_b32 s5, vcc_lo
	s_cbranch_execz .LBB47_275
; %bb.274:                              ;   in Loop: Header=BB47_273 Depth=2
	ds_load_b64 v[4:5], v12
.LBB47_275:                             ;   in Loop: Header=BB47_273 Depth=2
	s_or_b32 exec_lo, exec_lo, s5
	s_and_saveexec_b32 s5, vcc_lo
	s_cbranch_execz .LBB47_272
; %bb.276:                              ;   in Loop: Header=BB47_273 Depth=2
	s_waitcnt lgkmcnt(0)
	v_cmp_o_f64_e32 vcc_lo, v[4:5], v[4:5]
	v_ashrrev_i32_e32 v2, 31, v5
	s_delay_alu instid0(VALU_DEP_1) | instskip(SKIP_1) | instid1(VALU_DEP_2)
	v_or_b32_e32 v6, 0x80000000, v2
	v_xor_b32_e32 v2, v2, v4
	v_xor_b32_e32 v6, v6, v5
	s_delay_alu instid0(VALU_DEP_1) | instskip(NEXT) | instid1(VALU_DEP_3)
	v_cndmask_b32_e32 v6, -1, v6, vcc_lo
	v_cndmask_b32_e32 v2, -1, v2, vcc_lo
	s_delay_alu instid0(VALU_DEP_2) | instskip(NEXT) | instid1(VALU_DEP_2)
	v_and_b32_e32 v7, s67, v6
	v_and_b32_e32 v6, s66, v2
	s_delay_alu instid0(VALU_DEP_1)
	v_cmp_eq_u64_e32 vcc_lo, s[64:65], v[6:7]
	s_and_b32 exec_lo, exec_lo, vcc_lo
	s_cbranch_execz .LBB47_272
; %bb.277:                              ;   in Loop: Header=BB47_273 Depth=2
	v_mov_b32_e32 v2, v19
	ds_store_b128 v19, v[2:5] offset:3072
	s_branch .LBB47_272
.LBB47_278:                             ;   in Loop: Header=BB47_33 Depth=1
	s_set_inst_prefetch_distance 0x2
	s_or_b32 exec_lo, exec_lo, s15
	s_delay_alu instid0(SALU_CYCLE_1)
	s_and_b32 s12, s12, exec_lo
.LBB47_279:                             ;   in Loop: Header=BB47_33 Depth=1
	s_or_b32 exec_lo, exec_lo, s13
	s_mov_b32 s17, -1
	s_mov_b32 s15, 0
	s_mov_b32 s16, 0
.LBB47_280:                             ;   in Loop: Header=BB47_33 Depth=1
	s_mov_b32 s13, 0
                                        ; implicit-def: $sgpr5
                                        ; implicit-def: $sgpr10_sgpr11
	s_and_saveexec_b32 s23, s12
	s_cbranch_execz .LBB47_293
; %bb.281:                              ;   in Loop: Header=BB47_33 Depth=1
	s_xor_b32 s5, s14, -1
	s_mov_b64 s[10:11], 1
	s_and_not1_b32 vcc_lo, exec_lo, s5
	s_mov_b32 s5, 1
	s_cbranch_vccnz .LBB47_292
; %bb.282:                              ;   in Loop: Header=BB47_33 Depth=1
	v_cmp_gt_i64_e64 s5, s[38:39], s[6:7]
	s_delay_alu instid0(VALU_DEP_1)
	s_and_b32 vcc_lo, exec_lo, s5
	s_cbranch_vccnz .LBB47_288
; %bb.283:                              ;   in Loop: Header=BB47_33 Depth=1
	ds_load_b64 v[4:5], v19 offset:5120
	s_waitcnt lgkmcnt(0)
	v_cmp_ne_u64_e32 vcc_lo, 0, v[4:5]
	s_cbranch_vccnz .LBB47_287
; %bb.284:                              ;   in Loop: Header=BB47_33 Depth=1
	s_and_saveexec_b32 s5, s0
	s_cbranch_execz .LBB47_286
; %bb.285:                              ;   in Loop: Header=BB47_33 Depth=1
	v_dual_mov_b32 v4, s6 :: v_dual_mov_b32 v5, s7
	ds_store_b64 v19, v[4:5] offset:5128
.LBB47_286:                             ;   in Loop: Header=BB47_33 Depth=1
	s_or_b32 exec_lo, exec_lo, s5
	s_waitcnt lgkmcnt(0)
	s_barrier
	buffer_gl0_inv
.LBB47_287:                             ;   in Loop: Header=BB47_33 Depth=1
	s_or_b64 s[12:13], s[64:65], s[8:9]
	s_or_b64 s[8:9], s[66:67], s[8:9]
	s_mov_b32 s10, 0
	s_mov_b32 s5, 8
	s_branch .LBB47_289
.LBB47_288:                             ;   in Loop: Header=BB47_33 Depth=1
	s_mov_b32 s10, -1
                                        ; implicit-def: $sgpr5
                                        ; implicit-def: $sgpr12_sgpr13
                                        ; implicit-def: $sgpr8_sgpr9
.LBB47_289:                             ;   in Loop: Header=BB47_33 Depth=1
	s_delay_alu instid0(SALU_CYCLE_1)
	s_and_not1_b32 vcc_lo, exec_lo, s10
	s_cbranch_vccnz .LBB47_291
; %bb.290:                              ;   in Loop: Header=BB47_33 Depth=1
	s_sub_u32 s38, s38, s6
	s_subb_u32 s39, s39, s7
	s_mov_b32 s5, 8
	s_mov_b64 s[12:13], s[64:65]
	s_mov_b64 s[8:9], s[66:67]
.LBB47_291:                             ;   in Loop: Header=BB47_33 Depth=1
	s_mov_b64 s[10:11], s[38:39]
	s_mov_b64 s[64:65], s[12:13]
	;; [unrolled: 1-line block ×3, first 2 shown]
.LBB47_292:                             ;   in Loop: Header=BB47_33 Depth=1
	s_mov_b32 s13, exec_lo
.LBB47_293:                             ;   in Loop: Header=BB47_33 Depth=1
	s_or_b32 exec_lo, exec_lo, s23
	s_mov_b64 s[38:39], s[10:11]
.LBB47_294:                             ;   in Loop: Header=BB47_33 Depth=1
	s_and_not1_b32 s6, s18, exec_lo
	s_and_b32 s7, s15, exec_lo
	s_and_not1_b32 s8, s19, exec_lo
	s_or_b32 s18, s6, s7
	s_and_not1_b32 s6, s70, exec_lo
	s_and_b32 s7, s17, exec_lo
	s_and_b32 s9, s16, exec_lo
	s_or_b32 s70, s6, s7
	s_or_b32 s19, s8, s9
	s_and_b32 s14, s13, exec_lo
.LBB47_295:                             ;   in Loop: Header=BB47_33 Depth=1
	s_or_b32 exec_lo, exec_lo, s71
.LBB47_296:                             ;   in Loop: Header=BB47_33 Depth=1
	s_delay_alu instid0(SALU_CYCLE_1)
	s_and_not1_b32 s6, s50, exec_lo
	s_and_b32 s7, s18, exec_lo
	s_and_not1_b32 s8, s21, exec_lo
	s_or_b32 s50, s6, s7
	s_and_not1_b32 s6, s68, exec_lo
	s_and_b32 s7, s70, exec_lo
	s_and_b32 s9, s19, exec_lo
	s_or_b32 s68, s6, s7
	s_or_b32 s21, s8, s9
	s_and_b32 s16, s14, exec_lo
.LBB47_297:                             ;   in Loop: Header=BB47_33 Depth=1
	s_or_b32 exec_lo, exec_lo, s69
	s_and_saveexec_b32 s6, s16
	s_delay_alu instid0(SALU_CYCLE_1)
	s_xor_b32 s6, exec_lo, s6
	s_cbranch_execz .LBB47_31
.LBB47_298:                             ;   in Loop: Header=BB47_33 Depth=1
	s_and_b32 s5, s5, -9
	s_delay_alu instid0(SALU_CYCLE_1)
	s_cmp_eq_u32 s5, 0
	s_cbranch_scc1 .LBB47_29
; %bb.299:                              ;   in Loop: Header=BB47_33 Depth=1
	s_mov_b32 s5, -1
	s_mov_b32 s7, -1
                                        ; implicit-def: $sgpr66_sgpr67
                                        ; implicit-def: $sgpr94
                                        ; implicit-def: $sgpr96
	s_branch .LBB47_30
.LBB47_300:                             ;   in Loop: Header=BB47_33 Depth=1
                                        ; implicit-def: $vgpr4_vgpr5
	s_branch .LBB47_252
.LBB47_301:                             ;   in Loop: Header=BB47_33 Depth=1
                                        ; implicit-def: $vgpr4_vgpr5
	s_branch .LBB47_269
.LBB47_302:
	s_or_b32 exec_lo, exec_lo, s91
	s_xor_b32 s5, s95, -1
	s_xor_b32 s2, s92, -1
	;; [unrolled: 1-line block ×3, first 2 shown]
	s_mov_b32 s3, 0
	s_and_saveexec_b32 s6, s2
	s_delay_alu instid0(SALU_CYCLE_1)
	s_xor_b32 s2, exec_lo, s6
	s_cbranch_execz .LBB47_325
; %bb.303:
	s_and_saveexec_b32 s3, s5
	s_delay_alu instid0(SALU_CYCLE_1)
	s_xor_b32 s3, exec_lo, s3
	s_cbranch_execz .LBB47_323
; %bb.304:
	s_and_saveexec_b32 s5, s4
	s_delay_alu instid0(SALU_CYCLE_1)
	s_xor_b32 s4, exec_lo, s5
; %bb.305:
	v_lshrrev_b32_e32 v2, 31, v5
	s_delay_alu instid0(VALU_DEP_1) | instskip(NEXT) | instid1(VALU_DEP_1)
	v_add_co_u32 v2, s5, v2, -1
	v_add_co_ci_u32_e64 v3, null, 0, -1, s5
	s_delay_alu instid0(VALU_DEP_2) | instskip(NEXT) | instid1(VALU_DEP_2)
	v_xor_b32_e32 v6, v2, v4
	v_or_b32_e32 v3, 0x80000000, v3
	s_delay_alu instid0(VALU_DEP_1)
	v_xor_b32_e32 v7, v3, v5
; %bb.306:
	s_or_b32 exec_lo, exec_lo, s4
	s_and_saveexec_b32 s4, s0
	s_cbranch_execz .LBB47_308
; %bb.307:
	v_dual_mov_b32 v2, 0 :: v_dual_mov_b32 v3, s36
	ds_store_b32 v2, v3 offset:5140
.LBB47_308:
	s_or_b32 exec_lo, exec_lo, s4
	s_waitcnt lgkmcnt(0)
	s_barrier
	buffer_gl0_inv
	s_and_saveexec_b32 s4, s1
	s_cbranch_execz .LBB47_320
; %bb.309:
	v_cmp_u_f64_e32 vcc_lo, v[6:7], v[6:7]
	v_mov_b32_e32 v2, 0
	s_mov_b32 s5, 0
                                        ; implicit-def: $sgpr7
                                        ; implicit-def: $sgpr8
                                        ; implicit-def: $sgpr9
	ds_load_b32 v4, v2 offset:5140
	s_waitcnt lgkmcnt(0)
	v_ashrrev_i32_e32 v5, 31, v4
	s_xor_b32 s6, vcc_lo, -1
	s_set_inst_prefetch_distance 0x1
	s_branch .LBB47_312
	.p2align	6
.LBB47_310:                             ;   in Loop: Header=BB47_312 Depth=1
	s_or_b32 exec_lo, exec_lo, s13
	s_delay_alu instid0(SALU_CYCLE_1)
	s_and_not1_b32 s1, s9, exec_lo
	s_and_b32 s9, s11, exec_lo
	s_and_not1_b32 s8, s8, exec_lo
	s_and_b32 s11, s12, exec_lo
	s_or_b32 s9, s1, s9
	s_or_b32 s8, s8, s11
.LBB47_311:                             ;   in Loop: Header=BB47_312 Depth=1
	s_or_b32 exec_lo, exec_lo, s10
	s_delay_alu instid0(SALU_CYCLE_1) | instskip(NEXT) | instid1(SALU_CYCLE_1)
	s_and_b32 s1, exec_lo, s8
	s_or_b32 s5, s1, s5
	s_and_not1_b32 s1, s7, exec_lo
	s_and_b32 s7, s9, exec_lo
	s_delay_alu instid0(SALU_CYCLE_1)
	s_or_b32 s7, s1, s7
	s_and_not1_b32 exec_lo, exec_lo, s5
	s_cbranch_execz .LBB47_315
.LBB47_312:                             ; =>This Inner Loop Header: Depth=1
	v_dual_mov_b32 v3, v1 :: v_dual_mov_b32 v2, v0
	s_or_b32 s9, s9, exec_lo
	s_or_b32 s8, s8, exec_lo
	s_mov_b32 s10, exec_lo
                                        ; implicit-def: $vgpr0_vgpr1
	s_delay_alu instid0(VALU_DEP_1)
	v_cmpx_lt_i64_e64 v[2:3], v[4:5]
	s_cbranch_execz .LBB47_311
; %bb.313:                              ;   in Loop: Header=BB47_312 Depth=1
	global_load_b64 v[0:1], v[16:17], off
	s_mov_b32 s12, -1
	s_waitcnt vmcnt(0)
	v_cmp_o_f64_e32 vcc_lo, v[0:1], v[0:1]
	v_cmp_neq_f64_e64 s1, v[0:1], v[6:7]
                                        ; implicit-def: $vgpr0_vgpr1
	s_or_b32 s11, vcc_lo, s6
	s_delay_alu instid0(VALU_DEP_1) | instid1(SALU_CYCLE_1)
	s_and_b32 s1, s1, s11
	s_mov_b32 s11, 0
	s_and_saveexec_b32 s13, s1
	s_cbranch_execz .LBB47_310
; %bb.314:                              ;   in Loop: Header=BB47_312 Depth=1
	v_add_co_u32 v0, vcc_lo, v2, s33
	v_add_co_ci_u32_e32 v1, vcc_lo, 0, v3, vcc_lo
	v_add_co_u32 v16, s1, v16, s52
	s_mov_b32 s11, exec_lo
	s_delay_alu instid0(VALU_DEP_2)
	v_cmp_le_i64_e32 vcc_lo, s[36:37], v[0:1]
	v_add_co_ci_u32_e64 v17, s1, s53, v17, s1
	s_or_not1_b32 s12, vcc_lo, exec_lo
	s_branch .LBB47_310
.LBB47_315:
	s_set_inst_prefetch_distance 0x2
	s_or_b32 exec_lo, exec_lo, s5
	s_xor_b32 s1, s7, -1
	s_delay_alu instid0(SALU_CYCLE_1) | instskip(NEXT) | instid1(SALU_CYCLE_1)
	s_and_saveexec_b32 s5, s1
	s_xor_b32 s5, exec_lo, s5
	s_cbranch_execz .LBB47_320
; %bb.316:
	s_mov_b32 s5, exec_lo
	s_brev_b32 s1, -2
.LBB47_317:                             ; =>This Inner Loop Header: Depth=1
	s_ctz_i32_b32 s6, s5
	s_delay_alu instid0(SALU_CYCLE_1) | instskip(SKIP_1) | instid1(SALU_CYCLE_1)
	v_readlane_b32 s7, v2, s6
	s_lshl_b32 s6, 1, s6
	s_and_not1_b32 s5, s5, s6
	s_delay_alu instid0(VALU_DEP_1)
	s_min_i32 s1, s1, s7
	s_cmp_lg_u32 s5, 0
	s_cbranch_scc1 .LBB47_317
; %bb.318:
	v_mbcnt_lo_u32_b32 v0, exec_lo, 0
	s_mov_b32 s5, exec_lo
	s_delay_alu instid0(VALU_DEP_1)
	v_cmpx_eq_u32_e32 0, v0
	s_xor_b32 s5, exec_lo, s5
	s_cbranch_execz .LBB47_320
; %bb.319:
	v_dual_mov_b32 v0, 0 :: v_dual_mov_b32 v1, s1
	ds_min_i32 v0, v1 offset:5140
.LBB47_320:
	s_or_b32 exec_lo, exec_lo, s4
	s_waitcnt lgkmcnt(0)
	s_barrier
	buffer_gl0_inv
	s_and_saveexec_b32 s1, s0
	s_cbranch_execz .LBB47_322
; %bb.321:
	v_mov_b32_e32 v2, 0
	s_mul_i32 s0, s30, s29
	s_mul_hi_u32 s5, s30, s28
	s_mul_i32 s6, s31, s28
	s_add_i32 s0, s5, s0
	ds_load_b32 v0, v2 offset:5140
	s_mul_i32 s7, s46, s41
	s_mul_hi_u32 s8, s46, s40
	s_mul_i32 s4, s30, s28
	s_add_i32 s5, s0, s6
	s_mul_i32 s9, s47, s40
	s_add_i32 s0, s8, s7
	s_lshl_b64 s[4:5], s[4:5], 3
	s_add_i32 s7, s0, s9
	s_add_u32 s0, s48, s4
	s_addc_u32 s8, s49, s5
	s_lshl_b64 s[4:5], s[26:27], 3
	s_mul_i32 s6, s46, s40
	s_add_u32 s4, s0, s4
	s_addc_u32 s5, s8, s5
	s_lshl_b64 s[6:7], s[6:7], 3
	s_delay_alu instid0(SALU_CYCLE_1)
	s_add_u32 s0, s44, s6
	s_addc_u32 s8, s45, s7
	s_lshl_b64 s[6:7], s[34:35], 3
	s_waitcnt lgkmcnt(0)
	v_ashrrev_i32_e32 v1, 31, v0
	s_add_u32 s6, s0, s6
	s_addc_u32 s7, s8, s7
	s_clause 0x1
	global_store_b64 v2, v[0:1], s[6:7]
	global_store_b64 v2, v[6:7], s[4:5]
.LBB47_322:
	s_or_b32 exec_lo, exec_lo, s1
.LBB47_323:
	s_or_saveexec_b32 s0, s3
	s_mov_b32 s1, 0
	s_xor_b32 exec_lo, exec_lo, s0
	s_cbranch_execnz .LBB47_331
.LBB47_324:
	s_or_b32 exec_lo, exec_lo, s0
	s_delay_alu instid0(SALU_CYCLE_1)
	s_and_b32 s3, s1, exec_lo
.LBB47_325:
	s_and_not1_saveexec_b32 s0, s2
	s_cbranch_execnz .LBB47_329
; %bb.326:
	s_or_b32 exec_lo, exec_lo, s0
	s_and_saveexec_b32 s0, s3
.LBB47_327:
	; divergent unreachable
.LBB47_328:
	s_nop 0
	s_sendmsg sendmsg(MSG_DEALLOC_VGPRS)
	s_endpgm
.LBB47_329:
	s_cbranch_execnz .LBB47_333
; %bb.330:
	s_or_b32 s3, s3, exec_lo
	s_or_b32 exec_lo, exec_lo, s0
	s_and_saveexec_b32 s0, s3
	s_cbranch_execnz .LBB47_327
	s_branch .LBB47_328
.LBB47_331:
	s_cbranch_execnz .LBB47_335
; %bb.332:
	s_mov_b32 s1, exec_lo
	s_branch .LBB47_324
.LBB47_333:
	s_trap 2
	s_sendmsg_rtn_b32 s0, sendmsg(MSG_RTN_GET_DOORBELL)
	s_mov_b32 ttmp2, m0
	s_waitcnt lgkmcnt(0)
	s_and_b32 s0, s0, 0x3ff
	s_delay_alu instid0(SALU_CYCLE_1) | instskip(NEXT) | instid1(SALU_CYCLE_1)
	s_bitset1_b32 s0, 10
	s_mov_b32 m0, s0
	s_sendmsg sendmsg(MSG_INTERRUPT)
	s_mov_b32 m0, ttmp2
.LBB47_334:                             ; =>This Inner Loop Header: Depth=1
	s_sethalt 5
	s_branch .LBB47_334
.LBB47_335:
	s_trap 2
	s_sendmsg_rtn_b32 s0, sendmsg(MSG_RTN_GET_DOORBELL)
	s_mov_b32 ttmp2, m0
	s_waitcnt lgkmcnt(0)
	s_and_b32 s0, s0, 0x3ff
	s_delay_alu instid0(SALU_CYCLE_1) | instskip(NEXT) | instid1(SALU_CYCLE_1)
	s_bitset1_b32 s0, 10
	s_mov_b32 m0, s0
	s_sendmsg sendmsg(MSG_INTERRUPT)
	s_mov_b32 m0, ttmp2
.LBB47_336:                             ; =>This Inner Loop Header: Depth=1
	s_sethalt 5
	s_branch .LBB47_336
	.section	.rodata,"a",@progbits
	.p2align	6, 0x0
	.amdhsa_kernel _ZN2at6native12_GLOBAL__N_114gatherKthValueIdlLin1EEEvNS_4cuda6detail10TensorInfoIKT_T0_EES8_S8_S8_S8_NS5_IS6_S8_EENS5_IlS8_EE
		.amdhsa_group_segment_fixed_size 5144
		.amdhsa_private_segment_fixed_size 0
		.amdhsa_kernarg_size 1536
		.amdhsa_user_sgpr_count 13
		.amdhsa_user_sgpr_dispatch_ptr 0
		.amdhsa_user_sgpr_queue_ptr 0
		.amdhsa_user_sgpr_kernarg_segment_ptr 1
		.amdhsa_user_sgpr_dispatch_id 0
		.amdhsa_user_sgpr_private_segment_size 0
		.amdhsa_wavefront_size32 1
		.amdhsa_uses_dynamic_stack 0
		.amdhsa_enable_private_segment 0
		.amdhsa_system_sgpr_workgroup_id_x 1
		.amdhsa_system_sgpr_workgroup_id_y 1
		.amdhsa_system_sgpr_workgroup_id_z 1
		.amdhsa_system_sgpr_workgroup_info 0
		.amdhsa_system_vgpr_workitem_id 0
		.amdhsa_next_free_vgpr 68
		.amdhsa_next_free_sgpr 105
		.amdhsa_reserve_vcc 1
		.amdhsa_float_round_mode_32 0
		.amdhsa_float_round_mode_16_64 0
		.amdhsa_float_denorm_mode_32 3
		.amdhsa_float_denorm_mode_16_64 3
		.amdhsa_dx10_clamp 1
		.amdhsa_ieee_mode 1
		.amdhsa_fp16_overflow 0
		.amdhsa_workgroup_processor_mode 1
		.amdhsa_memory_ordered 1
		.amdhsa_forward_progress 0
		.amdhsa_shared_vgpr_count 0
		.amdhsa_exception_fp_ieee_invalid_op 0
		.amdhsa_exception_fp_denorm_src 0
		.amdhsa_exception_fp_ieee_div_zero 0
		.amdhsa_exception_fp_ieee_overflow 0
		.amdhsa_exception_fp_ieee_underflow 0
		.amdhsa_exception_fp_ieee_inexact 0
		.amdhsa_exception_int_div_zero 0
	.end_amdhsa_kernel
	.section	.text._ZN2at6native12_GLOBAL__N_114gatherKthValueIdlLin1EEEvNS_4cuda6detail10TensorInfoIKT_T0_EES8_S8_S8_S8_NS5_IS6_S8_EENS5_IlS8_EE,"axG",@progbits,_ZN2at6native12_GLOBAL__N_114gatherKthValueIdlLin1EEEvNS_4cuda6detail10TensorInfoIKT_T0_EES8_S8_S8_S8_NS5_IS6_S8_EENS5_IlS8_EE,comdat
.Lfunc_end47:
	.size	_ZN2at6native12_GLOBAL__N_114gatherKthValueIdlLin1EEEvNS_4cuda6detail10TensorInfoIKT_T0_EES8_S8_S8_S8_NS5_IS6_S8_EENS5_IlS8_EE, .Lfunc_end47-_ZN2at6native12_GLOBAL__N_114gatherKthValueIdlLin1EEEvNS_4cuda6detail10TensorInfoIKT_T0_EES8_S8_S8_S8_NS5_IS6_S8_EENS5_IlS8_EE
                                        ; -- End function
	.section	.AMDGPU.csdata,"",@progbits
; Kernel info:
; codeLenInByte = 21032
; NumSgprs: 107
; NumVgprs: 68
; ScratchSize: 0
; MemoryBound: 0
; FloatMode: 240
; IeeeMode: 1
; LDSByteSize: 5144 bytes/workgroup (compile time only)
; SGPRBlocks: 13
; VGPRBlocks: 8
; NumSGPRsForWavesPerEU: 107
; NumVGPRsForWavesPerEU: 68
; Occupancy: 16
; WaveLimiterHint : 1
; COMPUTE_PGM_RSRC2:SCRATCH_EN: 0
; COMPUTE_PGM_RSRC2:USER_SGPR: 13
; COMPUTE_PGM_RSRC2:TRAP_HANDLER: 0
; COMPUTE_PGM_RSRC2:TGID_X_EN: 1
; COMPUTE_PGM_RSRC2:TGID_Y_EN: 1
; COMPUTE_PGM_RSRC2:TGID_Z_EN: 1
; COMPUTE_PGM_RSRC2:TIDIG_COMP_CNT: 0
	.section	.text._ZN2at6native12_GLOBAL__N_114gatherKthValueIfiLi1EEEvNS_4cuda6detail10TensorInfoIKT_T0_EES8_S8_S8_S8_NS5_IS6_S8_EENS5_IlS8_EE,"axG",@progbits,_ZN2at6native12_GLOBAL__N_114gatherKthValueIfiLi1EEEvNS_4cuda6detail10TensorInfoIKT_T0_EES8_S8_S8_S8_NS5_IS6_S8_EENS5_IlS8_EE,comdat
	.globl	_ZN2at6native12_GLOBAL__N_114gatherKthValueIfiLi1EEEvNS_4cuda6detail10TensorInfoIKT_T0_EES8_S8_S8_S8_NS5_IS6_S8_EENS5_IlS8_EE ; -- Begin function _ZN2at6native12_GLOBAL__N_114gatherKthValueIfiLi1EEEvNS_4cuda6detail10TensorInfoIKT_T0_EES8_S8_S8_S8_NS5_IS6_S8_EENS5_IlS8_EE
	.p2align	8
	.type	_ZN2at6native12_GLOBAL__N_114gatherKthValueIfiLi1EEEvNS_4cuda6detail10TensorInfoIKT_T0_EES8_S8_S8_S8_NS5_IS6_S8_EENS5_IlS8_EE,@function
_ZN2at6native12_GLOBAL__N_114gatherKthValueIfiLi1EEEvNS_4cuda6detail10TensorInfoIKT_T0_EES8_S8_S8_S8_NS5_IS6_S8_EENS5_IlS8_EE: ; @_ZN2at6native12_GLOBAL__N_114gatherKthValueIfiLi1EEEvNS_4cuda6detail10TensorInfoIKT_T0_EES8_S8_S8_S8_NS5_IS6_S8_EENS5_IlS8_EE
; %bb.0:
	s_clause 0x1
	s_load_b64 s[6:7], s[0:1], 0x298
	s_load_b128 s[36:39], s[0:1], 0xd8
	s_add_u32 s4, s0, 0x298
	s_addc_u32 s5, s1, 0
	s_waitcnt lgkmcnt(0)
	s_mul_i32 s2, s7, s15
	s_delay_alu instid0(SALU_CYCLE_1) | instskip(NEXT) | instid1(SALU_CYCLE_1)
	s_add_i32 s2, s2, s14
	s_mul_i32 s29, s2, s6
	s_delay_alu instid0(SALU_CYCLE_1) | instskip(NEXT) | instid1(SALU_CYCLE_1)
	s_add_i32 s29, s29, s13
	s_cmp_ge_i32 s29, s38
	s_cbranch_scc1 .LBB48_266
; %bb.1:
	s_clause 0x3
	s_load_b64 s[30:31], s[0:1], 0x1c0
	s_load_b64 s[34:35], s[0:1], 0xe8
	s_load_b32 s3, s[0:1], 0x6c
	s_load_b64 s[8:9], s[0:1], 0x0
	v_cmp_eq_u32_e64 s2, 0, v0
	s_mov_b32 s45, 0
	s_delay_alu instid0(VALU_DEP_1)
	s_and_saveexec_b32 s7, s2
	s_cbranch_execz .LBB48_3
; %bb.2:
	v_dual_mov_b32 v1, 0 :: v_dual_mov_b32 v2, s36
	s_delay_alu instid0(VALU_DEP_1)
	v_mov_b32_e32 v3, v1
	ds_store_b96 v1, v[1:3] offset:4096
.LBB48_3:
	s_or_b32 exec_lo, exec_lo, s7
	s_waitcnt lgkmcnt(0)
	s_barrier
	buffer_gl0_inv
	s_load_b32 s7, s[4:5], 0xc
	s_mul_i32 s10, s3, s29
	v_mbcnt_lo_u32_b32 v18, -1, 0
	s_ashr_i32 s11, s10, 31
	s_clause 0x1
	s_load_b32 s33, s[0:1], 0x22c
	s_load_b32 s38, s[0:1], 0x154
	s_lshl_b64 s[10:11], s[10:11], 2
	v_cmp_gt_u32_e32 vcc_lo, 32, v0
	s_add_u32 s42, s8, s10
	s_addc_u32 s43, s9, s11
	v_cmp_gt_i32_e64 s0, 4, v18
	v_mul_lo_u32 v5, v0, s39
	v_mov_b32_e32 v7, 0
	v_lshrrev_b32_e32 v3, 3, v0
	v_lshlrev_b32_e32 v19, 2, v0
	s_and_b32 s47, vcc_lo, s0
	s_mov_b32 s10, s39
	v_mov_b32_e32 v6, v7
	v_and_b32_e32 v22, 0x7c, v3
	v_mad_u64_u32 v[12:13], null, s39, v19, s[10:11]
	v_mov_b32_e32 v13, 1.0
	s_waitcnt lgkmcnt(0)
	s_and_b32 s44, s7, 0xffff
	s_bfe_u32 s3, s7, 0xb0005
	s_lshl_b32 s46, s44, 2
	s_add_i32 s49, s44, -1
	v_cvt_f32_u32_e32 v1, s46
	s_add_i32 s59, s49, s36
	s_cmpk_gt_i32 s36, 0x300
	v_cvt_f32_u32_e32 v2, s44
	s_cselect_b32 s50, -1, 0
	v_rcp_iflag_f32_e32 v1, v1
	s_cmp_gt_u32 s44, 31
	v_lshlrev_b64 v[8:9], 2, v[5:6]
	s_cselect_b32 s51, -1, 0
	s_cmp_lt_u32 s13, s6
	v_rcp_iflag_f32_e32 v2, v2
	s_cselect_b32 s6, 12, 18
	v_lshlrev_b32_e32 v28, 4, v0
	s_add_u32 s40, s4, s6
	s_addc_u32 s41, s5, 0
	s_waitcnt_depctr 0xfff
	v_mul_f32_e32 v1, 0x4f7ffffe, v1
	s_add_i32 s4, s3, -1
	s_bfe_u32 s52, s44, 0x30005
	s_cmp_gt_u32 s4, 6
	v_add_co_u32 v8, vcc_lo, s42, v8
	v_cvt_u32_f32_e32 v1, v1
	s_cselect_b32 s53, -1, 0
	s_and_b32 s54, s3, 0x7f8
	s_cmp_lg_u32 s52, 0
	v_lshlrev_b32_e32 v26, 2, v5
	v_readfirstlane_b32 s4, v1
	s_cselect_b32 s55, -1, 0
	s_sub_i32 s3, 0, s46
	v_mul_f32_e32 v1, 0x4f7ffffe, v2
	v_add_co_ci_u32_e32 v9, vcc_lo, s43, v9, vcc_lo
	s_mul_i32 s5, s3, s4
	v_cmp_gt_u32_e64 s0, 2, v0
	s_mul_hi_u32 s5, s4, s5
	v_cvt_u32_f32_e32 v1, v1
	s_add_i32 s56, s4, s5
	v_cmp_gt_u32_e64 s1, s36, v0
	s_mul_hi_u32 s5, s36, s56
	v_cmp_gt_i32_e64 s3, s36, v0
	s_mul_i32 s5, s5, s46
	v_cmp_eq_u32_e64 s4, 0, v18
	s_sub_i32 s5, s36, s5
	v_add_nc_u32_e32 v20, 0xc00, v19
	s_sub_i32 s6, s5, s46
	s_cmp_ge_u32 s5, s46
	v_lshl_or_b32 v29, v18, 2, 0xc00
	s_cselect_b32 s5, s6, s5
	v_readfirstlane_b32 s6, v1
	s_sub_i32 s7, s5, s46
	s_cmp_ge_u32 s5, s46
	v_lshlrev_b64 v[1:2], v18, -1
	s_cselect_b32 s9, s7, s5
	s_sub_i32 s5, 0, s44
	s_sub_i32 s57, s36, s9
	s_mul_i32 s5, s5, s6
	v_add_nc_u32_e32 v21, s57, v0
	s_mul_hi_u32 s5, s6, s5
	s_abs_i32 s7, s59
	s_add_i32 s58, s6, s5
	v_not_b32_e32 v23, v1
	v_mul_lo_u32 v2, v21, s39
	s_mul_hi_u32 s5, s7, s58
	v_mov_b32_e32 v15, 0
	s_mul_i32 s5, s5, s44
	s_mul_i32 s48, s39, s44
	s_sub_i32 s5, s7, s5
	s_ashr_i32 s7, s59, 31
	s_sub_i32 s6, s5, s44
	v_ashrrev_i32_e32 v3, 31, v2
	s_cmp_ge_u32 s5, s44
	s_mov_b32 s65, 30
	s_cselect_b32 s5, s6, s5
	s_mov_b32 s68, 0
	v_lshlrev_b64 v[1:2], 2, v[2:3]
	s_sub_i32 s6, s5, s44
	s_cmp_ge_u32 s5, s44
	v_or_b32_e32 v3, 3, v19
	s_cselect_b32 s6, s6, s5
	v_cmp_gt_i32_e64 s5, s57, v19
	v_add_co_u32 v10, vcc_lo, s42, v1
	v_add3_u32 v1, s44, s36, v0
	v_add_co_ci_u32_e32 v11, vcc_lo, s43, v2, vcc_lo
	v_or_b32_e32 v2, 2, v19
	s_xor_b32 s8, s6, s7
	s_delay_alu instid0(VALU_DEP_3)
	v_subrev_nc_u32_e32 v1, s9, v1
	s_sub_i32 s7, s7, s8
	v_mul_lo_u32 v25, s39, v3
	v_mul_lo_u32 v24, s39, v2
	s_add_i32 s59, s59, s7
	v_mul_lo_u32 v27, s39, v1
	v_cmp_gt_u32_e64 s6, s36, v21
	v_cmp_gt_i32_e64 s7, s36, v21
	v_cmp_gt_i32_e64 s8, s59, v0
	s_lshl_b32 s60, s48, 2
	s_lshl_b32 s61, s44, 4
	s_mov_b32 s70, 0
	s_mov_b32 s71, 0
                                        ; implicit-def: $sgpr62
                                        ; implicit-def: $sgpr64
                                        ; implicit-def: $sgpr63
                                        ; implicit-def: $sgpr67
                                        ; implicit-def: $sgpr69
                                        ; implicit-def: $sgpr66
	s_branch .LBB48_8
.LBB48_4:                               ;   in Loop: Header=BB48_8 Depth=1
	s_xor_b32 s68, s68, 1
	s_add_i32 s13, s65, -2
	s_cmp_eq_u32 s65, 0
	s_mov_b32 s9, 0
	s_cselect_b32 s11, -1, 0
	s_mov_b32 s65, s13
.LBB48_5:                               ;   in Loop: Header=BB48_8 Depth=1
	s_and_not1_b32 s13, s15, exec_lo
	s_and_b32 s9, s9, exec_lo
	s_and_not1_b32 s17, s17, exec_lo
	s_or_b32 s15, s13, s9
	s_and_not1_b32 s14, s14, exec_lo
	s_or_not1_b32 s13, s11, exec_lo
	s_mov_b32 s37, s22
.LBB48_6:                               ;   in Loop: Header=BB48_8 Depth=1
	s_or_b32 exec_lo, exec_lo, s10
	s_delay_alu instid0(SALU_CYCLE_1)
	s_and_not1_b32 s9, s66, exec_lo
	s_and_b32 s10, s15, exec_lo
	s_and_not1_b32 s11, s67, exec_lo
	s_or_b32 s66, s9, s10
	s_and_not1_b32 s9, s69, exec_lo
	s_and_b32 s10, s17, exec_lo
	s_and_b32 s14, s14, exec_lo
	s_or_b32 s69, s9, s10
	s_or_b32 s67, s11, s14
	s_or_not1_b32 s14, s13, exec_lo
.LBB48_7:                               ;   in Loop: Header=BB48_8 Depth=1
	s_or_b32 exec_lo, exec_lo, s12
	s_delay_alu instid0(SALU_CYCLE_1)
	s_and_b32 s9, exec_lo, s14
	v_mov_b32_e32 v1, s70
	s_or_b32 s45, s9, s45
	s_and_not1_b32 s9, s63, exec_lo
	s_and_b32 s10, s66, exec_lo
	s_and_not1_b32 s11, s62, exec_lo
	s_or_b32 s63, s9, s10
	s_and_not1_b32 s9, s64, exec_lo
	s_and_b32 s10, s69, exec_lo
	s_and_b32 s12, s67, exec_lo
	s_or_b32 s64, s9, s10
	s_or_b32 s62, s11, s12
	s_and_not1_b32 exec_lo, exec_lo, s45
	s_cbranch_execz .LBB48_242
.LBB48_8:                               ; =>This Loop Header: Depth=1
                                        ;     Child Loop BB48_16 Depth 2
                                        ;     Child Loop BB48_35 Depth 2
	;; [unrolled: 1-line block ×16, first 2 shown]
	ds_load_b64 v[1:2], v7 offset:4096
	s_waitcnt lgkmcnt(0)
	v_readfirstlane_b32 s72, v1
	s_delay_alu instid0(VALU_DEP_1)
	s_cmp_gt_i32 s72, 0
	s_cbranch_scc1 .LBB48_42
; %bb.9:                                ;   in Loop: Header=BB48_8 Depth=1
	s_and_b32 vcc_lo, exec_lo, s50
	s_cbranch_vccz .LBB48_24
; %bb.10:                               ;   in Loop: Header=BB48_8 Depth=1
	v_cmp_gt_i32_e32 vcc_lo, 0x301, v2
	s_mov_b32 s10, 0
	s_mov_b32 s9, 0
	s_cbranch_vccz .LBB48_29
; %bb.11:                               ;   in Loop: Header=BB48_8 Depth=1
	v_mov_b32_e32 v1, 0
	s_and_saveexec_b32 s9, s1
	s_cbranch_execz .LBB48_13
; %bb.12:                               ;   in Loop: Header=BB48_8 Depth=1
	global_load_b32 v1, v[8:9], off
.LBB48_13:                              ;   in Loop: Header=BB48_8 Depth=1
	s_or_b32 exec_lo, exec_lo, s9
	s_and_saveexec_b32 s11, s1
	s_cbranch_execz .LBB48_25
; %bb.14:                               ;   in Loop: Header=BB48_8 Depth=1
	global_load_u16 v2, v7, s[40:41]
	v_mov_b32_e32 v4, v0
	s_mov_b32 s12, 0
	s_waitcnt vmcnt(0)
	v_add_nc_u32_e32 v3, v0, v2
	s_delay_alu instid0(VALU_DEP_1)
	v_mul_lo_u32 v6, s39, v3
	v_mul_lo_u32 v3, s39, v2
	s_branch .LBB48_16
.LBB48_15:                              ;   in Loop: Header=BB48_16 Depth=2
	s_or_b32 exec_lo, exec_lo, s9
	v_cmp_le_i32_e32 vcc_lo, s36, v4
	v_add_nc_u32_e32 v6, v6, v3
	s_waitcnt vmcnt(0)
	v_mov_b32_e32 v1, v14
	s_or_b32 s12, vcc_lo, s12
	s_delay_alu instid0(SALU_CYCLE_1)
	s_and_not1_b32 exec_lo, exec_lo, s12
	s_cbranch_execz .LBB48_25
.LBB48_16:                              ;   Parent Loop BB48_8 Depth=1
                                        ; =>  This Inner Loop Header: Depth=2
	v_add_nc_u32_e32 v4, v4, v2
	s_waitcnt lgkmcnt(0)
	v_mov_b32_e32 v16, 0
	v_mov_b32_e32 v14, 0
	s_mov_b32 s9, exec_lo
	v_cmpx_gt_u32_e64 s36, v4
	s_cbranch_execz .LBB48_18
; %bb.17:                               ;   in Loop: Header=BB48_16 Depth=2
	v_lshlrev_b64 v[30:31], 2, v[6:7]
	s_delay_alu instid0(VALU_DEP_1) | instskip(NEXT) | instid1(VALU_DEP_2)
	v_add_co_u32 v30, vcc_lo, s42, v30
	v_add_co_ci_u32_e32 v31, vcc_lo, s43, v31, vcc_lo
	global_load_b32 v14, v[30:31], off
.LBB48_18:                              ;   in Loop: Header=BB48_16 Depth=2
	s_or_b32 exec_lo, exec_lo, s9
	v_cmp_lt_i32_e32 vcc_lo, -1, v1
	v_cndmask_b32_e64 v17, -1, 0x80000000, vcc_lo
	v_cmp_o_f32_e32 vcc_lo, v1, v1
	s_delay_alu instid0(VALU_DEP_2) | instskip(NEXT) | instid1(VALU_DEP_1)
	v_xor_b32_e32 v17, v17, v1
	v_cndmask_b32_e32 v17, -1, v17, vcc_lo
	s_delay_alu instid0(VALU_DEP_1) | instskip(NEXT) | instid1(VALU_DEP_1)
	v_and_b32_e32 v17, s71, v17
	v_cmp_eq_u32_e32 vcc_lo, s70, v17
	s_cmp_lg_u32 vcc_lo, 0
	s_cselect_b32 s9, -1, 0
	s_delay_alu instid0(SALU_CYCLE_1) | instskip(NEXT) | instid1(SALU_CYCLE_1)
	s_and_b32 s9, s4, s9
	s_and_saveexec_b32 s13, s9
	s_cbranch_execz .LBB48_22
; %bb.19:                               ;   in Loop: Header=BB48_16 Depth=2
	s_mov_b32 s16, exec_lo
	s_bcnt1_i32_b32 s14, vcc_lo
	v_mbcnt_lo_u32_b32 v16, s16, 0
	s_mov_b32 s15, exec_lo
                                        ; implicit-def: $vgpr17
	s_delay_alu instid0(VALU_DEP_1)
	v_cmpx_eq_u32_e32 0, v16
	s_cbranch_execz .LBB48_21
; %bb.20:                               ;   in Loop: Header=BB48_16 Depth=2
	s_bcnt1_i32_b32 s9, s16
	s_delay_alu instid0(SALU_CYCLE_1) | instskip(NEXT) | instid1(SALU_CYCLE_1)
	s_mul_i32 s9, s14, s9
	v_mov_b32_e32 v17, s9
	ds_add_rtn_u32 v17, v7, v17 offset:4104
.LBB48_21:                              ;   in Loop: Header=BB48_16 Depth=2
	s_or_b32 exec_lo, exec_lo, s15
	s_waitcnt lgkmcnt(0)
	v_readfirstlane_b32 s9, v17
	s_delay_alu instid0(VALU_DEP_1)
	v_mad_u32_u24 v16, s14, v16, s9
.LBB48_22:                              ;   in Loop: Header=BB48_16 Depth=2
	s_or_b32 exec_lo, exec_lo, s13
	ds_bpermute_b32 v16, v7, v16
	s_and_saveexec_b32 s9, vcc_lo
	s_cbranch_execz .LBB48_15
; %bb.23:                               ;   in Loop: Header=BB48_16 Depth=2
	v_and_b32_e32 v17, vcc_lo, v23
	s_delay_alu instid0(VALU_DEP_1) | instskip(NEXT) | instid1(VALU_DEP_1)
	v_bcnt_u32_b32 v17, v17, 0
	v_lshlrev_b32_e32 v17, 2, v17
	s_waitcnt lgkmcnt(0)
	s_delay_alu instid0(VALU_DEP_1)
	v_lshl_add_u32 v16, v16, 2, v17
	ds_store_b32 v16, v1
	s_branch .LBB48_15
.LBB48_24:                              ;   in Loop: Header=BB48_8 Depth=1
	s_mov_b32 s10, -1
	s_mov_b32 s9, 0
	s_branch .LBB48_28
.LBB48_25:                              ;   in Loop: Header=BB48_8 Depth=1
	s_or_b32 exec_lo, exec_lo, s11
	s_waitcnt vmcnt(0) lgkmcnt(0)
	s_barrier
	buffer_gl0_inv
	s_and_saveexec_b32 s9, s2
	s_cbranch_execz .LBB48_27
; %bb.26:                               ;   in Loop: Header=BB48_8 Depth=1
	ds_load_b32 v1, v7 offset:4104
	s_waitcnt lgkmcnt(0)
	ds_store_b32 v7, v1 offset:4096
.LBB48_27:                              ;   in Loop: Header=BB48_8 Depth=1
	s_or_b32 exec_lo, exec_lo, s9
	s_waitcnt lgkmcnt(0)
	s_mov_b32 s9, -1
	s_barrier
.LBB48_28:                              ;   in Loop: Header=BB48_8 Depth=1
                                        ; implicit-def: $sgpr72
.LBB48_29:                              ;   in Loop: Header=BB48_8 Depth=1
	s_and_b32 vcc_lo, exec_lo, s10
	s_cbranch_vccz .LBB48_40
; %bb.30:                               ;   in Loop: Header=BB48_8 Depth=1
	v_mov_b32_e32 v1, 0
	s_and_saveexec_b32 s9, s1
	s_cbranch_execz .LBB48_32
; %bb.31:                               ;   in Loop: Header=BB48_8 Depth=1
	global_load_b32 v1, v[8:9], off
.LBB48_32:                              ;   in Loop: Header=BB48_8 Depth=1
	s_or_b32 exec_lo, exec_lo, s9
	s_and_saveexec_b32 s9, s3
	s_cbranch_execz .LBB48_37
; %bb.33:                               ;   in Loop: Header=BB48_8 Depth=1
	global_load_u16 v2, v7, s[40:41]
	v_mov_b32_e32 v16, v0
	s_mov_b32 s10, 0
	s_waitcnt vmcnt(0)
	v_dual_mov_b32 v14, v19 :: v_dual_add_nc_u32 v3, v0, v2
	v_lshlrev_b32_e32 v4, 2, v2
	s_delay_alu instid0(VALU_DEP_2)
	v_mul_lo_u32 v6, s39, v3
	v_mul_lo_u32 v3, s39, v2
	s_branch .LBB48_35
	.p2align	6
.LBB48_34:                              ;   in Loop: Header=BB48_35 Depth=2
	s_or_b32 exec_lo, exec_lo, s11
	v_cmp_le_i32_e32 vcc_lo, s36, v16
	ds_store_b32 v14, v1
	s_waitcnt vmcnt(0)
	v_dual_mov_b32 v1, v17 :: v_dual_add_nc_u32 v14, v14, v4
	v_add_nc_u32_e32 v6, v6, v3
	s_or_b32 s10, vcc_lo, s10
	s_delay_alu instid0(SALU_CYCLE_1)
	s_and_not1_b32 exec_lo, exec_lo, s10
	s_cbranch_execz .LBB48_37
.LBB48_35:                              ;   Parent Loop BB48_8 Depth=1
                                        ; =>  This Inner Loop Header: Depth=2
	v_dual_mov_b32 v17, 0 :: v_dual_add_nc_u32 v16, v16, v2
	s_mov_b32 s11, exec_lo
	s_delay_alu instid0(VALU_DEP_1)
	v_cmpx_gt_u32_e64 s36, v16
	s_cbranch_execz .LBB48_34
; %bb.36:                               ;   in Loop: Header=BB48_35 Depth=2
	s_delay_alu instid0(VALU_DEP_3) | instskip(NEXT) | instid1(VALU_DEP_1)
	v_lshlrev_b64 v[30:31], 2, v[6:7]
	v_add_co_u32 v30, vcc_lo, s42, v30
	s_delay_alu instid0(VALU_DEP_2)
	v_add_co_ci_u32_e32 v31, vcc_lo, s43, v31, vcc_lo
	global_load_b32 v17, v[30:31], off
	s_branch .LBB48_34
.LBB48_37:                              ;   in Loop: Header=BB48_8 Depth=1
	s_or_b32 exec_lo, exec_lo, s9
	s_waitcnt vmcnt(0) lgkmcnt(0)
	s_barrier
	buffer_gl0_inv
	s_and_saveexec_b32 s9, s2
	s_cbranch_execz .LBB48_39
; %bb.38:                               ;   in Loop: Header=BB48_8 Depth=1
	v_mov_b32_e32 v1, s36
	ds_store_b32 v7, v1 offset:4096
.LBB48_39:                              ;   in Loop: Header=BB48_8 Depth=1
	s_or_b32 exec_lo, exec_lo, s9
	s_mov_b32 s9, -1
	s_waitcnt lgkmcnt(0)
	s_barrier
                                        ; implicit-def: $sgpr72
.LBB48_40:                              ;   in Loop: Header=BB48_8 Depth=1
	s_and_b32 vcc_lo, exec_lo, s9
	s_cbranch_vccz .LBB48_42
; %bb.41:                               ;   in Loop: Header=BB48_8 Depth=1
	buffer_gl0_inv
	ds_load_b32 v1, v7 offset:4096
	s_waitcnt lgkmcnt(0)
	v_readfirstlane_b32 s72, v1
.LBB48_42:                              ;   in Loop: Header=BB48_8 Depth=1
	s_delay_alu instid0(VALU_DEP_1)
	s_cmp_lt_i32 s72, 1
	s_cbranch_scc0 .LBB48_46
; %bb.43:                               ;   in Loop: Header=BB48_8 Depth=1
	v_dual_mov_b32 v1, 0 :: v_dual_mov_b32 v2, 0
	v_dual_mov_b32 v3, 0 :: v_dual_mov_b32 v4, 0
	s_mov_b32 s74, 0
	s_and_saveexec_b32 s73, s5
	s_cbranch_execnz .LBB48_47
; %bb.44:                               ;   in Loop: Header=BB48_8 Depth=1
	s_or_b32 exec_lo, exec_lo, s73
	v_mov_b32_e32 v14, 0
	s_and_saveexec_b32 s9, s6
	s_cbranch_execnz .LBB48_50
.LBB48_45:                              ;   in Loop: Header=BB48_8 Depth=1
	s_or_b32 exec_lo, exec_lo, s9
	s_and_saveexec_b32 s13, s7
	s_cbranch_execnz .LBB48_51
	s_branch .LBB48_56
.LBB48_46:                              ;   in Loop: Header=BB48_8 Depth=1
                                        ; implicit-def: $vgpr4
	s_cbranch_execnz .LBB48_57
	s_branch .LBB48_66
.LBB48_47:                              ;   in Loop: Header=BB48_8 Depth=1
	v_mov_b32_e32 v6, v19
	s_and_b32 s75, s65, 0xfe
	s_mov_b32 s76, 0
	s_mov_b32 s77, 0
	;; [unrolled: 1-line block ×5, first 2 shown]
.LBB48_48:                              ;   Parent Loop BB48_8 Depth=1
                                        ; =>  This Inner Loop Header: Depth=2
	v_add_nc_u32_e32 v1, s76, v26
	v_add_nc_u32_e32 v3, s76, v12
	;; [unrolled: 1-line block ×5, first 2 shown]
	v_ashrrev_i32_e32 v2, 31, v1
	v_ashrrev_i32_e32 v4, 31, v3
	;; [unrolled: 1-line block ×4, first 2 shown]
	s_add_i32 s76, s76, s60
	v_lshlrev_b64 v[1:2], 2, v[1:2]
	v_lshlrev_b64 v[3:4], 2, v[3:4]
	;; [unrolled: 1-line block ×4, first 2 shown]
	s_delay_alu instid0(VALU_DEP_4)
	v_add_co_u32 v1, vcc_lo, s42, v1
	v_add_co_ci_u32_e32 v2, vcc_lo, s43, v2, vcc_lo
	v_add_co_u32 v3, vcc_lo, s42, v3
	v_add_co_ci_u32_e32 v4, vcc_lo, s43, v4, vcc_lo
	;; [unrolled: 2-line block ×4, first 2 shown]
	s_clause 0x3
	global_load_b32 v1, v[1:2], off
	global_load_b32 v2, v[3:4], off
	;; [unrolled: 1-line block ×4, first 2 shown]
	v_cmp_le_i32_e32 vcc_lo, s57, v6
	s_waitcnt vmcnt(3)
	v_cmp_lt_i32_e64 s9, -1, v1
	v_cmp_o_f32_e64 s12, v1, v1
	s_waitcnt vmcnt(1)
	v_cmp_o_f32_e64 s10, v3, v3
	s_waitcnt vmcnt(0)
	v_cmp_o_f32_e64 s11, v4, v4
	v_cndmask_b32_e64 v14, -1, 0x80000000, s9
	v_cmp_lt_i32_e64 s9, -1, v2
	s_delay_alu instid0(VALU_DEP_2) | instskip(NEXT) | instid1(VALU_DEP_2)
	v_xor_b32_e32 v14, v14, v1
	v_cndmask_b32_e64 v16, -1, 0x80000000, s9
	v_cmp_lt_i32_e64 s9, -1, v3
	s_delay_alu instid0(VALU_DEP_3) | instskip(NEXT) | instid1(VALU_DEP_3)
	v_cndmask_b32_e64 v1, -1, v14, s12
	v_xor_b32_e32 v16, v16, v2
	s_delay_alu instid0(VALU_DEP_3) | instskip(SKIP_1) | instid1(VALU_DEP_4)
	v_cndmask_b32_e64 v17, -1, 0x80000000, s9
	v_cmp_lt_i32_e64 s9, -1, v4
	v_and_b32_e32 v14, s71, v1
	v_bfe_u32 v1, v1, s75, 2
	s_delay_alu instid0(VALU_DEP_3) | instskip(SKIP_2) | instid1(VALU_DEP_4)
	v_cndmask_b32_e64 v30, -1, 0x80000000, s9
	v_cmp_o_f32_e64 s9, v2, v2
	v_xor_b32_e32 v2, v17, v3
	v_cmp_eq_u32_e64 s13, 0, v1
	v_cmp_eq_u32_e64 s17, 1, v1
	v_xor_b32_e32 v3, v30, v4
	v_cndmask_b32_e64 v4, -1, v16, s9
	v_cndmask_b32_e64 v2, -1, v2, s10
	v_cmp_eq_u32_e64 s9, s70, v14
	v_cmp_eq_u32_e64 s21, 2, v1
	v_cndmask_b32_e64 v3, -1, v3, s11
	v_and_b32_e32 v16, s71, v4
	v_bfe_u32 v4, v4, s75, 2
	v_and_b32_e32 v17, s71, v2
	v_bfe_u32 v2, v2, s75, 2
	;; [unrolled: 2-line block ×3, first 2 shown]
	v_cmp_eq_u32_e64 s10, s70, v16
	v_cmp_eq_u32_e64 s14, 0, v4
	;; [unrolled: 1-line block ×4, first 2 shown]
	s_and_b32 s13, s9, s13
	v_cmp_eq_u32_e64 s12, s70, v30
	v_cmp_eq_u32_e64 s16, 0, v3
	;; [unrolled: 1-line block ×3, first 2 shown]
	v_cndmask_b32_e64 v1, 0, 1, s13
	s_and_b32 s13, s10, s14
	v_cmp_eq_u32_e64 s19, 1, v2
	v_cmp_eq_u32_e64 s23, 2, v2
	;; [unrolled: 1-line block ×3, first 2 shown]
	v_cndmask_b32_e64 v2, 0, 1, s13
	s_and_b32 s13, s11, s15
	v_cmp_eq_u32_e64 s18, 1, v4
	v_cmp_eq_u32_e64 s20, 1, v3
	;; [unrolled: 1-line block ×4, first 2 shown]
	v_cndmask_b32_e64 v3, 0, 1, s13
	s_and_b32 s13, s12, s16
	v_cmp_eq_u32_e64 s22, 2, v4
	v_cmp_eq_u32_e64 s26, 3, v4
	v_cndmask_b32_e64 v4, 0, 1, s13
	s_and_b32 s13, s9, s17
	s_delay_alu instid0(SALU_CYCLE_1) | instskip(SKIP_1) | instid1(SALU_CYCLE_1)
	v_cndmask_b32_e64 v14, 0, 1, s13
	s_and_b32 s13, s10, s18
	v_cndmask_b32_e64 v16, 0, 1, s13
	s_and_b32 s13, s11, s19
	s_delay_alu instid0(SALU_CYCLE_1) | instskip(SKIP_1) | instid1(VALU_DEP_2)
	v_cndmask_b32_e64 v17, 0, 1, s13
	s_and_b32 s13, s12, s20
	v_cmp_ne_u32_e64 s14, 0, v16
	v_cndmask_b32_e64 v30, 0, 1, s13
	s_and_b32 s13, s9, s21
	s_and_b32 s9, s9, s25
	v_cndmask_b32_e64 v31, 0, 1, s13
	s_and_b32 s13, s10, s22
	v_cndmask_b32_e64 v35, 0, 1, s9
	;; [unrolled: 2-line block ×7, first 2 shown]
	v_cndmask_b32_e64 v38, 0, 1, s9
	v_cmp_ne_u32_e64 s9, 0, v1
	v_cmp_ne_u32_e64 s13, 0, v14
	;; [unrolled: 1-line block ×11, first 2 shown]
	s_bcnt1_i32_b32 s9, s9
	s_bcnt1_i32_b32 s13, s13
	;; [unrolled: 1-line block ×4, first 2 shown]
	v_cmp_ne_u32_e64 s12, 0, v4
	v_cmp_ne_u32_e64 s16, 0, v30
	;; [unrolled: 1-line block ×4, first 2 shown]
	s_bcnt1_i32_b32 s10, s10
	s_bcnt1_i32_b32 s14, s14
	s_bcnt1_i32_b32 s18, s18
	s_bcnt1_i32_b32 s22, s22
	s_add_i32 s9, s9, s80
	s_add_i32 s13, s13, s79
	s_add_i32 s17, s17, s78
	s_add_i32 s21, s21, s77
	s_bcnt1_i32_b32 s11, s11
	s_bcnt1_i32_b32 s15, s15
	s_bcnt1_i32_b32 s19, s19
	s_bcnt1_i32_b32 s23, s23
	s_add_i32 s9, s9, s10
	s_add_i32 s10, s13, s14
	s_add_i32 s13, s17, s18
	s_add_i32 s14, s21, s22
	;; [unrolled: 8-line block ×3, first 2 shown]
	s_add_i32 s80, s9, s12
	s_add_i32 s79, s10, s16
	;; [unrolled: 1-line block ×4, first 2 shown]
	v_mov_b32_e32 v3, s78
	v_dual_mov_b32 v1, s80 :: v_dual_mov_b32 v2, s79
	v_mov_b32_e32 v4, s77
	s_or_b32 s74, vcc_lo, s74
	s_delay_alu instid0(SALU_CYCLE_1)
	s_and_not1_b32 exec_lo, exec_lo, s74
	s_cbranch_execnz .LBB48_48
; %bb.49:                               ;   in Loop: Header=BB48_8 Depth=1
	s_or_b32 exec_lo, exec_lo, s74
	s_delay_alu instid0(SALU_CYCLE_1)
	s_or_b32 exec_lo, exec_lo, s73
	v_mov_b32_e32 v14, 0
	s_and_saveexec_b32 s9, s6
	s_cbranch_execz .LBB48_45
.LBB48_50:                              ;   in Loop: Header=BB48_8 Depth=1
	global_load_b32 v14, v[10:11], off
	s_or_b32 exec_lo, exec_lo, s9
	s_and_saveexec_b32 s13, s7
	s_cbranch_execz .LBB48_56
.LBB48_51:                              ;   in Loop: Header=BB48_8 Depth=1
	v_mov_b32_e32 v16, v27
	v_mov_b32_e32 v6, v21
	s_and_b32 s15, s65, 0xfe
	s_mov_b32 s14, 0
	s_branch .LBB48_53
.LBB48_52:                              ;   in Loop: Header=BB48_53 Depth=2
	s_or_b32 exec_lo, exec_lo, s9
	s_waitcnt vmcnt(0)
	v_cmp_lt_i32_e32 vcc_lo, -1, v14
	v_add_nc_u32_e32 v16, s48, v16
	v_cndmask_b32_e64 v30, -1, 0x80000000, vcc_lo
	v_cmp_o_f32_e32 vcc_lo, v14, v14
	s_delay_alu instid0(VALU_DEP_2) | instskip(NEXT) | instid1(VALU_DEP_1)
	v_xor_b32_e32 v30, v30, v14
	v_cndmask_b32_e32 v14, -1, v30, vcc_lo
	s_delay_alu instid0(VALU_DEP_1) | instskip(SKIP_1) | instid1(VALU_DEP_2)
	v_and_b32_e32 v30, s71, v14
	v_bfe_u32 v14, v14, s15, 2
	v_cmp_eq_u32_e32 vcc_lo, s70, v30
	s_delay_alu instid0(VALU_DEP_2) | instskip(SKIP_3) | instid1(VALU_DEP_4)
	v_cmp_eq_u32_e64 s9, 0, v14
	v_cmp_eq_u32_e64 s10, 1, v14
	;; [unrolled: 1-line block ×4, first 2 shown]
	s_and_b32 s9, vcc_lo, s9
	s_delay_alu instid0(SALU_CYCLE_1) | instskip(SKIP_1) | instid1(SALU_CYCLE_1)
	v_cndmask_b32_e64 v14, 0, 1, s9
	s_and_b32 s9, vcc_lo, s10
	v_cndmask_b32_e64 v30, 0, 1, s9
	s_and_b32 s9, vcc_lo, s11
	s_delay_alu instid0(SALU_CYCLE_1)
	v_cndmask_b32_e64 v31, 0, 1, s9
	s_and_b32 s9, vcc_lo, s12
	v_cmp_ne_u32_e32 vcc_lo, 0, v14
	v_cndmask_b32_e64 v32, 0, 1, s9
	v_cmp_ne_u32_e64 s9, 0, v30
	v_cmp_ne_u32_e64 s10, 0, v31
	v_cmp_le_i32_e64 s12, s36, v6
	s_bcnt1_i32_b32 s16, vcc_lo
	v_cmp_ne_u32_e64 s11, 0, v32
	v_add_nc_u32_e32 v1, s16, v1
	s_bcnt1_i32_b32 s9, s9
	s_bcnt1_i32_b32 s10, s10
	v_add_nc_u32_e32 v2, s9, v2
	s_bcnt1_i32_b32 s11, s11
	v_dual_mov_b32 v14, v17 :: v_dual_add_nc_u32 v3, s10, v3
	v_add_nc_u32_e32 v4, s11, v4
	s_or_b32 s14, s12, s14
	s_delay_alu instid0(SALU_CYCLE_1)
	s_and_not1_b32 exec_lo, exec_lo, s14
	s_cbranch_execz .LBB48_55
.LBB48_53:                              ;   Parent Loop BB48_8 Depth=1
                                        ; =>  This Inner Loop Header: Depth=2
	s_delay_alu instid0(VALU_DEP_1) | instskip(SKIP_1) | instid1(VALU_DEP_1)
	v_dual_mov_b32 v17, 0 :: v_dual_add_nc_u32 v6, s44, v6
	s_mov_b32 s9, exec_lo
	v_cmpx_gt_u32_e64 s36, v6
	s_cbranch_execz .LBB48_52
; %bb.54:                               ;   in Loop: Header=BB48_53 Depth=2
	v_ashrrev_i32_e32 v17, 31, v16
	s_delay_alu instid0(VALU_DEP_1) | instskip(NEXT) | instid1(VALU_DEP_1)
	v_lshlrev_b64 v[30:31], 2, v[16:17]
	v_add_co_u32 v30, vcc_lo, s42, v30
	s_delay_alu instid0(VALU_DEP_2)
	v_add_co_ci_u32_e32 v31, vcc_lo, s43, v31, vcc_lo
	global_load_b32 v17, v[30:31], off
	s_branch .LBB48_52
.LBB48_55:                              ;   in Loop: Header=BB48_8 Depth=1
	s_or_b32 exec_lo, exec_lo, s14
.LBB48_56:                              ;   in Loop: Header=BB48_8 Depth=1
	s_delay_alu instid0(SALU_CYCLE_1)
	s_or_b32 exec_lo, exec_lo, s13
	s_branch .LBB48_66
.LBB48_57:                              ;   in Loop: Header=BB48_8 Depth=1
	s_mul_hi_u32 s9, s72, s56
	v_dual_mov_b32 v1, 0 :: v_dual_mov_b32 v2, 0
	s_mul_i32 s9, s9, s46
	v_dual_mov_b32 v3, 0 :: v_dual_mov_b32 v4, 0
	s_sub_i32 s9, s72, s9
	s_mov_b32 s75, 0
	s_sub_i32 s10, s9, s46
	s_cmp_ge_u32 s9, s46
	s_mov_b32 s74, exec_lo
	s_cselect_b32 s9, s10, s9
	s_delay_alu instid0(SALU_CYCLE_1) | instskip(SKIP_2) | instid1(SALU_CYCLE_1)
	s_sub_i32 s10, s9, s46
	s_cmp_ge_u32 s9, s46
	s_cselect_b32 s9, s10, s9
	s_sub_i32 s73, s72, s9
	s_delay_alu instid0(SALU_CYCLE_1)
	v_cmpx_gt_u32_e64 s73, v19
	s_cbranch_execz .LBB48_61
; %bb.58:                               ;   in Loop: Header=BB48_8 Depth=1
	v_mov_b32_e32 v6, v28
	s_waitcnt vmcnt(0)
	v_mov_b32_e32 v14, v19
	s_and_b32 s76, s65, 0xfe
	s_mov_b32 s77, 0
	s_mov_b32 s78, 0
	;; [unrolled: 1-line block ×4, first 2 shown]
.LBB48_59:                              ;   Parent Loop BB48_8 Depth=1
                                        ; =>  This Inner Loop Header: Depth=2
	ds_load_b128 v[1:4], v6
	s_waitcnt lgkmcnt(0)
	v_cmp_lt_i32_e64 s9, -1, v1
	v_cmp_o_f32_e64 s12, v1, v1
	v_cmp_o_f32_e64 s10, v3, v3
	;; [unrolled: 1-line block ×3, first 2 shown]
	s_delay_alu instid0(VALU_DEP_4) | instskip(SKIP_1) | instid1(VALU_DEP_2)
	v_cndmask_b32_e64 v16, -1, 0x80000000, s9
	v_cmp_lt_i32_e64 s9, -1, v2
	v_xor_b32_e32 v16, v16, v1
	s_delay_alu instid0(VALU_DEP_2) | instskip(SKIP_1) | instid1(VALU_DEP_3)
	v_cndmask_b32_e64 v17, -1, 0x80000000, s9
	v_cmp_lt_i32_e64 s9, -1, v3
	v_cndmask_b32_e64 v1, -1, v16, s12
	s_delay_alu instid0(VALU_DEP_3) | instskip(NEXT) | instid1(VALU_DEP_3)
	v_xor_b32_e32 v17, v17, v2
	v_cndmask_b32_e64 v30, -1, 0x80000000, s9
	v_cmp_lt_i32_e64 s9, -1, v4
	s_delay_alu instid0(VALU_DEP_4) | instskip(SKIP_1) | instid1(VALU_DEP_3)
	v_and_b32_e32 v16, s71, v1
	v_bfe_u32 v1, v1, s76, 2
	v_cndmask_b32_e64 v31, -1, 0x80000000, s9
	v_cmp_o_f32_e64 s9, v2, v2
	v_xor_b32_e32 v2, v30, v3
	s_delay_alu instid0(VALU_DEP_4)
	v_cmp_eq_u32_e64 s13, 0, v1
	v_cmp_eq_u32_e64 s17, 1, v1
	v_xor_b32_e32 v3, v31, v4
	v_cndmask_b32_e64 v4, -1, v17, s9
	v_cndmask_b32_e64 v2, -1, v2, s10
	v_cmp_eq_u32_e64 s9, s70, v16
	v_cmp_eq_u32_e64 s21, 2, v1
	v_cndmask_b32_e64 v3, -1, v3, s11
	v_and_b32_e32 v17, s71, v4
	v_bfe_u32 v4, v4, s76, 2
	v_and_b32_e32 v30, s71, v2
	v_bfe_u32 v2, v2, s76, 2
	;; [unrolled: 2-line block ×3, first 2 shown]
	v_cmp_eq_u32_e64 s10, s70, v17
	v_cmp_eq_u32_e64 s14, 0, v4
	;; [unrolled: 1-line block ×4, first 2 shown]
	s_and_b32 s13, s9, s13
	v_cmp_eq_u32_e64 s12, s70, v31
	v_cmp_eq_u32_e64 s16, 0, v3
	;; [unrolled: 1-line block ×3, first 2 shown]
	v_cndmask_b32_e64 v1, 0, 1, s13
	s_and_b32 s13, s10, s14
	v_cmp_eq_u32_e64 s19, 1, v2
	v_cmp_eq_u32_e64 s23, 2, v2
	;; [unrolled: 1-line block ×3, first 2 shown]
	v_cndmask_b32_e64 v2, 0, 1, s13
	s_and_b32 s13, s11, s15
	v_cmp_eq_u32_e64 s18, 1, v4
	v_cmp_eq_u32_e64 s20, 1, v3
	;; [unrolled: 1-line block ×4, first 2 shown]
	v_cndmask_b32_e64 v3, 0, 1, s13
	s_and_b32 s13, s12, s16
	v_cmp_eq_u32_e64 s22, 2, v4
	v_cmp_eq_u32_e64 s26, 3, v4
	v_cndmask_b32_e64 v4, 0, 1, s13
	s_and_b32 s13, s9, s17
	s_delay_alu instid0(SALU_CYCLE_1) | instskip(SKIP_1) | instid1(SALU_CYCLE_1)
	v_cndmask_b32_e64 v16, 0, 1, s13
	s_and_b32 s13, s10, s18
	v_cndmask_b32_e64 v17, 0, 1, s13
	s_and_b32 s13, s11, s19
	s_delay_alu instid0(SALU_CYCLE_1) | instskip(SKIP_1) | instid1(VALU_DEP_2)
	v_cndmask_b32_e64 v30, 0, 1, s13
	s_and_b32 s13, s12, s20
	v_cmp_ne_u32_e64 s14, 0, v17
	v_cndmask_b32_e64 v31, 0, 1, s13
	s_and_b32 s13, s9, s21
	s_and_b32 s9, s9, s25
	v_cndmask_b32_e64 v32, 0, 1, s13
	v_cndmask_b32_e64 v36, 0, 1, s9
	s_and_b32 s9, s10, s26
	s_and_b32 s13, s10, s22
	v_cndmask_b32_e64 v37, 0, 1, s9
	s_and_b32 s9, s11, s27
	v_cndmask_b32_e64 v33, 0, 1, s13
	v_cndmask_b32_e64 v38, 0, 1, s9
	s_and_b32 s9, s12, s28
	s_and_b32 s13, s11, s23
	v_cndmask_b32_e64 v39, 0, 1, s9
	v_cmp_ne_u32_e64 s9, 0, v1
	v_cmp_ne_u32_e64 s10, 0, v2
	v_cndmask_b32_e64 v34, 0, 1, s13
	s_and_b32 s13, s12, s24
	v_cmp_ne_u32_e64 s11, 0, v3
	v_cndmask_b32_e64 v35, 0, 1, s13
	v_cmp_ne_u32_e64 s13, 0, v16
	v_cmp_ne_u32_e64 s17, 0, v32
	;; [unrolled: 1-line block ×3, first 2 shown]
	s_bcnt1_i32_b32 s9, s9
	v_cmp_ne_u32_e64 s12, 0, v4
	v_cmp_ne_u32_e64 s18, 0, v33
	;; [unrolled: 1-line block ×3, first 2 shown]
	s_bcnt1_i32_b32 s10, s10
	s_add_i32 s9, s9, s80
	v_cmp_ne_u32_e64 s15, 0, v30
	v_cmp_ne_u32_e64 s19, 0, v34
	;; [unrolled: 1-line block ×3, first 2 shown]
	s_bcnt1_i32_b32 s11, s11
	s_add_i32 s9, s9, s10
	s_bcnt1_i32_b32 s13, s13
	s_bcnt1_i32_b32 s17, s17
	s_bcnt1_i32_b32 s21, s21
	v_cmp_ne_u32_e64 s16, 0, v31
	v_cmp_ne_u32_e64 s20, 0, v35
	;; [unrolled: 1-line block ×3, first 2 shown]
	s_bcnt1_i32_b32 s12, s12
	s_add_i32 s9, s9, s11
	s_bcnt1_i32_b32 s14, s14
	s_bcnt1_i32_b32 s18, s18
	;; [unrolled: 1-line block ×3, first 2 shown]
	s_add_i32 s13, s13, s79
	s_add_i32 s17, s17, s78
	;; [unrolled: 1-line block ×4, first 2 shown]
	s_delay_alu instid0(SALU_CYCLE_1)
	v_dual_mov_b32 v1, s80 :: v_dual_add_nc_u32 v14, s46, v14
	s_bcnt1_i32_b32 s15, s15
	s_bcnt1_i32_b32 s19, s19
	;; [unrolled: 1-line block ×3, first 2 shown]
	s_add_i32 s10, s13, s14
	s_add_i32 s13, s17, s18
	;; [unrolled: 1-line block ×3, first 2 shown]
	s_bcnt1_i32_b32 s16, s16
	s_bcnt1_i32_b32 s20, s20
	;; [unrolled: 1-line block ×3, first 2 shown]
	s_add_i32 s10, s10, s15
	s_add_i32 s11, s13, s19
	;; [unrolled: 1-line block ×3, first 2 shown]
	v_cmp_le_i32_e32 vcc_lo, s73, v14
	s_add_i32 s79, s10, s16
	s_add_i32 s78, s11, s20
	;; [unrolled: 1-line block ×3, first 2 shown]
	v_dual_mov_b32 v3, s78 :: v_dual_add_nc_u32 v6, s61, v6
	v_mov_b32_e32 v2, s79
	v_mov_b32_e32 v4, s77
	s_or_b32 s75, vcc_lo, s75
	s_delay_alu instid0(SALU_CYCLE_1)
	s_and_not1_b32 exec_lo, exec_lo, s75
	s_cbranch_execnz .LBB48_59
; %bb.60:                               ;   in Loop: Header=BB48_8 Depth=1
	s_or_b32 exec_lo, exec_lo, s75
.LBB48_61:                              ;   in Loop: Header=BB48_8 Depth=1
	s_delay_alu instid0(SALU_CYCLE_1) | instskip(SKIP_2) | instid1(VALU_DEP_1)
	s_or_b32 exec_lo, exec_lo, s74
	v_add_nc_u32_e32 v6, s73, v0
	s_mov_b32 s14, exec_lo
	v_cmpx_gt_i32_e64 s72, v6
	s_cbranch_execz .LBB48_65
; %bb.62:                               ;   in Loop: Header=BB48_8 Depth=1
	s_waitcnt vmcnt(0)
	v_lshlrev_b32_e32 v14, 2, v6
	s_and_b32 s16, s65, 0xfe
	s_mov_b32 s15, 0
.LBB48_63:                              ;   Parent Loop BB48_8 Depth=1
                                        ; =>  This Inner Loop Header: Depth=2
	ds_load_b32 v16, v14
	v_add_nc_u32_e32 v6, s44, v6
	v_add_nc_u32_e32 v14, s46, v14
	s_delay_alu instid0(VALU_DEP_2) | instskip(SKIP_2) | instid1(VALU_DEP_1)
	v_cmp_le_i32_e32 vcc_lo, s72, v6
	s_waitcnt lgkmcnt(0)
	v_cmp_lt_i32_e64 s9, -1, v16
	v_cndmask_b32_e64 v17, -1, 0x80000000, s9
	v_cmp_o_f32_e64 s9, v16, v16
	s_delay_alu instid0(VALU_DEP_2) | instskip(NEXT) | instid1(VALU_DEP_1)
	v_xor_b32_e32 v17, v17, v16
	v_cndmask_b32_e64 v16, -1, v17, s9
	s_delay_alu instid0(VALU_DEP_1) | instskip(SKIP_1) | instid1(VALU_DEP_2)
	v_and_b32_e32 v17, s71, v16
	v_bfe_u32 v16, v16, s16, 2
	v_cmp_eq_u32_e64 s9, s70, v17
	s_delay_alu instid0(VALU_DEP_2) | instskip(SKIP_3) | instid1(VALU_DEP_4)
	v_cmp_eq_u32_e64 s10, 0, v16
	v_cmp_eq_u32_e64 s11, 1, v16
	;; [unrolled: 1-line block ×4, first 2 shown]
	s_and_b32 s10, s9, s10
	s_delay_alu instid0(SALU_CYCLE_1) | instskip(SKIP_1) | instid1(SALU_CYCLE_1)
	v_cndmask_b32_e64 v16, 0, 1, s10
	s_and_b32 s10, s9, s11
	v_cndmask_b32_e64 v17, 0, 1, s10
	s_and_b32 s10, s9, s12
	s_and_b32 s9, s9, s13
	v_cndmask_b32_e64 v30, 0, 1, s10
	v_cndmask_b32_e64 v31, 0, 1, s9
	v_cmp_ne_u32_e64 s9, 0, v16
	v_cmp_ne_u32_e64 s10, 0, v17
	s_delay_alu instid0(VALU_DEP_4) | instskip(NEXT) | instid1(VALU_DEP_4)
	v_cmp_ne_u32_e64 s11, 0, v30
	v_cmp_ne_u32_e64 s12, 0, v31
	s_delay_alu instid0(VALU_DEP_4) | instskip(NEXT) | instid1(VALU_DEP_3)
	s_bcnt1_i32_b32 s9, s9
	s_bcnt1_i32_b32 s10, s10
	v_add_nc_u32_e32 v1, s9, v1
	s_bcnt1_i32_b32 s11, s11
	s_bcnt1_i32_b32 s12, s12
	v_add_nc_u32_e32 v2, s10, v2
	v_add_nc_u32_e32 v3, s11, v3
	;; [unrolled: 1-line block ×3, first 2 shown]
	s_or_b32 s15, vcc_lo, s15
	s_delay_alu instid0(SALU_CYCLE_1)
	s_and_not1_b32 exec_lo, exec_lo, s15
	s_cbranch_execnz .LBB48_63
; %bb.64:                               ;   in Loop: Header=BB48_8 Depth=1
	s_or_b32 exec_lo, exec_lo, s15
.LBB48_65:                              ;   in Loop: Header=BB48_8 Depth=1
	s_delay_alu instid0(SALU_CYCLE_1)
	s_or_b32 exec_lo, exec_lo, s14
.LBB48_66:                              ;   in Loop: Header=BB48_8 Depth=1
	s_lshl_b32 s9, s68, 7
	s_and_saveexec_b32 s10, s4
	s_cbranch_execz .LBB48_68
; %bb.67:                               ;   in Loop: Header=BB48_8 Depth=1
	v_or_b32_e32 v6, s9, v22
	s_delay_alu instid0(VALU_DEP_1)
	v_lshlrev_b32_e32 v6, 2, v6
	ds_store_b128 v6, v[1:4] offset:3072
.LBB48_68:                              ;   in Loop: Header=BB48_8 Depth=1
	s_or_b32 exec_lo, exec_lo, s10
	s_waitcnt vmcnt(0) lgkmcnt(0)
	s_barrier
	buffer_gl0_inv
	s_and_saveexec_b32 s10, s47
	s_cbranch_execz .LBB48_78
; %bb.69:                               ;   in Loop: Header=BB48_8 Depth=1
	v_mov_b32_e32 v1, 0
	s_and_not1_b32 vcc_lo, exec_lo, s51
	s_cbranch_vccnz .LBB48_77
; %bb.70:                               ;   in Loop: Header=BB48_8 Depth=1
	v_mov_b32_e32 v1, 0
	s_and_not1_b32 vcc_lo, exec_lo, s53
	s_mov_b32 s11, 0
	s_cbranch_vccnz .LBB48_74
; %bb.71:                               ;   in Loop: Header=BB48_8 Depth=1
	v_lshl_add_u32 v2, s68, 9, v29
	v_mov_b32_e32 v1, 0
	.p2align	6
.LBB48_72:                              ;   Parent Loop BB48_8 Depth=1
                                        ; =>  This Inner Loop Header: Depth=2
	ds_load_2addr_b32 v[3:4], v2 offset1:4
	ds_load_2addr_b32 v[16:17], v2 offset0:8 offset1:12
	ds_load_2addr_b32 v[30:31], v2 offset0:16 offset1:20
	ds_load_2addr_b32 v[32:33], v2 offset0:24 offset1:28
	v_add_nc_u32_e32 v2, 0x80, v2
	s_add_i32 s11, s11, 8
	s_delay_alu instid0(SALU_CYCLE_1) | instskip(SKIP_3) | instid1(VALU_DEP_1)
	s_cmp_eq_u32 s54, s11
	s_waitcnt lgkmcnt(3)
	v_add3_u32 v1, v3, v1, v4
	s_waitcnt lgkmcnt(2)
	v_add3_u32 v1, v16, v1, v17
	s_waitcnt lgkmcnt(1)
	s_delay_alu instid0(VALU_DEP_1) | instskip(SKIP_1) | instid1(VALU_DEP_1)
	v_add3_u32 v1, v30, v1, v31
	s_waitcnt lgkmcnt(0)
	v_add3_u32 v1, v32, v1, v33
	s_cbranch_scc0 .LBB48_72
; %bb.73:                               ;   in Loop: Header=BB48_8 Depth=1
	s_mov_b32 s11, s54
.LBB48_74:                              ;   in Loop: Header=BB48_8 Depth=1
	s_and_not1_b32 vcc_lo, exec_lo, s55
	s_cbranch_vccnz .LBB48_77
; %bb.75:                               ;   in Loop: Header=BB48_8 Depth=1
	s_lshl_b32 s12, s68, 9
	s_lshl_b32 s11, s11, 4
	s_delay_alu instid0(SALU_CYCLE_1)
	v_add3_u32 v2, s12, s11, v29
	s_mov_b32 s11, s52
.LBB48_76:                              ;   Parent Loop BB48_8 Depth=1
                                        ; =>  This Inner Loop Header: Depth=2
	ds_load_b32 v3, v2
	v_add_nc_u32_e32 v2, 16, v2
	s_add_i32 s11, s11, -1
	s_delay_alu instid0(SALU_CYCLE_1)
	s_cmp_lg_u32 s11, 0
	s_waitcnt lgkmcnt(0)
	v_add_nc_u32_e32 v1, v3, v1
	s_cbranch_scc1 .LBB48_76
.LBB48_77:                              ;   in Loop: Header=BB48_8 Depth=1
	v_add_lshl_u32 v2, s9, v18, 2
	ds_store_b32 v2, v1 offset:3072
.LBB48_78:                              ;   in Loop: Header=BB48_8 Depth=1
	s_or_b32 exec_lo, exec_lo, s10
	s_lshl_b32 s9, s9, 2
	s_waitcnt lgkmcnt(0)
	v_mov_b32_e32 v1, s9
	s_barrier
	buffer_gl0_inv
	s_and_b32 s18, s65, 0xfe
	s_mov_b32 s14, -1
	ds_load_b128 v[1:4], v1 offset:3072
	s_lshl_b32 s11, 3, s18
	s_delay_alu instid0(SALU_CYCLE_1) | instskip(SKIP_4) | instid1(VALU_DEP_3)
	s_not_b32 s19, s11
	s_waitcnt lgkmcnt(0)
	v_readfirstlane_b32 s13, v1
	v_readfirstlane_b32 s21, v2
	;; [unrolled: 1-line block ×3, first 2 shown]
	s_cmp_eq_u32 s13, 1
	s_cselect_b32 s9, -1, 0
	s_cmp_eq_u32 s37, 1
	s_cselect_b32 s10, -1, 0
	s_delay_alu instid0(SALU_CYCLE_1)
	s_and_b32 s15, s9, s10
	v_readfirstlane_b32 s10, v4
	s_and_b32 vcc_lo, exec_lo, s15
	s_cbranch_vccz .LBB48_90
; %bb.79:                               ;   in Loop: Header=BB48_8 Depth=1
	ds_load_b32 v1, v7 offset:4096
	s_waitcnt lgkmcnt(0)
	s_barrier
	buffer_gl0_inv
	v_readfirstlane_b32 s12, v1
	s_and_saveexec_b32 s9, s0
	s_cbranch_execz .LBB48_81
; %bb.80:                               ;   in Loop: Header=BB48_8 Depth=1
	ds_store_b32 v20, v7
.LBB48_81:                              ;   in Loop: Header=BB48_8 Depth=1
	s_or_b32 exec_lo, exec_lo, s9
	s_and_b32 s70, s70, s19
	s_or_b32 s71, s71, s11
	s_cmp_lt_i32 s12, 1
	s_waitcnt lgkmcnt(0)
	s_barrier
	buffer_gl0_inv
	s_cbranch_scc0 .LBB48_91
; %bb.82:                               ;   in Loop: Header=BB48_8 Depth=1
	s_mov_b32 s9, 0
                                        ; implicit-def: $vgpr15
	s_and_saveexec_b32 s17, s8
	s_cbranch_execz .LBB48_93
; %bb.83:                               ;   in Loop: Header=BB48_8 Depth=1
	v_mov_b32_e32 v1, v5
	v_mov_b32_e32 v3, v0
	s_mov_b32 s20, 0
                                        ; implicit-def: $sgpr22
	s_set_inst_prefetch_distance 0x1
	s_branch .LBB48_85
	.p2align	6
.LBB48_84:                              ;   in Loop: Header=BB48_85 Depth=2
	s_or_b32 exec_lo, exec_lo, s9
	s_waitcnt vmcnt(0) lgkmcnt(0)
	s_barrier
	buffer_gl0_inv
	ds_load_b64 v[14:15], v7 offset:3072
	v_add_nc_u32_e32 v3, s44, v3
	v_add_nc_u32_e32 v1, s48, v1
	s_waitcnt lgkmcnt(0)
	s_barrier
	buffer_gl0_inv
	v_cmp_le_i32_e32 vcc_lo, s59, v3
	v_cmp_neq_f32_e64 s9, 0, v14
	s_delay_alu instid0(VALU_DEP_1) | instskip(NEXT) | instid1(SALU_CYCLE_1)
	s_or_b32 s23, vcc_lo, s9
	s_and_b32 s23, exec_lo, s23
	s_delay_alu instid0(SALU_CYCLE_1) | instskip(SKIP_2) | instid1(SALU_CYCLE_1)
	s_or_b32 s20, s23, s20
	s_and_not1_b32 s22, s22, exec_lo
	s_and_b32 s9, s9, exec_lo
	s_or_b32 s22, s22, s9
	s_and_not1_b32 exec_lo, exec_lo, s20
	s_cbranch_execz .LBB48_92
.LBB48_85:                              ;   Parent Loop BB48_8 Depth=1
                                        ; =>  This Inner Loop Header: Depth=2
	s_delay_alu instid0(VALU_DEP_1)
	v_cmp_gt_i32_e32 vcc_lo, s36, v3
	v_mov_b32_e32 v14, 0
	s_and_saveexec_b32 s23, vcc_lo
	s_cbranch_execz .LBB48_87
; %bb.86:                               ;   in Loop: Header=BB48_85 Depth=2
	v_ashrrev_i32_e32 v2, 31, v1
	s_delay_alu instid0(VALU_DEP_1) | instskip(NEXT) | instid1(VALU_DEP_1)
	v_lshlrev_b64 v[14:15], 2, v[1:2]
	v_add_co_u32 v14, s9, s42, v14
	s_delay_alu instid0(VALU_DEP_1)
	v_add_co_ci_u32_e64 v15, s9, s43, v15, s9
	global_load_b32 v14, v[14:15], off
.LBB48_87:                              ;   in Loop: Header=BB48_85 Depth=2
	s_or_b32 exec_lo, exec_lo, s23
	s_and_saveexec_b32 s9, vcc_lo
	s_cbranch_execz .LBB48_84
; %bb.88:                               ;   in Loop: Header=BB48_85 Depth=2
	s_waitcnt vmcnt(0)
	v_cmp_lt_i32_e32 vcc_lo, -1, v14
	v_cndmask_b32_e64 v2, -1, 0x80000000, vcc_lo
	v_cmp_o_f32_e32 vcc_lo, v14, v14
	s_delay_alu instid0(VALU_DEP_2) | instskip(NEXT) | instid1(VALU_DEP_1)
	v_xor_b32_e32 v2, v2, v14
	v_cndmask_b32_e32 v2, -1, v2, vcc_lo
	s_delay_alu instid0(VALU_DEP_1) | instskip(NEXT) | instid1(VALU_DEP_1)
	v_and_b32_e32 v2, s71, v2
	v_cmp_eq_u32_e32 vcc_lo, s70, v2
	s_and_b32 exec_lo, exec_lo, vcc_lo
	s_cbranch_execz .LBB48_84
; %bb.89:                               ;   in Loop: Header=BB48_85 Depth=2
	ds_store_b64 v7, v[13:14] offset:3072
	s_branch .LBB48_84
.LBB48_90:                              ;   in Loop: Header=BB48_8 Depth=1
	s_mov_b32 s9, -1
                                        ; implicit-def: $sgpr17
                                        ; implicit-def: $sgpr22
                                        ; implicit-def: $sgpr20
	s_branch .LBB48_104
.LBB48_91:                              ;   in Loop: Header=BB48_8 Depth=1
	s_mov_b32 s17, -1
	s_mov_b32 s9, 0
                                        ; implicit-def: $sgpr20
                                        ; implicit-def: $vgpr15
	s_mov_b32 s22, s17
	s_cbranch_execnz .LBB48_94
	s_branch .LBB48_104
.LBB48_92:                              ;   in Loop: Header=BB48_8 Depth=1
	s_set_inst_prefetch_distance 0x2
	s_or_b32 exec_lo, exec_lo, s20
	s_delay_alu instid0(SALU_CYCLE_1)
	s_and_b32 s9, s22, exec_lo
.LBB48_93:                              ;   in Loop: Header=BB48_8 Depth=1
	s_or_b32 exec_lo, exec_lo, s17
	s_mov_b32 s20, -1
	s_mov_b32 s17, 0
	s_delay_alu instid0(SALU_CYCLE_1)
	s_mov_b32 s22, s17
	s_branch .LBB48_104
.LBB48_94:                              ;   in Loop: Header=BB48_8 Depth=1
	s_add_i32 s20, s12, s49
                                        ; implicit-def: $vgpr15
	s_delay_alu instid0(SALU_CYCLE_1) | instskip(NEXT) | instid1(SALU_CYCLE_1)
	s_abs_i32 s9, s20
	s_mul_hi_u32 s17, s9, s58
	s_delay_alu instid0(SALU_CYCLE_1) | instskip(NEXT) | instid1(SALU_CYCLE_1)
	s_mul_i32 s17, s17, s44
	s_sub_i32 s9, s9, s17
	s_ashr_i32 s17, s20, 31
	s_sub_i32 s22, s9, s44
	s_cmp_ge_u32 s9, s44
	s_cselect_b32 s9, s22, s9
	s_delay_alu instid0(SALU_CYCLE_1) | instskip(SKIP_2) | instid1(SALU_CYCLE_1)
	s_sub_i32 s22, s9, s44
	s_cmp_ge_u32 s9, s44
	s_cselect_b32 s9, s22, s9
	s_xor_b32 s9, s9, s17
	s_delay_alu instid0(SALU_CYCLE_1)
	s_sub_i32 s9, s17, s9
	s_mov_b32 s17, exec_lo
	s_add_i32 s20, s20, s9
	s_mov_b32 s9, 0
	v_cmpx_gt_i32_e64 s20, v0
	s_cbranch_execz .LBB48_103
; %bb.95:                               ;   in Loop: Header=BB48_8 Depth=1
	v_dual_mov_b32 v1, v19 :: v_dual_mov_b32 v2, v0
	s_mov_b32 s22, 0
                                        ; implicit-def: $sgpr23
	s_set_inst_prefetch_distance 0x1
	s_branch .LBB48_97
	.p2align	6
.LBB48_96:                              ;   in Loop: Header=BB48_97 Depth=2
	s_or_b32 exec_lo, exec_lo, s9
	s_waitcnt lgkmcnt(0)
	s_barrier
	buffer_gl0_inv
	ds_load_b64 v[14:15], v7 offset:3072
	v_add_nc_u32_e32 v2, s44, v2
	v_add_nc_u32_e32 v1, s46, v1
	s_waitcnt lgkmcnt(0)
	s_barrier
	buffer_gl0_inv
	v_cmp_le_i32_e32 vcc_lo, s20, v2
	v_cmp_neq_f32_e64 s9, 0, v14
	s_delay_alu instid0(VALU_DEP_1) | instskip(NEXT) | instid1(SALU_CYCLE_1)
	s_or_b32 s24, vcc_lo, s9
	s_and_b32 s24, exec_lo, s24
	s_delay_alu instid0(SALU_CYCLE_1) | instskip(SKIP_2) | instid1(SALU_CYCLE_1)
	s_or_b32 s22, s24, s22
	s_and_not1_b32 s23, s23, exec_lo
	s_and_b32 s9, s9, exec_lo
	s_or_b32 s23, s23, s9
	s_and_not1_b32 exec_lo, exec_lo, s22
	s_cbranch_execz .LBB48_102
.LBB48_97:                              ;   Parent Loop BB48_8 Depth=1
                                        ; =>  This Inner Loop Header: Depth=2
	s_delay_alu instid0(VALU_DEP_1)
	v_cmp_gt_i32_e32 vcc_lo, s12, v2
	v_mov_b32_e32 v14, 0
	s_and_saveexec_b32 s9, vcc_lo
	s_cbranch_execz .LBB48_99
; %bb.98:                               ;   in Loop: Header=BB48_97 Depth=2
	ds_load_b32 v14, v1
.LBB48_99:                              ;   in Loop: Header=BB48_97 Depth=2
	s_or_b32 exec_lo, exec_lo, s9
	s_and_saveexec_b32 s9, vcc_lo
	s_cbranch_execz .LBB48_96
; %bb.100:                              ;   in Loop: Header=BB48_97 Depth=2
	s_waitcnt lgkmcnt(0)
	v_cmp_lt_i32_e32 vcc_lo, -1, v14
	v_cndmask_b32_e64 v3, -1, 0x80000000, vcc_lo
	v_cmp_o_f32_e32 vcc_lo, v14, v14
	s_delay_alu instid0(VALU_DEP_2) | instskip(NEXT) | instid1(VALU_DEP_1)
	v_xor_b32_e32 v3, v3, v14
	v_cndmask_b32_e32 v3, -1, v3, vcc_lo
	s_delay_alu instid0(VALU_DEP_1) | instskip(NEXT) | instid1(VALU_DEP_1)
	v_and_b32_e32 v3, s71, v3
	v_cmp_eq_u32_e32 vcc_lo, s70, v3
	s_and_b32 exec_lo, exec_lo, vcc_lo
	s_cbranch_execz .LBB48_96
; %bb.101:                              ;   in Loop: Header=BB48_97 Depth=2
	ds_store_b64 v7, v[13:14] offset:3072
	s_branch .LBB48_96
.LBB48_102:                             ;   in Loop: Header=BB48_8 Depth=1
	s_set_inst_prefetch_distance 0x2
	s_or_b32 exec_lo, exec_lo, s22
	s_delay_alu instid0(SALU_CYCLE_1)
	s_and_b32 s9, s23, exec_lo
.LBB48_103:                             ;   in Loop: Header=BB48_8 Depth=1
	s_or_b32 exec_lo, exec_lo, s17
	s_mov_b32 s22, -1
	s_mov_b32 s17, 0
	s_mov_b32 s20, 0
.LBB48_104:                             ;   in Loop: Header=BB48_8 Depth=1
	s_and_not1_b32 s12, s66, exec_lo
	s_and_b32 s17, s17, exec_lo
	s_and_b32 s20, s20, exec_lo
	s_or_b32 s66, s12, s17
	s_and_not1_b32 s12, s69, exec_lo
	s_and_b32 s17, s22, exec_lo
	s_and_not1_b32 s22, s67, exec_lo
	s_or_b32 s69, s12, s17
	s_or_b32 s67, s22, s20
	s_and_saveexec_b32 s12, s9
	s_cbranch_execz .LBB48_7
; %bb.105:                              ;   in Loop: Header=BB48_8 Depth=1
	s_xor_b32 s9, s15, -1
	s_mov_b32 s14, 0
	s_and_not1_b32 vcc_lo, exec_lo, s9
	s_mov_b32 s22, 1
	s_cbranch_vccnz .LBB48_116
; %bb.106:                              ;   in Loop: Header=BB48_8 Depth=1
	s_cmp_gt_i32 s37, s13
	s_mov_b32 s14, -1
                                        ; implicit-def: $sgpr9
                                        ; implicit-def: $sgpr15
                                        ; implicit-def: $sgpr17
	s_cbranch_scc1 .LBB48_112
; %bb.107:                              ;   in Loop: Header=BB48_8 Depth=1
	ds_load_b32 v1, v7 offset:4096
	s_waitcnt lgkmcnt(0)
	v_cmp_ne_u32_e32 vcc_lo, 0, v1
	s_cbranch_vccnz .LBB48_111
; %bb.108:                              ;   in Loop: Header=BB48_8 Depth=1
	s_and_saveexec_b32 s9, s2
	s_cbranch_execz .LBB48_110
; %bb.109:                              ;   in Loop: Header=BB48_8 Depth=1
	v_mov_b32_e32 v1, s13
	ds_store_b32 v7, v1 offset:4100
.LBB48_110:                             ;   in Loop: Header=BB48_8 Depth=1
	s_or_b32 exec_lo, exec_lo, s9
	s_waitcnt lgkmcnt(0)
	s_barrier
	buffer_gl0_inv
.LBB48_111:                             ;   in Loop: Header=BB48_8 Depth=1
	s_and_b32 s15, s70, s19
	s_or_b32 s17, s71, s11
	s_mov_b32 s14, 0
	s_mov_b32 s9, 8
.LBB48_112:                             ;   in Loop: Header=BB48_8 Depth=1
	s_and_not1_b32 vcc_lo, exec_lo, s14
	s_cbranch_vccnz .LBB48_114
; %bb.113:                              ;   in Loop: Header=BB48_8 Depth=1
	s_sub_i32 s37, s37, s13
	s_mov_b32 s14, -1
	s_mov_b32 s9, 0
	s_mov_b32 s15, s70
	;; [unrolled: 1-line block ×3, first 2 shown]
.LBB48_114:                             ;   in Loop: Header=BB48_8 Depth=1
	s_delay_alu instid0(SALU_CYCLE_1)
	s_mov_b32 s71, s17
	s_mov_b32 s70, s15
	s_mov_b32 s22, s37
	s_and_b32 vcc_lo, exec_lo, s14
	s_mov_b32 s13, -1
	s_cbranch_vccnz .LBB48_117
.LBB48_115:                             ;   in Loop: Header=BB48_8 Depth=1
	s_mov_b32 s25, -1
                                        ; implicit-def: $sgpr14
                                        ; implicit-def: $sgpr17
                                        ; implicit-def: $sgpr15
	s_delay_alu instid0(SALU_CYCLE_1) | instskip(NEXT) | instid1(SALU_CYCLE_1)
	s_and_saveexec_b32 s10, s25
	s_xor_b32 s10, exec_lo, s10
	s_cbranch_execz .LBB48_6
	s_branch .LBB48_240
.LBB48_116:                             ;   in Loop: Header=BB48_8 Depth=1
	s_mov_b32 s9, 1
	s_and_b32 vcc_lo, exec_lo, s14
	s_mov_b32 s13, -1
	s_cbranch_vccz .LBB48_115
.LBB48_117:                             ;   in Loop: Header=BB48_8 Depth=1
	s_cmp_eq_u32 s21, 1
	s_mov_b32 s24, -1
	s_cselect_b32 s9, -1, 0
	s_cmp_eq_u32 s22, 1
	s_cselect_b32 s14, -1, 0
	s_delay_alu instid0(SALU_CYCLE_1) | instskip(NEXT) | instid1(SALU_CYCLE_1)
	s_and_b32 s23, s9, s14
	s_and_b32 vcc_lo, exec_lo, s23
	s_cbranch_vccz .LBB48_129
; %bb.118:                              ;   in Loop: Header=BB48_8 Depth=1
	ds_load_b32 v1, v7 offset:4096
	s_waitcnt lgkmcnt(0)
	s_barrier
	buffer_gl0_inv
	v_readfirstlane_b32 s20, v1
	s_and_saveexec_b32 s9, s0
	s_cbranch_execz .LBB48_120
; %bb.119:                              ;   in Loop: Header=BB48_8 Depth=1
	ds_store_b32 v20, v7
.LBB48_120:                             ;   in Loop: Header=BB48_8 Depth=1
	s_or_b32 exec_lo, exec_lo, s9
	s_lshl_b32 s9, 1, s18
	s_and_b32 s14, s70, s19
	s_or_b32 s71, s71, s11
	s_or_b32 s70, s14, s9
	s_cmp_gt_i32 s20, 0
	s_waitcnt lgkmcnt(0)
	s_barrier
	buffer_gl0_inv
	s_cbranch_scc1 .LBB48_130
; %bb.121:                              ;   in Loop: Header=BB48_8 Depth=1
	s_mov_b32 s24, 0
                                        ; implicit-def: $vgpr15
	s_and_saveexec_b32 s14, s8
	s_cbranch_execz .LBB48_132
; %bb.122:                              ;   in Loop: Header=BB48_8 Depth=1
	v_mov_b32_e32 v1, v5
	v_mov_b32_e32 v3, v0
	s_mov_b32 s15, 0
                                        ; implicit-def: $sgpr17
	s_set_inst_prefetch_distance 0x1
	s_branch .LBB48_124
	.p2align	6
.LBB48_123:                             ;   in Loop: Header=BB48_124 Depth=2
	s_or_b32 exec_lo, exec_lo, s9
	s_waitcnt vmcnt(0) lgkmcnt(0)
	s_barrier
	buffer_gl0_inv
	ds_load_b64 v[14:15], v7 offset:3072
	v_add_nc_u32_e32 v3, s44, v3
	v_add_nc_u32_e32 v1, s48, v1
	s_waitcnt lgkmcnt(0)
	s_barrier
	buffer_gl0_inv
	v_cmp_le_i32_e32 vcc_lo, s59, v3
	v_cmp_neq_f32_e64 s9, 0, v14
	s_delay_alu instid0(VALU_DEP_1) | instskip(NEXT) | instid1(SALU_CYCLE_1)
	s_or_b32 s24, vcc_lo, s9
	s_and_b32 s24, exec_lo, s24
	s_delay_alu instid0(SALU_CYCLE_1) | instskip(SKIP_2) | instid1(SALU_CYCLE_1)
	s_or_b32 s15, s24, s15
	s_and_not1_b32 s17, s17, exec_lo
	s_and_b32 s9, s9, exec_lo
	s_or_b32 s17, s17, s9
	s_and_not1_b32 exec_lo, exec_lo, s15
	s_cbranch_execz .LBB48_131
.LBB48_124:                             ;   Parent Loop BB48_8 Depth=1
                                        ; =>  This Inner Loop Header: Depth=2
	s_delay_alu instid0(VALU_DEP_1)
	v_cmp_gt_i32_e32 vcc_lo, s36, v3
	v_mov_b32_e32 v14, 0
	s_and_saveexec_b32 s24, vcc_lo
	s_cbranch_execz .LBB48_126
; %bb.125:                              ;   in Loop: Header=BB48_124 Depth=2
	v_ashrrev_i32_e32 v2, 31, v1
	s_delay_alu instid0(VALU_DEP_1) | instskip(NEXT) | instid1(VALU_DEP_1)
	v_lshlrev_b64 v[14:15], 2, v[1:2]
	v_add_co_u32 v14, s9, s42, v14
	s_delay_alu instid0(VALU_DEP_1)
	v_add_co_ci_u32_e64 v15, s9, s43, v15, s9
	global_load_b32 v14, v[14:15], off
.LBB48_126:                             ;   in Loop: Header=BB48_124 Depth=2
	s_or_b32 exec_lo, exec_lo, s24
	s_and_saveexec_b32 s9, vcc_lo
	s_cbranch_execz .LBB48_123
; %bb.127:                              ;   in Loop: Header=BB48_124 Depth=2
	s_waitcnt vmcnt(0)
	v_cmp_lt_i32_e32 vcc_lo, -1, v14
	v_cndmask_b32_e64 v2, -1, 0x80000000, vcc_lo
	v_cmp_o_f32_e32 vcc_lo, v14, v14
	s_delay_alu instid0(VALU_DEP_2) | instskip(NEXT) | instid1(VALU_DEP_1)
	v_xor_b32_e32 v2, v2, v14
	v_cndmask_b32_e32 v2, -1, v2, vcc_lo
	s_delay_alu instid0(VALU_DEP_1) | instskip(NEXT) | instid1(VALU_DEP_1)
	v_and_b32_e32 v2, s71, v2
	v_cmp_eq_u32_e32 vcc_lo, s70, v2
	s_and_b32 exec_lo, exec_lo, vcc_lo
	s_cbranch_execz .LBB48_123
; %bb.128:                              ;   in Loop: Header=BB48_124 Depth=2
	ds_store_b64 v7, v[13:14] offset:3072
	s_branch .LBB48_123
.LBB48_129:                             ;   in Loop: Header=BB48_8 Depth=1
                                        ; implicit-def: $sgpr15
                                        ; implicit-def: $sgpr17
                                        ; implicit-def: $sgpr14
	s_branch .LBB48_143
.LBB48_130:                             ;   in Loop: Header=BB48_8 Depth=1
	s_mov_b32 s15, -1
	s_mov_b32 s24, 0
                                        ; implicit-def: $sgpr14
                                        ; implicit-def: $vgpr15
	s_mov_b32 s17, s15
	s_cbranch_execnz .LBB48_133
	s_branch .LBB48_143
.LBB48_131:                             ;   in Loop: Header=BB48_8 Depth=1
	s_set_inst_prefetch_distance 0x2
	s_or_b32 exec_lo, exec_lo, s15
	s_delay_alu instid0(SALU_CYCLE_1)
	s_and_b32 s24, s17, exec_lo
.LBB48_132:                             ;   in Loop: Header=BB48_8 Depth=1
	s_or_b32 exec_lo, exec_lo, s14
	s_mov_b32 s14, -1
	s_mov_b32 s15, 0
	s_delay_alu instid0(SALU_CYCLE_1)
	s_mov_b32 s17, s15
	s_branch .LBB48_143
.LBB48_133:                             ;   in Loop: Header=BB48_8 Depth=1
	s_add_i32 s15, s20, s49
	s_mov_b32 s24, 0
	s_abs_i32 s9, s15
                                        ; implicit-def: $vgpr15
	s_delay_alu instid0(SALU_CYCLE_1) | instskip(NEXT) | instid1(SALU_CYCLE_1)
	s_mul_hi_u32 s14, s9, s58
	s_mul_i32 s14, s14, s44
	s_delay_alu instid0(SALU_CYCLE_1) | instskip(SKIP_4) | instid1(SALU_CYCLE_1)
	s_sub_i32 s9, s9, s14
	s_ashr_i32 s14, s15, 31
	s_sub_i32 s17, s9, s44
	s_cmp_ge_u32 s9, s44
	s_cselect_b32 s9, s17, s9
	s_sub_i32 s17, s9, s44
	s_cmp_ge_u32 s9, s44
	s_cselect_b32 s9, s17, s9
	s_delay_alu instid0(SALU_CYCLE_1) | instskip(NEXT) | instid1(SALU_CYCLE_1)
	s_xor_b32 s9, s9, s14
	s_sub_i32 s9, s14, s9
	s_mov_b32 s14, exec_lo
	s_add_i32 s15, s15, s9
	s_delay_alu instid0(SALU_CYCLE_1)
	v_cmpx_gt_i32_e64 s15, v0
	s_cbranch_execz .LBB48_142
; %bb.134:                              ;   in Loop: Header=BB48_8 Depth=1
	v_dual_mov_b32 v1, v19 :: v_dual_mov_b32 v2, v0
	s_mov_b32 s17, 0
                                        ; implicit-def: $sgpr24
	s_set_inst_prefetch_distance 0x1
	s_branch .LBB48_136
	.p2align	6
.LBB48_135:                             ;   in Loop: Header=BB48_136 Depth=2
	s_or_b32 exec_lo, exec_lo, s9
	s_waitcnt lgkmcnt(0)
	s_barrier
	buffer_gl0_inv
	ds_load_b64 v[14:15], v7 offset:3072
	v_add_nc_u32_e32 v2, s44, v2
	v_add_nc_u32_e32 v1, s46, v1
	s_waitcnt lgkmcnt(0)
	s_barrier
	buffer_gl0_inv
	v_cmp_le_i32_e32 vcc_lo, s15, v2
	v_cmp_neq_f32_e64 s9, 0, v14
	s_delay_alu instid0(VALU_DEP_1) | instskip(NEXT) | instid1(SALU_CYCLE_1)
	s_or_b32 s25, vcc_lo, s9
	s_and_b32 s25, exec_lo, s25
	s_delay_alu instid0(SALU_CYCLE_1) | instskip(SKIP_2) | instid1(SALU_CYCLE_1)
	s_or_b32 s17, s25, s17
	s_and_not1_b32 s24, s24, exec_lo
	s_and_b32 s9, s9, exec_lo
	s_or_b32 s24, s24, s9
	s_and_not1_b32 exec_lo, exec_lo, s17
	s_cbranch_execz .LBB48_141
.LBB48_136:                             ;   Parent Loop BB48_8 Depth=1
                                        ; =>  This Inner Loop Header: Depth=2
	s_delay_alu instid0(VALU_DEP_1)
	v_cmp_gt_i32_e32 vcc_lo, s20, v2
	v_mov_b32_e32 v14, 0
	s_and_saveexec_b32 s9, vcc_lo
	s_cbranch_execz .LBB48_138
; %bb.137:                              ;   in Loop: Header=BB48_136 Depth=2
	ds_load_b32 v14, v1
.LBB48_138:                             ;   in Loop: Header=BB48_136 Depth=2
	s_or_b32 exec_lo, exec_lo, s9
	s_and_saveexec_b32 s9, vcc_lo
	s_cbranch_execz .LBB48_135
; %bb.139:                              ;   in Loop: Header=BB48_136 Depth=2
	s_waitcnt lgkmcnt(0)
	v_cmp_lt_i32_e32 vcc_lo, -1, v14
	v_cndmask_b32_e64 v3, -1, 0x80000000, vcc_lo
	v_cmp_o_f32_e32 vcc_lo, v14, v14
	s_delay_alu instid0(VALU_DEP_2) | instskip(NEXT) | instid1(VALU_DEP_1)
	v_xor_b32_e32 v3, v3, v14
	v_cndmask_b32_e32 v3, -1, v3, vcc_lo
	s_delay_alu instid0(VALU_DEP_1) | instskip(NEXT) | instid1(VALU_DEP_1)
	v_and_b32_e32 v3, s71, v3
	v_cmp_eq_u32_e32 vcc_lo, s70, v3
	s_and_b32 exec_lo, exec_lo, vcc_lo
	s_cbranch_execz .LBB48_135
; %bb.140:                              ;   in Loop: Header=BB48_136 Depth=2
	ds_store_b64 v7, v[13:14] offset:3072
	s_branch .LBB48_135
.LBB48_141:                             ;   in Loop: Header=BB48_8 Depth=1
	s_set_inst_prefetch_distance 0x2
	s_or_b32 exec_lo, exec_lo, s17
	s_delay_alu instid0(SALU_CYCLE_1)
	s_and_b32 s24, s24, exec_lo
.LBB48_142:                             ;   in Loop: Header=BB48_8 Depth=1
	s_or_b32 exec_lo, exec_lo, s14
	s_mov_b32 s17, -1
	s_mov_b32 s15, 0
	s_mov_b32 s14, 0
.LBB48_143:                             ;   in Loop: Header=BB48_8 Depth=1
	s_mov_b32 s25, 0
                                        ; implicit-def: $sgpr9
	s_and_saveexec_b32 s20, s24
	s_cbranch_execz .LBB48_239
; %bb.144:                              ;   in Loop: Header=BB48_8 Depth=1
	s_xor_b32 s9, s23, -1
	s_mov_b32 s23, 0
	s_and_not1_b32 vcc_lo, exec_lo, s9
	s_mov_b32 s26, 1
	s_cbranch_vccnz .LBB48_155
; %bb.145:                              ;   in Loop: Header=BB48_8 Depth=1
	s_cmp_gt_i32 s22, s21
	s_mov_b32 s23, -1
                                        ; implicit-def: $sgpr9
                                        ; implicit-def: $sgpr24
                                        ; implicit-def: $sgpr25
	s_cbranch_scc1 .LBB48_151
; %bb.146:                              ;   in Loop: Header=BB48_8 Depth=1
	ds_load_b32 v1, v7 offset:4096
	s_waitcnt lgkmcnt(0)
	v_cmp_ne_u32_e32 vcc_lo, 0, v1
	s_cbranch_vccnz .LBB48_150
; %bb.147:                              ;   in Loop: Header=BB48_8 Depth=1
	s_and_saveexec_b32 s9, s2
	s_cbranch_execz .LBB48_149
; %bb.148:                              ;   in Loop: Header=BB48_8 Depth=1
	v_mov_b32_e32 v1, s21
	ds_store_b32 v7, v1 offset:4100
.LBB48_149:                             ;   in Loop: Header=BB48_8 Depth=1
	s_or_b32 exec_lo, exec_lo, s9
	s_waitcnt lgkmcnt(0)
	s_barrier
	buffer_gl0_inv
.LBB48_150:                             ;   in Loop: Header=BB48_8 Depth=1
	s_lshl_b32 s9, 1, s18
	s_and_b32 s23, s70, s19
	s_or_b32 s25, s71, s11
	s_or_b32 s24, s23, s9
	s_mov_b32 s23, 0
	s_mov_b32 s9, 8
.LBB48_151:                             ;   in Loop: Header=BB48_8 Depth=1
	s_and_not1_b32 vcc_lo, exec_lo, s23
	s_cbranch_vccnz .LBB48_153
; %bb.152:                              ;   in Loop: Header=BB48_8 Depth=1
	s_sub_i32 s22, s22, s21
	s_mov_b32 s23, -1
	s_mov_b32 s9, 0
	s_mov_b32 s24, s70
	;; [unrolled: 1-line block ×3, first 2 shown]
.LBB48_153:                             ;   in Loop: Header=BB48_8 Depth=1
	s_delay_alu instid0(SALU_CYCLE_1)
	s_mov_b32 s71, s25
	s_mov_b32 s70, s24
	;; [unrolled: 1-line block ×3, first 2 shown]
	s_and_not1_b32 vcc_lo, exec_lo, s23
	s_mov_b32 s28, -1
	s_cbranch_vccz .LBB48_156
.LBB48_154:                             ;   in Loop: Header=BB48_8 Depth=1
                                        ; implicit-def: $sgpr22
                                        ; implicit-def: $sgpr23
                                        ; implicit-def: $sgpr21
	s_branch .LBB48_238
.LBB48_155:                             ;   in Loop: Header=BB48_8 Depth=1
	s_mov_b32 s9, 1
	s_and_not1_b32 vcc_lo, exec_lo, s23
	s_mov_b32 s28, -1
	s_cbranch_vccnz .LBB48_154
.LBB48_156:                             ;   in Loop: Header=BB48_8 Depth=1
	s_cmp_eq_u32 s16, 1
	s_mov_b32 s27, -1
	s_cselect_b32 s9, -1, 0
	s_cmp_eq_u32 s26, 1
	s_cselect_b32 s21, -1, 0
	s_delay_alu instid0(SALU_CYCLE_1) | instskip(NEXT) | instid1(SALU_CYCLE_1)
	s_and_b32 s25, s9, s21
	s_and_b32 vcc_lo, exec_lo, s25
	s_cbranch_vccz .LBB48_168
; %bb.157:                              ;   in Loop: Header=BB48_8 Depth=1
	ds_load_b32 v1, v7 offset:4096
	s_waitcnt lgkmcnt(0)
	s_barrier
	buffer_gl0_inv
	v_readfirstlane_b32 s24, v1
	s_and_saveexec_b32 s9, s0
	s_cbranch_execz .LBB48_159
; %bb.158:                              ;   in Loop: Header=BB48_8 Depth=1
	ds_store_b32 v20, v7
.LBB48_159:                             ;   in Loop: Header=BB48_8 Depth=1
	s_or_b32 exec_lo, exec_lo, s9
	s_lshl_b32 s9, 2, s18
	s_and_b32 s21, s70, s19
	s_or_b32 s71, s71, s11
	s_or_b32 s70, s21, s9
	s_cmp_gt_i32 s24, 0
	s_waitcnt lgkmcnt(0)
	s_barrier
	buffer_gl0_inv
	s_cbranch_scc1 .LBB48_169
; %bb.160:                              ;   in Loop: Header=BB48_8 Depth=1
	s_mov_b32 s27, 0
                                        ; implicit-def: $vgpr15
	s_and_saveexec_b32 s21, s8
	s_cbranch_execz .LBB48_171
; %bb.161:                              ;   in Loop: Header=BB48_8 Depth=1
	v_mov_b32_e32 v1, v5
	v_mov_b32_e32 v3, v0
	s_mov_b32 s22, 0
                                        ; implicit-def: $sgpr23
	s_set_inst_prefetch_distance 0x1
	s_branch .LBB48_163
	.p2align	6
.LBB48_162:                             ;   in Loop: Header=BB48_163 Depth=2
	s_or_b32 exec_lo, exec_lo, s9
	s_waitcnt vmcnt(0) lgkmcnt(0)
	s_barrier
	buffer_gl0_inv
	ds_load_b64 v[14:15], v7 offset:3072
	v_add_nc_u32_e32 v3, s44, v3
	v_add_nc_u32_e32 v1, s48, v1
	s_waitcnt lgkmcnt(0)
	s_barrier
	buffer_gl0_inv
	v_cmp_le_i32_e32 vcc_lo, s59, v3
	v_cmp_neq_f32_e64 s9, 0, v14
	s_delay_alu instid0(VALU_DEP_1) | instskip(NEXT) | instid1(SALU_CYCLE_1)
	s_or_b32 s27, vcc_lo, s9
	s_and_b32 s27, exec_lo, s27
	s_delay_alu instid0(SALU_CYCLE_1) | instskip(SKIP_2) | instid1(SALU_CYCLE_1)
	s_or_b32 s22, s27, s22
	s_and_not1_b32 s23, s23, exec_lo
	s_and_b32 s9, s9, exec_lo
	s_or_b32 s23, s23, s9
	s_and_not1_b32 exec_lo, exec_lo, s22
	s_cbranch_execz .LBB48_170
.LBB48_163:                             ;   Parent Loop BB48_8 Depth=1
                                        ; =>  This Inner Loop Header: Depth=2
	s_delay_alu instid0(VALU_DEP_1)
	v_cmp_gt_i32_e32 vcc_lo, s36, v3
	v_mov_b32_e32 v14, 0
	s_and_saveexec_b32 s27, vcc_lo
	s_cbranch_execz .LBB48_165
; %bb.164:                              ;   in Loop: Header=BB48_163 Depth=2
	v_ashrrev_i32_e32 v2, 31, v1
	s_delay_alu instid0(VALU_DEP_1) | instskip(NEXT) | instid1(VALU_DEP_1)
	v_lshlrev_b64 v[14:15], 2, v[1:2]
	v_add_co_u32 v14, s9, s42, v14
	s_delay_alu instid0(VALU_DEP_1)
	v_add_co_ci_u32_e64 v15, s9, s43, v15, s9
	global_load_b32 v14, v[14:15], off
.LBB48_165:                             ;   in Loop: Header=BB48_163 Depth=2
	s_or_b32 exec_lo, exec_lo, s27
	s_and_saveexec_b32 s9, vcc_lo
	s_cbranch_execz .LBB48_162
; %bb.166:                              ;   in Loop: Header=BB48_163 Depth=2
	s_waitcnt vmcnt(0)
	v_cmp_lt_i32_e32 vcc_lo, -1, v14
	v_cndmask_b32_e64 v2, -1, 0x80000000, vcc_lo
	v_cmp_o_f32_e32 vcc_lo, v14, v14
	s_delay_alu instid0(VALU_DEP_2) | instskip(NEXT) | instid1(VALU_DEP_1)
	v_xor_b32_e32 v2, v2, v14
	v_cndmask_b32_e32 v2, -1, v2, vcc_lo
	s_delay_alu instid0(VALU_DEP_1) | instskip(NEXT) | instid1(VALU_DEP_1)
	v_and_b32_e32 v2, s71, v2
	v_cmp_eq_u32_e32 vcc_lo, s70, v2
	s_and_b32 exec_lo, exec_lo, vcc_lo
	s_cbranch_execz .LBB48_162
; %bb.167:                              ;   in Loop: Header=BB48_163 Depth=2
	ds_store_b64 v7, v[13:14] offset:3072
	s_branch .LBB48_162
.LBB48_168:                             ;   in Loop: Header=BB48_8 Depth=1
                                        ; implicit-def: $sgpr21
                                        ; implicit-def: $sgpr23
                                        ; implicit-def: $sgpr22
	s_branch .LBB48_182
.LBB48_169:                             ;   in Loop: Header=BB48_8 Depth=1
	s_mov_b32 s21, -1
	s_mov_b32 s27, 0
                                        ; implicit-def: $sgpr22
                                        ; implicit-def: $vgpr15
	s_mov_b32 s23, s21
	s_cbranch_execnz .LBB48_172
	s_branch .LBB48_182
.LBB48_170:                             ;   in Loop: Header=BB48_8 Depth=1
	s_set_inst_prefetch_distance 0x2
	s_or_b32 exec_lo, exec_lo, s22
	s_delay_alu instid0(SALU_CYCLE_1)
	s_and_b32 s27, s23, exec_lo
.LBB48_171:                             ;   in Loop: Header=BB48_8 Depth=1
	s_or_b32 exec_lo, exec_lo, s21
	s_mov_b32 s22, -1
	s_mov_b32 s21, 0
	s_delay_alu instid0(SALU_CYCLE_1)
	s_mov_b32 s23, s21
	s_branch .LBB48_182
.LBB48_172:                             ;   in Loop: Header=BB48_8 Depth=1
	s_add_i32 s22, s24, s49
	s_mov_b32 s27, 0
	s_abs_i32 s9, s22
                                        ; implicit-def: $vgpr15
	s_delay_alu instid0(SALU_CYCLE_1) | instskip(NEXT) | instid1(SALU_CYCLE_1)
	s_mul_hi_u32 s21, s9, s58
	s_mul_i32 s21, s21, s44
	s_delay_alu instid0(SALU_CYCLE_1) | instskip(SKIP_4) | instid1(SALU_CYCLE_1)
	s_sub_i32 s9, s9, s21
	s_ashr_i32 s21, s22, 31
	s_sub_i32 s23, s9, s44
	s_cmp_ge_u32 s9, s44
	s_cselect_b32 s9, s23, s9
	s_sub_i32 s23, s9, s44
	s_cmp_ge_u32 s9, s44
	s_cselect_b32 s9, s23, s9
	s_delay_alu instid0(SALU_CYCLE_1) | instskip(NEXT) | instid1(SALU_CYCLE_1)
	s_xor_b32 s9, s9, s21
	s_sub_i32 s9, s21, s9
	s_mov_b32 s21, exec_lo
	s_add_i32 s22, s22, s9
	s_delay_alu instid0(SALU_CYCLE_1)
	v_cmpx_gt_i32_e64 s22, v0
	s_cbranch_execz .LBB48_181
; %bb.173:                              ;   in Loop: Header=BB48_8 Depth=1
	v_dual_mov_b32 v1, v19 :: v_dual_mov_b32 v2, v0
	s_mov_b32 s23, 0
                                        ; implicit-def: $sgpr27
	s_set_inst_prefetch_distance 0x1
	s_branch .LBB48_175
	.p2align	6
.LBB48_174:                             ;   in Loop: Header=BB48_175 Depth=2
	s_or_b32 exec_lo, exec_lo, s9
	s_waitcnt lgkmcnt(0)
	s_barrier
	buffer_gl0_inv
	ds_load_b64 v[14:15], v7 offset:3072
	v_add_nc_u32_e32 v2, s44, v2
	v_add_nc_u32_e32 v1, s46, v1
	s_waitcnt lgkmcnt(0)
	s_barrier
	buffer_gl0_inv
	v_cmp_le_i32_e32 vcc_lo, s22, v2
	v_cmp_neq_f32_e64 s9, 0, v14
	s_delay_alu instid0(VALU_DEP_1) | instskip(NEXT) | instid1(SALU_CYCLE_1)
	s_or_b32 s28, vcc_lo, s9
	s_and_b32 s28, exec_lo, s28
	s_delay_alu instid0(SALU_CYCLE_1) | instskip(SKIP_2) | instid1(SALU_CYCLE_1)
	s_or_b32 s23, s28, s23
	s_and_not1_b32 s27, s27, exec_lo
	s_and_b32 s9, s9, exec_lo
	s_or_b32 s27, s27, s9
	s_and_not1_b32 exec_lo, exec_lo, s23
	s_cbranch_execz .LBB48_180
.LBB48_175:                             ;   Parent Loop BB48_8 Depth=1
                                        ; =>  This Inner Loop Header: Depth=2
	s_delay_alu instid0(VALU_DEP_1)
	v_cmp_gt_i32_e32 vcc_lo, s24, v2
	v_mov_b32_e32 v14, 0
	s_and_saveexec_b32 s9, vcc_lo
	s_cbranch_execz .LBB48_177
; %bb.176:                              ;   in Loop: Header=BB48_175 Depth=2
	ds_load_b32 v14, v1
.LBB48_177:                             ;   in Loop: Header=BB48_175 Depth=2
	s_or_b32 exec_lo, exec_lo, s9
	s_and_saveexec_b32 s9, vcc_lo
	s_cbranch_execz .LBB48_174
; %bb.178:                              ;   in Loop: Header=BB48_175 Depth=2
	s_waitcnt lgkmcnt(0)
	v_cmp_lt_i32_e32 vcc_lo, -1, v14
	v_cndmask_b32_e64 v3, -1, 0x80000000, vcc_lo
	v_cmp_o_f32_e32 vcc_lo, v14, v14
	s_delay_alu instid0(VALU_DEP_2) | instskip(NEXT) | instid1(VALU_DEP_1)
	v_xor_b32_e32 v3, v3, v14
	v_cndmask_b32_e32 v3, -1, v3, vcc_lo
	s_delay_alu instid0(VALU_DEP_1) | instskip(NEXT) | instid1(VALU_DEP_1)
	v_and_b32_e32 v3, s71, v3
	v_cmp_eq_u32_e32 vcc_lo, s70, v3
	s_and_b32 exec_lo, exec_lo, vcc_lo
	s_cbranch_execz .LBB48_174
; %bb.179:                              ;   in Loop: Header=BB48_175 Depth=2
	ds_store_b64 v7, v[13:14] offset:3072
	s_branch .LBB48_174
.LBB48_180:                             ;   in Loop: Header=BB48_8 Depth=1
	s_set_inst_prefetch_distance 0x2
	s_or_b32 exec_lo, exec_lo, s23
	s_delay_alu instid0(SALU_CYCLE_1)
	s_and_b32 s27, s27, exec_lo
.LBB48_181:                             ;   in Loop: Header=BB48_8 Depth=1
	s_or_b32 exec_lo, exec_lo, s21
	s_mov_b32 s23, -1
	s_mov_b32 s21, 0
	s_mov_b32 s22, 0
.LBB48_182:                             ;   in Loop: Header=BB48_8 Depth=1
	s_mov_b32 s28, 0
                                        ; implicit-def: $sgpr9
	s_and_saveexec_b32 s24, s27
	s_cbranch_execz .LBB48_237
; %bb.183:                              ;   in Loop: Header=BB48_8 Depth=1
	s_xor_b32 s9, s25, -1
	s_mov_b32 s27, 0
	s_and_not1_b32 vcc_lo, exec_lo, s9
	s_mov_b32 s25, 1
	s_cbranch_vccnz .LBB48_194
; %bb.184:                              ;   in Loop: Header=BB48_8 Depth=1
	s_cmp_gt_i32 s26, s16
	s_mov_b32 s27, -1
                                        ; implicit-def: $sgpr9
                                        ; implicit-def: $sgpr25
                                        ; implicit-def: $sgpr28
	s_cbranch_scc1 .LBB48_190
; %bb.185:                              ;   in Loop: Header=BB48_8 Depth=1
	ds_load_b32 v1, v7 offset:4096
	s_waitcnt lgkmcnt(0)
	v_cmp_ne_u32_e32 vcc_lo, 0, v1
	s_cbranch_vccnz .LBB48_189
; %bb.186:                              ;   in Loop: Header=BB48_8 Depth=1
	s_and_saveexec_b32 s9, s2
	s_cbranch_execz .LBB48_188
; %bb.187:                              ;   in Loop: Header=BB48_8 Depth=1
	v_mov_b32_e32 v1, s16
	ds_store_b32 v7, v1 offset:4100
.LBB48_188:                             ;   in Loop: Header=BB48_8 Depth=1
	s_or_b32 exec_lo, exec_lo, s9
	s_waitcnt lgkmcnt(0)
	s_barrier
	buffer_gl0_inv
.LBB48_189:                             ;   in Loop: Header=BB48_8 Depth=1
	s_lshl_b32 s9, 2, s18
	s_and_b32 s18, s70, s19
	s_or_b32 s28, s71, s11
	s_or_b32 s25, s18, s9
	s_mov_b32 s27, 0
	s_mov_b32 s9, 8
.LBB48_190:                             ;   in Loop: Header=BB48_8 Depth=1
	s_and_not1_b32 vcc_lo, exec_lo, s27
	s_cbranch_vccnz .LBB48_192
; %bb.191:                              ;   in Loop: Header=BB48_8 Depth=1
	s_sub_i32 s26, s26, s16
	s_mov_b32 s27, -1
	s_mov_b32 s9, 0
	s_mov_b32 s25, s70
	;; [unrolled: 1-line block ×3, first 2 shown]
.LBB48_192:                             ;   in Loop: Header=BB48_8 Depth=1
	s_delay_alu instid0(SALU_CYCLE_1)
	s_mov_b32 s71, s28
	s_mov_b32 s70, s25
	;; [unrolled: 1-line block ×3, first 2 shown]
	s_and_not1_b32 vcc_lo, exec_lo, s27
	s_mov_b32 s37, -1
	s_cbranch_vccz .LBB48_195
.LBB48_193:                             ;   in Loop: Header=BB48_8 Depth=1
                                        ; implicit-def: $sgpr19
                                        ; implicit-def: $sgpr27
                                        ; implicit-def: $sgpr26
	s_branch .LBB48_236
.LBB48_194:                             ;   in Loop: Header=BB48_8 Depth=1
	s_mov_b32 s9, 1
	s_and_not1_b32 vcc_lo, exec_lo, s27
	s_mov_b32 s37, -1
	s_cbranch_vccnz .LBB48_193
.LBB48_195:                             ;   in Loop: Header=BB48_8 Depth=1
	s_cmp_eq_u32 s10, 1
	s_mov_b32 s28, -1
	s_cselect_b32 s9, -1, 0
	s_cmp_eq_u32 s25, 1
	s_cselect_b32 s16, -1, 0
	s_delay_alu instid0(SALU_CYCLE_1) | instskip(NEXT) | instid1(SALU_CYCLE_1)
	s_and_b32 s16, s9, s16
	s_and_b32 vcc_lo, exec_lo, s16
	s_cbranch_vccz .LBB48_207
; %bb.196:                              ;   in Loop: Header=BB48_8 Depth=1
	ds_load_b32 v1, v7 offset:4096
	s_waitcnt lgkmcnt(0)
	s_barrier
	buffer_gl0_inv
	v_readfirstlane_b32 s18, v1
	s_and_saveexec_b32 s9, s0
	s_cbranch_execz .LBB48_198
; %bb.197:                              ;   in Loop: Header=BB48_8 Depth=1
	ds_store_b32 v20, v7
.LBB48_198:                             ;   in Loop: Header=BB48_8 Depth=1
	s_or_b32 exec_lo, exec_lo, s9
	s_or_b32 s70, s70, s11
	s_or_b32 s71, s71, s11
	s_cmp_gt_i32 s18, 0
	s_waitcnt lgkmcnt(0)
	s_barrier
	buffer_gl0_inv
	s_cbranch_scc1 .LBB48_208
; %bb.199:                              ;   in Loop: Header=BB48_8 Depth=1
	s_mov_b32 s28, 0
                                        ; implicit-def: $vgpr15
	s_and_saveexec_b32 s19, s8
	s_cbranch_execz .LBB48_210
; %bb.200:                              ;   in Loop: Header=BB48_8 Depth=1
	v_mov_b32_e32 v1, v5
	v_mov_b32_e32 v3, v0
	s_mov_b32 s26, 0
                                        ; implicit-def: $sgpr27
	s_set_inst_prefetch_distance 0x1
	s_branch .LBB48_202
	.p2align	6
.LBB48_201:                             ;   in Loop: Header=BB48_202 Depth=2
	s_or_b32 exec_lo, exec_lo, s9
	s_waitcnt vmcnt(0) lgkmcnt(0)
	s_barrier
	buffer_gl0_inv
	ds_load_b64 v[14:15], v7 offset:3072
	v_add_nc_u32_e32 v3, s44, v3
	v_add_nc_u32_e32 v1, s48, v1
	s_waitcnt lgkmcnt(0)
	s_barrier
	buffer_gl0_inv
	v_cmp_le_i32_e32 vcc_lo, s59, v3
	v_cmp_neq_f32_e64 s9, 0, v14
	s_delay_alu instid0(VALU_DEP_1) | instskip(NEXT) | instid1(SALU_CYCLE_1)
	s_or_b32 s28, vcc_lo, s9
	s_and_b32 s28, exec_lo, s28
	s_delay_alu instid0(SALU_CYCLE_1) | instskip(SKIP_2) | instid1(SALU_CYCLE_1)
	s_or_b32 s26, s28, s26
	s_and_not1_b32 s27, s27, exec_lo
	s_and_b32 s9, s9, exec_lo
	s_or_b32 s27, s27, s9
	s_and_not1_b32 exec_lo, exec_lo, s26
	s_cbranch_execz .LBB48_209
.LBB48_202:                             ;   Parent Loop BB48_8 Depth=1
                                        ; =>  This Inner Loop Header: Depth=2
	s_delay_alu instid0(VALU_DEP_1)
	v_cmp_gt_i32_e32 vcc_lo, s36, v3
	v_mov_b32_e32 v14, 0
	s_and_saveexec_b32 s28, vcc_lo
	s_cbranch_execz .LBB48_204
; %bb.203:                              ;   in Loop: Header=BB48_202 Depth=2
	v_ashrrev_i32_e32 v2, 31, v1
	s_delay_alu instid0(VALU_DEP_1) | instskip(NEXT) | instid1(VALU_DEP_1)
	v_lshlrev_b64 v[14:15], 2, v[1:2]
	v_add_co_u32 v14, s9, s42, v14
	s_delay_alu instid0(VALU_DEP_1)
	v_add_co_ci_u32_e64 v15, s9, s43, v15, s9
	global_load_b32 v14, v[14:15], off
.LBB48_204:                             ;   in Loop: Header=BB48_202 Depth=2
	s_or_b32 exec_lo, exec_lo, s28
	s_and_saveexec_b32 s9, vcc_lo
	s_cbranch_execz .LBB48_201
; %bb.205:                              ;   in Loop: Header=BB48_202 Depth=2
	s_waitcnt vmcnt(0)
	v_cmp_lt_i32_e32 vcc_lo, -1, v14
	v_cndmask_b32_e64 v2, -1, 0x80000000, vcc_lo
	v_cmp_o_f32_e32 vcc_lo, v14, v14
	s_delay_alu instid0(VALU_DEP_2) | instskip(NEXT) | instid1(VALU_DEP_1)
	v_xor_b32_e32 v2, v2, v14
	v_cndmask_b32_e32 v2, -1, v2, vcc_lo
	s_delay_alu instid0(VALU_DEP_1) | instskip(NEXT) | instid1(VALU_DEP_1)
	v_and_b32_e32 v2, s71, v2
	v_cmp_eq_u32_e32 vcc_lo, s70, v2
	s_and_b32 exec_lo, exec_lo, vcc_lo
	s_cbranch_execz .LBB48_201
; %bb.206:                              ;   in Loop: Header=BB48_202 Depth=2
	ds_store_b64 v7, v[13:14] offset:3072
	s_branch .LBB48_201
.LBB48_207:                             ;   in Loop: Header=BB48_8 Depth=1
                                        ; implicit-def: $sgpr19
                                        ; implicit-def: $sgpr27
                                        ; implicit-def: $sgpr26
	s_branch .LBB48_221
.LBB48_208:                             ;   in Loop: Header=BB48_8 Depth=1
	s_mov_b32 s19, -1
	s_mov_b32 s28, 0
                                        ; implicit-def: $sgpr26
                                        ; implicit-def: $vgpr15
	s_mov_b32 s27, s19
	s_cbranch_execnz .LBB48_211
	s_branch .LBB48_221
.LBB48_209:                             ;   in Loop: Header=BB48_8 Depth=1
	s_set_inst_prefetch_distance 0x2
	s_or_b32 exec_lo, exec_lo, s26
	s_delay_alu instid0(SALU_CYCLE_1)
	s_and_b32 s28, s27, exec_lo
.LBB48_210:                             ;   in Loop: Header=BB48_8 Depth=1
	s_or_b32 exec_lo, exec_lo, s19
	s_mov_b32 s26, -1
	s_mov_b32 s19, 0
	s_delay_alu instid0(SALU_CYCLE_1)
	s_mov_b32 s27, s19
	s_branch .LBB48_221
.LBB48_211:                             ;   in Loop: Header=BB48_8 Depth=1
	s_add_i32 s26, s18, s49
	s_mov_b32 s28, 0
	s_abs_i32 s9, s26
                                        ; implicit-def: $vgpr15
	s_delay_alu instid0(SALU_CYCLE_1) | instskip(NEXT) | instid1(SALU_CYCLE_1)
	s_mul_hi_u32 s19, s9, s58
	s_mul_i32 s19, s19, s44
	s_delay_alu instid0(SALU_CYCLE_1) | instskip(SKIP_4) | instid1(SALU_CYCLE_1)
	s_sub_i32 s9, s9, s19
	s_ashr_i32 s19, s26, 31
	s_sub_i32 s27, s9, s44
	s_cmp_ge_u32 s9, s44
	s_cselect_b32 s9, s27, s9
	s_sub_i32 s27, s9, s44
	s_cmp_ge_u32 s9, s44
	s_cselect_b32 s9, s27, s9
	s_delay_alu instid0(SALU_CYCLE_1) | instskip(NEXT) | instid1(SALU_CYCLE_1)
	s_xor_b32 s9, s9, s19
	s_sub_i32 s9, s19, s9
	s_mov_b32 s19, exec_lo
	s_add_i32 s26, s26, s9
	s_delay_alu instid0(SALU_CYCLE_1)
	v_cmpx_gt_i32_e64 s26, v0
	s_cbranch_execz .LBB48_220
; %bb.212:                              ;   in Loop: Header=BB48_8 Depth=1
	v_dual_mov_b32 v1, v19 :: v_dual_mov_b32 v2, v0
	s_mov_b32 s27, 0
                                        ; implicit-def: $sgpr28
	s_set_inst_prefetch_distance 0x1
	s_branch .LBB48_214
	.p2align	6
.LBB48_213:                             ;   in Loop: Header=BB48_214 Depth=2
	s_or_b32 exec_lo, exec_lo, s9
	s_waitcnt lgkmcnt(0)
	s_barrier
	buffer_gl0_inv
	ds_load_b64 v[14:15], v7 offset:3072
	v_add_nc_u32_e32 v2, s44, v2
	v_add_nc_u32_e32 v1, s46, v1
	s_waitcnt lgkmcnt(0)
	s_barrier
	buffer_gl0_inv
	v_cmp_le_i32_e32 vcc_lo, s26, v2
	v_cmp_neq_f32_e64 s9, 0, v14
	s_delay_alu instid0(VALU_DEP_1) | instskip(NEXT) | instid1(SALU_CYCLE_1)
	s_or_b32 s37, vcc_lo, s9
	s_and_b32 s37, exec_lo, s37
	s_delay_alu instid0(SALU_CYCLE_1) | instskip(SKIP_2) | instid1(SALU_CYCLE_1)
	s_or_b32 s27, s37, s27
	s_and_not1_b32 s28, s28, exec_lo
	s_and_b32 s9, s9, exec_lo
	s_or_b32 s28, s28, s9
	s_and_not1_b32 exec_lo, exec_lo, s27
	s_cbranch_execz .LBB48_219
.LBB48_214:                             ;   Parent Loop BB48_8 Depth=1
                                        ; =>  This Inner Loop Header: Depth=2
	s_delay_alu instid0(VALU_DEP_1)
	v_cmp_gt_i32_e32 vcc_lo, s18, v2
	v_mov_b32_e32 v14, 0
	s_and_saveexec_b32 s9, vcc_lo
	s_cbranch_execz .LBB48_216
; %bb.215:                              ;   in Loop: Header=BB48_214 Depth=2
	ds_load_b32 v14, v1
.LBB48_216:                             ;   in Loop: Header=BB48_214 Depth=2
	s_or_b32 exec_lo, exec_lo, s9
	s_and_saveexec_b32 s9, vcc_lo
	s_cbranch_execz .LBB48_213
; %bb.217:                              ;   in Loop: Header=BB48_214 Depth=2
	s_waitcnt lgkmcnt(0)
	v_cmp_lt_i32_e32 vcc_lo, -1, v14
	v_cndmask_b32_e64 v3, -1, 0x80000000, vcc_lo
	v_cmp_o_f32_e32 vcc_lo, v14, v14
	s_delay_alu instid0(VALU_DEP_2) | instskip(NEXT) | instid1(VALU_DEP_1)
	v_xor_b32_e32 v3, v3, v14
	v_cndmask_b32_e32 v3, -1, v3, vcc_lo
	s_delay_alu instid0(VALU_DEP_1) | instskip(NEXT) | instid1(VALU_DEP_1)
	v_and_b32_e32 v3, s71, v3
	v_cmp_eq_u32_e32 vcc_lo, s70, v3
	s_and_b32 exec_lo, exec_lo, vcc_lo
	s_cbranch_execz .LBB48_213
; %bb.218:                              ;   in Loop: Header=BB48_214 Depth=2
	ds_store_b64 v7, v[13:14] offset:3072
	s_branch .LBB48_213
.LBB48_219:                             ;   in Loop: Header=BB48_8 Depth=1
	s_set_inst_prefetch_distance 0x2
	s_or_b32 exec_lo, exec_lo, s27
	s_delay_alu instid0(SALU_CYCLE_1)
	s_and_b32 s28, s28, exec_lo
.LBB48_220:                             ;   in Loop: Header=BB48_8 Depth=1
	s_or_b32 exec_lo, exec_lo, s19
	s_mov_b32 s27, -1
	s_mov_b32 s19, 0
	s_mov_b32 s26, 0
.LBB48_221:                             ;   in Loop: Header=BB48_8 Depth=1
	s_mov_b32 s37, 0
                                        ; implicit-def: $sgpr9
	s_and_saveexec_b32 s18, s28
	s_cbranch_execz .LBB48_235
; %bb.222:                              ;   in Loop: Header=BB48_8 Depth=1
	s_xor_b32 s9, s16, -1
	s_delay_alu instid0(SALU_CYCLE_1)
	s_and_not1_b32 vcc_lo, exec_lo, s9
	s_mov_b32 s9, 1
	s_cbranch_vccnz .LBB48_229
; %bb.223:                              ;   in Loop: Header=BB48_8 Depth=1
	s_cmp_gt_i32 s25, s10
	s_cbranch_scc1 .LBB48_230
; %bb.224:                              ;   in Loop: Header=BB48_8 Depth=1
	ds_load_b32 v1, v7 offset:4096
	s_waitcnt lgkmcnt(0)
	v_cmp_ne_u32_e32 vcc_lo, 0, v1
	s_cbranch_vccnz .LBB48_228
; %bb.225:                              ;   in Loop: Header=BB48_8 Depth=1
	s_and_saveexec_b32 s9, s2
	s_cbranch_execz .LBB48_227
; %bb.226:                              ;   in Loop: Header=BB48_8 Depth=1
	v_mov_b32_e32 v1, s10
	ds_store_b32 v7, v1 offset:4100
.LBB48_227:                             ;   in Loop: Header=BB48_8 Depth=1
	s_or_b32 exec_lo, exec_lo, s9
	s_waitcnt lgkmcnt(0)
	s_barrier
	buffer_gl0_inv
.LBB48_228:                             ;   in Loop: Header=BB48_8 Depth=1
	s_or_b32 s16, s70, s11
	s_or_b32 s11, s71, s11
	s_mov_b32 s28, 0
	s_mov_b32 s9, 8
	s_branch .LBB48_231
.LBB48_229:                             ;   in Loop: Header=BB48_8 Depth=1
	s_mov_b32 s25, 1
	s_branch .LBB48_234
.LBB48_230:                             ;   in Loop: Header=BB48_8 Depth=1
	s_mov_b32 s28, -1
                                        ; implicit-def: $sgpr9
                                        ; implicit-def: $sgpr16
                                        ; implicit-def: $sgpr11
.LBB48_231:                             ;   in Loop: Header=BB48_8 Depth=1
	s_delay_alu instid0(SALU_CYCLE_1)
	s_and_not1_b32 vcc_lo, exec_lo, s28
	s_cbranch_vccnz .LBB48_233
; %bb.232:                              ;   in Loop: Header=BB48_8 Depth=1
	s_sub_i32 s25, s25, s10
	s_mov_b32 s9, 8
	s_mov_b32 s16, s70
	;; [unrolled: 1-line block ×3, first 2 shown]
.LBB48_233:                             ;   in Loop: Header=BB48_8 Depth=1
	s_mov_b32 s70, s16
	s_mov_b32 s71, s11
.LBB48_234:                             ;   in Loop: Header=BB48_8 Depth=1
	s_mov_b32 s37, exec_lo
.LBB48_235:                             ;   in Loop: Header=BB48_8 Depth=1
	s_or_b32 exec_lo, exec_lo, s18
.LBB48_236:                             ;   in Loop: Header=BB48_8 Depth=1
	s_delay_alu instid0(SALU_CYCLE_1)
	s_and_not1_b32 s10, s21, exec_lo
	s_and_b32 s11, s19, exec_lo
	s_and_not1_b32 s16, s22, exec_lo
	s_or_b32 s21, s10, s11
	s_and_not1_b32 s10, s23, exec_lo
	s_and_b32 s11, s27, exec_lo
	s_and_b32 s18, s26, exec_lo
	s_or_b32 s23, s10, s11
	s_or_b32 s22, s16, s18
	s_and_b32 s28, s37, exec_lo
	s_mov_b32 s26, s25
.LBB48_237:                             ;   in Loop: Header=BB48_8 Depth=1
	s_or_b32 exec_lo, exec_lo, s24
.LBB48_238:                             ;   in Loop: Header=BB48_8 Depth=1
	s_delay_alu instid0(SALU_CYCLE_1)
	s_and_not1_b32 s10, s15, exec_lo
	s_and_b32 s11, s21, exec_lo
	s_and_not1_b32 s14, s14, exec_lo
	s_or_b32 s15, s10, s11
	s_and_not1_b32 s10, s17, exec_lo
	s_and_b32 s11, s23, exec_lo
	s_and_b32 s16, s22, exec_lo
	s_or_b32 s17, s10, s11
	s_or_b32 s14, s14, s16
	s_and_b32 s25, s28, exec_lo
	s_mov_b32 s22, s26
.LBB48_239:                             ;   in Loop: Header=BB48_8 Depth=1
	s_or_b32 exec_lo, exec_lo, s20
	s_and_saveexec_b32 s10, s25
	s_delay_alu instid0(SALU_CYCLE_1)
	s_xor_b32 s10, exec_lo, s10
	s_cbranch_execz .LBB48_6
.LBB48_240:                             ;   in Loop: Header=BB48_8 Depth=1
	s_and_b32 s9, s9, -9
	s_delay_alu instid0(SALU_CYCLE_1)
	s_cmp_eq_u32 s9, 0
	s_cbranch_scc1 .LBB48_4
; %bb.241:                              ;   in Loop: Header=BB48_8 Depth=1
	s_mov_b32 s9, -1
	s_mov_b32 s11, -1
                                        ; implicit-def: $sgpr71
                                        ; implicit-def: $sgpr22
                                        ; implicit-def: $sgpr65
                                        ; implicit-def: $sgpr68
	s_branch .LBB48_5
.LBB48_242:
	s_or_b32 exec_lo, exec_lo, s45
	s_xor_b32 s3, s64, -1
	s_xor_b32 s1, s62, -1
	;; [unrolled: 1-line block ×3, first 2 shown]
	s_mov_b32 s0, 0
	s_and_saveexec_b32 s5, s1
	s_delay_alu instid0(SALU_CYCLE_1)
	s_xor_b32 s1, exec_lo, s5
	s_cbranch_execz .LBB48_263
; %bb.243:
	s_and_saveexec_b32 s0, s3
	s_delay_alu instid0(SALU_CYCLE_1)
	s_xor_b32 s3, exec_lo, s0
	s_cbranch_execz .LBB48_261
; %bb.244:
	s_and_saveexec_b32 s0, s4
	s_delay_alu instid0(SALU_CYCLE_1)
	s_xor_b32 s0, exec_lo, s0
; %bb.245:
	v_cmp_lt_i32_e32 vcc_lo, -1, v1
	v_cndmask_b32_e64 v2, 0x80000000, -1, vcc_lo
	s_delay_alu instid0(VALU_DEP_1)
	v_xor_b32_e32 v15, v2, v1
; %bb.246:
	s_or_b32 exec_lo, exec_lo, s0
	s_and_saveexec_b32 s0, s2
	s_cbranch_execz .LBB48_248
; %bb.247:
	v_dual_mov_b32 v1, 0 :: v_dual_mov_b32 v2, s36
	ds_store_b32 v1, v2 offset:4108
.LBB48_248:
	s_or_b32 exec_lo, exec_lo, s0
	v_mov_b32_e32 v1, 0
	s_waitcnt lgkmcnt(0)
	s_barrier
	buffer_gl0_inv
	s_mov_b32 s4, exec_lo
	ds_load_b32 v1, v1 offset:4108
	s_waitcnt lgkmcnt(0)
	v_min_i32_e32 v1, s36, v1
	s_delay_alu instid0(VALU_DEP_1)
	v_cmpx_lt_i32_e64 v0, v1
	s_cbranch_execz .LBB48_258
; %bb.249:
	v_cmp_u_f32_e32 vcc_lo, v15, v15
	s_mov_b32 s5, 0
                                        ; implicit-def: $sgpr6
                                        ; implicit-def: $sgpr9
                                        ; implicit-def: $sgpr8
	s_xor_b32 s7, vcc_lo, -1
	s_set_inst_prefetch_distance 0x1
	s_branch .LBB48_251
	.p2align	6
.LBB48_250:                             ;   in Loop: Header=BB48_251 Depth=1
	s_or_b32 exec_lo, exec_lo, s0
	s_delay_alu instid0(SALU_CYCLE_1) | instskip(NEXT) | instid1(SALU_CYCLE_1)
	s_and_b32 s0, exec_lo, s9
	s_or_b32 s5, s0, s5
	s_and_not1_b32 s0, s6, exec_lo
	s_and_b32 s6, s8, exec_lo
	s_delay_alu instid0(SALU_CYCLE_1)
	s_or_b32 s6, s0, s6
	s_and_not1_b32 exec_lo, exec_lo, s5
	s_cbranch_execz .LBB48_253
.LBB48_251:                             ; =>This Inner Loop Header: Depth=1
	v_ashrrev_i32_e32 v6, 31, v5
	s_or_b32 s8, s8, exec_lo
	s_or_b32 s9, s9, exec_lo
	s_delay_alu instid0(VALU_DEP_1) | instskip(NEXT) | instid1(VALU_DEP_1)
	v_lshlrev_b64 v[2:3], 2, v[5:6]
	v_add_co_u32 v2, vcc_lo, s42, v2
	s_delay_alu instid0(VALU_DEP_2)
	v_add_co_ci_u32_e32 v3, vcc_lo, s43, v3, vcc_lo
	global_load_b32 v2, v[2:3], off
	s_waitcnt vmcnt(0)
	v_cmp_o_f32_e32 vcc_lo, v2, v2
	v_cmp_neq_f32_e64 s0, v2, v15
	v_mov_b32_e32 v2, v0
                                        ; implicit-def: $vgpr0
	s_or_b32 s10, vcc_lo, s7
	s_delay_alu instid0(VALU_DEP_2) | instid1(SALU_CYCLE_1)
	s_and_b32 s10, s0, s10
	s_delay_alu instid0(SALU_CYCLE_1)
	s_and_saveexec_b32 s0, s10
	s_cbranch_execz .LBB48_250
; %bb.252:                              ;   in Loop: Header=BB48_251 Depth=1
	v_add_nc_u32_e32 v0, s44, v2
	s_and_not1_b32 s9, s9, exec_lo
	v_add_nc_u32_e32 v5, s48, v5
	s_and_not1_b32 s8, s8, exec_lo
	s_delay_alu instid0(VALU_DEP_2) | instskip(SKIP_1) | instid1(SALU_CYCLE_1)
	v_cmp_ge_i32_e32 vcc_lo, v0, v1
	s_and_b32 s10, vcc_lo, exec_lo
	s_or_b32 s9, s9, s10
	s_branch .LBB48_250
.LBB48_253:
	s_set_inst_prefetch_distance 0x2
	s_or_b32 exec_lo, exec_lo, s5
	s_and_saveexec_b32 s0, s6
	s_delay_alu instid0(SALU_CYCLE_1)
	s_xor_b32 s0, exec_lo, s0
	s_cbranch_execz .LBB48_258
; %bb.254:
	s_mov_b32 s5, exec_lo
	s_brev_b32 s0, -2
.LBB48_255:                             ; =>This Inner Loop Header: Depth=1
	s_ctz_i32_b32 s6, s5
	s_delay_alu instid0(SALU_CYCLE_1) | instskip(SKIP_1) | instid1(SALU_CYCLE_1)
	v_readlane_b32 s7, v2, s6
	s_lshl_b32 s6, 1, s6
	s_and_not1_b32 s5, s5, s6
	s_delay_alu instid0(VALU_DEP_1)
	s_min_i32 s0, s0, s7
	s_cmp_lg_u32 s5, 0
	s_cbranch_scc1 .LBB48_255
; %bb.256:
	v_mbcnt_lo_u32_b32 v0, exec_lo, 0
	s_mov_b32 s5, exec_lo
	s_delay_alu instid0(VALU_DEP_1)
	v_cmpx_eq_u32_e32 0, v0
	s_xor_b32 s5, exec_lo, s5
	s_cbranch_execz .LBB48_258
; %bb.257:
	v_dual_mov_b32 v0, 0 :: v_dual_mov_b32 v1, s0
	ds_min_i32 v0, v1 offset:4108
.LBB48_258:
	s_or_b32 exec_lo, exec_lo, s4
	s_waitcnt lgkmcnt(0)
	s_barrier
	buffer_gl0_inv
	s_and_saveexec_b32 s0, s2
	s_cbranch_execz .LBB48_260
; %bb.259:
	v_mov_b32_e32 v2, 0
	s_mul_i32 s4, s38, s29
	s_mul_i32 s6, s33, s29
	s_ashr_i32 s5, s4, 31
	s_delay_alu instid0(SALU_CYCLE_1) | instskip(SKIP_4) | instid1(SALU_CYCLE_1)
	s_lshl_b64 s[4:5], s[4:5], 2
	ds_load_b32 v0, v2 offset:4108
	s_add_u32 s4, s34, s4
	s_addc_u32 s5, s35, s5
	s_ashr_i32 s7, s6, 31
	s_lshl_b64 s[6:7], s[6:7], 3
	s_delay_alu instid0(SALU_CYCLE_1)
	s_add_u32 s6, s30, s6
	s_addc_u32 s7, s31, s7
	s_waitcnt lgkmcnt(0)
	v_ashrrev_i32_e32 v1, 31, v0
	s_clause 0x1
	global_store_b64 v2, v[0:1], s[6:7]
	global_store_b32 v2, v15, s[4:5]
.LBB48_260:
	s_or_b32 exec_lo, exec_lo, s0
.LBB48_261:
	s_or_saveexec_b32 s0, s3
	s_mov_b32 s2, 0
	s_xor_b32 exec_lo, exec_lo, s0
	s_cbranch_execnz .LBB48_269
.LBB48_262:
	s_or_b32 exec_lo, exec_lo, s0
	s_delay_alu instid0(SALU_CYCLE_1)
	s_and_b32 s0, s2, exec_lo
.LBB48_263:
	s_and_not1_saveexec_b32 s1, s1
	s_cbranch_execnz .LBB48_267
; %bb.264:
	s_or_b32 exec_lo, exec_lo, s1
	s_and_saveexec_b32 s1, s0
.LBB48_265:
	; divergent unreachable
.LBB48_266:
	s_nop 0
	s_sendmsg sendmsg(MSG_DEALLOC_VGPRS)
	s_endpgm
.LBB48_267:
	s_cbranch_execnz .LBB48_271
; %bb.268:
	s_or_b32 s0, s0, exec_lo
	s_or_b32 exec_lo, exec_lo, s1
	s_and_saveexec_b32 s1, s0
	s_cbranch_execnz .LBB48_265
	s_branch .LBB48_266
.LBB48_269:
	s_cbranch_execnz .LBB48_273
; %bb.270:
	s_mov_b32 s2, exec_lo
	s_branch .LBB48_262
.LBB48_271:
	s_trap 2
	s_sendmsg_rtn_b32 s0, sendmsg(MSG_RTN_GET_DOORBELL)
	s_mov_b32 ttmp2, m0
	s_waitcnt lgkmcnt(0)
	s_and_b32 s0, s0, 0x3ff
	s_delay_alu instid0(SALU_CYCLE_1) | instskip(NEXT) | instid1(SALU_CYCLE_1)
	s_bitset1_b32 s0, 10
	s_mov_b32 m0, s0
	s_sendmsg sendmsg(MSG_INTERRUPT)
	s_mov_b32 m0, ttmp2
.LBB48_272:                             ; =>This Inner Loop Header: Depth=1
	s_sethalt 5
	s_branch .LBB48_272
.LBB48_273:
	s_trap 2
	s_sendmsg_rtn_b32 s0, sendmsg(MSG_RTN_GET_DOORBELL)
	s_mov_b32 ttmp2, m0
	s_waitcnt lgkmcnt(0)
	s_and_b32 s0, s0, 0x3ff
	s_delay_alu instid0(SALU_CYCLE_1) | instskip(NEXT) | instid1(SALU_CYCLE_1)
	s_bitset1_b32 s0, 10
	s_mov_b32 m0, s0
	s_sendmsg sendmsg(MSG_INTERRUPT)
	s_mov_b32 m0, ttmp2
.LBB48_274:                             ; =>This Inner Loop Header: Depth=1
	s_sethalt 5
	s_branch .LBB48_274
	.section	.rodata,"a",@progbits
	.p2align	6, 0x0
	.amdhsa_kernel _ZN2at6native12_GLOBAL__N_114gatherKthValueIfiLi1EEEvNS_4cuda6detail10TensorInfoIKT_T0_EES8_S8_S8_S8_NS5_IS6_S8_EENS5_IlS8_EE
		.amdhsa_group_segment_fixed_size 4112
		.amdhsa_private_segment_fixed_size 0
		.amdhsa_kernarg_size 920
		.amdhsa_user_sgpr_count 13
		.amdhsa_user_sgpr_dispatch_ptr 0
		.amdhsa_user_sgpr_queue_ptr 0
		.amdhsa_user_sgpr_kernarg_segment_ptr 1
		.amdhsa_user_sgpr_dispatch_id 0
		.amdhsa_user_sgpr_private_segment_size 0
		.amdhsa_wavefront_size32 1
		.amdhsa_uses_dynamic_stack 0
		.amdhsa_enable_private_segment 0
		.amdhsa_system_sgpr_workgroup_id_x 1
		.amdhsa_system_sgpr_workgroup_id_y 1
		.amdhsa_system_sgpr_workgroup_id_z 1
		.amdhsa_system_sgpr_workgroup_info 0
		.amdhsa_system_vgpr_workitem_id 0
		.amdhsa_next_free_vgpr 40
		.amdhsa_next_free_sgpr 81
		.amdhsa_reserve_vcc 1
		.amdhsa_float_round_mode_32 0
		.amdhsa_float_round_mode_16_64 0
		.amdhsa_float_denorm_mode_32 3
		.amdhsa_float_denorm_mode_16_64 3
		.amdhsa_dx10_clamp 1
		.amdhsa_ieee_mode 1
		.amdhsa_fp16_overflow 0
		.amdhsa_workgroup_processor_mode 1
		.amdhsa_memory_ordered 1
		.amdhsa_forward_progress 0
		.amdhsa_shared_vgpr_count 0
		.amdhsa_exception_fp_ieee_invalid_op 0
		.amdhsa_exception_fp_denorm_src 0
		.amdhsa_exception_fp_ieee_div_zero 0
		.amdhsa_exception_fp_ieee_overflow 0
		.amdhsa_exception_fp_ieee_underflow 0
		.amdhsa_exception_fp_ieee_inexact 0
		.amdhsa_exception_int_div_zero 0
	.end_amdhsa_kernel
	.section	.text._ZN2at6native12_GLOBAL__N_114gatherKthValueIfiLi1EEEvNS_4cuda6detail10TensorInfoIKT_T0_EES8_S8_S8_S8_NS5_IS6_S8_EENS5_IlS8_EE,"axG",@progbits,_ZN2at6native12_GLOBAL__N_114gatherKthValueIfiLi1EEEvNS_4cuda6detail10TensorInfoIKT_T0_EES8_S8_S8_S8_NS5_IS6_S8_EENS5_IlS8_EE,comdat
.Lfunc_end48:
	.size	_ZN2at6native12_GLOBAL__N_114gatherKthValueIfiLi1EEEvNS_4cuda6detail10TensorInfoIKT_T0_EES8_S8_S8_S8_NS5_IS6_S8_EENS5_IlS8_EE, .Lfunc_end48-_ZN2at6native12_GLOBAL__N_114gatherKthValueIfiLi1EEEvNS_4cuda6detail10TensorInfoIKT_T0_EES8_S8_S8_S8_NS5_IS6_S8_EENS5_IlS8_EE
                                        ; -- End function
	.section	.AMDGPU.csdata,"",@progbits
; Kernel info:
; codeLenInByte = 10180
; NumSgprs: 83
; NumVgprs: 40
; ScratchSize: 0
; MemoryBound: 0
; FloatMode: 240
; IeeeMode: 1
; LDSByteSize: 4112 bytes/workgroup (compile time only)
; SGPRBlocks: 10
; VGPRBlocks: 4
; NumSGPRsForWavesPerEU: 83
; NumVGPRsForWavesPerEU: 40
; Occupancy: 16
; WaveLimiterHint : 1
; COMPUTE_PGM_RSRC2:SCRATCH_EN: 0
; COMPUTE_PGM_RSRC2:USER_SGPR: 13
; COMPUTE_PGM_RSRC2:TRAP_HANDLER: 0
; COMPUTE_PGM_RSRC2:TGID_X_EN: 1
; COMPUTE_PGM_RSRC2:TGID_Y_EN: 1
; COMPUTE_PGM_RSRC2:TGID_Z_EN: 1
; COMPUTE_PGM_RSRC2:TIDIG_COMP_CNT: 0
	.section	.text._ZN2at6native12_GLOBAL__N_114gatherKthValueIfiLi2EEEvNS_4cuda6detail10TensorInfoIKT_T0_EES8_S8_S8_S8_NS5_IS6_S8_EENS5_IlS8_EE,"axG",@progbits,_ZN2at6native12_GLOBAL__N_114gatherKthValueIfiLi2EEEvNS_4cuda6detail10TensorInfoIKT_T0_EES8_S8_S8_S8_NS5_IS6_S8_EENS5_IlS8_EE,comdat
	.globl	_ZN2at6native12_GLOBAL__N_114gatherKthValueIfiLi2EEEvNS_4cuda6detail10TensorInfoIKT_T0_EES8_S8_S8_S8_NS5_IS6_S8_EENS5_IlS8_EE ; -- Begin function _ZN2at6native12_GLOBAL__N_114gatherKthValueIfiLi2EEEvNS_4cuda6detail10TensorInfoIKT_T0_EES8_S8_S8_S8_NS5_IS6_S8_EENS5_IlS8_EE
	.p2align	8
	.type	_ZN2at6native12_GLOBAL__N_114gatherKthValueIfiLi2EEEvNS_4cuda6detail10TensorInfoIKT_T0_EES8_S8_S8_S8_NS5_IS6_S8_EENS5_IlS8_EE,@function
_ZN2at6native12_GLOBAL__N_114gatherKthValueIfiLi2EEEvNS_4cuda6detail10TensorInfoIKT_T0_EES8_S8_S8_S8_NS5_IS6_S8_EENS5_IlS8_EE: ; @_ZN2at6native12_GLOBAL__N_114gatherKthValueIfiLi2EEEvNS_4cuda6detail10TensorInfoIKT_T0_EES8_S8_S8_S8_NS5_IS6_S8_EENS5_IlS8_EE
; %bb.0:
	s_clause 0x1
	s_load_b64 s[4:5], s[0:1], 0x298
	s_load_b128 s[36:39], s[0:1], 0xd8
	s_add_u32 s2, s0, 0x298
	s_addc_u32 s3, s1, 0
	s_waitcnt lgkmcnt(0)
	s_mul_i32 s5, s5, s15
	s_delay_alu instid0(SALU_CYCLE_1) | instskip(NEXT) | instid1(SALU_CYCLE_1)
	s_add_i32 s5, s5, s14
	s_mul_i32 s29, s5, s4
	s_delay_alu instid0(SALU_CYCLE_1) | instskip(NEXT) | instid1(SALU_CYCLE_1)
	s_add_i32 s29, s29, s13
	s_cmp_ge_i32 s29, s38
	s_cbranch_scc1 .LBB49_266
; %bb.1:
	s_clause 0x8
	s_load_b32 s5, s[0:1], 0xc
	s_load_b32 s38, s[0:1], 0xf4
	s_load_b32 s33, s[0:1], 0x1cc
	s_load_b64 s[42:43], s[0:1], 0x154
	s_load_b64 s[34:35], s[0:1], 0xe8
	;; [unrolled: 1-line block ×6, first 2 shown]
	v_cmp_eq_u32_e64 s0, 0, v0
	s_abs_i32 s47, s29
	s_ashr_i32 s48, s29, 31
	s_mov_b32 s57, 0
	s_waitcnt lgkmcnt(0)
	s_abs_i32 s10, s5
	s_abs_i32 s49, s38
	;; [unrolled: 1-line block ×3, first 2 shown]
	v_cvt_f32_u32_e32 v1, s10
	v_cvt_f32_u32_e32 v2, s49
	;; [unrolled: 1-line block ×3, first 2 shown]
	s_sub_i32 s11, 0, s10
	s_sub_i32 s16, 0, s49
	v_rcp_iflag_f32_e32 v1, v1
	v_rcp_iflag_f32_e32 v2, v2
	;; [unrolled: 1-line block ×3, first 2 shown]
	s_sub_i32 s17, 0, s46
	s_ashr_i32 s1, s5, 31
	s_waitcnt_depctr 0xfff
	v_dual_mul_f32 v1, 0x4f7ffffe, v1 :: v_dual_mul_f32 v2, 0x4f7ffffe, v2
	v_mul_f32_e32 v3, 0x4f7ffffe, v3
	s_delay_alu instid0(VALU_DEP_2) | instskip(NEXT) | instid1(VALU_DEP_3)
	v_cvt_u32_f32_e32 v1, v1
	v_cvt_u32_f32_e32 v2, v2
	s_delay_alu instid0(VALU_DEP_3) | instskip(NEXT) | instid1(VALU_DEP_3)
	v_cvt_u32_f32_e32 v3, v3
	v_readfirstlane_b32 s12, v1
	s_delay_alu instid0(VALU_DEP_3) | instskip(NEXT) | instid1(VALU_DEP_3)
	v_readfirstlane_b32 s14, v2
	v_readfirstlane_b32 s15, v3
	s_delay_alu instid0(VALU_DEP_3) | instskip(NEXT) | instid1(VALU_DEP_2)
	s_mul_i32 s11, s11, s12
	s_mul_i32 s16, s16, s14
	s_delay_alu instid0(VALU_DEP_1)
	s_mul_i32 s17, s17, s15
	s_mul_hi_u32 s11, s12, s11
	s_mul_hi_u32 s16, s14, s16
	;; [unrolled: 1-line block ×3, first 2 shown]
	s_add_i32 s12, s12, s11
	s_add_i32 s14, s14, s16
	;; [unrolled: 1-line block ×3, first 2 shown]
	s_mul_hi_u32 s11, s47, s12
	s_mul_hi_u32 s52, s47, s14
	s_mul_hi_u32 s50, s47, s15
	s_and_saveexec_b32 s12, s0
	s_cbranch_execz .LBB49_3
; %bb.2:
	v_dual_mov_b32 v1, 0 :: v_dual_mov_b32 v2, s36
	s_delay_alu instid0(VALU_DEP_1)
	v_mov_b32_e32 v3, v1
	ds_store_b96 v1, v[1:3] offset:4096
.LBB49_3:
	s_or_b32 exec_lo, exec_lo, s12
	s_mul_i32 s12, s11, s10
	s_ashr_i32 s53, s38, 31
	s_sub_i32 s12, s47, s12
	s_ashr_i32 s51, s33, 31
	s_xor_b32 s1, s48, s1
	s_add_i32 s14, s11, 1
	s_sub_i32 s15, s12, s10
	s_cmp_ge_u32 s12, s10
	s_waitcnt lgkmcnt(0)
	s_cselect_b32 s11, s14, s11
	s_cselect_b32 s12, s15, s12
	s_add_i32 s14, s11, 1
	s_cmp_ge_u32 s12, s10
	s_barrier
	s_cselect_b32 s10, s14, s11
	buffer_gl0_inv
	s_load_b32 s11, s[2:3], 0xc
	s_xor_b32 s10, s10, s1
	v_mbcnt_lo_u32_b32 v18, -1, 0
	s_sub_i32 s1, s10, s1
	v_cmp_gt_u32_e32 vcc_lo, 32, v0
	s_mul_i32 s5, s1, s5
	s_mul_i32 s1, s1, s8
	s_sub_i32 s5, s29, s5
	v_mov_b32_e32 v7, 0
	s_mul_i32 s5, s5, s9
	v_mul_lo_u32 v5, v0, s39
	s_add_i32 s8, s1, s5
	v_cmp_gt_i32_e64 s1, 4, v18
	s_ashr_i32 s9, s8, 31
	v_dual_mov_b32 v6, v7 :: v_dual_lshlrev_b32 v19, 2, v0
	s_lshl_b64 s[8:9], s[8:9], 2
	s_mov_b32 s10, s39
	s_add_u32 s54, s6, s8
	s_addc_u32 s55, s7, s9
	s_waitcnt lgkmcnt(0)
	s_and_b32 s56, s11, 0xffff
	s_bfe_u32 s5, s11, 0xb0005
	s_lshl_b32 s58, s56, 2
	s_add_i32 s60, s56, -1
	v_cvt_f32_u32_e32 v1, s58
	s_and_b32 s61, vcc_lo, s1
	s_add_i32 s71, s60, s36
	s_cmpk_gt_i32 s36, 0x300
	v_mad_u64_u32 v[12:13], null, s39, v19, s[10:11]
	v_rcp_iflag_f32_e32 v1, v1
	s_cselect_b32 s62, -1, 0
	s_cmp_gt_u32 s56, 31
	v_cmp_gt_u32_e64 s1, 2, v0
	s_cselect_b32 s63, -1, 0
	s_cmp_lt_u32 s13, s4
	v_lshlrev_b32_e32 v28, 4, v0
	s_cselect_b32 s4, 12, 18
	v_add_nc_u32_e32 v20, 0xc00, v19
	s_add_u32 s44, s2, s4
	s_waitcnt_depctr 0xfff
	v_mul_f32_e32 v1, 0x4f7ffffe, v1
	s_addc_u32 s45, s3, 0
	s_add_i32 s2, s5, -1
	s_bfe_u32 s64, s56, 0x30005
	s_cmp_gt_u32 s2, 6
	v_cvt_u32_f32_e32 v1, v1
	s_cselect_b32 s65, -1, 0
	s_and_b32 s66, s5, 0x7f8
	s_cmp_lg_u32 s64, 0
	v_cmp_gt_u32_e64 s2, s36, v0
	v_readfirstlane_b32 s3, v1
	s_cselect_b32 s67, -1, 0
	s_sub_i32 s4, 0, s58
	v_cvt_f32_u32_e32 v1, s56
	v_dual_mov_b32 v15, 0 :: v_dual_lshlrev_b32 v26, 2, v5
	s_mul_i32 s4, s4, s3
	v_lshl_or_b32 v29, v18, 2, 0xc00
	s_mul_hi_u32 s4, s3, s4
	v_rcp_iflag_f32_e32 v1, v1
	s_add_i32 s68, s3, s4
	v_cmp_eq_u32_e64 s3, 0, v18
	s_mul_hi_u32 s4, s36, s68
	s_mul_i32 s59, s39, s56
	s_mul_i32 s4, s4, s58
	s_mov_b32 s77, 30
	s_sub_i32 s4, s36, s4
	s_mov_b32 s80, 0
	s_sub_i32 s5, s4, s58
	s_cmp_ge_u32 s4, s58
	s_waitcnt_depctr 0xfff
	v_mul_f32_e32 v3, 0x4f7ffffe, v1
	s_cselect_b32 s4, s5, s4
	v_lshlrev_b64 v[1:2], 2, v[5:6]
	s_sub_i32 s5, s4, s58
	s_cmp_ge_u32 s4, s58
	v_cvt_u32_f32_e32 v3, v3
	s_cselect_b32 s9, s5, s4
	s_sub_i32 s6, 0, s56
	s_sub_i32 s69, s36, s9
	v_add_co_u32 v8, vcc_lo, s54, v1
	v_add_nc_u32_e32 v21, s69, v0
	v_readfirstlane_b32 s5, v3
	v_add_co_ci_u32_e32 v9, vcc_lo, s55, v2, vcc_lo
	v_lshrrev_b32_e32 v2, 3, v0
	s_delay_alu instid0(VALU_DEP_4) | instskip(NEXT) | instid1(VALU_DEP_4)
	v_mul_lo_u32 v1, v21, s39
	s_mul_i32 s6, s6, s5
	s_abs_i32 s7, s71
	s_mul_hi_u32 s6, s5, s6
	v_dual_mov_b32 v13, 1.0 :: v_dual_and_b32 v22, 0x7c, v2
	s_add_i32 s70, s5, s6
	v_lshlrev_b64 v[3:4], v18, -1
	s_delay_alu instid0(VALU_DEP_3)
	v_ashrrev_i32_e32 v2, 31, v1
	s_mul_hi_u32 s5, s7, s70
	v_cmp_gt_i32_e64 s4, s36, v0
	s_mul_i32 s5, s5, s56
	s_mov_b32 s82, 0
	v_lshlrev_b64 v[1:2], 2, v[1:2]
	s_sub_i32 s5, s7, s5
	s_ashr_i32 s7, s71, 31
	s_sub_i32 s6, s5, s56
	s_cmp_ge_u32 s5, s56
	v_not_b32_e32 v23, v3
	s_cselect_b32 s5, s6, s5
	v_add_co_u32 v10, vcc_lo, s54, v1
	v_add3_u32 v1, s56, s36, v0
	s_sub_i32 s6, s5, s56
	s_cmp_ge_u32 s5, s56
	v_add_co_ci_u32_e32 v11, vcc_lo, s55, v2, vcc_lo
	s_cselect_b32 s6, s6, s5
	v_or_b32_e32 v2, 2, v19
	v_or_b32_e32 v3, 3, v19
	v_subrev_nc_u32_e32 v1, s9, v1
	s_xor_b32 s8, s6, s7
	v_cmp_gt_i32_e64 s5, s69, v19
	s_sub_i32 s7, s7, s8
	v_mul_lo_u32 v24, s39, v2
	v_mul_lo_u32 v25, s39, v3
	;; [unrolled: 1-line block ×3, first 2 shown]
	s_add_i32 s71, s71, s7
	v_cmp_gt_u32_e64 s6, s36, v21
	v_cmp_gt_i32_e64 s7, s36, v21
	v_cmp_gt_i32_e64 s8, s71, v0
	s_lshl_b32 s72, s59, 2
	s_lshl_b32 s73, s56, 4
	s_mov_b32 s83, 0
                                        ; implicit-def: $sgpr74
                                        ; implicit-def: $sgpr76
                                        ; implicit-def: $sgpr75
                                        ; implicit-def: $sgpr79
                                        ; implicit-def: $sgpr81
                                        ; implicit-def: $sgpr78
	s_branch .LBB49_8
.LBB49_4:                               ;   in Loop: Header=BB49_8 Depth=1
	s_xor_b32 s80, s80, 1
	s_add_i32 s13, s77, -2
	s_cmp_eq_u32 s77, 0
	s_mov_b32 s9, 0
	s_cselect_b32 s11, -1, 0
	s_mov_b32 s77, s13
.LBB49_5:                               ;   in Loop: Header=BB49_8 Depth=1
	s_and_not1_b32 s13, s15, exec_lo
	s_and_b32 s9, s9, exec_lo
	s_and_not1_b32 s17, s17, exec_lo
	s_or_b32 s15, s13, s9
	s_and_not1_b32 s14, s14, exec_lo
	s_or_not1_b32 s13, s11, exec_lo
	s_mov_b32 s37, s22
.LBB49_6:                               ;   in Loop: Header=BB49_8 Depth=1
	s_or_b32 exec_lo, exec_lo, s10
	s_delay_alu instid0(SALU_CYCLE_1)
	s_and_not1_b32 s9, s78, exec_lo
	s_and_b32 s10, s15, exec_lo
	s_and_not1_b32 s11, s79, exec_lo
	s_or_b32 s78, s9, s10
	s_and_not1_b32 s9, s81, exec_lo
	s_and_b32 s10, s17, exec_lo
	s_and_b32 s14, s14, exec_lo
	s_or_b32 s81, s9, s10
	s_or_b32 s79, s11, s14
	s_or_not1_b32 s14, s13, exec_lo
.LBB49_7:                               ;   in Loop: Header=BB49_8 Depth=1
	s_or_b32 exec_lo, exec_lo, s12
	s_delay_alu instid0(SALU_CYCLE_1)
	s_and_b32 s9, exec_lo, s14
	v_mov_b32_e32 v1, s82
	s_or_b32 s57, s9, s57
	s_and_not1_b32 s9, s75, exec_lo
	s_and_b32 s10, s78, exec_lo
	s_and_not1_b32 s11, s74, exec_lo
	s_or_b32 s75, s9, s10
	s_and_not1_b32 s9, s76, exec_lo
	s_and_b32 s10, s81, exec_lo
	s_and_b32 s12, s79, exec_lo
	s_or_b32 s76, s9, s10
	s_or_b32 s74, s11, s12
	s_and_not1_b32 exec_lo, exec_lo, s57
	s_cbranch_execz .LBB49_242
.LBB49_8:                               ; =>This Loop Header: Depth=1
                                        ;     Child Loop BB49_16 Depth 2
                                        ;     Child Loop BB49_35 Depth 2
	;; [unrolled: 1-line block ×16, first 2 shown]
	ds_load_b64 v[1:2], v7 offset:4096
	s_waitcnt lgkmcnt(0)
	v_readfirstlane_b32 s84, v1
	s_delay_alu instid0(VALU_DEP_1)
	s_cmp_gt_i32 s84, 0
	s_cbranch_scc1 .LBB49_42
; %bb.9:                                ;   in Loop: Header=BB49_8 Depth=1
	s_and_b32 vcc_lo, exec_lo, s62
	s_cbranch_vccz .LBB49_24
; %bb.10:                               ;   in Loop: Header=BB49_8 Depth=1
	v_cmp_gt_i32_e32 vcc_lo, 0x301, v2
	s_mov_b32 s10, 0
	s_mov_b32 s9, 0
	s_cbranch_vccz .LBB49_29
; %bb.11:                               ;   in Loop: Header=BB49_8 Depth=1
	v_mov_b32_e32 v1, 0
	s_and_saveexec_b32 s9, s2
	s_cbranch_execz .LBB49_13
; %bb.12:                               ;   in Loop: Header=BB49_8 Depth=1
	global_load_b32 v1, v[8:9], off
.LBB49_13:                              ;   in Loop: Header=BB49_8 Depth=1
	s_or_b32 exec_lo, exec_lo, s9
	s_and_saveexec_b32 s11, s2
	s_cbranch_execz .LBB49_25
; %bb.14:                               ;   in Loop: Header=BB49_8 Depth=1
	global_load_u16 v2, v7, s[44:45]
	v_mov_b32_e32 v4, v0
	s_mov_b32 s12, 0
	s_waitcnt vmcnt(0)
	v_add_nc_u32_e32 v3, v0, v2
	s_delay_alu instid0(VALU_DEP_1)
	v_mul_lo_u32 v6, s39, v3
	v_mul_lo_u32 v3, s39, v2
	s_branch .LBB49_16
.LBB49_15:                              ;   in Loop: Header=BB49_16 Depth=2
	s_or_b32 exec_lo, exec_lo, s9
	v_cmp_le_i32_e32 vcc_lo, s36, v4
	v_add_nc_u32_e32 v6, v6, v3
	s_waitcnt vmcnt(0)
	v_mov_b32_e32 v1, v14
	s_or_b32 s12, vcc_lo, s12
	s_delay_alu instid0(SALU_CYCLE_1)
	s_and_not1_b32 exec_lo, exec_lo, s12
	s_cbranch_execz .LBB49_25
.LBB49_16:                              ;   Parent Loop BB49_8 Depth=1
                                        ; =>  This Inner Loop Header: Depth=2
	v_add_nc_u32_e32 v4, v4, v2
	s_waitcnt lgkmcnt(0)
	v_mov_b32_e32 v16, 0
	v_mov_b32_e32 v14, 0
	s_mov_b32 s9, exec_lo
	v_cmpx_gt_u32_e64 s36, v4
	s_cbranch_execz .LBB49_18
; %bb.17:                               ;   in Loop: Header=BB49_16 Depth=2
	v_lshlrev_b64 v[30:31], 2, v[6:7]
	s_delay_alu instid0(VALU_DEP_1) | instskip(NEXT) | instid1(VALU_DEP_2)
	v_add_co_u32 v30, vcc_lo, s54, v30
	v_add_co_ci_u32_e32 v31, vcc_lo, s55, v31, vcc_lo
	global_load_b32 v14, v[30:31], off
.LBB49_18:                              ;   in Loop: Header=BB49_16 Depth=2
	s_or_b32 exec_lo, exec_lo, s9
	v_cmp_lt_i32_e32 vcc_lo, -1, v1
	v_cndmask_b32_e64 v17, -1, 0x80000000, vcc_lo
	v_cmp_o_f32_e32 vcc_lo, v1, v1
	s_delay_alu instid0(VALU_DEP_2) | instskip(NEXT) | instid1(VALU_DEP_1)
	v_xor_b32_e32 v17, v17, v1
	v_cndmask_b32_e32 v17, -1, v17, vcc_lo
	s_delay_alu instid0(VALU_DEP_1) | instskip(NEXT) | instid1(VALU_DEP_1)
	v_and_b32_e32 v17, s83, v17
	v_cmp_eq_u32_e32 vcc_lo, s82, v17
	s_cmp_lg_u32 vcc_lo, 0
	s_cselect_b32 s9, -1, 0
	s_delay_alu instid0(SALU_CYCLE_1) | instskip(NEXT) | instid1(SALU_CYCLE_1)
	s_and_b32 s9, s3, s9
	s_and_saveexec_b32 s13, s9
	s_cbranch_execz .LBB49_22
; %bb.19:                               ;   in Loop: Header=BB49_16 Depth=2
	s_mov_b32 s16, exec_lo
	s_bcnt1_i32_b32 s14, vcc_lo
	v_mbcnt_lo_u32_b32 v16, s16, 0
	s_mov_b32 s15, exec_lo
                                        ; implicit-def: $vgpr17
	s_delay_alu instid0(VALU_DEP_1)
	v_cmpx_eq_u32_e32 0, v16
	s_cbranch_execz .LBB49_21
; %bb.20:                               ;   in Loop: Header=BB49_16 Depth=2
	s_bcnt1_i32_b32 s9, s16
	s_delay_alu instid0(SALU_CYCLE_1) | instskip(NEXT) | instid1(SALU_CYCLE_1)
	s_mul_i32 s9, s14, s9
	v_mov_b32_e32 v17, s9
	ds_add_rtn_u32 v17, v7, v17 offset:4104
.LBB49_21:                              ;   in Loop: Header=BB49_16 Depth=2
	s_or_b32 exec_lo, exec_lo, s15
	s_waitcnt lgkmcnt(0)
	v_readfirstlane_b32 s9, v17
	s_delay_alu instid0(VALU_DEP_1)
	v_mad_u32_u24 v16, s14, v16, s9
.LBB49_22:                              ;   in Loop: Header=BB49_16 Depth=2
	s_or_b32 exec_lo, exec_lo, s13
	ds_bpermute_b32 v16, v7, v16
	s_and_saveexec_b32 s9, vcc_lo
	s_cbranch_execz .LBB49_15
; %bb.23:                               ;   in Loop: Header=BB49_16 Depth=2
	v_and_b32_e32 v17, vcc_lo, v23
	s_delay_alu instid0(VALU_DEP_1) | instskip(NEXT) | instid1(VALU_DEP_1)
	v_bcnt_u32_b32 v17, v17, 0
	v_lshlrev_b32_e32 v17, 2, v17
	s_waitcnt lgkmcnt(0)
	s_delay_alu instid0(VALU_DEP_1)
	v_lshl_add_u32 v16, v16, 2, v17
	ds_store_b32 v16, v1
	s_branch .LBB49_15
.LBB49_24:                              ;   in Loop: Header=BB49_8 Depth=1
	s_mov_b32 s10, -1
	s_mov_b32 s9, 0
	s_branch .LBB49_28
.LBB49_25:                              ;   in Loop: Header=BB49_8 Depth=1
	s_or_b32 exec_lo, exec_lo, s11
	s_waitcnt vmcnt(0) lgkmcnt(0)
	s_barrier
	buffer_gl0_inv
	s_and_saveexec_b32 s9, s0
	s_cbranch_execz .LBB49_27
; %bb.26:                               ;   in Loop: Header=BB49_8 Depth=1
	ds_load_b32 v1, v7 offset:4104
	s_waitcnt lgkmcnt(0)
	ds_store_b32 v7, v1 offset:4096
.LBB49_27:                              ;   in Loop: Header=BB49_8 Depth=1
	s_or_b32 exec_lo, exec_lo, s9
	s_waitcnt lgkmcnt(0)
	s_mov_b32 s9, -1
	s_barrier
.LBB49_28:                              ;   in Loop: Header=BB49_8 Depth=1
                                        ; implicit-def: $sgpr84
.LBB49_29:                              ;   in Loop: Header=BB49_8 Depth=1
	s_and_b32 vcc_lo, exec_lo, s10
	s_cbranch_vccz .LBB49_40
; %bb.30:                               ;   in Loop: Header=BB49_8 Depth=1
	v_mov_b32_e32 v1, 0
	s_and_saveexec_b32 s9, s2
	s_cbranch_execz .LBB49_32
; %bb.31:                               ;   in Loop: Header=BB49_8 Depth=1
	global_load_b32 v1, v[8:9], off
.LBB49_32:                              ;   in Loop: Header=BB49_8 Depth=1
	s_or_b32 exec_lo, exec_lo, s9
	s_and_saveexec_b32 s9, s4
	s_cbranch_execz .LBB49_37
; %bb.33:                               ;   in Loop: Header=BB49_8 Depth=1
	global_load_u16 v2, v7, s[44:45]
	v_mov_b32_e32 v16, v0
	s_mov_b32 s10, 0
	s_waitcnt vmcnt(0)
	v_dual_mov_b32 v14, v19 :: v_dual_add_nc_u32 v3, v0, v2
	v_lshlrev_b32_e32 v4, 2, v2
	s_delay_alu instid0(VALU_DEP_2)
	v_mul_lo_u32 v6, s39, v3
	v_mul_lo_u32 v3, s39, v2
	s_branch .LBB49_35
	.p2align	6
.LBB49_34:                              ;   in Loop: Header=BB49_35 Depth=2
	s_or_b32 exec_lo, exec_lo, s11
	v_cmp_le_i32_e32 vcc_lo, s36, v16
	ds_store_b32 v14, v1
	s_waitcnt vmcnt(0)
	v_dual_mov_b32 v1, v17 :: v_dual_add_nc_u32 v14, v14, v4
	v_add_nc_u32_e32 v6, v6, v3
	s_or_b32 s10, vcc_lo, s10
	s_delay_alu instid0(SALU_CYCLE_1)
	s_and_not1_b32 exec_lo, exec_lo, s10
	s_cbranch_execz .LBB49_37
.LBB49_35:                              ;   Parent Loop BB49_8 Depth=1
                                        ; =>  This Inner Loop Header: Depth=2
	v_dual_mov_b32 v17, 0 :: v_dual_add_nc_u32 v16, v16, v2
	s_mov_b32 s11, exec_lo
	s_delay_alu instid0(VALU_DEP_1)
	v_cmpx_gt_u32_e64 s36, v16
	s_cbranch_execz .LBB49_34
; %bb.36:                               ;   in Loop: Header=BB49_35 Depth=2
	s_delay_alu instid0(VALU_DEP_3) | instskip(NEXT) | instid1(VALU_DEP_1)
	v_lshlrev_b64 v[30:31], 2, v[6:7]
	v_add_co_u32 v30, vcc_lo, s54, v30
	s_delay_alu instid0(VALU_DEP_2)
	v_add_co_ci_u32_e32 v31, vcc_lo, s55, v31, vcc_lo
	global_load_b32 v17, v[30:31], off
	s_branch .LBB49_34
.LBB49_37:                              ;   in Loop: Header=BB49_8 Depth=1
	s_or_b32 exec_lo, exec_lo, s9
	s_waitcnt vmcnt(0) lgkmcnt(0)
	s_barrier
	buffer_gl0_inv
	s_and_saveexec_b32 s9, s0
	s_cbranch_execz .LBB49_39
; %bb.38:                               ;   in Loop: Header=BB49_8 Depth=1
	v_mov_b32_e32 v1, s36
	ds_store_b32 v7, v1 offset:4096
.LBB49_39:                              ;   in Loop: Header=BB49_8 Depth=1
	s_or_b32 exec_lo, exec_lo, s9
	s_mov_b32 s9, -1
	s_waitcnt lgkmcnt(0)
	s_barrier
                                        ; implicit-def: $sgpr84
.LBB49_40:                              ;   in Loop: Header=BB49_8 Depth=1
	s_and_b32 vcc_lo, exec_lo, s9
	s_cbranch_vccz .LBB49_42
; %bb.41:                               ;   in Loop: Header=BB49_8 Depth=1
	buffer_gl0_inv
	ds_load_b32 v1, v7 offset:4096
	s_waitcnt lgkmcnt(0)
	v_readfirstlane_b32 s84, v1
.LBB49_42:                              ;   in Loop: Header=BB49_8 Depth=1
	s_delay_alu instid0(VALU_DEP_1)
	s_cmp_lt_i32 s84, 1
	s_cbranch_scc0 .LBB49_46
; %bb.43:                               ;   in Loop: Header=BB49_8 Depth=1
	v_dual_mov_b32 v1, 0 :: v_dual_mov_b32 v2, 0
	v_dual_mov_b32 v3, 0 :: v_dual_mov_b32 v4, 0
	s_mov_b32 s86, 0
	s_and_saveexec_b32 s85, s5
	s_cbranch_execnz .LBB49_47
; %bb.44:                               ;   in Loop: Header=BB49_8 Depth=1
	s_or_b32 exec_lo, exec_lo, s85
	v_mov_b32_e32 v14, 0
	s_and_saveexec_b32 s9, s6
	s_cbranch_execnz .LBB49_50
.LBB49_45:                              ;   in Loop: Header=BB49_8 Depth=1
	s_or_b32 exec_lo, exec_lo, s9
	s_and_saveexec_b32 s13, s7
	s_cbranch_execnz .LBB49_51
	s_branch .LBB49_56
.LBB49_46:                              ;   in Loop: Header=BB49_8 Depth=1
                                        ; implicit-def: $vgpr4
	s_cbranch_execnz .LBB49_57
	s_branch .LBB49_66
.LBB49_47:                              ;   in Loop: Header=BB49_8 Depth=1
	v_mov_b32_e32 v6, v19
	s_and_b32 s87, s77, 0xfe
	s_mov_b32 s88, 0
	s_mov_b32 s89, 0
	;; [unrolled: 1-line block ×5, first 2 shown]
.LBB49_48:                              ;   Parent Loop BB49_8 Depth=1
                                        ; =>  This Inner Loop Header: Depth=2
	v_add_nc_u32_e32 v1, s88, v26
	v_add_nc_u32_e32 v3, s88, v12
	;; [unrolled: 1-line block ×5, first 2 shown]
	v_ashrrev_i32_e32 v2, 31, v1
	v_ashrrev_i32_e32 v4, 31, v3
	;; [unrolled: 1-line block ×4, first 2 shown]
	s_add_i32 s88, s88, s72
	v_lshlrev_b64 v[1:2], 2, v[1:2]
	v_lshlrev_b64 v[3:4], 2, v[3:4]
	;; [unrolled: 1-line block ×4, first 2 shown]
	s_delay_alu instid0(VALU_DEP_4)
	v_add_co_u32 v1, vcc_lo, s54, v1
	v_add_co_ci_u32_e32 v2, vcc_lo, s55, v2, vcc_lo
	v_add_co_u32 v3, vcc_lo, s54, v3
	v_add_co_ci_u32_e32 v4, vcc_lo, s55, v4, vcc_lo
	;; [unrolled: 2-line block ×4, first 2 shown]
	s_clause 0x3
	global_load_b32 v1, v[1:2], off
	global_load_b32 v2, v[3:4], off
	;; [unrolled: 1-line block ×4, first 2 shown]
	v_cmp_le_i32_e32 vcc_lo, s69, v6
	s_waitcnt vmcnt(3)
	v_cmp_lt_i32_e64 s9, -1, v1
	v_cmp_o_f32_e64 s12, v1, v1
	s_waitcnt vmcnt(1)
	v_cmp_o_f32_e64 s10, v3, v3
	s_waitcnt vmcnt(0)
	v_cmp_o_f32_e64 s11, v4, v4
	v_cndmask_b32_e64 v14, -1, 0x80000000, s9
	v_cmp_lt_i32_e64 s9, -1, v2
	s_delay_alu instid0(VALU_DEP_2) | instskip(NEXT) | instid1(VALU_DEP_2)
	v_xor_b32_e32 v14, v14, v1
	v_cndmask_b32_e64 v16, -1, 0x80000000, s9
	v_cmp_lt_i32_e64 s9, -1, v3
	s_delay_alu instid0(VALU_DEP_3) | instskip(NEXT) | instid1(VALU_DEP_3)
	v_cndmask_b32_e64 v1, -1, v14, s12
	v_xor_b32_e32 v16, v16, v2
	s_delay_alu instid0(VALU_DEP_3) | instskip(SKIP_1) | instid1(VALU_DEP_4)
	v_cndmask_b32_e64 v17, -1, 0x80000000, s9
	v_cmp_lt_i32_e64 s9, -1, v4
	v_and_b32_e32 v14, s83, v1
	v_bfe_u32 v1, v1, s87, 2
	s_delay_alu instid0(VALU_DEP_3) | instskip(SKIP_2) | instid1(VALU_DEP_4)
	v_cndmask_b32_e64 v30, -1, 0x80000000, s9
	v_cmp_o_f32_e64 s9, v2, v2
	v_xor_b32_e32 v2, v17, v3
	v_cmp_eq_u32_e64 s13, 0, v1
	v_cmp_eq_u32_e64 s17, 1, v1
	v_xor_b32_e32 v3, v30, v4
	v_cndmask_b32_e64 v4, -1, v16, s9
	v_cndmask_b32_e64 v2, -1, v2, s10
	v_cmp_eq_u32_e64 s9, s82, v14
	v_cmp_eq_u32_e64 s21, 2, v1
	v_cndmask_b32_e64 v3, -1, v3, s11
	v_and_b32_e32 v16, s83, v4
	v_bfe_u32 v4, v4, s87, 2
	v_and_b32_e32 v17, s83, v2
	v_bfe_u32 v2, v2, s87, 2
	;; [unrolled: 2-line block ×3, first 2 shown]
	v_cmp_eq_u32_e64 s10, s82, v16
	v_cmp_eq_u32_e64 s14, 0, v4
	;; [unrolled: 1-line block ×4, first 2 shown]
	s_and_b32 s13, s9, s13
	v_cmp_eq_u32_e64 s12, s82, v30
	v_cmp_eq_u32_e64 s16, 0, v3
	;; [unrolled: 1-line block ×3, first 2 shown]
	v_cndmask_b32_e64 v1, 0, 1, s13
	s_and_b32 s13, s10, s14
	v_cmp_eq_u32_e64 s19, 1, v2
	v_cmp_eq_u32_e64 s23, 2, v2
	;; [unrolled: 1-line block ×3, first 2 shown]
	v_cndmask_b32_e64 v2, 0, 1, s13
	s_and_b32 s13, s11, s15
	v_cmp_eq_u32_e64 s18, 1, v4
	v_cmp_eq_u32_e64 s20, 1, v3
	;; [unrolled: 1-line block ×4, first 2 shown]
	v_cndmask_b32_e64 v3, 0, 1, s13
	s_and_b32 s13, s12, s16
	v_cmp_eq_u32_e64 s22, 2, v4
	v_cmp_eq_u32_e64 s26, 3, v4
	v_cndmask_b32_e64 v4, 0, 1, s13
	s_and_b32 s13, s9, s17
	s_delay_alu instid0(SALU_CYCLE_1) | instskip(SKIP_1) | instid1(SALU_CYCLE_1)
	v_cndmask_b32_e64 v14, 0, 1, s13
	s_and_b32 s13, s10, s18
	v_cndmask_b32_e64 v16, 0, 1, s13
	s_and_b32 s13, s11, s19
	s_delay_alu instid0(SALU_CYCLE_1) | instskip(SKIP_1) | instid1(VALU_DEP_2)
	v_cndmask_b32_e64 v17, 0, 1, s13
	s_and_b32 s13, s12, s20
	v_cmp_ne_u32_e64 s14, 0, v16
	v_cndmask_b32_e64 v30, 0, 1, s13
	s_and_b32 s13, s9, s21
	s_and_b32 s9, s9, s25
	v_cndmask_b32_e64 v31, 0, 1, s13
	s_and_b32 s13, s10, s22
	v_cndmask_b32_e64 v35, 0, 1, s9
	;; [unrolled: 2-line block ×7, first 2 shown]
	v_cndmask_b32_e64 v38, 0, 1, s9
	v_cmp_ne_u32_e64 s9, 0, v1
	v_cmp_ne_u32_e64 s13, 0, v14
	;; [unrolled: 1-line block ×11, first 2 shown]
	s_bcnt1_i32_b32 s9, s9
	s_bcnt1_i32_b32 s13, s13
	;; [unrolled: 1-line block ×4, first 2 shown]
	v_cmp_ne_u32_e64 s12, 0, v4
	v_cmp_ne_u32_e64 s16, 0, v30
	;; [unrolled: 1-line block ×4, first 2 shown]
	s_bcnt1_i32_b32 s10, s10
	s_bcnt1_i32_b32 s14, s14
	s_bcnt1_i32_b32 s18, s18
	s_bcnt1_i32_b32 s22, s22
	s_add_i32 s9, s9, s92
	s_add_i32 s13, s13, s91
	s_add_i32 s17, s17, s90
	s_add_i32 s21, s21, s89
	s_bcnt1_i32_b32 s11, s11
	s_bcnt1_i32_b32 s15, s15
	s_bcnt1_i32_b32 s19, s19
	s_bcnt1_i32_b32 s23, s23
	s_add_i32 s9, s9, s10
	s_add_i32 s10, s13, s14
	s_add_i32 s13, s17, s18
	s_add_i32 s14, s21, s22
	;; [unrolled: 8-line block ×3, first 2 shown]
	s_add_i32 s92, s9, s12
	s_add_i32 s91, s10, s16
	;; [unrolled: 1-line block ×4, first 2 shown]
	v_mov_b32_e32 v3, s90
	v_dual_mov_b32 v1, s92 :: v_dual_mov_b32 v2, s91
	v_mov_b32_e32 v4, s89
	s_or_b32 s86, vcc_lo, s86
	s_delay_alu instid0(SALU_CYCLE_1)
	s_and_not1_b32 exec_lo, exec_lo, s86
	s_cbranch_execnz .LBB49_48
; %bb.49:                               ;   in Loop: Header=BB49_8 Depth=1
	s_or_b32 exec_lo, exec_lo, s86
	s_delay_alu instid0(SALU_CYCLE_1)
	s_or_b32 exec_lo, exec_lo, s85
	v_mov_b32_e32 v14, 0
	s_and_saveexec_b32 s9, s6
	s_cbranch_execz .LBB49_45
.LBB49_50:                              ;   in Loop: Header=BB49_8 Depth=1
	global_load_b32 v14, v[10:11], off
	s_or_b32 exec_lo, exec_lo, s9
	s_and_saveexec_b32 s13, s7
	s_cbranch_execz .LBB49_56
.LBB49_51:                              ;   in Loop: Header=BB49_8 Depth=1
	v_mov_b32_e32 v16, v27
	v_mov_b32_e32 v6, v21
	s_and_b32 s15, s77, 0xfe
	s_mov_b32 s14, 0
	s_branch .LBB49_53
.LBB49_52:                              ;   in Loop: Header=BB49_53 Depth=2
	s_or_b32 exec_lo, exec_lo, s9
	s_waitcnt vmcnt(0)
	v_cmp_lt_i32_e32 vcc_lo, -1, v14
	v_add_nc_u32_e32 v16, s59, v16
	v_cndmask_b32_e64 v30, -1, 0x80000000, vcc_lo
	v_cmp_o_f32_e32 vcc_lo, v14, v14
	s_delay_alu instid0(VALU_DEP_2) | instskip(NEXT) | instid1(VALU_DEP_1)
	v_xor_b32_e32 v30, v30, v14
	v_cndmask_b32_e32 v14, -1, v30, vcc_lo
	s_delay_alu instid0(VALU_DEP_1) | instskip(SKIP_1) | instid1(VALU_DEP_2)
	v_and_b32_e32 v30, s83, v14
	v_bfe_u32 v14, v14, s15, 2
	v_cmp_eq_u32_e32 vcc_lo, s82, v30
	s_delay_alu instid0(VALU_DEP_2) | instskip(SKIP_3) | instid1(VALU_DEP_4)
	v_cmp_eq_u32_e64 s9, 0, v14
	v_cmp_eq_u32_e64 s10, 1, v14
	;; [unrolled: 1-line block ×4, first 2 shown]
	s_and_b32 s9, vcc_lo, s9
	s_delay_alu instid0(SALU_CYCLE_1) | instskip(SKIP_1) | instid1(SALU_CYCLE_1)
	v_cndmask_b32_e64 v14, 0, 1, s9
	s_and_b32 s9, vcc_lo, s10
	v_cndmask_b32_e64 v30, 0, 1, s9
	s_and_b32 s9, vcc_lo, s11
	s_delay_alu instid0(SALU_CYCLE_1)
	v_cndmask_b32_e64 v31, 0, 1, s9
	s_and_b32 s9, vcc_lo, s12
	v_cmp_ne_u32_e32 vcc_lo, 0, v14
	v_cndmask_b32_e64 v32, 0, 1, s9
	v_cmp_ne_u32_e64 s9, 0, v30
	v_cmp_ne_u32_e64 s10, 0, v31
	v_cmp_le_i32_e64 s12, s36, v6
	s_bcnt1_i32_b32 s16, vcc_lo
	v_cmp_ne_u32_e64 s11, 0, v32
	v_add_nc_u32_e32 v1, s16, v1
	s_bcnt1_i32_b32 s9, s9
	s_bcnt1_i32_b32 s10, s10
	v_add_nc_u32_e32 v2, s9, v2
	s_bcnt1_i32_b32 s11, s11
	v_dual_mov_b32 v14, v17 :: v_dual_add_nc_u32 v3, s10, v3
	v_add_nc_u32_e32 v4, s11, v4
	s_or_b32 s14, s12, s14
	s_delay_alu instid0(SALU_CYCLE_1)
	s_and_not1_b32 exec_lo, exec_lo, s14
	s_cbranch_execz .LBB49_55
.LBB49_53:                              ;   Parent Loop BB49_8 Depth=1
                                        ; =>  This Inner Loop Header: Depth=2
	s_delay_alu instid0(VALU_DEP_1) | instskip(SKIP_1) | instid1(VALU_DEP_1)
	v_dual_mov_b32 v17, 0 :: v_dual_add_nc_u32 v6, s56, v6
	s_mov_b32 s9, exec_lo
	v_cmpx_gt_u32_e64 s36, v6
	s_cbranch_execz .LBB49_52
; %bb.54:                               ;   in Loop: Header=BB49_53 Depth=2
	v_ashrrev_i32_e32 v17, 31, v16
	s_delay_alu instid0(VALU_DEP_1) | instskip(NEXT) | instid1(VALU_DEP_1)
	v_lshlrev_b64 v[30:31], 2, v[16:17]
	v_add_co_u32 v30, vcc_lo, s54, v30
	s_delay_alu instid0(VALU_DEP_2)
	v_add_co_ci_u32_e32 v31, vcc_lo, s55, v31, vcc_lo
	global_load_b32 v17, v[30:31], off
	s_branch .LBB49_52
.LBB49_55:                              ;   in Loop: Header=BB49_8 Depth=1
	s_or_b32 exec_lo, exec_lo, s14
.LBB49_56:                              ;   in Loop: Header=BB49_8 Depth=1
	s_delay_alu instid0(SALU_CYCLE_1)
	s_or_b32 exec_lo, exec_lo, s13
	s_branch .LBB49_66
.LBB49_57:                              ;   in Loop: Header=BB49_8 Depth=1
	s_mul_hi_u32 s9, s84, s68
	v_dual_mov_b32 v1, 0 :: v_dual_mov_b32 v2, 0
	s_mul_i32 s9, s9, s58
	v_dual_mov_b32 v3, 0 :: v_dual_mov_b32 v4, 0
	s_sub_i32 s9, s84, s9
	s_mov_b32 s87, 0
	s_sub_i32 s10, s9, s58
	s_cmp_ge_u32 s9, s58
	s_mov_b32 s86, exec_lo
	s_cselect_b32 s9, s10, s9
	s_delay_alu instid0(SALU_CYCLE_1) | instskip(SKIP_2) | instid1(SALU_CYCLE_1)
	s_sub_i32 s10, s9, s58
	s_cmp_ge_u32 s9, s58
	s_cselect_b32 s9, s10, s9
	s_sub_i32 s85, s84, s9
	s_delay_alu instid0(SALU_CYCLE_1)
	v_cmpx_gt_u32_e64 s85, v19
	s_cbranch_execz .LBB49_61
; %bb.58:                               ;   in Loop: Header=BB49_8 Depth=1
	v_mov_b32_e32 v6, v28
	s_waitcnt vmcnt(0)
	v_mov_b32_e32 v14, v19
	s_and_b32 s88, s77, 0xfe
	s_mov_b32 s89, 0
	s_mov_b32 s90, 0
	;; [unrolled: 1-line block ×4, first 2 shown]
.LBB49_59:                              ;   Parent Loop BB49_8 Depth=1
                                        ; =>  This Inner Loop Header: Depth=2
	ds_load_b128 v[1:4], v6
	s_waitcnt lgkmcnt(0)
	v_cmp_lt_i32_e64 s9, -1, v1
	v_cmp_o_f32_e64 s12, v1, v1
	v_cmp_o_f32_e64 s10, v3, v3
	;; [unrolled: 1-line block ×3, first 2 shown]
	s_delay_alu instid0(VALU_DEP_4) | instskip(SKIP_1) | instid1(VALU_DEP_2)
	v_cndmask_b32_e64 v16, -1, 0x80000000, s9
	v_cmp_lt_i32_e64 s9, -1, v2
	v_xor_b32_e32 v16, v16, v1
	s_delay_alu instid0(VALU_DEP_2) | instskip(SKIP_1) | instid1(VALU_DEP_3)
	v_cndmask_b32_e64 v17, -1, 0x80000000, s9
	v_cmp_lt_i32_e64 s9, -1, v3
	v_cndmask_b32_e64 v1, -1, v16, s12
	s_delay_alu instid0(VALU_DEP_3) | instskip(NEXT) | instid1(VALU_DEP_3)
	v_xor_b32_e32 v17, v17, v2
	v_cndmask_b32_e64 v30, -1, 0x80000000, s9
	v_cmp_lt_i32_e64 s9, -1, v4
	s_delay_alu instid0(VALU_DEP_4) | instskip(SKIP_1) | instid1(VALU_DEP_3)
	v_and_b32_e32 v16, s83, v1
	v_bfe_u32 v1, v1, s88, 2
	v_cndmask_b32_e64 v31, -1, 0x80000000, s9
	v_cmp_o_f32_e64 s9, v2, v2
	v_xor_b32_e32 v2, v30, v3
	s_delay_alu instid0(VALU_DEP_4)
	v_cmp_eq_u32_e64 s13, 0, v1
	v_cmp_eq_u32_e64 s17, 1, v1
	v_xor_b32_e32 v3, v31, v4
	v_cndmask_b32_e64 v4, -1, v17, s9
	v_cndmask_b32_e64 v2, -1, v2, s10
	v_cmp_eq_u32_e64 s9, s82, v16
	v_cmp_eq_u32_e64 s21, 2, v1
	v_cndmask_b32_e64 v3, -1, v3, s11
	v_and_b32_e32 v17, s83, v4
	v_bfe_u32 v4, v4, s88, 2
	v_and_b32_e32 v30, s83, v2
	v_bfe_u32 v2, v2, s88, 2
	;; [unrolled: 2-line block ×3, first 2 shown]
	v_cmp_eq_u32_e64 s10, s82, v17
	v_cmp_eq_u32_e64 s14, 0, v4
	;; [unrolled: 1-line block ×4, first 2 shown]
	s_and_b32 s13, s9, s13
	v_cmp_eq_u32_e64 s12, s82, v31
	v_cmp_eq_u32_e64 s16, 0, v3
	;; [unrolled: 1-line block ×3, first 2 shown]
	v_cndmask_b32_e64 v1, 0, 1, s13
	s_and_b32 s13, s10, s14
	v_cmp_eq_u32_e64 s19, 1, v2
	v_cmp_eq_u32_e64 s23, 2, v2
	;; [unrolled: 1-line block ×3, first 2 shown]
	v_cndmask_b32_e64 v2, 0, 1, s13
	s_and_b32 s13, s11, s15
	v_cmp_eq_u32_e64 s18, 1, v4
	v_cmp_eq_u32_e64 s20, 1, v3
	;; [unrolled: 1-line block ×4, first 2 shown]
	v_cndmask_b32_e64 v3, 0, 1, s13
	s_and_b32 s13, s12, s16
	v_cmp_eq_u32_e64 s22, 2, v4
	v_cmp_eq_u32_e64 s26, 3, v4
	v_cndmask_b32_e64 v4, 0, 1, s13
	s_and_b32 s13, s9, s17
	s_delay_alu instid0(SALU_CYCLE_1) | instskip(SKIP_1) | instid1(SALU_CYCLE_1)
	v_cndmask_b32_e64 v16, 0, 1, s13
	s_and_b32 s13, s10, s18
	v_cndmask_b32_e64 v17, 0, 1, s13
	s_and_b32 s13, s11, s19
	s_delay_alu instid0(SALU_CYCLE_1) | instskip(SKIP_1) | instid1(VALU_DEP_2)
	v_cndmask_b32_e64 v30, 0, 1, s13
	s_and_b32 s13, s12, s20
	v_cmp_ne_u32_e64 s14, 0, v17
	v_cndmask_b32_e64 v31, 0, 1, s13
	s_and_b32 s13, s9, s21
	s_and_b32 s9, s9, s25
	v_cndmask_b32_e64 v32, 0, 1, s13
	v_cndmask_b32_e64 v36, 0, 1, s9
	s_and_b32 s9, s10, s26
	s_and_b32 s13, s10, s22
	v_cndmask_b32_e64 v37, 0, 1, s9
	s_and_b32 s9, s11, s27
	v_cndmask_b32_e64 v33, 0, 1, s13
	v_cndmask_b32_e64 v38, 0, 1, s9
	s_and_b32 s9, s12, s28
	s_and_b32 s13, s11, s23
	v_cndmask_b32_e64 v39, 0, 1, s9
	v_cmp_ne_u32_e64 s9, 0, v1
	v_cmp_ne_u32_e64 s10, 0, v2
	v_cndmask_b32_e64 v34, 0, 1, s13
	s_and_b32 s13, s12, s24
	v_cmp_ne_u32_e64 s11, 0, v3
	v_cndmask_b32_e64 v35, 0, 1, s13
	v_cmp_ne_u32_e64 s13, 0, v16
	v_cmp_ne_u32_e64 s17, 0, v32
	;; [unrolled: 1-line block ×3, first 2 shown]
	s_bcnt1_i32_b32 s9, s9
	v_cmp_ne_u32_e64 s12, 0, v4
	v_cmp_ne_u32_e64 s18, 0, v33
	;; [unrolled: 1-line block ×3, first 2 shown]
	s_bcnt1_i32_b32 s10, s10
	s_add_i32 s9, s9, s92
	v_cmp_ne_u32_e64 s15, 0, v30
	v_cmp_ne_u32_e64 s19, 0, v34
	v_cmp_ne_u32_e64 s23, 0, v38
	s_bcnt1_i32_b32 s11, s11
	s_add_i32 s9, s9, s10
	s_bcnt1_i32_b32 s13, s13
	s_bcnt1_i32_b32 s17, s17
	;; [unrolled: 1-line block ×3, first 2 shown]
	v_cmp_ne_u32_e64 s16, 0, v31
	v_cmp_ne_u32_e64 s20, 0, v35
	;; [unrolled: 1-line block ×3, first 2 shown]
	s_bcnt1_i32_b32 s12, s12
	s_add_i32 s9, s9, s11
	s_bcnt1_i32_b32 s14, s14
	s_bcnt1_i32_b32 s18, s18
	s_bcnt1_i32_b32 s22, s22
	s_add_i32 s13, s13, s91
	s_add_i32 s17, s17, s90
	s_add_i32 s21, s21, s89
	s_add_i32 s92, s9, s12
	s_delay_alu instid0(SALU_CYCLE_1)
	v_dual_mov_b32 v1, s92 :: v_dual_add_nc_u32 v14, s58, v14
	s_bcnt1_i32_b32 s15, s15
	s_bcnt1_i32_b32 s19, s19
	;; [unrolled: 1-line block ×3, first 2 shown]
	s_add_i32 s10, s13, s14
	s_add_i32 s13, s17, s18
	;; [unrolled: 1-line block ×3, first 2 shown]
	s_bcnt1_i32_b32 s16, s16
	s_bcnt1_i32_b32 s20, s20
	;; [unrolled: 1-line block ×3, first 2 shown]
	s_add_i32 s10, s10, s15
	s_add_i32 s11, s13, s19
	;; [unrolled: 1-line block ×3, first 2 shown]
	v_cmp_le_i32_e32 vcc_lo, s85, v14
	s_add_i32 s91, s10, s16
	s_add_i32 s90, s11, s20
	;; [unrolled: 1-line block ×3, first 2 shown]
	v_dual_mov_b32 v3, s90 :: v_dual_add_nc_u32 v6, s73, v6
	v_mov_b32_e32 v2, s91
	v_mov_b32_e32 v4, s89
	s_or_b32 s87, vcc_lo, s87
	s_delay_alu instid0(SALU_CYCLE_1)
	s_and_not1_b32 exec_lo, exec_lo, s87
	s_cbranch_execnz .LBB49_59
; %bb.60:                               ;   in Loop: Header=BB49_8 Depth=1
	s_or_b32 exec_lo, exec_lo, s87
.LBB49_61:                              ;   in Loop: Header=BB49_8 Depth=1
	s_delay_alu instid0(SALU_CYCLE_1) | instskip(SKIP_2) | instid1(VALU_DEP_1)
	s_or_b32 exec_lo, exec_lo, s86
	v_add_nc_u32_e32 v6, s85, v0
	s_mov_b32 s14, exec_lo
	v_cmpx_gt_i32_e64 s84, v6
	s_cbranch_execz .LBB49_65
; %bb.62:                               ;   in Loop: Header=BB49_8 Depth=1
	s_waitcnt vmcnt(0)
	v_lshlrev_b32_e32 v14, 2, v6
	s_and_b32 s16, s77, 0xfe
	s_mov_b32 s15, 0
.LBB49_63:                              ;   Parent Loop BB49_8 Depth=1
                                        ; =>  This Inner Loop Header: Depth=2
	ds_load_b32 v16, v14
	v_add_nc_u32_e32 v6, s56, v6
	v_add_nc_u32_e32 v14, s58, v14
	s_delay_alu instid0(VALU_DEP_2) | instskip(SKIP_2) | instid1(VALU_DEP_1)
	v_cmp_le_i32_e32 vcc_lo, s84, v6
	s_waitcnt lgkmcnt(0)
	v_cmp_lt_i32_e64 s9, -1, v16
	v_cndmask_b32_e64 v17, -1, 0x80000000, s9
	v_cmp_o_f32_e64 s9, v16, v16
	s_delay_alu instid0(VALU_DEP_2) | instskip(NEXT) | instid1(VALU_DEP_1)
	v_xor_b32_e32 v17, v17, v16
	v_cndmask_b32_e64 v16, -1, v17, s9
	s_delay_alu instid0(VALU_DEP_1) | instskip(SKIP_1) | instid1(VALU_DEP_2)
	v_and_b32_e32 v17, s83, v16
	v_bfe_u32 v16, v16, s16, 2
	v_cmp_eq_u32_e64 s9, s82, v17
	s_delay_alu instid0(VALU_DEP_2) | instskip(SKIP_3) | instid1(VALU_DEP_4)
	v_cmp_eq_u32_e64 s10, 0, v16
	v_cmp_eq_u32_e64 s11, 1, v16
	;; [unrolled: 1-line block ×4, first 2 shown]
	s_and_b32 s10, s9, s10
	s_delay_alu instid0(SALU_CYCLE_1) | instskip(SKIP_1) | instid1(SALU_CYCLE_1)
	v_cndmask_b32_e64 v16, 0, 1, s10
	s_and_b32 s10, s9, s11
	v_cndmask_b32_e64 v17, 0, 1, s10
	s_and_b32 s10, s9, s12
	s_and_b32 s9, s9, s13
	v_cndmask_b32_e64 v30, 0, 1, s10
	v_cndmask_b32_e64 v31, 0, 1, s9
	v_cmp_ne_u32_e64 s9, 0, v16
	v_cmp_ne_u32_e64 s10, 0, v17
	s_delay_alu instid0(VALU_DEP_4) | instskip(NEXT) | instid1(VALU_DEP_4)
	v_cmp_ne_u32_e64 s11, 0, v30
	v_cmp_ne_u32_e64 s12, 0, v31
	s_delay_alu instid0(VALU_DEP_4) | instskip(NEXT) | instid1(VALU_DEP_3)
	s_bcnt1_i32_b32 s9, s9
	s_bcnt1_i32_b32 s10, s10
	v_add_nc_u32_e32 v1, s9, v1
	s_bcnt1_i32_b32 s11, s11
	s_bcnt1_i32_b32 s12, s12
	v_add_nc_u32_e32 v2, s10, v2
	v_add_nc_u32_e32 v3, s11, v3
	;; [unrolled: 1-line block ×3, first 2 shown]
	s_or_b32 s15, vcc_lo, s15
	s_delay_alu instid0(SALU_CYCLE_1)
	s_and_not1_b32 exec_lo, exec_lo, s15
	s_cbranch_execnz .LBB49_63
; %bb.64:                               ;   in Loop: Header=BB49_8 Depth=1
	s_or_b32 exec_lo, exec_lo, s15
.LBB49_65:                              ;   in Loop: Header=BB49_8 Depth=1
	s_delay_alu instid0(SALU_CYCLE_1)
	s_or_b32 exec_lo, exec_lo, s14
.LBB49_66:                              ;   in Loop: Header=BB49_8 Depth=1
	s_lshl_b32 s9, s80, 7
	s_and_saveexec_b32 s10, s3
	s_cbranch_execz .LBB49_68
; %bb.67:                               ;   in Loop: Header=BB49_8 Depth=1
	v_or_b32_e32 v6, s9, v22
	s_delay_alu instid0(VALU_DEP_1)
	v_lshlrev_b32_e32 v6, 2, v6
	ds_store_b128 v6, v[1:4] offset:3072
.LBB49_68:                              ;   in Loop: Header=BB49_8 Depth=1
	s_or_b32 exec_lo, exec_lo, s10
	s_waitcnt vmcnt(0) lgkmcnt(0)
	s_barrier
	buffer_gl0_inv
	s_and_saveexec_b32 s10, s61
	s_cbranch_execz .LBB49_78
; %bb.69:                               ;   in Loop: Header=BB49_8 Depth=1
	v_mov_b32_e32 v1, 0
	s_and_not1_b32 vcc_lo, exec_lo, s63
	s_cbranch_vccnz .LBB49_77
; %bb.70:                               ;   in Loop: Header=BB49_8 Depth=1
	v_mov_b32_e32 v1, 0
	s_and_not1_b32 vcc_lo, exec_lo, s65
	s_mov_b32 s11, 0
	s_cbranch_vccnz .LBB49_74
; %bb.71:                               ;   in Loop: Header=BB49_8 Depth=1
	v_lshl_add_u32 v2, s80, 9, v29
	v_mov_b32_e32 v1, 0
	.p2align	6
.LBB49_72:                              ;   Parent Loop BB49_8 Depth=1
                                        ; =>  This Inner Loop Header: Depth=2
	ds_load_2addr_b32 v[3:4], v2 offset1:4
	ds_load_2addr_b32 v[16:17], v2 offset0:8 offset1:12
	ds_load_2addr_b32 v[30:31], v2 offset0:16 offset1:20
	;; [unrolled: 1-line block ×3, first 2 shown]
	v_add_nc_u32_e32 v2, 0x80, v2
	s_add_i32 s11, s11, 8
	s_delay_alu instid0(SALU_CYCLE_1) | instskip(SKIP_3) | instid1(VALU_DEP_1)
	s_cmp_eq_u32 s66, s11
	s_waitcnt lgkmcnt(3)
	v_add3_u32 v1, v3, v1, v4
	s_waitcnt lgkmcnt(2)
	v_add3_u32 v1, v16, v1, v17
	s_waitcnt lgkmcnt(1)
	s_delay_alu instid0(VALU_DEP_1) | instskip(SKIP_1) | instid1(VALU_DEP_1)
	v_add3_u32 v1, v30, v1, v31
	s_waitcnt lgkmcnt(0)
	v_add3_u32 v1, v32, v1, v33
	s_cbranch_scc0 .LBB49_72
; %bb.73:                               ;   in Loop: Header=BB49_8 Depth=1
	s_mov_b32 s11, s66
.LBB49_74:                              ;   in Loop: Header=BB49_8 Depth=1
	s_and_not1_b32 vcc_lo, exec_lo, s67
	s_cbranch_vccnz .LBB49_77
; %bb.75:                               ;   in Loop: Header=BB49_8 Depth=1
	s_lshl_b32 s12, s80, 9
	s_lshl_b32 s11, s11, 4
	s_delay_alu instid0(SALU_CYCLE_1)
	v_add3_u32 v2, s12, s11, v29
	s_mov_b32 s11, s64
.LBB49_76:                              ;   Parent Loop BB49_8 Depth=1
                                        ; =>  This Inner Loop Header: Depth=2
	ds_load_b32 v3, v2
	v_add_nc_u32_e32 v2, 16, v2
	s_add_i32 s11, s11, -1
	s_delay_alu instid0(SALU_CYCLE_1)
	s_cmp_lg_u32 s11, 0
	s_waitcnt lgkmcnt(0)
	v_add_nc_u32_e32 v1, v3, v1
	s_cbranch_scc1 .LBB49_76
.LBB49_77:                              ;   in Loop: Header=BB49_8 Depth=1
	v_add_lshl_u32 v2, s9, v18, 2
	ds_store_b32 v2, v1 offset:3072
.LBB49_78:                              ;   in Loop: Header=BB49_8 Depth=1
	s_or_b32 exec_lo, exec_lo, s10
	s_lshl_b32 s9, s9, 2
	s_waitcnt lgkmcnt(0)
	v_mov_b32_e32 v1, s9
	s_barrier
	buffer_gl0_inv
	s_and_b32 s18, s77, 0xfe
	s_mov_b32 s14, -1
	ds_load_b128 v[1:4], v1 offset:3072
	s_lshl_b32 s11, 3, s18
	s_delay_alu instid0(SALU_CYCLE_1) | instskip(SKIP_4) | instid1(VALU_DEP_3)
	s_not_b32 s19, s11
	s_waitcnt lgkmcnt(0)
	v_readfirstlane_b32 s13, v1
	v_readfirstlane_b32 s21, v2
	;; [unrolled: 1-line block ×3, first 2 shown]
	s_cmp_eq_u32 s13, 1
	s_cselect_b32 s9, -1, 0
	s_cmp_eq_u32 s37, 1
	s_cselect_b32 s10, -1, 0
	s_delay_alu instid0(SALU_CYCLE_1)
	s_and_b32 s15, s9, s10
	v_readfirstlane_b32 s10, v4
	s_and_b32 vcc_lo, exec_lo, s15
	s_cbranch_vccz .LBB49_90
; %bb.79:                               ;   in Loop: Header=BB49_8 Depth=1
	ds_load_b32 v1, v7 offset:4096
	s_waitcnt lgkmcnt(0)
	s_barrier
	buffer_gl0_inv
	v_readfirstlane_b32 s12, v1
	s_and_saveexec_b32 s9, s1
	s_cbranch_execz .LBB49_81
; %bb.80:                               ;   in Loop: Header=BB49_8 Depth=1
	ds_store_b32 v20, v7
.LBB49_81:                              ;   in Loop: Header=BB49_8 Depth=1
	s_or_b32 exec_lo, exec_lo, s9
	s_and_b32 s82, s82, s19
	s_or_b32 s83, s83, s11
	s_cmp_lt_i32 s12, 1
	s_waitcnt lgkmcnt(0)
	s_barrier
	buffer_gl0_inv
	s_cbranch_scc0 .LBB49_91
; %bb.82:                               ;   in Loop: Header=BB49_8 Depth=1
	s_mov_b32 s9, 0
                                        ; implicit-def: $vgpr15
	s_and_saveexec_b32 s17, s8
	s_cbranch_execz .LBB49_93
; %bb.83:                               ;   in Loop: Header=BB49_8 Depth=1
	v_mov_b32_e32 v1, v5
	v_mov_b32_e32 v3, v0
	s_mov_b32 s20, 0
                                        ; implicit-def: $sgpr22
	s_set_inst_prefetch_distance 0x1
	s_branch .LBB49_85
	.p2align	6
.LBB49_84:                              ;   in Loop: Header=BB49_85 Depth=2
	s_or_b32 exec_lo, exec_lo, s9
	s_waitcnt vmcnt(0) lgkmcnt(0)
	s_barrier
	buffer_gl0_inv
	ds_load_b64 v[14:15], v7 offset:3072
	v_add_nc_u32_e32 v3, s56, v3
	v_add_nc_u32_e32 v1, s59, v1
	s_waitcnt lgkmcnt(0)
	s_barrier
	buffer_gl0_inv
	v_cmp_le_i32_e32 vcc_lo, s71, v3
	v_cmp_neq_f32_e64 s9, 0, v14
	s_delay_alu instid0(VALU_DEP_1) | instskip(NEXT) | instid1(SALU_CYCLE_1)
	s_or_b32 s23, vcc_lo, s9
	s_and_b32 s23, exec_lo, s23
	s_delay_alu instid0(SALU_CYCLE_1) | instskip(SKIP_2) | instid1(SALU_CYCLE_1)
	s_or_b32 s20, s23, s20
	s_and_not1_b32 s22, s22, exec_lo
	s_and_b32 s9, s9, exec_lo
	s_or_b32 s22, s22, s9
	s_and_not1_b32 exec_lo, exec_lo, s20
	s_cbranch_execz .LBB49_92
.LBB49_85:                              ;   Parent Loop BB49_8 Depth=1
                                        ; =>  This Inner Loop Header: Depth=2
	s_delay_alu instid0(VALU_DEP_1)
	v_cmp_gt_i32_e32 vcc_lo, s36, v3
	v_mov_b32_e32 v14, 0
	s_and_saveexec_b32 s23, vcc_lo
	s_cbranch_execz .LBB49_87
; %bb.86:                               ;   in Loop: Header=BB49_85 Depth=2
	v_ashrrev_i32_e32 v2, 31, v1
	s_delay_alu instid0(VALU_DEP_1) | instskip(NEXT) | instid1(VALU_DEP_1)
	v_lshlrev_b64 v[14:15], 2, v[1:2]
	v_add_co_u32 v14, s9, s54, v14
	s_delay_alu instid0(VALU_DEP_1)
	v_add_co_ci_u32_e64 v15, s9, s55, v15, s9
	global_load_b32 v14, v[14:15], off
.LBB49_87:                              ;   in Loop: Header=BB49_85 Depth=2
	s_or_b32 exec_lo, exec_lo, s23
	s_and_saveexec_b32 s9, vcc_lo
	s_cbranch_execz .LBB49_84
; %bb.88:                               ;   in Loop: Header=BB49_85 Depth=2
	s_waitcnt vmcnt(0)
	v_cmp_lt_i32_e32 vcc_lo, -1, v14
	v_cndmask_b32_e64 v2, -1, 0x80000000, vcc_lo
	v_cmp_o_f32_e32 vcc_lo, v14, v14
	s_delay_alu instid0(VALU_DEP_2) | instskip(NEXT) | instid1(VALU_DEP_1)
	v_xor_b32_e32 v2, v2, v14
	v_cndmask_b32_e32 v2, -1, v2, vcc_lo
	s_delay_alu instid0(VALU_DEP_1) | instskip(NEXT) | instid1(VALU_DEP_1)
	v_and_b32_e32 v2, s83, v2
	v_cmp_eq_u32_e32 vcc_lo, s82, v2
	s_and_b32 exec_lo, exec_lo, vcc_lo
	s_cbranch_execz .LBB49_84
; %bb.89:                               ;   in Loop: Header=BB49_85 Depth=2
	ds_store_b64 v7, v[13:14] offset:3072
	s_branch .LBB49_84
.LBB49_90:                              ;   in Loop: Header=BB49_8 Depth=1
	s_mov_b32 s9, -1
                                        ; implicit-def: $sgpr17
                                        ; implicit-def: $sgpr22
                                        ; implicit-def: $sgpr20
	s_branch .LBB49_104
.LBB49_91:                              ;   in Loop: Header=BB49_8 Depth=1
	s_mov_b32 s17, -1
	s_mov_b32 s9, 0
                                        ; implicit-def: $sgpr20
                                        ; implicit-def: $vgpr15
	s_mov_b32 s22, s17
	s_cbranch_execnz .LBB49_94
	s_branch .LBB49_104
.LBB49_92:                              ;   in Loop: Header=BB49_8 Depth=1
	s_set_inst_prefetch_distance 0x2
	s_or_b32 exec_lo, exec_lo, s20
	s_delay_alu instid0(SALU_CYCLE_1)
	s_and_b32 s9, s22, exec_lo
.LBB49_93:                              ;   in Loop: Header=BB49_8 Depth=1
	s_or_b32 exec_lo, exec_lo, s17
	s_mov_b32 s20, -1
	s_mov_b32 s17, 0
	s_delay_alu instid0(SALU_CYCLE_1)
	s_mov_b32 s22, s17
	s_branch .LBB49_104
.LBB49_94:                              ;   in Loop: Header=BB49_8 Depth=1
	s_add_i32 s20, s12, s60
                                        ; implicit-def: $vgpr15
	s_delay_alu instid0(SALU_CYCLE_1) | instskip(NEXT) | instid1(SALU_CYCLE_1)
	s_abs_i32 s9, s20
	s_mul_hi_u32 s17, s9, s70
	s_delay_alu instid0(SALU_CYCLE_1) | instskip(NEXT) | instid1(SALU_CYCLE_1)
	s_mul_i32 s17, s17, s56
	s_sub_i32 s9, s9, s17
	s_ashr_i32 s17, s20, 31
	s_sub_i32 s22, s9, s56
	s_cmp_ge_u32 s9, s56
	s_cselect_b32 s9, s22, s9
	s_delay_alu instid0(SALU_CYCLE_1) | instskip(SKIP_2) | instid1(SALU_CYCLE_1)
	s_sub_i32 s22, s9, s56
	s_cmp_ge_u32 s9, s56
	s_cselect_b32 s9, s22, s9
	s_xor_b32 s9, s9, s17
	s_delay_alu instid0(SALU_CYCLE_1)
	s_sub_i32 s9, s17, s9
	s_mov_b32 s17, exec_lo
	s_add_i32 s20, s20, s9
	s_mov_b32 s9, 0
	v_cmpx_gt_i32_e64 s20, v0
	s_cbranch_execz .LBB49_103
; %bb.95:                               ;   in Loop: Header=BB49_8 Depth=1
	v_dual_mov_b32 v1, v19 :: v_dual_mov_b32 v2, v0
	s_mov_b32 s22, 0
                                        ; implicit-def: $sgpr23
	s_set_inst_prefetch_distance 0x1
	s_branch .LBB49_97
	.p2align	6
.LBB49_96:                              ;   in Loop: Header=BB49_97 Depth=2
	s_or_b32 exec_lo, exec_lo, s9
	s_waitcnt lgkmcnt(0)
	s_barrier
	buffer_gl0_inv
	ds_load_b64 v[14:15], v7 offset:3072
	v_add_nc_u32_e32 v2, s56, v2
	v_add_nc_u32_e32 v1, s58, v1
	s_waitcnt lgkmcnt(0)
	s_barrier
	buffer_gl0_inv
	v_cmp_le_i32_e32 vcc_lo, s20, v2
	v_cmp_neq_f32_e64 s9, 0, v14
	s_delay_alu instid0(VALU_DEP_1) | instskip(NEXT) | instid1(SALU_CYCLE_1)
	s_or_b32 s24, vcc_lo, s9
	s_and_b32 s24, exec_lo, s24
	s_delay_alu instid0(SALU_CYCLE_1) | instskip(SKIP_2) | instid1(SALU_CYCLE_1)
	s_or_b32 s22, s24, s22
	s_and_not1_b32 s23, s23, exec_lo
	s_and_b32 s9, s9, exec_lo
	s_or_b32 s23, s23, s9
	s_and_not1_b32 exec_lo, exec_lo, s22
	s_cbranch_execz .LBB49_102
.LBB49_97:                              ;   Parent Loop BB49_8 Depth=1
                                        ; =>  This Inner Loop Header: Depth=2
	s_delay_alu instid0(VALU_DEP_1)
	v_cmp_gt_i32_e32 vcc_lo, s12, v2
	v_mov_b32_e32 v14, 0
	s_and_saveexec_b32 s9, vcc_lo
	s_cbranch_execz .LBB49_99
; %bb.98:                               ;   in Loop: Header=BB49_97 Depth=2
	ds_load_b32 v14, v1
.LBB49_99:                              ;   in Loop: Header=BB49_97 Depth=2
	s_or_b32 exec_lo, exec_lo, s9
	s_and_saveexec_b32 s9, vcc_lo
	s_cbranch_execz .LBB49_96
; %bb.100:                              ;   in Loop: Header=BB49_97 Depth=2
	s_waitcnt lgkmcnt(0)
	v_cmp_lt_i32_e32 vcc_lo, -1, v14
	v_cndmask_b32_e64 v3, -1, 0x80000000, vcc_lo
	v_cmp_o_f32_e32 vcc_lo, v14, v14
	s_delay_alu instid0(VALU_DEP_2) | instskip(NEXT) | instid1(VALU_DEP_1)
	v_xor_b32_e32 v3, v3, v14
	v_cndmask_b32_e32 v3, -1, v3, vcc_lo
	s_delay_alu instid0(VALU_DEP_1) | instskip(NEXT) | instid1(VALU_DEP_1)
	v_and_b32_e32 v3, s83, v3
	v_cmp_eq_u32_e32 vcc_lo, s82, v3
	s_and_b32 exec_lo, exec_lo, vcc_lo
	s_cbranch_execz .LBB49_96
; %bb.101:                              ;   in Loop: Header=BB49_97 Depth=2
	ds_store_b64 v7, v[13:14] offset:3072
	s_branch .LBB49_96
.LBB49_102:                             ;   in Loop: Header=BB49_8 Depth=1
	s_set_inst_prefetch_distance 0x2
	s_or_b32 exec_lo, exec_lo, s22
	s_delay_alu instid0(SALU_CYCLE_1)
	s_and_b32 s9, s23, exec_lo
.LBB49_103:                             ;   in Loop: Header=BB49_8 Depth=1
	s_or_b32 exec_lo, exec_lo, s17
	s_mov_b32 s22, -1
	s_mov_b32 s17, 0
	s_mov_b32 s20, 0
.LBB49_104:                             ;   in Loop: Header=BB49_8 Depth=1
	s_and_not1_b32 s12, s78, exec_lo
	s_and_b32 s17, s17, exec_lo
	s_and_b32 s20, s20, exec_lo
	s_or_b32 s78, s12, s17
	s_and_not1_b32 s12, s81, exec_lo
	s_and_b32 s17, s22, exec_lo
	s_and_not1_b32 s22, s79, exec_lo
	s_or_b32 s81, s12, s17
	s_or_b32 s79, s22, s20
	s_and_saveexec_b32 s12, s9
	s_cbranch_execz .LBB49_7
; %bb.105:                              ;   in Loop: Header=BB49_8 Depth=1
	s_xor_b32 s9, s15, -1
	s_mov_b32 s14, 0
	s_and_not1_b32 vcc_lo, exec_lo, s9
	s_mov_b32 s22, 1
	s_cbranch_vccnz .LBB49_116
; %bb.106:                              ;   in Loop: Header=BB49_8 Depth=1
	s_cmp_gt_i32 s37, s13
	s_mov_b32 s14, -1
                                        ; implicit-def: $sgpr9
                                        ; implicit-def: $sgpr15
                                        ; implicit-def: $sgpr17
	s_cbranch_scc1 .LBB49_112
; %bb.107:                              ;   in Loop: Header=BB49_8 Depth=1
	ds_load_b32 v1, v7 offset:4096
	s_waitcnt lgkmcnt(0)
	v_cmp_ne_u32_e32 vcc_lo, 0, v1
	s_cbranch_vccnz .LBB49_111
; %bb.108:                              ;   in Loop: Header=BB49_8 Depth=1
	s_and_saveexec_b32 s9, s0
	s_cbranch_execz .LBB49_110
; %bb.109:                              ;   in Loop: Header=BB49_8 Depth=1
	v_mov_b32_e32 v1, s13
	ds_store_b32 v7, v1 offset:4100
.LBB49_110:                             ;   in Loop: Header=BB49_8 Depth=1
	s_or_b32 exec_lo, exec_lo, s9
	s_waitcnt lgkmcnt(0)
	s_barrier
	buffer_gl0_inv
.LBB49_111:                             ;   in Loop: Header=BB49_8 Depth=1
	s_and_b32 s15, s82, s19
	s_or_b32 s17, s83, s11
	s_mov_b32 s14, 0
	s_mov_b32 s9, 8
.LBB49_112:                             ;   in Loop: Header=BB49_8 Depth=1
	s_and_not1_b32 vcc_lo, exec_lo, s14
	s_cbranch_vccnz .LBB49_114
; %bb.113:                              ;   in Loop: Header=BB49_8 Depth=1
	s_sub_i32 s37, s37, s13
	s_mov_b32 s14, -1
	s_mov_b32 s9, 0
	s_mov_b32 s15, s82
	;; [unrolled: 1-line block ×3, first 2 shown]
.LBB49_114:                             ;   in Loop: Header=BB49_8 Depth=1
	s_delay_alu instid0(SALU_CYCLE_1)
	s_mov_b32 s83, s17
	s_mov_b32 s82, s15
	;; [unrolled: 1-line block ×3, first 2 shown]
	s_and_b32 vcc_lo, exec_lo, s14
	s_mov_b32 s13, -1
	s_cbranch_vccnz .LBB49_117
.LBB49_115:                             ;   in Loop: Header=BB49_8 Depth=1
	s_mov_b32 s25, -1
                                        ; implicit-def: $sgpr14
                                        ; implicit-def: $sgpr17
                                        ; implicit-def: $sgpr15
	s_delay_alu instid0(SALU_CYCLE_1) | instskip(NEXT) | instid1(SALU_CYCLE_1)
	s_and_saveexec_b32 s10, s25
	s_xor_b32 s10, exec_lo, s10
	s_cbranch_execz .LBB49_6
	s_branch .LBB49_240
.LBB49_116:                             ;   in Loop: Header=BB49_8 Depth=1
	s_mov_b32 s9, 1
	s_and_b32 vcc_lo, exec_lo, s14
	s_mov_b32 s13, -1
	s_cbranch_vccz .LBB49_115
.LBB49_117:                             ;   in Loop: Header=BB49_8 Depth=1
	s_cmp_eq_u32 s21, 1
	s_mov_b32 s24, -1
	s_cselect_b32 s9, -1, 0
	s_cmp_eq_u32 s22, 1
	s_cselect_b32 s14, -1, 0
	s_delay_alu instid0(SALU_CYCLE_1) | instskip(NEXT) | instid1(SALU_CYCLE_1)
	s_and_b32 s23, s9, s14
	s_and_b32 vcc_lo, exec_lo, s23
	s_cbranch_vccz .LBB49_129
; %bb.118:                              ;   in Loop: Header=BB49_8 Depth=1
	ds_load_b32 v1, v7 offset:4096
	s_waitcnt lgkmcnt(0)
	s_barrier
	buffer_gl0_inv
	v_readfirstlane_b32 s20, v1
	s_and_saveexec_b32 s9, s1
	s_cbranch_execz .LBB49_120
; %bb.119:                              ;   in Loop: Header=BB49_8 Depth=1
	ds_store_b32 v20, v7
.LBB49_120:                             ;   in Loop: Header=BB49_8 Depth=1
	s_or_b32 exec_lo, exec_lo, s9
	s_lshl_b32 s9, 1, s18
	s_and_b32 s14, s82, s19
	s_or_b32 s83, s83, s11
	s_or_b32 s82, s14, s9
	s_cmp_gt_i32 s20, 0
	s_waitcnt lgkmcnt(0)
	s_barrier
	buffer_gl0_inv
	s_cbranch_scc1 .LBB49_130
; %bb.121:                              ;   in Loop: Header=BB49_8 Depth=1
	s_mov_b32 s24, 0
                                        ; implicit-def: $vgpr15
	s_and_saveexec_b32 s14, s8
	s_cbranch_execz .LBB49_132
; %bb.122:                              ;   in Loop: Header=BB49_8 Depth=1
	v_mov_b32_e32 v1, v5
	v_mov_b32_e32 v3, v0
	s_mov_b32 s15, 0
                                        ; implicit-def: $sgpr17
	s_set_inst_prefetch_distance 0x1
	s_branch .LBB49_124
	.p2align	6
.LBB49_123:                             ;   in Loop: Header=BB49_124 Depth=2
	s_or_b32 exec_lo, exec_lo, s9
	s_waitcnt vmcnt(0) lgkmcnt(0)
	s_barrier
	buffer_gl0_inv
	ds_load_b64 v[14:15], v7 offset:3072
	v_add_nc_u32_e32 v3, s56, v3
	v_add_nc_u32_e32 v1, s59, v1
	s_waitcnt lgkmcnt(0)
	s_barrier
	buffer_gl0_inv
	v_cmp_le_i32_e32 vcc_lo, s71, v3
	v_cmp_neq_f32_e64 s9, 0, v14
	s_delay_alu instid0(VALU_DEP_1) | instskip(NEXT) | instid1(SALU_CYCLE_1)
	s_or_b32 s24, vcc_lo, s9
	s_and_b32 s24, exec_lo, s24
	s_delay_alu instid0(SALU_CYCLE_1) | instskip(SKIP_2) | instid1(SALU_CYCLE_1)
	s_or_b32 s15, s24, s15
	s_and_not1_b32 s17, s17, exec_lo
	s_and_b32 s9, s9, exec_lo
	s_or_b32 s17, s17, s9
	s_and_not1_b32 exec_lo, exec_lo, s15
	s_cbranch_execz .LBB49_131
.LBB49_124:                             ;   Parent Loop BB49_8 Depth=1
                                        ; =>  This Inner Loop Header: Depth=2
	s_delay_alu instid0(VALU_DEP_1)
	v_cmp_gt_i32_e32 vcc_lo, s36, v3
	v_mov_b32_e32 v14, 0
	s_and_saveexec_b32 s24, vcc_lo
	s_cbranch_execz .LBB49_126
; %bb.125:                              ;   in Loop: Header=BB49_124 Depth=2
	v_ashrrev_i32_e32 v2, 31, v1
	s_delay_alu instid0(VALU_DEP_1) | instskip(NEXT) | instid1(VALU_DEP_1)
	v_lshlrev_b64 v[14:15], 2, v[1:2]
	v_add_co_u32 v14, s9, s54, v14
	s_delay_alu instid0(VALU_DEP_1)
	v_add_co_ci_u32_e64 v15, s9, s55, v15, s9
	global_load_b32 v14, v[14:15], off
.LBB49_126:                             ;   in Loop: Header=BB49_124 Depth=2
	s_or_b32 exec_lo, exec_lo, s24
	s_and_saveexec_b32 s9, vcc_lo
	s_cbranch_execz .LBB49_123
; %bb.127:                              ;   in Loop: Header=BB49_124 Depth=2
	s_waitcnt vmcnt(0)
	v_cmp_lt_i32_e32 vcc_lo, -1, v14
	v_cndmask_b32_e64 v2, -1, 0x80000000, vcc_lo
	v_cmp_o_f32_e32 vcc_lo, v14, v14
	s_delay_alu instid0(VALU_DEP_2) | instskip(NEXT) | instid1(VALU_DEP_1)
	v_xor_b32_e32 v2, v2, v14
	v_cndmask_b32_e32 v2, -1, v2, vcc_lo
	s_delay_alu instid0(VALU_DEP_1) | instskip(NEXT) | instid1(VALU_DEP_1)
	v_and_b32_e32 v2, s83, v2
	v_cmp_eq_u32_e32 vcc_lo, s82, v2
	s_and_b32 exec_lo, exec_lo, vcc_lo
	s_cbranch_execz .LBB49_123
; %bb.128:                              ;   in Loop: Header=BB49_124 Depth=2
	ds_store_b64 v7, v[13:14] offset:3072
	s_branch .LBB49_123
.LBB49_129:                             ;   in Loop: Header=BB49_8 Depth=1
                                        ; implicit-def: $sgpr15
                                        ; implicit-def: $sgpr17
                                        ; implicit-def: $sgpr14
	s_branch .LBB49_143
.LBB49_130:                             ;   in Loop: Header=BB49_8 Depth=1
	s_mov_b32 s15, -1
	s_mov_b32 s24, 0
                                        ; implicit-def: $sgpr14
                                        ; implicit-def: $vgpr15
	s_mov_b32 s17, s15
	s_cbranch_execnz .LBB49_133
	s_branch .LBB49_143
.LBB49_131:                             ;   in Loop: Header=BB49_8 Depth=1
	s_set_inst_prefetch_distance 0x2
	s_or_b32 exec_lo, exec_lo, s15
	s_delay_alu instid0(SALU_CYCLE_1)
	s_and_b32 s24, s17, exec_lo
.LBB49_132:                             ;   in Loop: Header=BB49_8 Depth=1
	s_or_b32 exec_lo, exec_lo, s14
	s_mov_b32 s14, -1
	s_mov_b32 s15, 0
	s_delay_alu instid0(SALU_CYCLE_1)
	s_mov_b32 s17, s15
	s_branch .LBB49_143
.LBB49_133:                             ;   in Loop: Header=BB49_8 Depth=1
	s_add_i32 s15, s20, s60
	s_mov_b32 s24, 0
	s_abs_i32 s9, s15
                                        ; implicit-def: $vgpr15
	s_delay_alu instid0(SALU_CYCLE_1) | instskip(NEXT) | instid1(SALU_CYCLE_1)
	s_mul_hi_u32 s14, s9, s70
	s_mul_i32 s14, s14, s56
	s_delay_alu instid0(SALU_CYCLE_1) | instskip(SKIP_4) | instid1(SALU_CYCLE_1)
	s_sub_i32 s9, s9, s14
	s_ashr_i32 s14, s15, 31
	s_sub_i32 s17, s9, s56
	s_cmp_ge_u32 s9, s56
	s_cselect_b32 s9, s17, s9
	s_sub_i32 s17, s9, s56
	s_cmp_ge_u32 s9, s56
	s_cselect_b32 s9, s17, s9
	s_delay_alu instid0(SALU_CYCLE_1) | instskip(NEXT) | instid1(SALU_CYCLE_1)
	s_xor_b32 s9, s9, s14
	s_sub_i32 s9, s14, s9
	s_mov_b32 s14, exec_lo
	s_add_i32 s15, s15, s9
	s_delay_alu instid0(SALU_CYCLE_1)
	v_cmpx_gt_i32_e64 s15, v0
	s_cbranch_execz .LBB49_142
; %bb.134:                              ;   in Loop: Header=BB49_8 Depth=1
	v_dual_mov_b32 v1, v19 :: v_dual_mov_b32 v2, v0
	s_mov_b32 s17, 0
                                        ; implicit-def: $sgpr24
	s_set_inst_prefetch_distance 0x1
	s_branch .LBB49_136
	.p2align	6
.LBB49_135:                             ;   in Loop: Header=BB49_136 Depth=2
	s_or_b32 exec_lo, exec_lo, s9
	s_waitcnt lgkmcnt(0)
	s_barrier
	buffer_gl0_inv
	ds_load_b64 v[14:15], v7 offset:3072
	v_add_nc_u32_e32 v2, s56, v2
	v_add_nc_u32_e32 v1, s58, v1
	s_waitcnt lgkmcnt(0)
	s_barrier
	buffer_gl0_inv
	v_cmp_le_i32_e32 vcc_lo, s15, v2
	v_cmp_neq_f32_e64 s9, 0, v14
	s_delay_alu instid0(VALU_DEP_1) | instskip(NEXT) | instid1(SALU_CYCLE_1)
	s_or_b32 s25, vcc_lo, s9
	s_and_b32 s25, exec_lo, s25
	s_delay_alu instid0(SALU_CYCLE_1) | instskip(SKIP_2) | instid1(SALU_CYCLE_1)
	s_or_b32 s17, s25, s17
	s_and_not1_b32 s24, s24, exec_lo
	s_and_b32 s9, s9, exec_lo
	s_or_b32 s24, s24, s9
	s_and_not1_b32 exec_lo, exec_lo, s17
	s_cbranch_execz .LBB49_141
.LBB49_136:                             ;   Parent Loop BB49_8 Depth=1
                                        ; =>  This Inner Loop Header: Depth=2
	s_delay_alu instid0(VALU_DEP_1)
	v_cmp_gt_i32_e32 vcc_lo, s20, v2
	v_mov_b32_e32 v14, 0
	s_and_saveexec_b32 s9, vcc_lo
	s_cbranch_execz .LBB49_138
; %bb.137:                              ;   in Loop: Header=BB49_136 Depth=2
	ds_load_b32 v14, v1
.LBB49_138:                             ;   in Loop: Header=BB49_136 Depth=2
	s_or_b32 exec_lo, exec_lo, s9
	s_and_saveexec_b32 s9, vcc_lo
	s_cbranch_execz .LBB49_135
; %bb.139:                              ;   in Loop: Header=BB49_136 Depth=2
	s_waitcnt lgkmcnt(0)
	v_cmp_lt_i32_e32 vcc_lo, -1, v14
	v_cndmask_b32_e64 v3, -1, 0x80000000, vcc_lo
	v_cmp_o_f32_e32 vcc_lo, v14, v14
	s_delay_alu instid0(VALU_DEP_2) | instskip(NEXT) | instid1(VALU_DEP_1)
	v_xor_b32_e32 v3, v3, v14
	v_cndmask_b32_e32 v3, -1, v3, vcc_lo
	s_delay_alu instid0(VALU_DEP_1) | instskip(NEXT) | instid1(VALU_DEP_1)
	v_and_b32_e32 v3, s83, v3
	v_cmp_eq_u32_e32 vcc_lo, s82, v3
	s_and_b32 exec_lo, exec_lo, vcc_lo
	s_cbranch_execz .LBB49_135
; %bb.140:                              ;   in Loop: Header=BB49_136 Depth=2
	ds_store_b64 v7, v[13:14] offset:3072
	s_branch .LBB49_135
.LBB49_141:                             ;   in Loop: Header=BB49_8 Depth=1
	s_set_inst_prefetch_distance 0x2
	s_or_b32 exec_lo, exec_lo, s17
	s_delay_alu instid0(SALU_CYCLE_1)
	s_and_b32 s24, s24, exec_lo
.LBB49_142:                             ;   in Loop: Header=BB49_8 Depth=1
	s_or_b32 exec_lo, exec_lo, s14
	s_mov_b32 s17, -1
	s_mov_b32 s15, 0
	s_mov_b32 s14, 0
.LBB49_143:                             ;   in Loop: Header=BB49_8 Depth=1
	s_mov_b32 s25, 0
                                        ; implicit-def: $sgpr9
	s_and_saveexec_b32 s20, s24
	s_cbranch_execz .LBB49_239
; %bb.144:                              ;   in Loop: Header=BB49_8 Depth=1
	s_xor_b32 s9, s23, -1
	s_mov_b32 s23, 0
	s_and_not1_b32 vcc_lo, exec_lo, s9
	s_mov_b32 s26, 1
	s_cbranch_vccnz .LBB49_155
; %bb.145:                              ;   in Loop: Header=BB49_8 Depth=1
	s_cmp_gt_i32 s22, s21
	s_mov_b32 s23, -1
                                        ; implicit-def: $sgpr9
                                        ; implicit-def: $sgpr24
                                        ; implicit-def: $sgpr25
	s_cbranch_scc1 .LBB49_151
; %bb.146:                              ;   in Loop: Header=BB49_8 Depth=1
	ds_load_b32 v1, v7 offset:4096
	s_waitcnt lgkmcnt(0)
	v_cmp_ne_u32_e32 vcc_lo, 0, v1
	s_cbranch_vccnz .LBB49_150
; %bb.147:                              ;   in Loop: Header=BB49_8 Depth=1
	s_and_saveexec_b32 s9, s0
	s_cbranch_execz .LBB49_149
; %bb.148:                              ;   in Loop: Header=BB49_8 Depth=1
	v_mov_b32_e32 v1, s21
	ds_store_b32 v7, v1 offset:4100
.LBB49_149:                             ;   in Loop: Header=BB49_8 Depth=1
	s_or_b32 exec_lo, exec_lo, s9
	s_waitcnt lgkmcnt(0)
	s_barrier
	buffer_gl0_inv
.LBB49_150:                             ;   in Loop: Header=BB49_8 Depth=1
	s_lshl_b32 s9, 1, s18
	s_and_b32 s23, s82, s19
	s_or_b32 s25, s83, s11
	s_or_b32 s24, s23, s9
	s_mov_b32 s23, 0
	s_mov_b32 s9, 8
.LBB49_151:                             ;   in Loop: Header=BB49_8 Depth=1
	s_and_not1_b32 vcc_lo, exec_lo, s23
	s_cbranch_vccnz .LBB49_153
; %bb.152:                              ;   in Loop: Header=BB49_8 Depth=1
	s_sub_i32 s22, s22, s21
	s_mov_b32 s23, -1
	s_mov_b32 s9, 0
	s_mov_b32 s24, s82
	;; [unrolled: 1-line block ×3, first 2 shown]
.LBB49_153:                             ;   in Loop: Header=BB49_8 Depth=1
	s_delay_alu instid0(SALU_CYCLE_1)
	s_mov_b32 s83, s25
	s_mov_b32 s82, s24
	s_mov_b32 s26, s22
	s_and_not1_b32 vcc_lo, exec_lo, s23
	s_mov_b32 s28, -1
	s_cbranch_vccz .LBB49_156
.LBB49_154:                             ;   in Loop: Header=BB49_8 Depth=1
                                        ; implicit-def: $sgpr22
                                        ; implicit-def: $sgpr23
                                        ; implicit-def: $sgpr21
	s_branch .LBB49_238
.LBB49_155:                             ;   in Loop: Header=BB49_8 Depth=1
	s_mov_b32 s9, 1
	s_and_not1_b32 vcc_lo, exec_lo, s23
	s_mov_b32 s28, -1
	s_cbranch_vccnz .LBB49_154
.LBB49_156:                             ;   in Loop: Header=BB49_8 Depth=1
	s_cmp_eq_u32 s16, 1
	s_mov_b32 s27, -1
	s_cselect_b32 s9, -1, 0
	s_cmp_eq_u32 s26, 1
	s_cselect_b32 s21, -1, 0
	s_delay_alu instid0(SALU_CYCLE_1) | instskip(NEXT) | instid1(SALU_CYCLE_1)
	s_and_b32 s25, s9, s21
	s_and_b32 vcc_lo, exec_lo, s25
	s_cbranch_vccz .LBB49_168
; %bb.157:                              ;   in Loop: Header=BB49_8 Depth=1
	ds_load_b32 v1, v7 offset:4096
	s_waitcnt lgkmcnt(0)
	s_barrier
	buffer_gl0_inv
	v_readfirstlane_b32 s24, v1
	s_and_saveexec_b32 s9, s1
	s_cbranch_execz .LBB49_159
; %bb.158:                              ;   in Loop: Header=BB49_8 Depth=1
	ds_store_b32 v20, v7
.LBB49_159:                             ;   in Loop: Header=BB49_8 Depth=1
	s_or_b32 exec_lo, exec_lo, s9
	s_lshl_b32 s9, 2, s18
	s_and_b32 s21, s82, s19
	s_or_b32 s83, s83, s11
	s_or_b32 s82, s21, s9
	s_cmp_gt_i32 s24, 0
	s_waitcnt lgkmcnt(0)
	s_barrier
	buffer_gl0_inv
	s_cbranch_scc1 .LBB49_169
; %bb.160:                              ;   in Loop: Header=BB49_8 Depth=1
	s_mov_b32 s27, 0
                                        ; implicit-def: $vgpr15
	s_and_saveexec_b32 s21, s8
	s_cbranch_execz .LBB49_171
; %bb.161:                              ;   in Loop: Header=BB49_8 Depth=1
	v_mov_b32_e32 v1, v5
	v_mov_b32_e32 v3, v0
	s_mov_b32 s22, 0
                                        ; implicit-def: $sgpr23
	s_set_inst_prefetch_distance 0x1
	s_branch .LBB49_163
	.p2align	6
.LBB49_162:                             ;   in Loop: Header=BB49_163 Depth=2
	s_or_b32 exec_lo, exec_lo, s9
	s_waitcnt vmcnt(0) lgkmcnt(0)
	s_barrier
	buffer_gl0_inv
	ds_load_b64 v[14:15], v7 offset:3072
	v_add_nc_u32_e32 v3, s56, v3
	v_add_nc_u32_e32 v1, s59, v1
	s_waitcnt lgkmcnt(0)
	s_barrier
	buffer_gl0_inv
	v_cmp_le_i32_e32 vcc_lo, s71, v3
	v_cmp_neq_f32_e64 s9, 0, v14
	s_delay_alu instid0(VALU_DEP_1) | instskip(NEXT) | instid1(SALU_CYCLE_1)
	s_or_b32 s27, vcc_lo, s9
	s_and_b32 s27, exec_lo, s27
	s_delay_alu instid0(SALU_CYCLE_1) | instskip(SKIP_2) | instid1(SALU_CYCLE_1)
	s_or_b32 s22, s27, s22
	s_and_not1_b32 s23, s23, exec_lo
	s_and_b32 s9, s9, exec_lo
	s_or_b32 s23, s23, s9
	s_and_not1_b32 exec_lo, exec_lo, s22
	s_cbranch_execz .LBB49_170
.LBB49_163:                             ;   Parent Loop BB49_8 Depth=1
                                        ; =>  This Inner Loop Header: Depth=2
	s_delay_alu instid0(VALU_DEP_1)
	v_cmp_gt_i32_e32 vcc_lo, s36, v3
	v_mov_b32_e32 v14, 0
	s_and_saveexec_b32 s27, vcc_lo
	s_cbranch_execz .LBB49_165
; %bb.164:                              ;   in Loop: Header=BB49_163 Depth=2
	v_ashrrev_i32_e32 v2, 31, v1
	s_delay_alu instid0(VALU_DEP_1) | instskip(NEXT) | instid1(VALU_DEP_1)
	v_lshlrev_b64 v[14:15], 2, v[1:2]
	v_add_co_u32 v14, s9, s54, v14
	s_delay_alu instid0(VALU_DEP_1)
	v_add_co_ci_u32_e64 v15, s9, s55, v15, s9
	global_load_b32 v14, v[14:15], off
.LBB49_165:                             ;   in Loop: Header=BB49_163 Depth=2
	s_or_b32 exec_lo, exec_lo, s27
	s_and_saveexec_b32 s9, vcc_lo
	s_cbranch_execz .LBB49_162
; %bb.166:                              ;   in Loop: Header=BB49_163 Depth=2
	s_waitcnt vmcnt(0)
	v_cmp_lt_i32_e32 vcc_lo, -1, v14
	v_cndmask_b32_e64 v2, -1, 0x80000000, vcc_lo
	v_cmp_o_f32_e32 vcc_lo, v14, v14
	s_delay_alu instid0(VALU_DEP_2) | instskip(NEXT) | instid1(VALU_DEP_1)
	v_xor_b32_e32 v2, v2, v14
	v_cndmask_b32_e32 v2, -1, v2, vcc_lo
	s_delay_alu instid0(VALU_DEP_1) | instskip(NEXT) | instid1(VALU_DEP_1)
	v_and_b32_e32 v2, s83, v2
	v_cmp_eq_u32_e32 vcc_lo, s82, v2
	s_and_b32 exec_lo, exec_lo, vcc_lo
	s_cbranch_execz .LBB49_162
; %bb.167:                              ;   in Loop: Header=BB49_163 Depth=2
	ds_store_b64 v7, v[13:14] offset:3072
	s_branch .LBB49_162
.LBB49_168:                             ;   in Loop: Header=BB49_8 Depth=1
                                        ; implicit-def: $sgpr21
                                        ; implicit-def: $sgpr23
                                        ; implicit-def: $sgpr22
	s_branch .LBB49_182
.LBB49_169:                             ;   in Loop: Header=BB49_8 Depth=1
	s_mov_b32 s21, -1
	s_mov_b32 s27, 0
                                        ; implicit-def: $sgpr22
                                        ; implicit-def: $vgpr15
	s_mov_b32 s23, s21
	s_cbranch_execnz .LBB49_172
	s_branch .LBB49_182
.LBB49_170:                             ;   in Loop: Header=BB49_8 Depth=1
	s_set_inst_prefetch_distance 0x2
	s_or_b32 exec_lo, exec_lo, s22
	s_delay_alu instid0(SALU_CYCLE_1)
	s_and_b32 s27, s23, exec_lo
.LBB49_171:                             ;   in Loop: Header=BB49_8 Depth=1
	s_or_b32 exec_lo, exec_lo, s21
	s_mov_b32 s22, -1
	s_mov_b32 s21, 0
	s_delay_alu instid0(SALU_CYCLE_1)
	s_mov_b32 s23, s21
	s_branch .LBB49_182
.LBB49_172:                             ;   in Loop: Header=BB49_8 Depth=1
	s_add_i32 s22, s24, s60
	s_mov_b32 s27, 0
	s_abs_i32 s9, s22
                                        ; implicit-def: $vgpr15
	s_delay_alu instid0(SALU_CYCLE_1) | instskip(NEXT) | instid1(SALU_CYCLE_1)
	s_mul_hi_u32 s21, s9, s70
	s_mul_i32 s21, s21, s56
	s_delay_alu instid0(SALU_CYCLE_1) | instskip(SKIP_4) | instid1(SALU_CYCLE_1)
	s_sub_i32 s9, s9, s21
	s_ashr_i32 s21, s22, 31
	s_sub_i32 s23, s9, s56
	s_cmp_ge_u32 s9, s56
	s_cselect_b32 s9, s23, s9
	s_sub_i32 s23, s9, s56
	s_cmp_ge_u32 s9, s56
	s_cselect_b32 s9, s23, s9
	s_delay_alu instid0(SALU_CYCLE_1) | instskip(NEXT) | instid1(SALU_CYCLE_1)
	s_xor_b32 s9, s9, s21
	s_sub_i32 s9, s21, s9
	s_mov_b32 s21, exec_lo
	s_add_i32 s22, s22, s9
	s_delay_alu instid0(SALU_CYCLE_1)
	v_cmpx_gt_i32_e64 s22, v0
	s_cbranch_execz .LBB49_181
; %bb.173:                              ;   in Loop: Header=BB49_8 Depth=1
	v_dual_mov_b32 v1, v19 :: v_dual_mov_b32 v2, v0
	s_mov_b32 s23, 0
                                        ; implicit-def: $sgpr27
	s_set_inst_prefetch_distance 0x1
	s_branch .LBB49_175
	.p2align	6
.LBB49_174:                             ;   in Loop: Header=BB49_175 Depth=2
	s_or_b32 exec_lo, exec_lo, s9
	s_waitcnt lgkmcnt(0)
	s_barrier
	buffer_gl0_inv
	ds_load_b64 v[14:15], v7 offset:3072
	v_add_nc_u32_e32 v2, s56, v2
	v_add_nc_u32_e32 v1, s58, v1
	s_waitcnt lgkmcnt(0)
	s_barrier
	buffer_gl0_inv
	v_cmp_le_i32_e32 vcc_lo, s22, v2
	v_cmp_neq_f32_e64 s9, 0, v14
	s_delay_alu instid0(VALU_DEP_1) | instskip(NEXT) | instid1(SALU_CYCLE_1)
	s_or_b32 s28, vcc_lo, s9
	s_and_b32 s28, exec_lo, s28
	s_delay_alu instid0(SALU_CYCLE_1) | instskip(SKIP_2) | instid1(SALU_CYCLE_1)
	s_or_b32 s23, s28, s23
	s_and_not1_b32 s27, s27, exec_lo
	s_and_b32 s9, s9, exec_lo
	s_or_b32 s27, s27, s9
	s_and_not1_b32 exec_lo, exec_lo, s23
	s_cbranch_execz .LBB49_180
.LBB49_175:                             ;   Parent Loop BB49_8 Depth=1
                                        ; =>  This Inner Loop Header: Depth=2
	s_delay_alu instid0(VALU_DEP_1)
	v_cmp_gt_i32_e32 vcc_lo, s24, v2
	v_mov_b32_e32 v14, 0
	s_and_saveexec_b32 s9, vcc_lo
	s_cbranch_execz .LBB49_177
; %bb.176:                              ;   in Loop: Header=BB49_175 Depth=2
	ds_load_b32 v14, v1
.LBB49_177:                             ;   in Loop: Header=BB49_175 Depth=2
	s_or_b32 exec_lo, exec_lo, s9
	s_and_saveexec_b32 s9, vcc_lo
	s_cbranch_execz .LBB49_174
; %bb.178:                              ;   in Loop: Header=BB49_175 Depth=2
	s_waitcnt lgkmcnt(0)
	v_cmp_lt_i32_e32 vcc_lo, -1, v14
	v_cndmask_b32_e64 v3, -1, 0x80000000, vcc_lo
	v_cmp_o_f32_e32 vcc_lo, v14, v14
	s_delay_alu instid0(VALU_DEP_2) | instskip(NEXT) | instid1(VALU_DEP_1)
	v_xor_b32_e32 v3, v3, v14
	v_cndmask_b32_e32 v3, -1, v3, vcc_lo
	s_delay_alu instid0(VALU_DEP_1) | instskip(NEXT) | instid1(VALU_DEP_1)
	v_and_b32_e32 v3, s83, v3
	v_cmp_eq_u32_e32 vcc_lo, s82, v3
	s_and_b32 exec_lo, exec_lo, vcc_lo
	s_cbranch_execz .LBB49_174
; %bb.179:                              ;   in Loop: Header=BB49_175 Depth=2
	ds_store_b64 v7, v[13:14] offset:3072
	s_branch .LBB49_174
.LBB49_180:                             ;   in Loop: Header=BB49_8 Depth=1
	s_set_inst_prefetch_distance 0x2
	s_or_b32 exec_lo, exec_lo, s23
	s_delay_alu instid0(SALU_CYCLE_1)
	s_and_b32 s27, s27, exec_lo
.LBB49_181:                             ;   in Loop: Header=BB49_8 Depth=1
	s_or_b32 exec_lo, exec_lo, s21
	s_mov_b32 s23, -1
	s_mov_b32 s21, 0
	s_mov_b32 s22, 0
.LBB49_182:                             ;   in Loop: Header=BB49_8 Depth=1
	s_mov_b32 s28, 0
                                        ; implicit-def: $sgpr9
	s_and_saveexec_b32 s24, s27
	s_cbranch_execz .LBB49_237
; %bb.183:                              ;   in Loop: Header=BB49_8 Depth=1
	s_xor_b32 s9, s25, -1
	s_mov_b32 s27, 0
	s_and_not1_b32 vcc_lo, exec_lo, s9
	s_mov_b32 s25, 1
	s_cbranch_vccnz .LBB49_194
; %bb.184:                              ;   in Loop: Header=BB49_8 Depth=1
	s_cmp_gt_i32 s26, s16
	s_mov_b32 s27, -1
                                        ; implicit-def: $sgpr9
                                        ; implicit-def: $sgpr25
                                        ; implicit-def: $sgpr28
	s_cbranch_scc1 .LBB49_190
; %bb.185:                              ;   in Loop: Header=BB49_8 Depth=1
	ds_load_b32 v1, v7 offset:4096
	s_waitcnt lgkmcnt(0)
	v_cmp_ne_u32_e32 vcc_lo, 0, v1
	s_cbranch_vccnz .LBB49_189
; %bb.186:                              ;   in Loop: Header=BB49_8 Depth=1
	s_and_saveexec_b32 s9, s0
	s_cbranch_execz .LBB49_188
; %bb.187:                              ;   in Loop: Header=BB49_8 Depth=1
	v_mov_b32_e32 v1, s16
	ds_store_b32 v7, v1 offset:4100
.LBB49_188:                             ;   in Loop: Header=BB49_8 Depth=1
	s_or_b32 exec_lo, exec_lo, s9
	s_waitcnt lgkmcnt(0)
	s_barrier
	buffer_gl0_inv
.LBB49_189:                             ;   in Loop: Header=BB49_8 Depth=1
	s_lshl_b32 s9, 2, s18
	s_and_b32 s18, s82, s19
	s_or_b32 s28, s83, s11
	s_or_b32 s25, s18, s9
	s_mov_b32 s27, 0
	s_mov_b32 s9, 8
.LBB49_190:                             ;   in Loop: Header=BB49_8 Depth=1
	s_and_not1_b32 vcc_lo, exec_lo, s27
	s_cbranch_vccnz .LBB49_192
; %bb.191:                              ;   in Loop: Header=BB49_8 Depth=1
	s_sub_i32 s26, s26, s16
	s_mov_b32 s27, -1
	s_mov_b32 s9, 0
	s_mov_b32 s25, s82
	;; [unrolled: 1-line block ×3, first 2 shown]
.LBB49_192:                             ;   in Loop: Header=BB49_8 Depth=1
	s_delay_alu instid0(SALU_CYCLE_1)
	s_mov_b32 s83, s28
	s_mov_b32 s82, s25
	;; [unrolled: 1-line block ×3, first 2 shown]
	s_and_not1_b32 vcc_lo, exec_lo, s27
	s_mov_b32 s37, -1
	s_cbranch_vccz .LBB49_195
.LBB49_193:                             ;   in Loop: Header=BB49_8 Depth=1
                                        ; implicit-def: $sgpr19
                                        ; implicit-def: $sgpr27
                                        ; implicit-def: $sgpr26
	s_branch .LBB49_236
.LBB49_194:                             ;   in Loop: Header=BB49_8 Depth=1
	s_mov_b32 s9, 1
	s_and_not1_b32 vcc_lo, exec_lo, s27
	s_mov_b32 s37, -1
	s_cbranch_vccnz .LBB49_193
.LBB49_195:                             ;   in Loop: Header=BB49_8 Depth=1
	s_cmp_eq_u32 s10, 1
	s_mov_b32 s28, -1
	s_cselect_b32 s9, -1, 0
	s_cmp_eq_u32 s25, 1
	s_cselect_b32 s16, -1, 0
	s_delay_alu instid0(SALU_CYCLE_1) | instskip(NEXT) | instid1(SALU_CYCLE_1)
	s_and_b32 s16, s9, s16
	s_and_b32 vcc_lo, exec_lo, s16
	s_cbranch_vccz .LBB49_207
; %bb.196:                              ;   in Loop: Header=BB49_8 Depth=1
	ds_load_b32 v1, v7 offset:4096
	s_waitcnt lgkmcnt(0)
	s_barrier
	buffer_gl0_inv
	v_readfirstlane_b32 s18, v1
	s_and_saveexec_b32 s9, s1
	s_cbranch_execz .LBB49_198
; %bb.197:                              ;   in Loop: Header=BB49_8 Depth=1
	ds_store_b32 v20, v7
.LBB49_198:                             ;   in Loop: Header=BB49_8 Depth=1
	s_or_b32 exec_lo, exec_lo, s9
	s_or_b32 s82, s82, s11
	s_or_b32 s83, s83, s11
	s_cmp_gt_i32 s18, 0
	s_waitcnt lgkmcnt(0)
	s_barrier
	buffer_gl0_inv
	s_cbranch_scc1 .LBB49_208
; %bb.199:                              ;   in Loop: Header=BB49_8 Depth=1
	s_mov_b32 s28, 0
                                        ; implicit-def: $vgpr15
	s_and_saveexec_b32 s19, s8
	s_cbranch_execz .LBB49_210
; %bb.200:                              ;   in Loop: Header=BB49_8 Depth=1
	v_mov_b32_e32 v1, v5
	v_mov_b32_e32 v3, v0
	s_mov_b32 s26, 0
                                        ; implicit-def: $sgpr27
	s_set_inst_prefetch_distance 0x1
	s_branch .LBB49_202
	.p2align	6
.LBB49_201:                             ;   in Loop: Header=BB49_202 Depth=2
	s_or_b32 exec_lo, exec_lo, s9
	s_waitcnt vmcnt(0) lgkmcnt(0)
	s_barrier
	buffer_gl0_inv
	ds_load_b64 v[14:15], v7 offset:3072
	v_add_nc_u32_e32 v3, s56, v3
	v_add_nc_u32_e32 v1, s59, v1
	s_waitcnt lgkmcnt(0)
	s_barrier
	buffer_gl0_inv
	v_cmp_le_i32_e32 vcc_lo, s71, v3
	v_cmp_neq_f32_e64 s9, 0, v14
	s_delay_alu instid0(VALU_DEP_1) | instskip(NEXT) | instid1(SALU_CYCLE_1)
	s_or_b32 s28, vcc_lo, s9
	s_and_b32 s28, exec_lo, s28
	s_delay_alu instid0(SALU_CYCLE_1) | instskip(SKIP_2) | instid1(SALU_CYCLE_1)
	s_or_b32 s26, s28, s26
	s_and_not1_b32 s27, s27, exec_lo
	s_and_b32 s9, s9, exec_lo
	s_or_b32 s27, s27, s9
	s_and_not1_b32 exec_lo, exec_lo, s26
	s_cbranch_execz .LBB49_209
.LBB49_202:                             ;   Parent Loop BB49_8 Depth=1
                                        ; =>  This Inner Loop Header: Depth=2
	s_delay_alu instid0(VALU_DEP_1)
	v_cmp_gt_i32_e32 vcc_lo, s36, v3
	v_mov_b32_e32 v14, 0
	s_and_saveexec_b32 s28, vcc_lo
	s_cbranch_execz .LBB49_204
; %bb.203:                              ;   in Loop: Header=BB49_202 Depth=2
	v_ashrrev_i32_e32 v2, 31, v1
	s_delay_alu instid0(VALU_DEP_1) | instskip(NEXT) | instid1(VALU_DEP_1)
	v_lshlrev_b64 v[14:15], 2, v[1:2]
	v_add_co_u32 v14, s9, s54, v14
	s_delay_alu instid0(VALU_DEP_1)
	v_add_co_ci_u32_e64 v15, s9, s55, v15, s9
	global_load_b32 v14, v[14:15], off
.LBB49_204:                             ;   in Loop: Header=BB49_202 Depth=2
	s_or_b32 exec_lo, exec_lo, s28
	s_and_saveexec_b32 s9, vcc_lo
	s_cbranch_execz .LBB49_201
; %bb.205:                              ;   in Loop: Header=BB49_202 Depth=2
	s_waitcnt vmcnt(0)
	v_cmp_lt_i32_e32 vcc_lo, -1, v14
	v_cndmask_b32_e64 v2, -1, 0x80000000, vcc_lo
	v_cmp_o_f32_e32 vcc_lo, v14, v14
	s_delay_alu instid0(VALU_DEP_2) | instskip(NEXT) | instid1(VALU_DEP_1)
	v_xor_b32_e32 v2, v2, v14
	v_cndmask_b32_e32 v2, -1, v2, vcc_lo
	s_delay_alu instid0(VALU_DEP_1) | instskip(NEXT) | instid1(VALU_DEP_1)
	v_and_b32_e32 v2, s83, v2
	v_cmp_eq_u32_e32 vcc_lo, s82, v2
	s_and_b32 exec_lo, exec_lo, vcc_lo
	s_cbranch_execz .LBB49_201
; %bb.206:                              ;   in Loop: Header=BB49_202 Depth=2
	ds_store_b64 v7, v[13:14] offset:3072
	s_branch .LBB49_201
.LBB49_207:                             ;   in Loop: Header=BB49_8 Depth=1
                                        ; implicit-def: $sgpr19
                                        ; implicit-def: $sgpr27
                                        ; implicit-def: $sgpr26
	s_branch .LBB49_221
.LBB49_208:                             ;   in Loop: Header=BB49_8 Depth=1
	s_mov_b32 s19, -1
	s_mov_b32 s28, 0
                                        ; implicit-def: $sgpr26
                                        ; implicit-def: $vgpr15
	s_mov_b32 s27, s19
	s_cbranch_execnz .LBB49_211
	s_branch .LBB49_221
.LBB49_209:                             ;   in Loop: Header=BB49_8 Depth=1
	s_set_inst_prefetch_distance 0x2
	s_or_b32 exec_lo, exec_lo, s26
	s_delay_alu instid0(SALU_CYCLE_1)
	s_and_b32 s28, s27, exec_lo
.LBB49_210:                             ;   in Loop: Header=BB49_8 Depth=1
	s_or_b32 exec_lo, exec_lo, s19
	s_mov_b32 s26, -1
	s_mov_b32 s19, 0
	s_delay_alu instid0(SALU_CYCLE_1)
	s_mov_b32 s27, s19
	s_branch .LBB49_221
.LBB49_211:                             ;   in Loop: Header=BB49_8 Depth=1
	s_add_i32 s26, s18, s60
	s_mov_b32 s28, 0
	s_abs_i32 s9, s26
                                        ; implicit-def: $vgpr15
	s_delay_alu instid0(SALU_CYCLE_1) | instskip(NEXT) | instid1(SALU_CYCLE_1)
	s_mul_hi_u32 s19, s9, s70
	s_mul_i32 s19, s19, s56
	s_delay_alu instid0(SALU_CYCLE_1) | instskip(SKIP_4) | instid1(SALU_CYCLE_1)
	s_sub_i32 s9, s9, s19
	s_ashr_i32 s19, s26, 31
	s_sub_i32 s27, s9, s56
	s_cmp_ge_u32 s9, s56
	s_cselect_b32 s9, s27, s9
	s_sub_i32 s27, s9, s56
	s_cmp_ge_u32 s9, s56
	s_cselect_b32 s9, s27, s9
	s_delay_alu instid0(SALU_CYCLE_1) | instskip(NEXT) | instid1(SALU_CYCLE_1)
	s_xor_b32 s9, s9, s19
	s_sub_i32 s9, s19, s9
	s_mov_b32 s19, exec_lo
	s_add_i32 s26, s26, s9
	s_delay_alu instid0(SALU_CYCLE_1)
	v_cmpx_gt_i32_e64 s26, v0
	s_cbranch_execz .LBB49_220
; %bb.212:                              ;   in Loop: Header=BB49_8 Depth=1
	v_dual_mov_b32 v1, v19 :: v_dual_mov_b32 v2, v0
	s_mov_b32 s27, 0
                                        ; implicit-def: $sgpr28
	s_set_inst_prefetch_distance 0x1
	s_branch .LBB49_214
	.p2align	6
.LBB49_213:                             ;   in Loop: Header=BB49_214 Depth=2
	s_or_b32 exec_lo, exec_lo, s9
	s_waitcnt lgkmcnt(0)
	s_barrier
	buffer_gl0_inv
	ds_load_b64 v[14:15], v7 offset:3072
	v_add_nc_u32_e32 v2, s56, v2
	v_add_nc_u32_e32 v1, s58, v1
	s_waitcnt lgkmcnt(0)
	s_barrier
	buffer_gl0_inv
	v_cmp_le_i32_e32 vcc_lo, s26, v2
	v_cmp_neq_f32_e64 s9, 0, v14
	s_delay_alu instid0(VALU_DEP_1) | instskip(NEXT) | instid1(SALU_CYCLE_1)
	s_or_b32 s37, vcc_lo, s9
	s_and_b32 s37, exec_lo, s37
	s_delay_alu instid0(SALU_CYCLE_1) | instskip(SKIP_2) | instid1(SALU_CYCLE_1)
	s_or_b32 s27, s37, s27
	s_and_not1_b32 s28, s28, exec_lo
	s_and_b32 s9, s9, exec_lo
	s_or_b32 s28, s28, s9
	s_and_not1_b32 exec_lo, exec_lo, s27
	s_cbranch_execz .LBB49_219
.LBB49_214:                             ;   Parent Loop BB49_8 Depth=1
                                        ; =>  This Inner Loop Header: Depth=2
	s_delay_alu instid0(VALU_DEP_1)
	v_cmp_gt_i32_e32 vcc_lo, s18, v2
	v_mov_b32_e32 v14, 0
	s_and_saveexec_b32 s9, vcc_lo
	s_cbranch_execz .LBB49_216
; %bb.215:                              ;   in Loop: Header=BB49_214 Depth=2
	ds_load_b32 v14, v1
.LBB49_216:                             ;   in Loop: Header=BB49_214 Depth=2
	s_or_b32 exec_lo, exec_lo, s9
	s_and_saveexec_b32 s9, vcc_lo
	s_cbranch_execz .LBB49_213
; %bb.217:                              ;   in Loop: Header=BB49_214 Depth=2
	s_waitcnt lgkmcnt(0)
	v_cmp_lt_i32_e32 vcc_lo, -1, v14
	v_cndmask_b32_e64 v3, -1, 0x80000000, vcc_lo
	v_cmp_o_f32_e32 vcc_lo, v14, v14
	s_delay_alu instid0(VALU_DEP_2) | instskip(NEXT) | instid1(VALU_DEP_1)
	v_xor_b32_e32 v3, v3, v14
	v_cndmask_b32_e32 v3, -1, v3, vcc_lo
	s_delay_alu instid0(VALU_DEP_1) | instskip(NEXT) | instid1(VALU_DEP_1)
	v_and_b32_e32 v3, s83, v3
	v_cmp_eq_u32_e32 vcc_lo, s82, v3
	s_and_b32 exec_lo, exec_lo, vcc_lo
	s_cbranch_execz .LBB49_213
; %bb.218:                              ;   in Loop: Header=BB49_214 Depth=2
	ds_store_b64 v7, v[13:14] offset:3072
	s_branch .LBB49_213
.LBB49_219:                             ;   in Loop: Header=BB49_8 Depth=1
	s_set_inst_prefetch_distance 0x2
	s_or_b32 exec_lo, exec_lo, s27
	s_delay_alu instid0(SALU_CYCLE_1)
	s_and_b32 s28, s28, exec_lo
.LBB49_220:                             ;   in Loop: Header=BB49_8 Depth=1
	s_or_b32 exec_lo, exec_lo, s19
	s_mov_b32 s27, -1
	s_mov_b32 s19, 0
	s_mov_b32 s26, 0
.LBB49_221:                             ;   in Loop: Header=BB49_8 Depth=1
	s_mov_b32 s37, 0
                                        ; implicit-def: $sgpr9
	s_and_saveexec_b32 s18, s28
	s_cbranch_execz .LBB49_235
; %bb.222:                              ;   in Loop: Header=BB49_8 Depth=1
	s_xor_b32 s9, s16, -1
	s_delay_alu instid0(SALU_CYCLE_1)
	s_and_not1_b32 vcc_lo, exec_lo, s9
	s_mov_b32 s9, 1
	s_cbranch_vccnz .LBB49_229
; %bb.223:                              ;   in Loop: Header=BB49_8 Depth=1
	s_cmp_gt_i32 s25, s10
	s_cbranch_scc1 .LBB49_230
; %bb.224:                              ;   in Loop: Header=BB49_8 Depth=1
	ds_load_b32 v1, v7 offset:4096
	s_waitcnt lgkmcnt(0)
	v_cmp_ne_u32_e32 vcc_lo, 0, v1
	s_cbranch_vccnz .LBB49_228
; %bb.225:                              ;   in Loop: Header=BB49_8 Depth=1
	s_and_saveexec_b32 s9, s0
	s_cbranch_execz .LBB49_227
; %bb.226:                              ;   in Loop: Header=BB49_8 Depth=1
	v_mov_b32_e32 v1, s10
	ds_store_b32 v7, v1 offset:4100
.LBB49_227:                             ;   in Loop: Header=BB49_8 Depth=1
	s_or_b32 exec_lo, exec_lo, s9
	s_waitcnt lgkmcnt(0)
	s_barrier
	buffer_gl0_inv
.LBB49_228:                             ;   in Loop: Header=BB49_8 Depth=1
	s_or_b32 s16, s82, s11
	s_or_b32 s11, s83, s11
	s_mov_b32 s28, 0
	s_mov_b32 s9, 8
	s_branch .LBB49_231
.LBB49_229:                             ;   in Loop: Header=BB49_8 Depth=1
	s_mov_b32 s25, 1
	s_branch .LBB49_234
.LBB49_230:                             ;   in Loop: Header=BB49_8 Depth=1
	s_mov_b32 s28, -1
                                        ; implicit-def: $sgpr9
                                        ; implicit-def: $sgpr16
                                        ; implicit-def: $sgpr11
.LBB49_231:                             ;   in Loop: Header=BB49_8 Depth=1
	s_delay_alu instid0(SALU_CYCLE_1)
	s_and_not1_b32 vcc_lo, exec_lo, s28
	s_cbranch_vccnz .LBB49_233
; %bb.232:                              ;   in Loop: Header=BB49_8 Depth=1
	s_sub_i32 s25, s25, s10
	s_mov_b32 s9, 8
	s_mov_b32 s16, s82
	;; [unrolled: 1-line block ×3, first 2 shown]
.LBB49_233:                             ;   in Loop: Header=BB49_8 Depth=1
	s_mov_b32 s82, s16
	s_mov_b32 s83, s11
.LBB49_234:                             ;   in Loop: Header=BB49_8 Depth=1
	s_mov_b32 s37, exec_lo
.LBB49_235:                             ;   in Loop: Header=BB49_8 Depth=1
	s_or_b32 exec_lo, exec_lo, s18
.LBB49_236:                             ;   in Loop: Header=BB49_8 Depth=1
	s_delay_alu instid0(SALU_CYCLE_1)
	s_and_not1_b32 s10, s21, exec_lo
	s_and_b32 s11, s19, exec_lo
	s_and_not1_b32 s16, s22, exec_lo
	s_or_b32 s21, s10, s11
	s_and_not1_b32 s10, s23, exec_lo
	s_and_b32 s11, s27, exec_lo
	s_and_b32 s18, s26, exec_lo
	s_or_b32 s23, s10, s11
	s_or_b32 s22, s16, s18
	s_and_b32 s28, s37, exec_lo
	s_mov_b32 s26, s25
.LBB49_237:                             ;   in Loop: Header=BB49_8 Depth=1
	s_or_b32 exec_lo, exec_lo, s24
.LBB49_238:                             ;   in Loop: Header=BB49_8 Depth=1
	s_delay_alu instid0(SALU_CYCLE_1)
	s_and_not1_b32 s10, s15, exec_lo
	s_and_b32 s11, s21, exec_lo
	s_and_not1_b32 s14, s14, exec_lo
	s_or_b32 s15, s10, s11
	s_and_not1_b32 s10, s17, exec_lo
	s_and_b32 s11, s23, exec_lo
	s_and_b32 s16, s22, exec_lo
	s_or_b32 s17, s10, s11
	s_or_b32 s14, s14, s16
	s_and_b32 s25, s28, exec_lo
	s_mov_b32 s22, s26
.LBB49_239:                             ;   in Loop: Header=BB49_8 Depth=1
	s_or_b32 exec_lo, exec_lo, s20
	s_and_saveexec_b32 s10, s25
	s_delay_alu instid0(SALU_CYCLE_1)
	s_xor_b32 s10, exec_lo, s10
	s_cbranch_execz .LBB49_6
.LBB49_240:                             ;   in Loop: Header=BB49_8 Depth=1
	s_and_b32 s9, s9, -9
	s_delay_alu instid0(SALU_CYCLE_1)
	s_cmp_eq_u32 s9, 0
	s_cbranch_scc1 .LBB49_4
; %bb.241:                              ;   in Loop: Header=BB49_8 Depth=1
	s_mov_b32 s9, -1
	s_mov_b32 s11, -1
                                        ; implicit-def: $sgpr83
                                        ; implicit-def: $sgpr22
                                        ; implicit-def: $sgpr77
                                        ; implicit-def: $sgpr80
	s_branch .LBB49_5
.LBB49_242:
	s_or_b32 exec_lo, exec_lo, s57
	s_xor_b32 s3, s76, -1
	s_xor_b32 s2, s74, -1
	;; [unrolled: 1-line block ×3, first 2 shown]
	s_mov_b32 s1, 0
	s_and_saveexec_b32 s5, s2
	s_delay_alu instid0(SALU_CYCLE_1)
	s_xor_b32 s2, exec_lo, s5
	s_cbranch_execz .LBB49_263
; %bb.243:
	s_and_saveexec_b32 s1, s3
	s_delay_alu instid0(SALU_CYCLE_1)
	s_xor_b32 s3, exec_lo, s1
	s_cbranch_execz .LBB49_261
; %bb.244:
	s_and_saveexec_b32 s1, s4
	s_delay_alu instid0(SALU_CYCLE_1)
	s_xor_b32 s1, exec_lo, s1
; %bb.245:
	v_cmp_lt_i32_e32 vcc_lo, -1, v1
	v_cndmask_b32_e64 v2, 0x80000000, -1, vcc_lo
	s_delay_alu instid0(VALU_DEP_1)
	v_xor_b32_e32 v15, v2, v1
; %bb.246:
	s_or_b32 exec_lo, exec_lo, s1
	s_and_saveexec_b32 s1, s0
	s_cbranch_execz .LBB49_248
; %bb.247:
	v_dual_mov_b32 v1, 0 :: v_dual_mov_b32 v2, s36
	ds_store_b32 v1, v2 offset:4108
.LBB49_248:
	s_or_b32 exec_lo, exec_lo, s1
	v_mov_b32_e32 v1, 0
	s_waitcnt lgkmcnt(0)
	s_barrier
	buffer_gl0_inv
	s_mov_b32 s4, exec_lo
	ds_load_b32 v1, v1 offset:4108
	s_waitcnt lgkmcnt(0)
	v_min_i32_e32 v1, s36, v1
	s_delay_alu instid0(VALU_DEP_1)
	v_cmpx_lt_i32_e64 v0, v1
	s_cbranch_execz .LBB49_258
; %bb.249:
	v_cmp_u_f32_e32 vcc_lo, v15, v15
	s_mov_b32 s5, 0
                                        ; implicit-def: $sgpr6
                                        ; implicit-def: $sgpr9
                                        ; implicit-def: $sgpr8
	s_xor_b32 s7, vcc_lo, -1
	s_set_inst_prefetch_distance 0x1
	s_branch .LBB49_251
	.p2align	6
.LBB49_250:                             ;   in Loop: Header=BB49_251 Depth=1
	s_or_b32 exec_lo, exec_lo, s1
	s_delay_alu instid0(SALU_CYCLE_1) | instskip(NEXT) | instid1(SALU_CYCLE_1)
	s_and_b32 s1, exec_lo, s9
	s_or_b32 s5, s1, s5
	s_and_not1_b32 s1, s6, exec_lo
	s_and_b32 s6, s8, exec_lo
	s_delay_alu instid0(SALU_CYCLE_1)
	s_or_b32 s6, s1, s6
	s_and_not1_b32 exec_lo, exec_lo, s5
	s_cbranch_execz .LBB49_253
.LBB49_251:                             ; =>This Inner Loop Header: Depth=1
	v_ashrrev_i32_e32 v6, 31, v5
	s_or_b32 s8, s8, exec_lo
	s_or_b32 s9, s9, exec_lo
	s_delay_alu instid0(VALU_DEP_1) | instskip(NEXT) | instid1(VALU_DEP_1)
	v_lshlrev_b64 v[2:3], 2, v[5:6]
	v_add_co_u32 v2, vcc_lo, s54, v2
	s_delay_alu instid0(VALU_DEP_2)
	v_add_co_ci_u32_e32 v3, vcc_lo, s55, v3, vcc_lo
	global_load_b32 v2, v[2:3], off
	s_waitcnt vmcnt(0)
	v_cmp_o_f32_e32 vcc_lo, v2, v2
	v_cmp_neq_f32_e64 s1, v2, v15
	v_mov_b32_e32 v2, v0
                                        ; implicit-def: $vgpr0
	s_or_b32 s10, vcc_lo, s7
	s_delay_alu instid0(VALU_DEP_2) | instid1(SALU_CYCLE_1)
	s_and_b32 s10, s1, s10
	s_delay_alu instid0(SALU_CYCLE_1)
	s_and_saveexec_b32 s1, s10
	s_cbranch_execz .LBB49_250
; %bb.252:                              ;   in Loop: Header=BB49_251 Depth=1
	v_add_nc_u32_e32 v0, s56, v2
	s_and_not1_b32 s9, s9, exec_lo
	v_add_nc_u32_e32 v5, s59, v5
	s_and_not1_b32 s8, s8, exec_lo
	s_delay_alu instid0(VALU_DEP_2) | instskip(SKIP_1) | instid1(SALU_CYCLE_1)
	v_cmp_ge_i32_e32 vcc_lo, v0, v1
	s_and_b32 s10, vcc_lo, exec_lo
	s_or_b32 s9, s9, s10
	s_branch .LBB49_250
.LBB49_253:
	s_set_inst_prefetch_distance 0x2
	s_or_b32 exec_lo, exec_lo, s5
	s_and_saveexec_b32 s1, s6
	s_delay_alu instid0(SALU_CYCLE_1)
	s_xor_b32 s1, exec_lo, s1
	s_cbranch_execz .LBB49_258
; %bb.254:
	s_mov_b32 s5, exec_lo
	s_brev_b32 s1, -2
.LBB49_255:                             ; =>This Inner Loop Header: Depth=1
	s_ctz_i32_b32 s6, s5
	s_delay_alu instid0(SALU_CYCLE_1) | instskip(SKIP_1) | instid1(SALU_CYCLE_1)
	v_readlane_b32 s7, v2, s6
	s_lshl_b32 s6, 1, s6
	s_and_not1_b32 s5, s5, s6
	s_delay_alu instid0(VALU_DEP_1)
	s_min_i32 s1, s1, s7
	s_cmp_lg_u32 s5, 0
	s_cbranch_scc1 .LBB49_255
; %bb.256:
	v_mbcnt_lo_u32_b32 v0, exec_lo, 0
	s_mov_b32 s5, exec_lo
	s_delay_alu instid0(VALU_DEP_1)
	v_cmpx_eq_u32_e32 0, v0
	s_xor_b32 s5, exec_lo, s5
	s_cbranch_execz .LBB49_258
; %bb.257:
	v_dual_mov_b32 v0, 0 :: v_dual_mov_b32 v1, s1
	ds_min_i32 v0, v1 offset:4108
.LBB49_258:
	s_or_b32 exec_lo, exec_lo, s4
	s_waitcnt lgkmcnt(0)
	s_barrier
	buffer_gl0_inv
	s_and_saveexec_b32 s1, s0
	s_cbranch_execz .LBB49_260
; %bb.259:
	s_mul_i32 s0, s52, s49
	s_xor_b32 s4, s48, s53
	s_sub_i32 s0, s47, s0
	s_add_i32 s5, s52, 1
	s_sub_i32 s6, s0, s49
	s_cmp_ge_u32 s0, s49
	v_mov_b32_e32 v2, 0
	s_cselect_b32 s5, s5, s52
	s_cselect_b32 s0, s6, s0
	s_add_i32 s6, s5, 1
	s_cmp_ge_u32 s0, s49
	s_mul_i32 s0, s50, s46
	s_cselect_b32 s5, s6, s5
	s_sub_i32 s0, s47, s0
	s_xor_b32 s5, s5, s4
	s_xor_b32 s6, s48, s51
	s_sub_i32 s4, s5, s4
	s_add_i32 s7, s50, 1
	s_mul_i32 s5, s4, s38
	s_mul_i32 s4, s4, s42
	s_sub_i32 s5, s29, s5
	s_sub_i32 s8, s0, s46
	s_mul_i32 s5, s5, s43
	ds_load_b32 v0, v2 offset:4108
	s_add_i32 s4, s4, s5
	s_cmp_ge_u32 s0, s46
	s_cselect_b32 s5, s7, s50
	s_cselect_b32 s0, s8, s0
	s_add_i32 s7, s5, 1
	s_cmp_ge_u32 s0, s46
	s_cselect_b32 s0, s7, s5
	s_ashr_i32 s5, s4, 31
	s_xor_b32 s0, s0, s6
	s_lshl_b64 s[4:5], s[4:5], 2
	s_sub_i32 s0, s0, s6
	s_delay_alu instid0(SALU_CYCLE_1) | instskip(SKIP_2) | instid1(SALU_CYCLE_1)
	s_mul_i32 s6, s0, s33
	s_mul_i32 s0, s0, s40
	s_sub_i32 s6, s29, s6
	s_mul_i32 s6, s6, s41
	s_waitcnt lgkmcnt(0)
	v_ashrrev_i32_e32 v1, 31, v0
	s_add_i32 s6, s0, s6
	s_add_u32 s4, s34, s4
	s_addc_u32 s5, s35, s5
	s_ashr_i32 s7, s6, 31
	s_delay_alu instid0(SALU_CYCLE_1) | instskip(NEXT) | instid1(SALU_CYCLE_1)
	s_lshl_b64 s[6:7], s[6:7], 3
	s_add_u32 s6, s30, s6
	s_addc_u32 s7, s31, s7
	s_clause 0x1
	global_store_b64 v2, v[0:1], s[6:7]
	global_store_b32 v2, v15, s[4:5]
.LBB49_260:
	s_or_b32 exec_lo, exec_lo, s1
.LBB49_261:
	s_or_saveexec_b32 s0, s3
	s_mov_b32 s1, 0
	s_xor_b32 exec_lo, exec_lo, s0
	s_cbranch_execnz .LBB49_269
.LBB49_262:
	s_or_b32 exec_lo, exec_lo, s0
	s_delay_alu instid0(SALU_CYCLE_1)
	s_and_b32 s1, s1, exec_lo
.LBB49_263:
	s_and_not1_saveexec_b32 s0, s2
	s_cbranch_execnz .LBB49_267
; %bb.264:
	s_or_b32 exec_lo, exec_lo, s0
	s_and_saveexec_b32 s0, s1
.LBB49_265:
	; divergent unreachable
.LBB49_266:
	s_nop 0
	s_sendmsg sendmsg(MSG_DEALLOC_VGPRS)
	s_endpgm
.LBB49_267:
	s_cbranch_execnz .LBB49_271
; %bb.268:
	s_or_b32 s1, s1, exec_lo
	s_or_b32 exec_lo, exec_lo, s0
	s_and_saveexec_b32 s0, s1
	s_cbranch_execnz .LBB49_265
	s_branch .LBB49_266
.LBB49_269:
	s_cbranch_execnz .LBB49_273
; %bb.270:
	s_mov_b32 s1, exec_lo
	s_branch .LBB49_262
.LBB49_271:
	s_trap 2
	s_sendmsg_rtn_b32 s0, sendmsg(MSG_RTN_GET_DOORBELL)
	s_mov_b32 ttmp2, m0
	s_waitcnt lgkmcnt(0)
	s_and_b32 s0, s0, 0x3ff
	s_delay_alu instid0(SALU_CYCLE_1) | instskip(NEXT) | instid1(SALU_CYCLE_1)
	s_bitset1_b32 s0, 10
	s_mov_b32 m0, s0
	s_sendmsg sendmsg(MSG_INTERRUPT)
	s_mov_b32 m0, ttmp2
.LBB49_272:                             ; =>This Inner Loop Header: Depth=1
	s_sethalt 5
	s_branch .LBB49_272
.LBB49_273:
	s_trap 2
	s_sendmsg_rtn_b32 s0, sendmsg(MSG_RTN_GET_DOORBELL)
	s_mov_b32 ttmp2, m0
	s_waitcnt lgkmcnt(0)
	s_and_b32 s0, s0, 0x3ff
	s_delay_alu instid0(SALU_CYCLE_1) | instskip(NEXT) | instid1(SALU_CYCLE_1)
	s_bitset1_b32 s0, 10
	s_mov_b32 m0, s0
	s_sendmsg sendmsg(MSG_INTERRUPT)
	s_mov_b32 m0, ttmp2
.LBB49_274:                             ; =>This Inner Loop Header: Depth=1
	s_sethalt 5
	s_branch .LBB49_274
	.section	.rodata,"a",@progbits
	.p2align	6, 0x0
	.amdhsa_kernel _ZN2at6native12_GLOBAL__N_114gatherKthValueIfiLi2EEEvNS_4cuda6detail10TensorInfoIKT_T0_EES8_S8_S8_S8_NS5_IS6_S8_EENS5_IlS8_EE
		.amdhsa_group_segment_fixed_size 4112
		.amdhsa_private_segment_fixed_size 0
		.amdhsa_kernarg_size 920
		.amdhsa_user_sgpr_count 13
		.amdhsa_user_sgpr_dispatch_ptr 0
		.amdhsa_user_sgpr_queue_ptr 0
		.amdhsa_user_sgpr_kernarg_segment_ptr 1
		.amdhsa_user_sgpr_dispatch_id 0
		.amdhsa_user_sgpr_private_segment_size 0
		.amdhsa_wavefront_size32 1
		.amdhsa_uses_dynamic_stack 0
		.amdhsa_enable_private_segment 0
		.amdhsa_system_sgpr_workgroup_id_x 1
		.amdhsa_system_sgpr_workgroup_id_y 1
		.amdhsa_system_sgpr_workgroup_id_z 1
		.amdhsa_system_sgpr_workgroup_info 0
		.amdhsa_system_vgpr_workitem_id 0
		.amdhsa_next_free_vgpr 40
		.amdhsa_next_free_sgpr 93
		.amdhsa_reserve_vcc 1
		.amdhsa_float_round_mode_32 0
		.amdhsa_float_round_mode_16_64 0
		.amdhsa_float_denorm_mode_32 3
		.amdhsa_float_denorm_mode_16_64 3
		.amdhsa_dx10_clamp 1
		.amdhsa_ieee_mode 1
		.amdhsa_fp16_overflow 0
		.amdhsa_workgroup_processor_mode 1
		.amdhsa_memory_ordered 1
		.amdhsa_forward_progress 0
		.amdhsa_shared_vgpr_count 0
		.amdhsa_exception_fp_ieee_invalid_op 0
		.amdhsa_exception_fp_denorm_src 0
		.amdhsa_exception_fp_ieee_div_zero 0
		.amdhsa_exception_fp_ieee_overflow 0
		.amdhsa_exception_fp_ieee_underflow 0
		.amdhsa_exception_fp_ieee_inexact 0
		.amdhsa_exception_int_div_zero 0
	.end_amdhsa_kernel
	.section	.text._ZN2at6native12_GLOBAL__N_114gatherKthValueIfiLi2EEEvNS_4cuda6detail10TensorInfoIKT_T0_EES8_S8_S8_S8_NS5_IS6_S8_EENS5_IlS8_EE,"axG",@progbits,_ZN2at6native12_GLOBAL__N_114gatherKthValueIfiLi2EEEvNS_4cuda6detail10TensorInfoIKT_T0_EES8_S8_S8_S8_NS5_IS6_S8_EENS5_IlS8_EE,comdat
.Lfunc_end49:
	.size	_ZN2at6native12_GLOBAL__N_114gatherKthValueIfiLi2EEEvNS_4cuda6detail10TensorInfoIKT_T0_EES8_S8_S8_S8_NS5_IS6_S8_EENS5_IlS8_EE, .Lfunc_end49-_ZN2at6native12_GLOBAL__N_114gatherKthValueIfiLi2EEEvNS_4cuda6detail10TensorInfoIKT_T0_EES8_S8_S8_S8_NS5_IS6_S8_EENS5_IlS8_EE
                                        ; -- End function
	.section	.AMDGPU.csdata,"",@progbits
; Kernel info:
; codeLenInByte = 10596
; NumSgprs: 95
; NumVgprs: 40
; ScratchSize: 0
; MemoryBound: 0
; FloatMode: 240
; IeeeMode: 1
; LDSByteSize: 4112 bytes/workgroup (compile time only)
; SGPRBlocks: 11
; VGPRBlocks: 4
; NumSGPRsForWavesPerEU: 95
; NumVGPRsForWavesPerEU: 40
; Occupancy: 16
; WaveLimiterHint : 1
; COMPUTE_PGM_RSRC2:SCRATCH_EN: 0
; COMPUTE_PGM_RSRC2:USER_SGPR: 13
; COMPUTE_PGM_RSRC2:TRAP_HANDLER: 0
; COMPUTE_PGM_RSRC2:TGID_X_EN: 1
; COMPUTE_PGM_RSRC2:TGID_Y_EN: 1
; COMPUTE_PGM_RSRC2:TGID_Z_EN: 1
; COMPUTE_PGM_RSRC2:TIDIG_COMP_CNT: 0
	.section	.text._ZN2at6native12_GLOBAL__N_114gatherKthValueIfiLi3EEEvNS_4cuda6detail10TensorInfoIKT_T0_EES8_S8_S8_S8_NS5_IS6_S8_EENS5_IlS8_EE,"axG",@progbits,_ZN2at6native12_GLOBAL__N_114gatherKthValueIfiLi3EEEvNS_4cuda6detail10TensorInfoIKT_T0_EES8_S8_S8_S8_NS5_IS6_S8_EENS5_IlS8_EE,comdat
	.globl	_ZN2at6native12_GLOBAL__N_114gatherKthValueIfiLi3EEEvNS_4cuda6detail10TensorInfoIKT_T0_EES8_S8_S8_S8_NS5_IS6_S8_EENS5_IlS8_EE ; -- Begin function _ZN2at6native12_GLOBAL__N_114gatherKthValueIfiLi3EEEvNS_4cuda6detail10TensorInfoIKT_T0_EES8_S8_S8_S8_NS5_IS6_S8_EENS5_IlS8_EE
	.p2align	8
	.type	_ZN2at6native12_GLOBAL__N_114gatherKthValueIfiLi3EEEvNS_4cuda6detail10TensorInfoIKT_T0_EES8_S8_S8_S8_NS5_IS6_S8_EENS5_IlS8_EE,@function
_ZN2at6native12_GLOBAL__N_114gatherKthValueIfiLi3EEEvNS_4cuda6detail10TensorInfoIKT_T0_EES8_S8_S8_S8_NS5_IS6_S8_EENS5_IlS8_EE: ; @_ZN2at6native12_GLOBAL__N_114gatherKthValueIfiLi3EEEvNS_4cuda6detail10TensorInfoIKT_T0_EES8_S8_S8_S8_NS5_IS6_S8_EENS5_IlS8_EE
; %bb.0:
	s_clause 0x1
	s_load_b64 s[8:9], s[0:1], 0x298
	s_load_b128 s[44:47], s[0:1], 0xd8
	s_add_u32 s2, s0, 0x298
	s_addc_u32 s3, s1, 0
	s_waitcnt lgkmcnt(0)
	s_mul_i32 s4, s9, s15
	s_delay_alu instid0(SALU_CYCLE_1) | instskip(NEXT) | instid1(SALU_CYCLE_1)
	s_add_i32 s4, s4, s14
	s_mul_i32 s29, s4, s8
	s_delay_alu instid0(SALU_CYCLE_1) | instskip(NEXT) | instid1(SALU_CYCLE_1)
	s_add_i32 s29, s29, s13
	s_cmp_ge_i32 s29, s46
	s_cbranch_scc1 .LBB50_266
; %bb.1:
	s_clause 0x3
	s_load_b64 s[10:11], s[0:1], 0xc
	s_load_b64 s[30:31], s[0:1], 0xf4
	;; [unrolled: 1-line block ×4, first 2 shown]
	s_abs_i32 s14, s29
	s_mov_b32 s65, 0
	s_waitcnt lgkmcnt(0)
	s_ashr_i32 s4, s11, 31
	s_delay_alu instid0(SALU_CYCLE_1) | instskip(NEXT) | instid1(SALU_CYCLE_1)
	s_add_i32 s5, s11, s4
	s_xor_b32 s5, s5, s4
	s_delay_alu instid0(SALU_CYCLE_1) | instskip(SKIP_1) | instid1(VALU_DEP_1)
	v_cvt_f32_u32_e32 v1, s5
	s_sub_i32 s7, 0, s5
	v_rcp_iflag_f32_e32 v1, v1
	s_waitcnt_depctr 0xfff
	v_mul_f32_e32 v1, 0x4f7ffffe, v1
	s_delay_alu instid0(VALU_DEP_1) | instskip(NEXT) | instid1(VALU_DEP_1)
	v_cvt_u32_f32_e32 v1, v1
	v_readfirstlane_b32 s6, v1
	s_delay_alu instid0(VALU_DEP_1) | instskip(NEXT) | instid1(SALU_CYCLE_1)
	s_mul_i32 s7, s7, s6
	s_mul_hi_u32 s7, s6, s7
	s_delay_alu instid0(SALU_CYCLE_1)
	s_add_i32 s6, s6, s7
	s_ashr_i32 s7, s29, 31
	s_mul_hi_u32 s6, s14, s6
	s_xor_b32 s4, s7, s4
	s_mul_i32 s9, s6, s5
	s_add_i32 s12, s6, 1
	s_sub_i32 s9, s14, s9
	s_delay_alu instid0(SALU_CYCLE_1)
	s_sub_i32 s15, s9, s5
	s_cmp_ge_u32 s9, s5
	s_cselect_b32 s6, s12, s6
	s_cselect_b32 s9, s15, s9
	s_add_i32 s12, s6, 1
	s_cmp_ge_u32 s9, s5
	s_cselect_b32 s5, s12, s6
	s_ashr_i32 s6, s31, 31
	s_abs_i32 s12, s10
	s_add_i32 s9, s31, s6
	v_cvt_f32_u32_e32 v2, s12
	s_xor_b32 s15, s9, s6
	s_xor_b32 s5, s5, s4
	v_cvt_f32_u32_e32 v1, s15
	s_sub_i32 s9, s5, s4
	v_rcp_iflag_f32_e32 v2, v2
	s_xor_b32 s5, s7, s6
	s_sub_i32 s6, 0, s15
	v_rcp_iflag_f32_e32 v1, v1
	s_sub_i32 s19, 0, s12
	s_ashr_i32 s16, s10, 31
	s_ashr_i32 s17, s9, 31
	s_abs_i32 s18, s9
	s_waitcnt_depctr 0xfff
	v_dual_mul_f32 v2, 0x4f7ffffe, v2 :: v_dual_mul_f32 v1, 0x4f7ffffe, v1
	s_delay_alu instid0(VALU_DEP_1) | instskip(NEXT) | instid1(VALU_DEP_2)
	v_cvt_u32_f32_e32 v2, v2
	v_cvt_u32_f32_e32 v1, v1
	s_delay_alu instid0(VALU_DEP_2) | instskip(NEXT) | instid1(VALU_DEP_2)
	v_readfirstlane_b32 s20, v2
	v_readfirstlane_b32 s4, v1
	s_delay_alu instid0(VALU_DEP_2) | instskip(NEXT) | instid1(VALU_DEP_1)
	s_mul_i32 s19, s19, s20
	s_mul_i32 s6, s6, s4
	s_delay_alu instid0(SALU_CYCLE_1) | instskip(NEXT) | instid1(SALU_CYCLE_1)
	s_mul_hi_u32 s6, s4, s6
	s_add_i32 s4, s4, s6
	s_mul_hi_u32 s6, s20, s19
	s_mul_hi_u32 s4, s14, s4
	s_add_i32 s20, s20, s6
	s_mul_i32 s19, s4, s15
	s_delay_alu instid0(SALU_CYCLE_1)
	s_sub_i32 s6, s14, s19
	s_add_i32 s19, s4, 1
	s_sub_i32 s21, s6, s15
	s_cmp_ge_u32 s6, s15
	s_cselect_b32 s4, s19, s4
	s_cselect_b32 s6, s21, s6
	s_add_i32 s19, s4, 1
	s_cmp_ge_u32 s6, s15
	s_cselect_b32 s4, s19, s4
	s_ashr_i32 s6, s35, 31
	s_abs_i32 s54, s30
	s_add_i32 s15, s35, s6
	v_cvt_f32_u32_e32 v2, s54
	s_xor_b32 s15, s15, s6
	s_xor_b32 s22, s7, s6
	v_cvt_f32_u32_e32 v1, s15
	s_sub_i32 s6, 0, s15
	v_rcp_iflag_f32_e32 v2, v2
	s_xor_b32 s4, s4, s5
	s_sub_i32 s21, 0, s54
	v_rcp_iflag_f32_e32 v1, v1
	s_sub_i32 s46, s4, s5
	s_delay_alu instid0(SALU_CYCLE_1) | instskip(SKIP_2) | instid1(VALU_DEP_1)
	s_abs_i32 s55, s46
	s_waitcnt_depctr 0xfff
	v_dual_mul_f32 v2, 0x4f7ffffe, v2 :: v_dual_mul_f32 v1, 0x4f7ffffe, v1
	v_cvt_u32_f32_e32 v2, v2
	s_delay_alu instid0(VALU_DEP_2) | instskip(NEXT) | instid1(VALU_DEP_2)
	v_cvt_u32_f32_e32 v1, v1
	v_readfirstlane_b32 s7, v2
	s_delay_alu instid0(VALU_DEP_2) | instskip(NEXT) | instid1(VALU_DEP_2)
	v_readfirstlane_b32 s19, v1
	s_mul_i32 s21, s21, s7
	s_delay_alu instid0(SALU_CYCLE_1) | instskip(NEXT) | instid1(VALU_DEP_1)
	s_mul_hi_u32 s5, s7, s21
	s_mul_i32 s6, s6, s19
	s_delay_alu instid0(SALU_CYCLE_1) | instskip(NEXT) | instid1(SALU_CYCLE_1)
	s_mul_hi_u32 s4, s19, s6
	s_add_i32 s19, s19, s4
	s_delay_alu instid0(SALU_CYCLE_1)
	s_mul_hi_u32 s4, s14, s19
	s_add_i32 s19, s7, s5
	s_mul_i32 s6, s4, s15
	s_mul_hi_u32 s59, s55, s19
	s_sub_i32 s5, s14, s6
	s_add_i32 s6, s4, 1
	s_sub_i32 s7, s5, s15
	s_cmp_ge_u32 s5, s15
	s_cselect_b32 s4, s6, s4
	s_cselect_b32 s5, s7, s5
	s_add_i32 s6, s4, 1
	s_cmp_ge_u32 s5, s15
	s_clause 0x1
	s_load_b128 s[40:43], s[0:1], 0x154
	s_load_b64 s[14:15], s[0:1], 0x0
	s_cselect_b32 s21, s6, s4
	s_abs_i32 s33, s34
	s_clause 0x2
	s_load_b128 s[36:39], s[0:1], 0x22c
	s_load_b64 s[50:51], s[0:1], 0xe8
	s_load_b128 s[4:7], s[0:1], 0x6c
	v_cvt_f32_u32_e32 v1, s33
	s_mul_hi_u32 s1, s18, s20
	s_sub_i32 s20, 0, s33
	s_xor_b32 s0, s21, s22
	s_delay_alu instid0(VALU_DEP_1)
	v_rcp_iflag_f32_e32 v1, v1
	s_waitcnt lgkmcnt(0)
	s_sub_i32 s39, s0, s22
	v_cmp_eq_u32_e64 s0, 0, v0
	s_abs_i32 s56, s39
	s_waitcnt_depctr 0xfff
	v_mul_f32_e32 v1, 0x4f7ffffe, v1
	s_delay_alu instid0(VALU_DEP_1) | instskip(NEXT) | instid1(VALU_DEP_1)
	v_cvt_u32_f32_e32 v1, v1
	v_readfirstlane_b32 s7, v1
	s_delay_alu instid0(VALU_DEP_1) | instskip(NEXT) | instid1(SALU_CYCLE_1)
	s_mul_i32 s20, s20, s7
	s_mul_hi_u32 s20, s7, s20
	s_delay_alu instid0(SALU_CYCLE_1) | instskip(NEXT) | instid1(SALU_CYCLE_1)
	s_add_i32 s7, s7, s20
	s_mul_hi_u32 s43, s56, s7
	s_and_saveexec_b32 s7, s0
	s_cbranch_execz .LBB50_3
; %bb.2:
	v_dual_mov_b32 v1, 0 :: v_dual_mov_b32 v2, s44
	s_delay_alu instid0(VALU_DEP_1)
	v_mov_b32_e32 v3, v1
	ds_store_b96 v1, v[1:3] offset:4096
.LBB50_3:
	s_or_b32 exec_lo, exec_lo, s7
	s_mul_i32 s7, s9, s11
	s_mul_i32 s11, s1, s12
	s_ashr_i32 s60, s46, 31
	s_sub_i32 s11, s18, s11
	s_ashr_i32 s61, s30, 31
	s_ashr_i32 s57, s39, 31
	;; [unrolled: 1-line block ×3, first 2 shown]
	s_sub_i32 s7, s29, s7
	s_xor_b32 s16, s17, s16
	s_add_i32 s17, s1, 1
	s_sub_i32 s18, s11, s12
	s_cmp_ge_u32 s11, s12
	s_waitcnt lgkmcnt(0)
	s_cselect_b32 s1, s17, s1
	s_cselect_b32 s11, s18, s11
	s_add_i32 s17, s1, 1
	s_cmp_ge_u32 s11, s12
	s_barrier
	s_cselect_b32 s1, s17, s1
	buffer_gl0_inv
	s_load_b32 s11, s[2:3], 0xc
	s_xor_b32 s1, s1, s16
	s_mul_i32 s7, s7, s6
	s_sub_i32 s1, s1, s16
	v_mbcnt_lo_u32_b32 v18, -1, 0
	s_mul_i32 s10, s1, s10
	s_mul_i32 s1, s1, s4
	s_sub_i32 s9, s9, s10
	v_cmp_gt_u32_e32 vcc_lo, 32, v0
	s_mul_i32 s5, s9, s5
	v_lshlrev_b32_e32 v19, 2, v0
	s_add_i32 s5, s5, s7
	v_mov_b32_e32 v7, 0
	s_add_i32 s4, s5, s1
	v_cmp_gt_i32_e64 s1, 4, v18
	v_add_nc_u32_e32 v20, 0xc00, v19
	s_ashr_i32 s5, s4, 31
	v_mul_lo_u32 v5, v0, s47
	s_lshl_b64 s[4:5], s[4:5], 2
	s_mov_b32 s10, s47
	s_add_u32 s62, s14, s4
	s_addc_u32 s63, s15, s5
	s_waitcnt lgkmcnt(0)
	s_and_b32 s64, s11, 0xffff
	s_bfe_u32 s4, s11, 0xb0005
	s_lshl_b32 s66, s64, 2
	s_add_i32 s68, s64, -1
	v_cvt_f32_u32_e32 v1, s66
	s_and_b32 s69, vcc_lo, s1
	s_add_i32 s79, s68, s44
	s_cmpk_gt_i32 s44, 0x300
	v_mad_u64_u32 v[12:13], null, s47, v19, s[10:11]
	v_rcp_iflag_f32_e32 v1, v1
	s_cselect_b32 s70, -1, 0
	s_cmp_gt_u32 s64, 31
	v_mov_b32_e32 v6, v7
	s_cselect_b32 s71, -1, 0
	s_cmp_lt_u32 s13, s8
	v_dual_mov_b32 v15, 0 :: v_dual_lshlrev_b32 v28, 4, v0
	s_cselect_b32 s1, 12, 18
	v_lshl_or_b32 v29, v18, 2, 0xc00
	s_waitcnt_depctr 0xfff
	v_mul_f32_e32 v1, 0x4f7ffffe, v1
	s_add_u32 s52, s2, s1
	s_addc_u32 s53, s3, 0
	s_add_i32 s1, s4, -1
	s_bfe_u32 s72, s64, 0x30005
	v_cvt_u32_f32_e32 v1, v1
	s_cmp_gt_u32 s1, 6
	s_mul_i32 s67, s47, s64
	s_cselect_b32 s73, -1, 0
	s_and_b32 s74, s4, 0x7f8
	v_readfirstlane_b32 s2, v1
	s_cmp_lg_u32 s72, 0
	v_cvt_f32_u32_e32 v1, s64
	s_cselect_b32 s75, -1, 0
	s_sub_i32 s1, 0, s66
	v_lshlrev_b32_e32 v26, 2, v5
	s_mul_i32 s1, s1, s2
	v_rcp_iflag_f32_e32 v3, v1
	s_mul_hi_u32 s3, s2, s1
	v_lshlrev_b64 v[1:2], 2, v[5:6]
	s_add_i32 s76, s2, s3
	v_cmp_eq_u32_e64 s1, 0, v18
	s_mul_hi_u32 s3, s44, s76
	v_cmp_gt_u32_e64 s2, 2, v0
	s_mul_i32 s3, s3, s66
	v_add_co_u32 v8, vcc_lo, s62, v1
	s_sub_i32 s3, s44, s3
	s_waitcnt_depctr 0xfff
	v_mul_f32_e32 v3, 0x4f7ffffe, v3
	s_sub_i32 s4, s3, s66
	s_cmp_ge_u32 s3, s66
	v_add_co_ci_u32_e32 v9, vcc_lo, s63, v2, vcc_lo
	s_cselect_b32 s4, s4, s3
	v_cvt_u32_f32_e32 v3, v3
	s_sub_i32 s5, s4, s66
	s_cmp_ge_u32 s4, s66
	v_lshrrev_b32_e32 v2, 3, v0
	s_cselect_b32 s9, s5, s4
	v_readfirstlane_b32 s5, v3
	s_sub_i32 s77, s44, s9
	s_sub_i32 s6, 0, s64
	v_add_nc_u32_e32 v21, s77, v0
	s_abs_i32 s7, s79
	s_mul_i32 s6, s6, s5
	v_dual_mov_b32 v13, 1.0 :: v_dual_and_b32 v22, 0x7c, v2
	s_delay_alu instid0(VALU_DEP_2)
	v_mul_lo_u32 v1, v21, s47
	s_mul_hi_u32 s6, s5, s6
	v_lshlrev_b64 v[3:4], v18, -1
	s_add_i32 s78, s5, s6
	v_cmp_gt_u32_e64 s3, s44, v0
	s_mul_hi_u32 s5, s7, s78
	v_cmp_gt_i32_e64 s4, s44, v0
	s_mul_i32 s5, s5, s64
	v_ashrrev_i32_e32 v2, 31, v1
	s_sub_i32 s5, s7, s5
	s_ashr_i32 s7, s79, 31
	s_sub_i32 s6, s5, s64
	s_cmp_ge_u32 s5, s64
	v_lshlrev_b64 v[1:2], 2, v[1:2]
	s_cselect_b32 s5, s6, s5
	v_not_b32_e32 v23, v3
	s_sub_i32 s6, s5, s64
	s_cmp_ge_u32 s5, s64
	v_or_b32_e32 v3, 3, v19
	v_add_co_u32 v10, vcc_lo, s62, v1
	v_add3_u32 v1, s64, s44, v0
	s_cselect_b32 s6, s6, s5
	v_add_co_ci_u32_e32 v11, vcc_lo, s63, v2, vcc_lo
	v_or_b32_e32 v2, 2, v19
	s_delay_alu instid0(VALU_DEP_3)
	v_subrev_nc_u32_e32 v1, s9, v1
	s_xor_b32 s8, s6, s7
	v_mul_lo_u32 v25, s47, v3
	s_sub_i32 s7, s7, s8
	v_mul_lo_u32 v24, s47, v2
	v_mul_lo_u32 v27, s47, v1
	s_add_i32 s79, s79, s7
	v_cmp_gt_i32_e64 s5, s77, v19
	v_cmp_gt_u32_e64 s6, s44, v21
	v_cmp_gt_i32_e64 s7, s44, v21
	v_cmp_gt_i32_e64 s8, s79, v0
	s_lshl_b32 s80, s67, 2
	s_lshl_b32 s81, s64, 4
	s_mov_b32 s85, 30
	s_mov_b32 s88, 0
	;; [unrolled: 1-line block ×4, first 2 shown]
                                        ; implicit-def: $sgpr82
                                        ; implicit-def: $sgpr84
                                        ; implicit-def: $sgpr83
                                        ; implicit-def: $sgpr87
                                        ; implicit-def: $sgpr89
                                        ; implicit-def: $sgpr86
	s_branch .LBB50_8
.LBB50_4:                               ;   in Loop: Header=BB50_8 Depth=1
	s_xor_b32 s88, s88, 1
	s_add_i32 s13, s85, -2
	s_cmp_eq_u32 s85, 0
	s_mov_b32 s9, 0
	s_cselect_b32 s11, -1, 0
	s_mov_b32 s85, s13
.LBB50_5:                               ;   in Loop: Header=BB50_8 Depth=1
	s_and_not1_b32 s13, s15, exec_lo
	s_and_b32 s9, s9, exec_lo
	s_and_not1_b32 s17, s17, exec_lo
	s_or_b32 s15, s13, s9
	s_and_not1_b32 s14, s14, exec_lo
	s_or_not1_b32 s13, s11, exec_lo
	s_mov_b32 s45, s22
.LBB50_6:                               ;   in Loop: Header=BB50_8 Depth=1
	s_or_b32 exec_lo, exec_lo, s10
	s_delay_alu instid0(SALU_CYCLE_1)
	s_and_not1_b32 s9, s86, exec_lo
	s_and_b32 s10, s15, exec_lo
	s_and_not1_b32 s11, s87, exec_lo
	s_or_b32 s86, s9, s10
	s_and_not1_b32 s9, s89, exec_lo
	s_and_b32 s10, s17, exec_lo
	s_and_b32 s14, s14, exec_lo
	s_or_b32 s89, s9, s10
	s_or_b32 s87, s11, s14
	s_or_not1_b32 s14, s13, exec_lo
.LBB50_7:                               ;   in Loop: Header=BB50_8 Depth=1
	s_or_b32 exec_lo, exec_lo, s12
	s_delay_alu instid0(SALU_CYCLE_1)
	s_and_b32 s9, exec_lo, s14
	v_mov_b32_e32 v1, s90
	s_or_b32 s65, s9, s65
	s_and_not1_b32 s9, s83, exec_lo
	s_and_b32 s10, s86, exec_lo
	s_and_not1_b32 s11, s82, exec_lo
	s_or_b32 s83, s9, s10
	s_and_not1_b32 s9, s84, exec_lo
	s_and_b32 s10, s89, exec_lo
	s_and_b32 s12, s87, exec_lo
	s_or_b32 s84, s9, s10
	s_or_b32 s82, s11, s12
	s_and_not1_b32 exec_lo, exec_lo, s65
	s_cbranch_execz .LBB50_242
.LBB50_8:                               ; =>This Loop Header: Depth=1
                                        ;     Child Loop BB50_16 Depth 2
                                        ;     Child Loop BB50_35 Depth 2
                                        ;     Child Loop BB50_59 Depth 2
                                        ;     Child Loop BB50_63 Depth 2
                                        ;     Child Loop BB50_48 Depth 2
                                        ;     Child Loop BB50_53 Depth 2
                                        ;     Child Loop BB50_72 Depth 2
                                        ;     Child Loop BB50_76 Depth 2
                                        ;     Child Loop BB50_97 Depth 2
                                        ;     Child Loop BB50_85 Depth 2
                                        ;     Child Loop BB50_136 Depth 2
                                        ;     Child Loop BB50_124 Depth 2
                                        ;     Child Loop BB50_175 Depth 2
                                        ;     Child Loop BB50_163 Depth 2
                                        ;     Child Loop BB50_214 Depth 2
                                        ;     Child Loop BB50_202 Depth 2
	ds_load_b64 v[1:2], v7 offset:4096
	s_waitcnt lgkmcnt(0)
	v_readfirstlane_b32 s92, v1
	s_delay_alu instid0(VALU_DEP_1)
	s_cmp_gt_i32 s92, 0
	s_cbranch_scc1 .LBB50_42
; %bb.9:                                ;   in Loop: Header=BB50_8 Depth=1
	s_and_b32 vcc_lo, exec_lo, s70
	s_cbranch_vccz .LBB50_24
; %bb.10:                               ;   in Loop: Header=BB50_8 Depth=1
	v_cmp_gt_i32_e32 vcc_lo, 0x301, v2
	s_mov_b32 s10, 0
	s_mov_b32 s9, 0
	s_cbranch_vccz .LBB50_29
; %bb.11:                               ;   in Loop: Header=BB50_8 Depth=1
	v_mov_b32_e32 v1, 0
	s_and_saveexec_b32 s9, s3
	s_cbranch_execz .LBB50_13
; %bb.12:                               ;   in Loop: Header=BB50_8 Depth=1
	global_load_b32 v1, v[8:9], off
.LBB50_13:                              ;   in Loop: Header=BB50_8 Depth=1
	s_or_b32 exec_lo, exec_lo, s9
	s_and_saveexec_b32 s11, s3
	s_cbranch_execz .LBB50_25
; %bb.14:                               ;   in Loop: Header=BB50_8 Depth=1
	global_load_u16 v2, v7, s[52:53]
	v_mov_b32_e32 v4, v0
	s_mov_b32 s12, 0
	s_waitcnt vmcnt(0)
	v_add_nc_u32_e32 v3, v0, v2
	s_delay_alu instid0(VALU_DEP_1)
	v_mul_lo_u32 v6, s47, v3
	v_mul_lo_u32 v3, s47, v2
	s_branch .LBB50_16
.LBB50_15:                              ;   in Loop: Header=BB50_16 Depth=2
	s_or_b32 exec_lo, exec_lo, s9
	v_cmp_le_i32_e32 vcc_lo, s44, v4
	v_add_nc_u32_e32 v6, v6, v3
	s_waitcnt vmcnt(0)
	v_mov_b32_e32 v1, v14
	s_or_b32 s12, vcc_lo, s12
	s_delay_alu instid0(SALU_CYCLE_1)
	s_and_not1_b32 exec_lo, exec_lo, s12
	s_cbranch_execz .LBB50_25
.LBB50_16:                              ;   Parent Loop BB50_8 Depth=1
                                        ; =>  This Inner Loop Header: Depth=2
	v_add_nc_u32_e32 v4, v4, v2
	s_waitcnt lgkmcnt(0)
	v_mov_b32_e32 v16, 0
	v_mov_b32_e32 v14, 0
	s_mov_b32 s9, exec_lo
	v_cmpx_gt_u32_e64 s44, v4
	s_cbranch_execz .LBB50_18
; %bb.17:                               ;   in Loop: Header=BB50_16 Depth=2
	v_lshlrev_b64 v[30:31], 2, v[6:7]
	s_delay_alu instid0(VALU_DEP_1) | instskip(NEXT) | instid1(VALU_DEP_2)
	v_add_co_u32 v30, vcc_lo, s62, v30
	v_add_co_ci_u32_e32 v31, vcc_lo, s63, v31, vcc_lo
	global_load_b32 v14, v[30:31], off
.LBB50_18:                              ;   in Loop: Header=BB50_16 Depth=2
	s_or_b32 exec_lo, exec_lo, s9
	v_cmp_lt_i32_e32 vcc_lo, -1, v1
	v_cndmask_b32_e64 v17, -1, 0x80000000, vcc_lo
	v_cmp_o_f32_e32 vcc_lo, v1, v1
	s_delay_alu instid0(VALU_DEP_2) | instskip(NEXT) | instid1(VALU_DEP_1)
	v_xor_b32_e32 v17, v17, v1
	v_cndmask_b32_e32 v17, -1, v17, vcc_lo
	s_delay_alu instid0(VALU_DEP_1) | instskip(NEXT) | instid1(VALU_DEP_1)
	v_and_b32_e32 v17, s91, v17
	v_cmp_eq_u32_e32 vcc_lo, s90, v17
	s_cmp_lg_u32 vcc_lo, 0
	s_cselect_b32 s9, -1, 0
	s_delay_alu instid0(SALU_CYCLE_1) | instskip(NEXT) | instid1(SALU_CYCLE_1)
	s_and_b32 s9, s1, s9
	s_and_saveexec_b32 s13, s9
	s_cbranch_execz .LBB50_22
; %bb.19:                               ;   in Loop: Header=BB50_16 Depth=2
	s_mov_b32 s16, exec_lo
	s_bcnt1_i32_b32 s14, vcc_lo
	v_mbcnt_lo_u32_b32 v16, s16, 0
	s_mov_b32 s15, exec_lo
                                        ; implicit-def: $vgpr17
	s_delay_alu instid0(VALU_DEP_1)
	v_cmpx_eq_u32_e32 0, v16
	s_cbranch_execz .LBB50_21
; %bb.20:                               ;   in Loop: Header=BB50_16 Depth=2
	s_bcnt1_i32_b32 s9, s16
	s_delay_alu instid0(SALU_CYCLE_1) | instskip(NEXT) | instid1(SALU_CYCLE_1)
	s_mul_i32 s9, s14, s9
	v_mov_b32_e32 v17, s9
	ds_add_rtn_u32 v17, v7, v17 offset:4104
.LBB50_21:                              ;   in Loop: Header=BB50_16 Depth=2
	s_or_b32 exec_lo, exec_lo, s15
	s_waitcnt lgkmcnt(0)
	v_readfirstlane_b32 s9, v17
	s_delay_alu instid0(VALU_DEP_1)
	v_mad_u32_u24 v16, s14, v16, s9
.LBB50_22:                              ;   in Loop: Header=BB50_16 Depth=2
	s_or_b32 exec_lo, exec_lo, s13
	ds_bpermute_b32 v16, v7, v16
	s_and_saveexec_b32 s9, vcc_lo
	s_cbranch_execz .LBB50_15
; %bb.23:                               ;   in Loop: Header=BB50_16 Depth=2
	v_and_b32_e32 v17, vcc_lo, v23
	s_delay_alu instid0(VALU_DEP_1) | instskip(NEXT) | instid1(VALU_DEP_1)
	v_bcnt_u32_b32 v17, v17, 0
	v_lshlrev_b32_e32 v17, 2, v17
	s_waitcnt lgkmcnt(0)
	s_delay_alu instid0(VALU_DEP_1)
	v_lshl_add_u32 v16, v16, 2, v17
	ds_store_b32 v16, v1
	s_branch .LBB50_15
.LBB50_24:                              ;   in Loop: Header=BB50_8 Depth=1
	s_mov_b32 s10, -1
	s_mov_b32 s9, 0
	s_branch .LBB50_28
.LBB50_25:                              ;   in Loop: Header=BB50_8 Depth=1
	s_or_b32 exec_lo, exec_lo, s11
	s_waitcnt vmcnt(0) lgkmcnt(0)
	s_barrier
	buffer_gl0_inv
	s_and_saveexec_b32 s9, s0
	s_cbranch_execz .LBB50_27
; %bb.26:                               ;   in Loop: Header=BB50_8 Depth=1
	ds_load_b32 v1, v7 offset:4104
	s_waitcnt lgkmcnt(0)
	ds_store_b32 v7, v1 offset:4096
.LBB50_27:                              ;   in Loop: Header=BB50_8 Depth=1
	s_or_b32 exec_lo, exec_lo, s9
	s_waitcnt lgkmcnt(0)
	s_mov_b32 s9, -1
	s_barrier
.LBB50_28:                              ;   in Loop: Header=BB50_8 Depth=1
                                        ; implicit-def: $sgpr92
.LBB50_29:                              ;   in Loop: Header=BB50_8 Depth=1
	s_and_b32 vcc_lo, exec_lo, s10
	s_cbranch_vccz .LBB50_40
; %bb.30:                               ;   in Loop: Header=BB50_8 Depth=1
	v_mov_b32_e32 v1, 0
	s_and_saveexec_b32 s9, s3
	s_cbranch_execz .LBB50_32
; %bb.31:                               ;   in Loop: Header=BB50_8 Depth=1
	global_load_b32 v1, v[8:9], off
.LBB50_32:                              ;   in Loop: Header=BB50_8 Depth=1
	s_or_b32 exec_lo, exec_lo, s9
	s_and_saveexec_b32 s9, s4
	s_cbranch_execz .LBB50_37
; %bb.33:                               ;   in Loop: Header=BB50_8 Depth=1
	global_load_u16 v2, v7, s[52:53]
	v_mov_b32_e32 v16, v0
	s_mov_b32 s10, 0
	s_waitcnt vmcnt(0)
	v_dual_mov_b32 v14, v19 :: v_dual_add_nc_u32 v3, v0, v2
	v_lshlrev_b32_e32 v4, 2, v2
	s_delay_alu instid0(VALU_DEP_2)
	v_mul_lo_u32 v6, s47, v3
	v_mul_lo_u32 v3, s47, v2
	s_branch .LBB50_35
	.p2align	6
.LBB50_34:                              ;   in Loop: Header=BB50_35 Depth=2
	s_or_b32 exec_lo, exec_lo, s11
	v_cmp_le_i32_e32 vcc_lo, s44, v16
	ds_store_b32 v14, v1
	s_waitcnt vmcnt(0)
	v_dual_mov_b32 v1, v17 :: v_dual_add_nc_u32 v14, v14, v4
	v_add_nc_u32_e32 v6, v6, v3
	s_or_b32 s10, vcc_lo, s10
	s_delay_alu instid0(SALU_CYCLE_1)
	s_and_not1_b32 exec_lo, exec_lo, s10
	s_cbranch_execz .LBB50_37
.LBB50_35:                              ;   Parent Loop BB50_8 Depth=1
                                        ; =>  This Inner Loop Header: Depth=2
	v_dual_mov_b32 v17, 0 :: v_dual_add_nc_u32 v16, v16, v2
	s_mov_b32 s11, exec_lo
	s_delay_alu instid0(VALU_DEP_1)
	v_cmpx_gt_u32_e64 s44, v16
	s_cbranch_execz .LBB50_34
; %bb.36:                               ;   in Loop: Header=BB50_35 Depth=2
	s_delay_alu instid0(VALU_DEP_3) | instskip(NEXT) | instid1(VALU_DEP_1)
	v_lshlrev_b64 v[30:31], 2, v[6:7]
	v_add_co_u32 v30, vcc_lo, s62, v30
	s_delay_alu instid0(VALU_DEP_2)
	v_add_co_ci_u32_e32 v31, vcc_lo, s63, v31, vcc_lo
	global_load_b32 v17, v[30:31], off
	s_branch .LBB50_34
.LBB50_37:                              ;   in Loop: Header=BB50_8 Depth=1
	s_or_b32 exec_lo, exec_lo, s9
	s_waitcnt vmcnt(0) lgkmcnt(0)
	s_barrier
	buffer_gl0_inv
	s_and_saveexec_b32 s9, s0
	s_cbranch_execz .LBB50_39
; %bb.38:                               ;   in Loop: Header=BB50_8 Depth=1
	v_mov_b32_e32 v1, s44
	ds_store_b32 v7, v1 offset:4096
.LBB50_39:                              ;   in Loop: Header=BB50_8 Depth=1
	s_or_b32 exec_lo, exec_lo, s9
	s_mov_b32 s9, -1
	s_waitcnt lgkmcnt(0)
	s_barrier
                                        ; implicit-def: $sgpr92
.LBB50_40:                              ;   in Loop: Header=BB50_8 Depth=1
	s_and_b32 vcc_lo, exec_lo, s9
	s_cbranch_vccz .LBB50_42
; %bb.41:                               ;   in Loop: Header=BB50_8 Depth=1
	buffer_gl0_inv
	ds_load_b32 v1, v7 offset:4096
	s_waitcnt lgkmcnt(0)
	v_readfirstlane_b32 s92, v1
.LBB50_42:                              ;   in Loop: Header=BB50_8 Depth=1
	s_delay_alu instid0(VALU_DEP_1)
	s_cmp_lt_i32 s92, 1
	s_cbranch_scc0 .LBB50_46
; %bb.43:                               ;   in Loop: Header=BB50_8 Depth=1
	v_dual_mov_b32 v1, 0 :: v_dual_mov_b32 v2, 0
	v_dual_mov_b32 v3, 0 :: v_dual_mov_b32 v4, 0
	s_mov_b32 s94, 0
	s_and_saveexec_b32 s93, s5
	s_cbranch_execnz .LBB50_47
; %bb.44:                               ;   in Loop: Header=BB50_8 Depth=1
	s_or_b32 exec_lo, exec_lo, s93
	v_mov_b32_e32 v14, 0
	s_and_saveexec_b32 s9, s6
	s_cbranch_execnz .LBB50_50
.LBB50_45:                              ;   in Loop: Header=BB50_8 Depth=1
	s_or_b32 exec_lo, exec_lo, s9
	s_and_saveexec_b32 s13, s7
	s_cbranch_execnz .LBB50_51
	s_branch .LBB50_56
.LBB50_46:                              ;   in Loop: Header=BB50_8 Depth=1
                                        ; implicit-def: $vgpr4
	s_cbranch_execnz .LBB50_57
	s_branch .LBB50_66
.LBB50_47:                              ;   in Loop: Header=BB50_8 Depth=1
	v_mov_b32_e32 v6, v19
	s_and_b32 s95, s85, 0xfe
	s_mov_b32 s96, 0
	s_mov_b32 s97, 0
	;; [unrolled: 1-line block ×5, first 2 shown]
.LBB50_48:                              ;   Parent Loop BB50_8 Depth=1
                                        ; =>  This Inner Loop Header: Depth=2
	v_add_nc_u32_e32 v1, s96, v26
	v_add_nc_u32_e32 v3, s96, v12
	v_add_nc_u32_e32 v16, s96, v24
	v_add_nc_u32_e32 v30, s96, v25
	v_add_nc_u32_e32 v6, s66, v6
	v_ashrrev_i32_e32 v2, 31, v1
	v_ashrrev_i32_e32 v4, 31, v3
	;; [unrolled: 1-line block ×4, first 2 shown]
	s_add_i32 s96, s96, s80
	v_lshlrev_b64 v[1:2], 2, v[1:2]
	v_lshlrev_b64 v[3:4], 2, v[3:4]
	v_lshlrev_b64 v[16:17], 2, v[16:17]
	v_lshlrev_b64 v[30:31], 2, v[30:31]
	s_delay_alu instid0(VALU_DEP_4)
	v_add_co_u32 v1, vcc_lo, s62, v1
	v_add_co_ci_u32_e32 v2, vcc_lo, s63, v2, vcc_lo
	v_add_co_u32 v3, vcc_lo, s62, v3
	v_add_co_ci_u32_e32 v4, vcc_lo, s63, v4, vcc_lo
	;; [unrolled: 2-line block ×4, first 2 shown]
	s_clause 0x3
	global_load_b32 v1, v[1:2], off
	global_load_b32 v2, v[3:4], off
	;; [unrolled: 1-line block ×4, first 2 shown]
	v_cmp_le_i32_e32 vcc_lo, s77, v6
	s_waitcnt vmcnt(3)
	v_cmp_lt_i32_e64 s9, -1, v1
	v_cmp_o_f32_e64 s12, v1, v1
	s_waitcnt vmcnt(1)
	v_cmp_o_f32_e64 s10, v3, v3
	s_waitcnt vmcnt(0)
	v_cmp_o_f32_e64 s11, v4, v4
	v_cndmask_b32_e64 v14, -1, 0x80000000, s9
	v_cmp_lt_i32_e64 s9, -1, v2
	s_delay_alu instid0(VALU_DEP_2) | instskip(NEXT) | instid1(VALU_DEP_2)
	v_xor_b32_e32 v14, v14, v1
	v_cndmask_b32_e64 v16, -1, 0x80000000, s9
	v_cmp_lt_i32_e64 s9, -1, v3
	s_delay_alu instid0(VALU_DEP_3) | instskip(NEXT) | instid1(VALU_DEP_3)
	v_cndmask_b32_e64 v1, -1, v14, s12
	v_xor_b32_e32 v16, v16, v2
	s_delay_alu instid0(VALU_DEP_3) | instskip(SKIP_1) | instid1(VALU_DEP_4)
	v_cndmask_b32_e64 v17, -1, 0x80000000, s9
	v_cmp_lt_i32_e64 s9, -1, v4
	v_and_b32_e32 v14, s91, v1
	v_bfe_u32 v1, v1, s95, 2
	s_delay_alu instid0(VALU_DEP_3) | instskip(SKIP_2) | instid1(VALU_DEP_4)
	v_cndmask_b32_e64 v30, -1, 0x80000000, s9
	v_cmp_o_f32_e64 s9, v2, v2
	v_xor_b32_e32 v2, v17, v3
	v_cmp_eq_u32_e64 s13, 0, v1
	v_cmp_eq_u32_e64 s17, 1, v1
	v_xor_b32_e32 v3, v30, v4
	v_cndmask_b32_e64 v4, -1, v16, s9
	v_cndmask_b32_e64 v2, -1, v2, s10
	v_cmp_eq_u32_e64 s9, s90, v14
	v_cmp_eq_u32_e64 s21, 2, v1
	v_cndmask_b32_e64 v3, -1, v3, s11
	v_and_b32_e32 v16, s91, v4
	v_bfe_u32 v4, v4, s95, 2
	v_and_b32_e32 v17, s91, v2
	v_bfe_u32 v2, v2, s95, 2
	;; [unrolled: 2-line block ×3, first 2 shown]
	v_cmp_eq_u32_e64 s10, s90, v16
	v_cmp_eq_u32_e64 s14, 0, v4
	;; [unrolled: 1-line block ×4, first 2 shown]
	s_and_b32 s13, s9, s13
	v_cmp_eq_u32_e64 s12, s90, v30
	v_cmp_eq_u32_e64 s16, 0, v3
	;; [unrolled: 1-line block ×3, first 2 shown]
	v_cndmask_b32_e64 v1, 0, 1, s13
	s_and_b32 s13, s10, s14
	v_cmp_eq_u32_e64 s19, 1, v2
	v_cmp_eq_u32_e64 s23, 2, v2
	;; [unrolled: 1-line block ×3, first 2 shown]
	v_cndmask_b32_e64 v2, 0, 1, s13
	s_and_b32 s13, s11, s15
	v_cmp_eq_u32_e64 s18, 1, v4
	v_cmp_eq_u32_e64 s20, 1, v3
	;; [unrolled: 1-line block ×4, first 2 shown]
	v_cndmask_b32_e64 v3, 0, 1, s13
	s_and_b32 s13, s12, s16
	v_cmp_eq_u32_e64 s22, 2, v4
	v_cmp_eq_u32_e64 s26, 3, v4
	v_cndmask_b32_e64 v4, 0, 1, s13
	s_and_b32 s13, s9, s17
	s_delay_alu instid0(SALU_CYCLE_1) | instskip(SKIP_1) | instid1(SALU_CYCLE_1)
	v_cndmask_b32_e64 v14, 0, 1, s13
	s_and_b32 s13, s10, s18
	v_cndmask_b32_e64 v16, 0, 1, s13
	s_and_b32 s13, s11, s19
	s_delay_alu instid0(SALU_CYCLE_1) | instskip(SKIP_1) | instid1(VALU_DEP_2)
	v_cndmask_b32_e64 v17, 0, 1, s13
	s_and_b32 s13, s12, s20
	v_cmp_ne_u32_e64 s14, 0, v16
	v_cndmask_b32_e64 v30, 0, 1, s13
	s_and_b32 s13, s9, s21
	s_and_b32 s9, s9, s25
	v_cndmask_b32_e64 v31, 0, 1, s13
	s_and_b32 s13, s10, s22
	v_cndmask_b32_e64 v35, 0, 1, s9
	;; [unrolled: 2-line block ×7, first 2 shown]
	v_cndmask_b32_e64 v38, 0, 1, s9
	v_cmp_ne_u32_e64 s9, 0, v1
	v_cmp_ne_u32_e64 s13, 0, v14
	;; [unrolled: 1-line block ×11, first 2 shown]
	s_bcnt1_i32_b32 s9, s9
	s_bcnt1_i32_b32 s13, s13
	;; [unrolled: 1-line block ×4, first 2 shown]
	v_cmp_ne_u32_e64 s12, 0, v4
	v_cmp_ne_u32_e64 s16, 0, v30
	;; [unrolled: 1-line block ×4, first 2 shown]
	s_bcnt1_i32_b32 s10, s10
	s_bcnt1_i32_b32 s14, s14
	s_bcnt1_i32_b32 s18, s18
	s_bcnt1_i32_b32 s22, s22
	s_add_i32 s9, s9, s100
	s_add_i32 s13, s13, s99
	s_add_i32 s17, s17, s98
	s_add_i32 s21, s21, s97
	s_bcnt1_i32_b32 s11, s11
	s_bcnt1_i32_b32 s15, s15
	s_bcnt1_i32_b32 s19, s19
	s_bcnt1_i32_b32 s23, s23
	s_add_i32 s9, s9, s10
	s_add_i32 s10, s13, s14
	s_add_i32 s13, s17, s18
	s_add_i32 s14, s21, s22
	;; [unrolled: 8-line block ×3, first 2 shown]
	s_add_i32 s100, s9, s12
	s_add_i32 s99, s10, s16
	;; [unrolled: 1-line block ×4, first 2 shown]
	v_mov_b32_e32 v3, s98
	v_dual_mov_b32 v1, s100 :: v_dual_mov_b32 v2, s99
	v_mov_b32_e32 v4, s97
	s_or_b32 s94, vcc_lo, s94
	s_delay_alu instid0(SALU_CYCLE_1)
	s_and_not1_b32 exec_lo, exec_lo, s94
	s_cbranch_execnz .LBB50_48
; %bb.49:                               ;   in Loop: Header=BB50_8 Depth=1
	s_or_b32 exec_lo, exec_lo, s94
	s_delay_alu instid0(SALU_CYCLE_1)
	s_or_b32 exec_lo, exec_lo, s93
	v_mov_b32_e32 v14, 0
	s_and_saveexec_b32 s9, s6
	s_cbranch_execz .LBB50_45
.LBB50_50:                              ;   in Loop: Header=BB50_8 Depth=1
	global_load_b32 v14, v[10:11], off
	s_or_b32 exec_lo, exec_lo, s9
	s_and_saveexec_b32 s13, s7
	s_cbranch_execz .LBB50_56
.LBB50_51:                              ;   in Loop: Header=BB50_8 Depth=1
	v_mov_b32_e32 v16, v27
	v_mov_b32_e32 v6, v21
	s_and_b32 s15, s85, 0xfe
	s_mov_b32 s14, 0
	s_branch .LBB50_53
.LBB50_52:                              ;   in Loop: Header=BB50_53 Depth=2
	s_or_b32 exec_lo, exec_lo, s9
	s_waitcnt vmcnt(0)
	v_cmp_lt_i32_e32 vcc_lo, -1, v14
	v_add_nc_u32_e32 v16, s67, v16
	v_cndmask_b32_e64 v30, -1, 0x80000000, vcc_lo
	v_cmp_o_f32_e32 vcc_lo, v14, v14
	s_delay_alu instid0(VALU_DEP_2) | instskip(NEXT) | instid1(VALU_DEP_1)
	v_xor_b32_e32 v30, v30, v14
	v_cndmask_b32_e32 v14, -1, v30, vcc_lo
	s_delay_alu instid0(VALU_DEP_1) | instskip(SKIP_1) | instid1(VALU_DEP_2)
	v_and_b32_e32 v30, s91, v14
	v_bfe_u32 v14, v14, s15, 2
	v_cmp_eq_u32_e32 vcc_lo, s90, v30
	s_delay_alu instid0(VALU_DEP_2) | instskip(SKIP_3) | instid1(VALU_DEP_4)
	v_cmp_eq_u32_e64 s9, 0, v14
	v_cmp_eq_u32_e64 s10, 1, v14
	;; [unrolled: 1-line block ×4, first 2 shown]
	s_and_b32 s9, vcc_lo, s9
	s_delay_alu instid0(SALU_CYCLE_1) | instskip(SKIP_1) | instid1(SALU_CYCLE_1)
	v_cndmask_b32_e64 v14, 0, 1, s9
	s_and_b32 s9, vcc_lo, s10
	v_cndmask_b32_e64 v30, 0, 1, s9
	s_and_b32 s9, vcc_lo, s11
	s_delay_alu instid0(SALU_CYCLE_1)
	v_cndmask_b32_e64 v31, 0, 1, s9
	s_and_b32 s9, vcc_lo, s12
	v_cmp_ne_u32_e32 vcc_lo, 0, v14
	v_cndmask_b32_e64 v32, 0, 1, s9
	v_cmp_ne_u32_e64 s9, 0, v30
	v_cmp_ne_u32_e64 s10, 0, v31
	v_cmp_le_i32_e64 s12, s44, v6
	s_bcnt1_i32_b32 s16, vcc_lo
	v_cmp_ne_u32_e64 s11, 0, v32
	v_add_nc_u32_e32 v1, s16, v1
	s_bcnt1_i32_b32 s9, s9
	s_bcnt1_i32_b32 s10, s10
	v_add_nc_u32_e32 v2, s9, v2
	s_bcnt1_i32_b32 s11, s11
	v_dual_mov_b32 v14, v17 :: v_dual_add_nc_u32 v3, s10, v3
	v_add_nc_u32_e32 v4, s11, v4
	s_or_b32 s14, s12, s14
	s_delay_alu instid0(SALU_CYCLE_1)
	s_and_not1_b32 exec_lo, exec_lo, s14
	s_cbranch_execz .LBB50_55
.LBB50_53:                              ;   Parent Loop BB50_8 Depth=1
                                        ; =>  This Inner Loop Header: Depth=2
	s_delay_alu instid0(VALU_DEP_1) | instskip(SKIP_1) | instid1(VALU_DEP_1)
	v_dual_mov_b32 v17, 0 :: v_dual_add_nc_u32 v6, s64, v6
	s_mov_b32 s9, exec_lo
	v_cmpx_gt_u32_e64 s44, v6
	s_cbranch_execz .LBB50_52
; %bb.54:                               ;   in Loop: Header=BB50_53 Depth=2
	v_ashrrev_i32_e32 v17, 31, v16
	s_delay_alu instid0(VALU_DEP_1) | instskip(NEXT) | instid1(VALU_DEP_1)
	v_lshlrev_b64 v[30:31], 2, v[16:17]
	v_add_co_u32 v30, vcc_lo, s62, v30
	s_delay_alu instid0(VALU_DEP_2)
	v_add_co_ci_u32_e32 v31, vcc_lo, s63, v31, vcc_lo
	global_load_b32 v17, v[30:31], off
	s_branch .LBB50_52
.LBB50_55:                              ;   in Loop: Header=BB50_8 Depth=1
	s_or_b32 exec_lo, exec_lo, s14
.LBB50_56:                              ;   in Loop: Header=BB50_8 Depth=1
	s_delay_alu instid0(SALU_CYCLE_1)
	s_or_b32 exec_lo, exec_lo, s13
	s_branch .LBB50_66
.LBB50_57:                              ;   in Loop: Header=BB50_8 Depth=1
	s_mul_hi_u32 s9, s92, s76
	v_dual_mov_b32 v1, 0 :: v_dual_mov_b32 v2, 0
	s_mul_i32 s9, s9, s66
	v_dual_mov_b32 v3, 0 :: v_dual_mov_b32 v4, 0
	s_sub_i32 s9, s92, s9
	s_mov_b32 s95, 0
	s_sub_i32 s10, s9, s66
	s_cmp_ge_u32 s9, s66
	s_mov_b32 s94, exec_lo
	s_cselect_b32 s9, s10, s9
	s_delay_alu instid0(SALU_CYCLE_1) | instskip(SKIP_2) | instid1(SALU_CYCLE_1)
	s_sub_i32 s10, s9, s66
	s_cmp_ge_u32 s9, s66
	s_cselect_b32 s9, s10, s9
	s_sub_i32 s93, s92, s9
	s_delay_alu instid0(SALU_CYCLE_1)
	v_cmpx_gt_u32_e64 s93, v19
	s_cbranch_execz .LBB50_61
; %bb.58:                               ;   in Loop: Header=BB50_8 Depth=1
	v_mov_b32_e32 v6, v28
	s_waitcnt vmcnt(0)
	v_mov_b32_e32 v14, v19
	s_and_b32 s96, s85, 0xfe
	s_mov_b32 s97, 0
	s_mov_b32 s98, 0
	;; [unrolled: 1-line block ×4, first 2 shown]
.LBB50_59:                              ;   Parent Loop BB50_8 Depth=1
                                        ; =>  This Inner Loop Header: Depth=2
	ds_load_b128 v[1:4], v6
	s_waitcnt lgkmcnt(0)
	v_cmp_lt_i32_e64 s9, -1, v1
	v_cmp_o_f32_e64 s12, v1, v1
	v_cmp_o_f32_e64 s10, v3, v3
	;; [unrolled: 1-line block ×3, first 2 shown]
	s_delay_alu instid0(VALU_DEP_4) | instskip(SKIP_1) | instid1(VALU_DEP_2)
	v_cndmask_b32_e64 v16, -1, 0x80000000, s9
	v_cmp_lt_i32_e64 s9, -1, v2
	v_xor_b32_e32 v16, v16, v1
	s_delay_alu instid0(VALU_DEP_2) | instskip(SKIP_1) | instid1(VALU_DEP_3)
	v_cndmask_b32_e64 v17, -1, 0x80000000, s9
	v_cmp_lt_i32_e64 s9, -1, v3
	v_cndmask_b32_e64 v1, -1, v16, s12
	s_delay_alu instid0(VALU_DEP_3) | instskip(NEXT) | instid1(VALU_DEP_3)
	v_xor_b32_e32 v17, v17, v2
	v_cndmask_b32_e64 v30, -1, 0x80000000, s9
	v_cmp_lt_i32_e64 s9, -1, v4
	s_delay_alu instid0(VALU_DEP_4) | instskip(SKIP_1) | instid1(VALU_DEP_3)
	v_and_b32_e32 v16, s91, v1
	v_bfe_u32 v1, v1, s96, 2
	v_cndmask_b32_e64 v31, -1, 0x80000000, s9
	v_cmp_o_f32_e64 s9, v2, v2
	v_xor_b32_e32 v2, v30, v3
	s_delay_alu instid0(VALU_DEP_4)
	v_cmp_eq_u32_e64 s13, 0, v1
	v_cmp_eq_u32_e64 s17, 1, v1
	v_xor_b32_e32 v3, v31, v4
	v_cndmask_b32_e64 v4, -1, v17, s9
	v_cndmask_b32_e64 v2, -1, v2, s10
	v_cmp_eq_u32_e64 s9, s90, v16
	v_cmp_eq_u32_e64 s21, 2, v1
	v_cndmask_b32_e64 v3, -1, v3, s11
	v_and_b32_e32 v17, s91, v4
	v_bfe_u32 v4, v4, s96, 2
	v_and_b32_e32 v30, s91, v2
	v_bfe_u32 v2, v2, s96, 2
	;; [unrolled: 2-line block ×3, first 2 shown]
	v_cmp_eq_u32_e64 s10, s90, v17
	v_cmp_eq_u32_e64 s14, 0, v4
	;; [unrolled: 1-line block ×4, first 2 shown]
	s_and_b32 s13, s9, s13
	v_cmp_eq_u32_e64 s12, s90, v31
	v_cmp_eq_u32_e64 s16, 0, v3
	;; [unrolled: 1-line block ×3, first 2 shown]
	v_cndmask_b32_e64 v1, 0, 1, s13
	s_and_b32 s13, s10, s14
	v_cmp_eq_u32_e64 s19, 1, v2
	v_cmp_eq_u32_e64 s23, 2, v2
	;; [unrolled: 1-line block ×3, first 2 shown]
	v_cndmask_b32_e64 v2, 0, 1, s13
	s_and_b32 s13, s11, s15
	v_cmp_eq_u32_e64 s18, 1, v4
	v_cmp_eq_u32_e64 s20, 1, v3
	;; [unrolled: 1-line block ×4, first 2 shown]
	v_cndmask_b32_e64 v3, 0, 1, s13
	s_and_b32 s13, s12, s16
	v_cmp_eq_u32_e64 s22, 2, v4
	v_cmp_eq_u32_e64 s26, 3, v4
	v_cndmask_b32_e64 v4, 0, 1, s13
	s_and_b32 s13, s9, s17
	s_delay_alu instid0(SALU_CYCLE_1) | instskip(SKIP_1) | instid1(SALU_CYCLE_1)
	v_cndmask_b32_e64 v16, 0, 1, s13
	s_and_b32 s13, s10, s18
	v_cndmask_b32_e64 v17, 0, 1, s13
	s_and_b32 s13, s11, s19
	s_delay_alu instid0(SALU_CYCLE_1) | instskip(SKIP_1) | instid1(VALU_DEP_2)
	v_cndmask_b32_e64 v30, 0, 1, s13
	s_and_b32 s13, s12, s20
	v_cmp_ne_u32_e64 s14, 0, v17
	v_cndmask_b32_e64 v31, 0, 1, s13
	s_and_b32 s13, s9, s21
	s_and_b32 s9, s9, s25
	v_cndmask_b32_e64 v32, 0, 1, s13
	v_cndmask_b32_e64 v36, 0, 1, s9
	s_and_b32 s9, s10, s26
	s_and_b32 s13, s10, s22
	v_cndmask_b32_e64 v37, 0, 1, s9
	s_and_b32 s9, s11, s27
	v_cndmask_b32_e64 v33, 0, 1, s13
	v_cndmask_b32_e64 v38, 0, 1, s9
	s_and_b32 s9, s12, s28
	s_and_b32 s13, s11, s23
	v_cndmask_b32_e64 v39, 0, 1, s9
	v_cmp_ne_u32_e64 s9, 0, v1
	v_cmp_ne_u32_e64 s10, 0, v2
	v_cndmask_b32_e64 v34, 0, 1, s13
	s_and_b32 s13, s12, s24
	v_cmp_ne_u32_e64 s11, 0, v3
	v_cndmask_b32_e64 v35, 0, 1, s13
	v_cmp_ne_u32_e64 s13, 0, v16
	v_cmp_ne_u32_e64 s17, 0, v32
	;; [unrolled: 1-line block ×3, first 2 shown]
	s_bcnt1_i32_b32 s9, s9
	v_cmp_ne_u32_e64 s12, 0, v4
	v_cmp_ne_u32_e64 s18, 0, v33
	;; [unrolled: 1-line block ×3, first 2 shown]
	s_bcnt1_i32_b32 s10, s10
	s_add_i32 s9, s9, s100
	v_cmp_ne_u32_e64 s15, 0, v30
	v_cmp_ne_u32_e64 s19, 0, v34
	;; [unrolled: 1-line block ×3, first 2 shown]
	s_bcnt1_i32_b32 s11, s11
	s_add_i32 s9, s9, s10
	s_bcnt1_i32_b32 s13, s13
	s_bcnt1_i32_b32 s17, s17
	;; [unrolled: 1-line block ×3, first 2 shown]
	v_cmp_ne_u32_e64 s16, 0, v31
	v_cmp_ne_u32_e64 s20, 0, v35
	v_cmp_ne_u32_e64 s24, 0, v39
	s_bcnt1_i32_b32 s12, s12
	s_add_i32 s9, s9, s11
	s_bcnt1_i32_b32 s14, s14
	s_bcnt1_i32_b32 s18, s18
	;; [unrolled: 1-line block ×3, first 2 shown]
	s_add_i32 s13, s13, s99
	s_add_i32 s17, s17, s98
	;; [unrolled: 1-line block ×4, first 2 shown]
	s_delay_alu instid0(SALU_CYCLE_1)
	v_dual_mov_b32 v1, s100 :: v_dual_add_nc_u32 v14, s66, v14
	s_bcnt1_i32_b32 s15, s15
	s_bcnt1_i32_b32 s19, s19
	;; [unrolled: 1-line block ×3, first 2 shown]
	s_add_i32 s10, s13, s14
	s_add_i32 s13, s17, s18
	;; [unrolled: 1-line block ×3, first 2 shown]
	s_bcnt1_i32_b32 s16, s16
	s_bcnt1_i32_b32 s20, s20
	;; [unrolled: 1-line block ×3, first 2 shown]
	s_add_i32 s10, s10, s15
	s_add_i32 s11, s13, s19
	;; [unrolled: 1-line block ×3, first 2 shown]
	v_cmp_le_i32_e32 vcc_lo, s93, v14
	s_add_i32 s99, s10, s16
	s_add_i32 s98, s11, s20
	;; [unrolled: 1-line block ×3, first 2 shown]
	v_dual_mov_b32 v3, s98 :: v_dual_add_nc_u32 v6, s81, v6
	v_mov_b32_e32 v2, s99
	v_mov_b32_e32 v4, s97
	s_or_b32 s95, vcc_lo, s95
	s_delay_alu instid0(SALU_CYCLE_1)
	s_and_not1_b32 exec_lo, exec_lo, s95
	s_cbranch_execnz .LBB50_59
; %bb.60:                               ;   in Loop: Header=BB50_8 Depth=1
	s_or_b32 exec_lo, exec_lo, s95
.LBB50_61:                              ;   in Loop: Header=BB50_8 Depth=1
	s_delay_alu instid0(SALU_CYCLE_1) | instskip(SKIP_2) | instid1(VALU_DEP_1)
	s_or_b32 exec_lo, exec_lo, s94
	v_add_nc_u32_e32 v6, s93, v0
	s_mov_b32 s14, exec_lo
	v_cmpx_gt_i32_e64 s92, v6
	s_cbranch_execz .LBB50_65
; %bb.62:                               ;   in Loop: Header=BB50_8 Depth=1
	s_waitcnt vmcnt(0)
	v_lshlrev_b32_e32 v14, 2, v6
	s_and_b32 s16, s85, 0xfe
	s_mov_b32 s15, 0
.LBB50_63:                              ;   Parent Loop BB50_8 Depth=1
                                        ; =>  This Inner Loop Header: Depth=2
	ds_load_b32 v16, v14
	v_add_nc_u32_e32 v6, s64, v6
	v_add_nc_u32_e32 v14, s66, v14
	s_delay_alu instid0(VALU_DEP_2) | instskip(SKIP_2) | instid1(VALU_DEP_1)
	v_cmp_le_i32_e32 vcc_lo, s92, v6
	s_waitcnt lgkmcnt(0)
	v_cmp_lt_i32_e64 s9, -1, v16
	v_cndmask_b32_e64 v17, -1, 0x80000000, s9
	v_cmp_o_f32_e64 s9, v16, v16
	s_delay_alu instid0(VALU_DEP_2) | instskip(NEXT) | instid1(VALU_DEP_1)
	v_xor_b32_e32 v17, v17, v16
	v_cndmask_b32_e64 v16, -1, v17, s9
	s_delay_alu instid0(VALU_DEP_1) | instskip(SKIP_1) | instid1(VALU_DEP_2)
	v_and_b32_e32 v17, s91, v16
	v_bfe_u32 v16, v16, s16, 2
	v_cmp_eq_u32_e64 s9, s90, v17
	s_delay_alu instid0(VALU_DEP_2) | instskip(SKIP_3) | instid1(VALU_DEP_4)
	v_cmp_eq_u32_e64 s10, 0, v16
	v_cmp_eq_u32_e64 s11, 1, v16
	v_cmp_eq_u32_e64 s12, 2, v16
	v_cmp_eq_u32_e64 s13, 3, v16
	s_and_b32 s10, s9, s10
	s_delay_alu instid0(SALU_CYCLE_1) | instskip(SKIP_1) | instid1(SALU_CYCLE_1)
	v_cndmask_b32_e64 v16, 0, 1, s10
	s_and_b32 s10, s9, s11
	v_cndmask_b32_e64 v17, 0, 1, s10
	s_and_b32 s10, s9, s12
	s_and_b32 s9, s9, s13
	v_cndmask_b32_e64 v30, 0, 1, s10
	v_cndmask_b32_e64 v31, 0, 1, s9
	v_cmp_ne_u32_e64 s9, 0, v16
	v_cmp_ne_u32_e64 s10, 0, v17
	s_delay_alu instid0(VALU_DEP_4) | instskip(NEXT) | instid1(VALU_DEP_4)
	v_cmp_ne_u32_e64 s11, 0, v30
	v_cmp_ne_u32_e64 s12, 0, v31
	s_delay_alu instid0(VALU_DEP_4) | instskip(NEXT) | instid1(VALU_DEP_3)
	s_bcnt1_i32_b32 s9, s9
	s_bcnt1_i32_b32 s10, s10
	v_add_nc_u32_e32 v1, s9, v1
	s_bcnt1_i32_b32 s11, s11
	s_bcnt1_i32_b32 s12, s12
	v_add_nc_u32_e32 v2, s10, v2
	v_add_nc_u32_e32 v3, s11, v3
	;; [unrolled: 1-line block ×3, first 2 shown]
	s_or_b32 s15, vcc_lo, s15
	s_delay_alu instid0(SALU_CYCLE_1)
	s_and_not1_b32 exec_lo, exec_lo, s15
	s_cbranch_execnz .LBB50_63
; %bb.64:                               ;   in Loop: Header=BB50_8 Depth=1
	s_or_b32 exec_lo, exec_lo, s15
.LBB50_65:                              ;   in Loop: Header=BB50_8 Depth=1
	s_delay_alu instid0(SALU_CYCLE_1)
	s_or_b32 exec_lo, exec_lo, s14
.LBB50_66:                              ;   in Loop: Header=BB50_8 Depth=1
	s_lshl_b32 s9, s88, 7
	s_and_saveexec_b32 s10, s1
	s_cbranch_execz .LBB50_68
; %bb.67:                               ;   in Loop: Header=BB50_8 Depth=1
	v_or_b32_e32 v6, s9, v22
	s_delay_alu instid0(VALU_DEP_1)
	v_lshlrev_b32_e32 v6, 2, v6
	ds_store_b128 v6, v[1:4] offset:3072
.LBB50_68:                              ;   in Loop: Header=BB50_8 Depth=1
	s_or_b32 exec_lo, exec_lo, s10
	s_waitcnt vmcnt(0) lgkmcnt(0)
	s_barrier
	buffer_gl0_inv
	s_and_saveexec_b32 s10, s69
	s_cbranch_execz .LBB50_78
; %bb.69:                               ;   in Loop: Header=BB50_8 Depth=1
	v_mov_b32_e32 v1, 0
	s_and_not1_b32 vcc_lo, exec_lo, s71
	s_cbranch_vccnz .LBB50_77
; %bb.70:                               ;   in Loop: Header=BB50_8 Depth=1
	v_mov_b32_e32 v1, 0
	s_and_not1_b32 vcc_lo, exec_lo, s73
	s_mov_b32 s11, 0
	s_cbranch_vccnz .LBB50_74
; %bb.71:                               ;   in Loop: Header=BB50_8 Depth=1
	v_lshl_add_u32 v2, s88, 9, v29
	v_mov_b32_e32 v1, 0
	.p2align	6
.LBB50_72:                              ;   Parent Loop BB50_8 Depth=1
                                        ; =>  This Inner Loop Header: Depth=2
	ds_load_2addr_b32 v[3:4], v2 offset1:4
	ds_load_2addr_b32 v[16:17], v2 offset0:8 offset1:12
	ds_load_2addr_b32 v[30:31], v2 offset0:16 offset1:20
	;; [unrolled: 1-line block ×3, first 2 shown]
	v_add_nc_u32_e32 v2, 0x80, v2
	s_add_i32 s11, s11, 8
	s_delay_alu instid0(SALU_CYCLE_1) | instskip(SKIP_3) | instid1(VALU_DEP_1)
	s_cmp_eq_u32 s74, s11
	s_waitcnt lgkmcnt(3)
	v_add3_u32 v1, v3, v1, v4
	s_waitcnt lgkmcnt(2)
	v_add3_u32 v1, v16, v1, v17
	s_waitcnt lgkmcnt(1)
	s_delay_alu instid0(VALU_DEP_1) | instskip(SKIP_1) | instid1(VALU_DEP_1)
	v_add3_u32 v1, v30, v1, v31
	s_waitcnt lgkmcnt(0)
	v_add3_u32 v1, v32, v1, v33
	s_cbranch_scc0 .LBB50_72
; %bb.73:                               ;   in Loop: Header=BB50_8 Depth=1
	s_mov_b32 s11, s74
.LBB50_74:                              ;   in Loop: Header=BB50_8 Depth=1
	s_and_not1_b32 vcc_lo, exec_lo, s75
	s_cbranch_vccnz .LBB50_77
; %bb.75:                               ;   in Loop: Header=BB50_8 Depth=1
	s_lshl_b32 s12, s88, 9
	s_lshl_b32 s11, s11, 4
	s_delay_alu instid0(SALU_CYCLE_1)
	v_add3_u32 v2, s12, s11, v29
	s_mov_b32 s11, s72
.LBB50_76:                              ;   Parent Loop BB50_8 Depth=1
                                        ; =>  This Inner Loop Header: Depth=2
	ds_load_b32 v3, v2
	v_add_nc_u32_e32 v2, 16, v2
	s_add_i32 s11, s11, -1
	s_delay_alu instid0(SALU_CYCLE_1)
	s_cmp_lg_u32 s11, 0
	s_waitcnt lgkmcnt(0)
	v_add_nc_u32_e32 v1, v3, v1
	s_cbranch_scc1 .LBB50_76
.LBB50_77:                              ;   in Loop: Header=BB50_8 Depth=1
	v_add_lshl_u32 v2, s9, v18, 2
	ds_store_b32 v2, v1 offset:3072
.LBB50_78:                              ;   in Loop: Header=BB50_8 Depth=1
	s_or_b32 exec_lo, exec_lo, s10
	s_lshl_b32 s9, s9, 2
	s_waitcnt lgkmcnt(0)
	v_mov_b32_e32 v1, s9
	s_barrier
	buffer_gl0_inv
	s_and_b32 s18, s85, 0xfe
	s_mov_b32 s14, -1
	ds_load_b128 v[1:4], v1 offset:3072
	s_lshl_b32 s11, 3, s18
	s_delay_alu instid0(SALU_CYCLE_1) | instskip(SKIP_4) | instid1(VALU_DEP_3)
	s_not_b32 s19, s11
	s_waitcnt lgkmcnt(0)
	v_readfirstlane_b32 s13, v1
	v_readfirstlane_b32 s21, v2
	;; [unrolled: 1-line block ×3, first 2 shown]
	s_cmp_eq_u32 s13, 1
	s_cselect_b32 s9, -1, 0
	s_cmp_eq_u32 s45, 1
	s_cselect_b32 s10, -1, 0
	s_delay_alu instid0(SALU_CYCLE_1)
	s_and_b32 s15, s9, s10
	v_readfirstlane_b32 s10, v4
	s_and_b32 vcc_lo, exec_lo, s15
	s_cbranch_vccz .LBB50_90
; %bb.79:                               ;   in Loop: Header=BB50_8 Depth=1
	ds_load_b32 v1, v7 offset:4096
	s_waitcnt lgkmcnt(0)
	s_barrier
	buffer_gl0_inv
	v_readfirstlane_b32 s12, v1
	s_and_saveexec_b32 s9, s2
	s_cbranch_execz .LBB50_81
; %bb.80:                               ;   in Loop: Header=BB50_8 Depth=1
	ds_store_b32 v20, v7
.LBB50_81:                              ;   in Loop: Header=BB50_8 Depth=1
	s_or_b32 exec_lo, exec_lo, s9
	s_and_b32 s90, s90, s19
	s_or_b32 s91, s91, s11
	s_cmp_lt_i32 s12, 1
	s_waitcnt lgkmcnt(0)
	s_barrier
	buffer_gl0_inv
	s_cbranch_scc0 .LBB50_91
; %bb.82:                               ;   in Loop: Header=BB50_8 Depth=1
	s_mov_b32 s9, 0
                                        ; implicit-def: $vgpr15
	s_and_saveexec_b32 s17, s8
	s_cbranch_execz .LBB50_93
; %bb.83:                               ;   in Loop: Header=BB50_8 Depth=1
	v_mov_b32_e32 v1, v5
	v_mov_b32_e32 v3, v0
	s_mov_b32 s20, 0
                                        ; implicit-def: $sgpr22
	s_set_inst_prefetch_distance 0x1
	s_branch .LBB50_85
	.p2align	6
.LBB50_84:                              ;   in Loop: Header=BB50_85 Depth=2
	s_or_b32 exec_lo, exec_lo, s9
	s_waitcnt vmcnt(0) lgkmcnt(0)
	s_barrier
	buffer_gl0_inv
	ds_load_b64 v[14:15], v7 offset:3072
	v_add_nc_u32_e32 v3, s64, v3
	v_add_nc_u32_e32 v1, s67, v1
	s_waitcnt lgkmcnt(0)
	s_barrier
	buffer_gl0_inv
	v_cmp_le_i32_e32 vcc_lo, s79, v3
	v_cmp_neq_f32_e64 s9, 0, v14
	s_delay_alu instid0(VALU_DEP_1) | instskip(NEXT) | instid1(SALU_CYCLE_1)
	s_or_b32 s23, vcc_lo, s9
	s_and_b32 s23, exec_lo, s23
	s_delay_alu instid0(SALU_CYCLE_1) | instskip(SKIP_2) | instid1(SALU_CYCLE_1)
	s_or_b32 s20, s23, s20
	s_and_not1_b32 s22, s22, exec_lo
	s_and_b32 s9, s9, exec_lo
	s_or_b32 s22, s22, s9
	s_and_not1_b32 exec_lo, exec_lo, s20
	s_cbranch_execz .LBB50_92
.LBB50_85:                              ;   Parent Loop BB50_8 Depth=1
                                        ; =>  This Inner Loop Header: Depth=2
	s_delay_alu instid0(VALU_DEP_1)
	v_cmp_gt_i32_e32 vcc_lo, s44, v3
	v_mov_b32_e32 v14, 0
	s_and_saveexec_b32 s23, vcc_lo
	s_cbranch_execz .LBB50_87
; %bb.86:                               ;   in Loop: Header=BB50_85 Depth=2
	v_ashrrev_i32_e32 v2, 31, v1
	s_delay_alu instid0(VALU_DEP_1) | instskip(NEXT) | instid1(VALU_DEP_1)
	v_lshlrev_b64 v[14:15], 2, v[1:2]
	v_add_co_u32 v14, s9, s62, v14
	s_delay_alu instid0(VALU_DEP_1)
	v_add_co_ci_u32_e64 v15, s9, s63, v15, s9
	global_load_b32 v14, v[14:15], off
.LBB50_87:                              ;   in Loop: Header=BB50_85 Depth=2
	s_or_b32 exec_lo, exec_lo, s23
	s_and_saveexec_b32 s9, vcc_lo
	s_cbranch_execz .LBB50_84
; %bb.88:                               ;   in Loop: Header=BB50_85 Depth=2
	s_waitcnt vmcnt(0)
	v_cmp_lt_i32_e32 vcc_lo, -1, v14
	v_cndmask_b32_e64 v2, -1, 0x80000000, vcc_lo
	v_cmp_o_f32_e32 vcc_lo, v14, v14
	s_delay_alu instid0(VALU_DEP_2) | instskip(NEXT) | instid1(VALU_DEP_1)
	v_xor_b32_e32 v2, v2, v14
	v_cndmask_b32_e32 v2, -1, v2, vcc_lo
	s_delay_alu instid0(VALU_DEP_1) | instskip(NEXT) | instid1(VALU_DEP_1)
	v_and_b32_e32 v2, s91, v2
	v_cmp_eq_u32_e32 vcc_lo, s90, v2
	s_and_b32 exec_lo, exec_lo, vcc_lo
	s_cbranch_execz .LBB50_84
; %bb.89:                               ;   in Loop: Header=BB50_85 Depth=2
	ds_store_b64 v7, v[13:14] offset:3072
	s_branch .LBB50_84
.LBB50_90:                              ;   in Loop: Header=BB50_8 Depth=1
	s_mov_b32 s9, -1
                                        ; implicit-def: $sgpr17
                                        ; implicit-def: $sgpr22
                                        ; implicit-def: $sgpr20
	s_branch .LBB50_104
.LBB50_91:                              ;   in Loop: Header=BB50_8 Depth=1
	s_mov_b32 s17, -1
	s_mov_b32 s9, 0
                                        ; implicit-def: $sgpr20
                                        ; implicit-def: $vgpr15
	s_mov_b32 s22, s17
	s_cbranch_execnz .LBB50_94
	s_branch .LBB50_104
.LBB50_92:                              ;   in Loop: Header=BB50_8 Depth=1
	s_set_inst_prefetch_distance 0x2
	s_or_b32 exec_lo, exec_lo, s20
	s_delay_alu instid0(SALU_CYCLE_1)
	s_and_b32 s9, s22, exec_lo
.LBB50_93:                              ;   in Loop: Header=BB50_8 Depth=1
	s_or_b32 exec_lo, exec_lo, s17
	s_mov_b32 s20, -1
	s_mov_b32 s17, 0
	s_delay_alu instid0(SALU_CYCLE_1)
	s_mov_b32 s22, s17
	s_branch .LBB50_104
.LBB50_94:                              ;   in Loop: Header=BB50_8 Depth=1
	s_add_i32 s20, s12, s68
                                        ; implicit-def: $vgpr15
	s_delay_alu instid0(SALU_CYCLE_1) | instskip(NEXT) | instid1(SALU_CYCLE_1)
	s_abs_i32 s9, s20
	s_mul_hi_u32 s17, s9, s78
	s_delay_alu instid0(SALU_CYCLE_1) | instskip(NEXT) | instid1(SALU_CYCLE_1)
	s_mul_i32 s17, s17, s64
	s_sub_i32 s9, s9, s17
	s_ashr_i32 s17, s20, 31
	s_sub_i32 s22, s9, s64
	s_cmp_ge_u32 s9, s64
	s_cselect_b32 s9, s22, s9
	s_delay_alu instid0(SALU_CYCLE_1) | instskip(SKIP_2) | instid1(SALU_CYCLE_1)
	s_sub_i32 s22, s9, s64
	s_cmp_ge_u32 s9, s64
	s_cselect_b32 s9, s22, s9
	s_xor_b32 s9, s9, s17
	s_delay_alu instid0(SALU_CYCLE_1)
	s_sub_i32 s9, s17, s9
	s_mov_b32 s17, exec_lo
	s_add_i32 s20, s20, s9
	s_mov_b32 s9, 0
	v_cmpx_gt_i32_e64 s20, v0
	s_cbranch_execz .LBB50_103
; %bb.95:                               ;   in Loop: Header=BB50_8 Depth=1
	v_dual_mov_b32 v1, v19 :: v_dual_mov_b32 v2, v0
	s_mov_b32 s22, 0
                                        ; implicit-def: $sgpr23
	s_set_inst_prefetch_distance 0x1
	s_branch .LBB50_97
	.p2align	6
.LBB50_96:                              ;   in Loop: Header=BB50_97 Depth=2
	s_or_b32 exec_lo, exec_lo, s9
	s_waitcnt lgkmcnt(0)
	s_barrier
	buffer_gl0_inv
	ds_load_b64 v[14:15], v7 offset:3072
	v_add_nc_u32_e32 v2, s64, v2
	v_add_nc_u32_e32 v1, s66, v1
	s_waitcnt lgkmcnt(0)
	s_barrier
	buffer_gl0_inv
	v_cmp_le_i32_e32 vcc_lo, s20, v2
	v_cmp_neq_f32_e64 s9, 0, v14
	s_delay_alu instid0(VALU_DEP_1) | instskip(NEXT) | instid1(SALU_CYCLE_1)
	s_or_b32 s24, vcc_lo, s9
	s_and_b32 s24, exec_lo, s24
	s_delay_alu instid0(SALU_CYCLE_1) | instskip(SKIP_2) | instid1(SALU_CYCLE_1)
	s_or_b32 s22, s24, s22
	s_and_not1_b32 s23, s23, exec_lo
	s_and_b32 s9, s9, exec_lo
	s_or_b32 s23, s23, s9
	s_and_not1_b32 exec_lo, exec_lo, s22
	s_cbranch_execz .LBB50_102
.LBB50_97:                              ;   Parent Loop BB50_8 Depth=1
                                        ; =>  This Inner Loop Header: Depth=2
	s_delay_alu instid0(VALU_DEP_1)
	v_cmp_gt_i32_e32 vcc_lo, s12, v2
	v_mov_b32_e32 v14, 0
	s_and_saveexec_b32 s9, vcc_lo
	s_cbranch_execz .LBB50_99
; %bb.98:                               ;   in Loop: Header=BB50_97 Depth=2
	ds_load_b32 v14, v1
.LBB50_99:                              ;   in Loop: Header=BB50_97 Depth=2
	s_or_b32 exec_lo, exec_lo, s9
	s_and_saveexec_b32 s9, vcc_lo
	s_cbranch_execz .LBB50_96
; %bb.100:                              ;   in Loop: Header=BB50_97 Depth=2
	s_waitcnt lgkmcnt(0)
	v_cmp_lt_i32_e32 vcc_lo, -1, v14
	v_cndmask_b32_e64 v3, -1, 0x80000000, vcc_lo
	v_cmp_o_f32_e32 vcc_lo, v14, v14
	s_delay_alu instid0(VALU_DEP_2) | instskip(NEXT) | instid1(VALU_DEP_1)
	v_xor_b32_e32 v3, v3, v14
	v_cndmask_b32_e32 v3, -1, v3, vcc_lo
	s_delay_alu instid0(VALU_DEP_1) | instskip(NEXT) | instid1(VALU_DEP_1)
	v_and_b32_e32 v3, s91, v3
	v_cmp_eq_u32_e32 vcc_lo, s90, v3
	s_and_b32 exec_lo, exec_lo, vcc_lo
	s_cbranch_execz .LBB50_96
; %bb.101:                              ;   in Loop: Header=BB50_97 Depth=2
	ds_store_b64 v7, v[13:14] offset:3072
	s_branch .LBB50_96
.LBB50_102:                             ;   in Loop: Header=BB50_8 Depth=1
	s_set_inst_prefetch_distance 0x2
	s_or_b32 exec_lo, exec_lo, s22
	s_delay_alu instid0(SALU_CYCLE_1)
	s_and_b32 s9, s23, exec_lo
.LBB50_103:                             ;   in Loop: Header=BB50_8 Depth=1
	s_or_b32 exec_lo, exec_lo, s17
	s_mov_b32 s22, -1
	s_mov_b32 s17, 0
	s_mov_b32 s20, 0
.LBB50_104:                             ;   in Loop: Header=BB50_8 Depth=1
	s_and_not1_b32 s12, s86, exec_lo
	s_and_b32 s17, s17, exec_lo
	s_and_b32 s20, s20, exec_lo
	s_or_b32 s86, s12, s17
	s_and_not1_b32 s12, s89, exec_lo
	s_and_b32 s17, s22, exec_lo
	s_and_not1_b32 s22, s87, exec_lo
	s_or_b32 s89, s12, s17
	s_or_b32 s87, s22, s20
	s_and_saveexec_b32 s12, s9
	s_cbranch_execz .LBB50_7
; %bb.105:                              ;   in Loop: Header=BB50_8 Depth=1
	s_xor_b32 s9, s15, -1
	s_mov_b32 s14, 0
	s_and_not1_b32 vcc_lo, exec_lo, s9
	s_mov_b32 s22, 1
	s_cbranch_vccnz .LBB50_116
; %bb.106:                              ;   in Loop: Header=BB50_8 Depth=1
	s_cmp_gt_i32 s45, s13
	s_mov_b32 s14, -1
                                        ; implicit-def: $sgpr9
                                        ; implicit-def: $sgpr15
                                        ; implicit-def: $sgpr17
	s_cbranch_scc1 .LBB50_112
; %bb.107:                              ;   in Loop: Header=BB50_8 Depth=1
	ds_load_b32 v1, v7 offset:4096
	s_waitcnt lgkmcnt(0)
	v_cmp_ne_u32_e32 vcc_lo, 0, v1
	s_cbranch_vccnz .LBB50_111
; %bb.108:                              ;   in Loop: Header=BB50_8 Depth=1
	s_and_saveexec_b32 s9, s0
	s_cbranch_execz .LBB50_110
; %bb.109:                              ;   in Loop: Header=BB50_8 Depth=1
	v_mov_b32_e32 v1, s13
	ds_store_b32 v7, v1 offset:4100
.LBB50_110:                             ;   in Loop: Header=BB50_8 Depth=1
	s_or_b32 exec_lo, exec_lo, s9
	s_waitcnt lgkmcnt(0)
	s_barrier
	buffer_gl0_inv
.LBB50_111:                             ;   in Loop: Header=BB50_8 Depth=1
	s_and_b32 s15, s90, s19
	s_or_b32 s17, s91, s11
	s_mov_b32 s14, 0
	s_mov_b32 s9, 8
.LBB50_112:                             ;   in Loop: Header=BB50_8 Depth=1
	s_and_not1_b32 vcc_lo, exec_lo, s14
	s_cbranch_vccnz .LBB50_114
; %bb.113:                              ;   in Loop: Header=BB50_8 Depth=1
	s_sub_i32 s45, s45, s13
	s_mov_b32 s14, -1
	s_mov_b32 s9, 0
	s_mov_b32 s15, s90
	;; [unrolled: 1-line block ×3, first 2 shown]
.LBB50_114:                             ;   in Loop: Header=BB50_8 Depth=1
	s_delay_alu instid0(SALU_CYCLE_1)
	s_mov_b32 s91, s17
	s_mov_b32 s90, s15
	;; [unrolled: 1-line block ×3, first 2 shown]
	s_and_b32 vcc_lo, exec_lo, s14
	s_mov_b32 s13, -1
	s_cbranch_vccnz .LBB50_117
.LBB50_115:                             ;   in Loop: Header=BB50_8 Depth=1
	s_mov_b32 s25, -1
                                        ; implicit-def: $sgpr14
                                        ; implicit-def: $sgpr17
                                        ; implicit-def: $sgpr15
	s_delay_alu instid0(SALU_CYCLE_1) | instskip(NEXT) | instid1(SALU_CYCLE_1)
	s_and_saveexec_b32 s10, s25
	s_xor_b32 s10, exec_lo, s10
	s_cbranch_execz .LBB50_6
	s_branch .LBB50_240
.LBB50_116:                             ;   in Loop: Header=BB50_8 Depth=1
	s_mov_b32 s9, 1
	s_and_b32 vcc_lo, exec_lo, s14
	s_mov_b32 s13, -1
	s_cbranch_vccz .LBB50_115
.LBB50_117:                             ;   in Loop: Header=BB50_8 Depth=1
	s_cmp_eq_u32 s21, 1
	s_mov_b32 s24, -1
	s_cselect_b32 s9, -1, 0
	s_cmp_eq_u32 s22, 1
	s_cselect_b32 s14, -1, 0
	s_delay_alu instid0(SALU_CYCLE_1) | instskip(NEXT) | instid1(SALU_CYCLE_1)
	s_and_b32 s23, s9, s14
	s_and_b32 vcc_lo, exec_lo, s23
	s_cbranch_vccz .LBB50_129
; %bb.118:                              ;   in Loop: Header=BB50_8 Depth=1
	ds_load_b32 v1, v7 offset:4096
	s_waitcnt lgkmcnt(0)
	s_barrier
	buffer_gl0_inv
	v_readfirstlane_b32 s20, v1
	s_and_saveexec_b32 s9, s2
	s_cbranch_execz .LBB50_120
; %bb.119:                              ;   in Loop: Header=BB50_8 Depth=1
	ds_store_b32 v20, v7
.LBB50_120:                             ;   in Loop: Header=BB50_8 Depth=1
	s_or_b32 exec_lo, exec_lo, s9
	s_lshl_b32 s9, 1, s18
	s_and_b32 s14, s90, s19
	s_or_b32 s91, s91, s11
	s_or_b32 s90, s14, s9
	s_cmp_gt_i32 s20, 0
	s_waitcnt lgkmcnt(0)
	s_barrier
	buffer_gl0_inv
	s_cbranch_scc1 .LBB50_130
; %bb.121:                              ;   in Loop: Header=BB50_8 Depth=1
	s_mov_b32 s24, 0
                                        ; implicit-def: $vgpr15
	s_and_saveexec_b32 s14, s8
	s_cbranch_execz .LBB50_132
; %bb.122:                              ;   in Loop: Header=BB50_8 Depth=1
	v_mov_b32_e32 v1, v5
	v_mov_b32_e32 v3, v0
	s_mov_b32 s15, 0
                                        ; implicit-def: $sgpr17
	s_set_inst_prefetch_distance 0x1
	s_branch .LBB50_124
	.p2align	6
.LBB50_123:                             ;   in Loop: Header=BB50_124 Depth=2
	s_or_b32 exec_lo, exec_lo, s9
	s_waitcnt vmcnt(0) lgkmcnt(0)
	s_barrier
	buffer_gl0_inv
	ds_load_b64 v[14:15], v7 offset:3072
	v_add_nc_u32_e32 v3, s64, v3
	v_add_nc_u32_e32 v1, s67, v1
	s_waitcnt lgkmcnt(0)
	s_barrier
	buffer_gl0_inv
	v_cmp_le_i32_e32 vcc_lo, s79, v3
	v_cmp_neq_f32_e64 s9, 0, v14
	s_delay_alu instid0(VALU_DEP_1) | instskip(NEXT) | instid1(SALU_CYCLE_1)
	s_or_b32 s24, vcc_lo, s9
	s_and_b32 s24, exec_lo, s24
	s_delay_alu instid0(SALU_CYCLE_1) | instskip(SKIP_2) | instid1(SALU_CYCLE_1)
	s_or_b32 s15, s24, s15
	s_and_not1_b32 s17, s17, exec_lo
	s_and_b32 s9, s9, exec_lo
	s_or_b32 s17, s17, s9
	s_and_not1_b32 exec_lo, exec_lo, s15
	s_cbranch_execz .LBB50_131
.LBB50_124:                             ;   Parent Loop BB50_8 Depth=1
                                        ; =>  This Inner Loop Header: Depth=2
	s_delay_alu instid0(VALU_DEP_1)
	v_cmp_gt_i32_e32 vcc_lo, s44, v3
	v_mov_b32_e32 v14, 0
	s_and_saveexec_b32 s24, vcc_lo
	s_cbranch_execz .LBB50_126
; %bb.125:                              ;   in Loop: Header=BB50_124 Depth=2
	v_ashrrev_i32_e32 v2, 31, v1
	s_delay_alu instid0(VALU_DEP_1) | instskip(NEXT) | instid1(VALU_DEP_1)
	v_lshlrev_b64 v[14:15], 2, v[1:2]
	v_add_co_u32 v14, s9, s62, v14
	s_delay_alu instid0(VALU_DEP_1)
	v_add_co_ci_u32_e64 v15, s9, s63, v15, s9
	global_load_b32 v14, v[14:15], off
.LBB50_126:                             ;   in Loop: Header=BB50_124 Depth=2
	s_or_b32 exec_lo, exec_lo, s24
	s_and_saveexec_b32 s9, vcc_lo
	s_cbranch_execz .LBB50_123
; %bb.127:                              ;   in Loop: Header=BB50_124 Depth=2
	s_waitcnt vmcnt(0)
	v_cmp_lt_i32_e32 vcc_lo, -1, v14
	v_cndmask_b32_e64 v2, -1, 0x80000000, vcc_lo
	v_cmp_o_f32_e32 vcc_lo, v14, v14
	s_delay_alu instid0(VALU_DEP_2) | instskip(NEXT) | instid1(VALU_DEP_1)
	v_xor_b32_e32 v2, v2, v14
	v_cndmask_b32_e32 v2, -1, v2, vcc_lo
	s_delay_alu instid0(VALU_DEP_1) | instskip(NEXT) | instid1(VALU_DEP_1)
	v_and_b32_e32 v2, s91, v2
	v_cmp_eq_u32_e32 vcc_lo, s90, v2
	s_and_b32 exec_lo, exec_lo, vcc_lo
	s_cbranch_execz .LBB50_123
; %bb.128:                              ;   in Loop: Header=BB50_124 Depth=2
	ds_store_b64 v7, v[13:14] offset:3072
	s_branch .LBB50_123
.LBB50_129:                             ;   in Loop: Header=BB50_8 Depth=1
                                        ; implicit-def: $sgpr15
                                        ; implicit-def: $sgpr17
                                        ; implicit-def: $sgpr14
	s_branch .LBB50_143
.LBB50_130:                             ;   in Loop: Header=BB50_8 Depth=1
	s_mov_b32 s15, -1
	s_mov_b32 s24, 0
                                        ; implicit-def: $sgpr14
                                        ; implicit-def: $vgpr15
	s_mov_b32 s17, s15
	s_cbranch_execnz .LBB50_133
	s_branch .LBB50_143
.LBB50_131:                             ;   in Loop: Header=BB50_8 Depth=1
	s_set_inst_prefetch_distance 0x2
	s_or_b32 exec_lo, exec_lo, s15
	s_delay_alu instid0(SALU_CYCLE_1)
	s_and_b32 s24, s17, exec_lo
.LBB50_132:                             ;   in Loop: Header=BB50_8 Depth=1
	s_or_b32 exec_lo, exec_lo, s14
	s_mov_b32 s14, -1
	s_mov_b32 s15, 0
	s_delay_alu instid0(SALU_CYCLE_1)
	s_mov_b32 s17, s15
	s_branch .LBB50_143
.LBB50_133:                             ;   in Loop: Header=BB50_8 Depth=1
	s_add_i32 s15, s20, s68
	s_mov_b32 s24, 0
	s_abs_i32 s9, s15
                                        ; implicit-def: $vgpr15
	s_delay_alu instid0(SALU_CYCLE_1) | instskip(NEXT) | instid1(SALU_CYCLE_1)
	s_mul_hi_u32 s14, s9, s78
	s_mul_i32 s14, s14, s64
	s_delay_alu instid0(SALU_CYCLE_1) | instskip(SKIP_4) | instid1(SALU_CYCLE_1)
	s_sub_i32 s9, s9, s14
	s_ashr_i32 s14, s15, 31
	s_sub_i32 s17, s9, s64
	s_cmp_ge_u32 s9, s64
	s_cselect_b32 s9, s17, s9
	s_sub_i32 s17, s9, s64
	s_cmp_ge_u32 s9, s64
	s_cselect_b32 s9, s17, s9
	s_delay_alu instid0(SALU_CYCLE_1) | instskip(NEXT) | instid1(SALU_CYCLE_1)
	s_xor_b32 s9, s9, s14
	s_sub_i32 s9, s14, s9
	s_mov_b32 s14, exec_lo
	s_add_i32 s15, s15, s9
	s_delay_alu instid0(SALU_CYCLE_1)
	v_cmpx_gt_i32_e64 s15, v0
	s_cbranch_execz .LBB50_142
; %bb.134:                              ;   in Loop: Header=BB50_8 Depth=1
	v_dual_mov_b32 v1, v19 :: v_dual_mov_b32 v2, v0
	s_mov_b32 s17, 0
                                        ; implicit-def: $sgpr24
	s_set_inst_prefetch_distance 0x1
	s_branch .LBB50_136
	.p2align	6
.LBB50_135:                             ;   in Loop: Header=BB50_136 Depth=2
	s_or_b32 exec_lo, exec_lo, s9
	s_waitcnt lgkmcnt(0)
	s_barrier
	buffer_gl0_inv
	ds_load_b64 v[14:15], v7 offset:3072
	v_add_nc_u32_e32 v2, s64, v2
	v_add_nc_u32_e32 v1, s66, v1
	s_waitcnt lgkmcnt(0)
	s_barrier
	buffer_gl0_inv
	v_cmp_le_i32_e32 vcc_lo, s15, v2
	v_cmp_neq_f32_e64 s9, 0, v14
	s_delay_alu instid0(VALU_DEP_1) | instskip(NEXT) | instid1(SALU_CYCLE_1)
	s_or_b32 s25, vcc_lo, s9
	s_and_b32 s25, exec_lo, s25
	s_delay_alu instid0(SALU_CYCLE_1) | instskip(SKIP_2) | instid1(SALU_CYCLE_1)
	s_or_b32 s17, s25, s17
	s_and_not1_b32 s24, s24, exec_lo
	s_and_b32 s9, s9, exec_lo
	s_or_b32 s24, s24, s9
	s_and_not1_b32 exec_lo, exec_lo, s17
	s_cbranch_execz .LBB50_141
.LBB50_136:                             ;   Parent Loop BB50_8 Depth=1
                                        ; =>  This Inner Loop Header: Depth=2
	s_delay_alu instid0(VALU_DEP_1)
	v_cmp_gt_i32_e32 vcc_lo, s20, v2
	v_mov_b32_e32 v14, 0
	s_and_saveexec_b32 s9, vcc_lo
	s_cbranch_execz .LBB50_138
; %bb.137:                              ;   in Loop: Header=BB50_136 Depth=2
	ds_load_b32 v14, v1
.LBB50_138:                             ;   in Loop: Header=BB50_136 Depth=2
	s_or_b32 exec_lo, exec_lo, s9
	s_and_saveexec_b32 s9, vcc_lo
	s_cbranch_execz .LBB50_135
; %bb.139:                              ;   in Loop: Header=BB50_136 Depth=2
	s_waitcnt lgkmcnt(0)
	v_cmp_lt_i32_e32 vcc_lo, -1, v14
	v_cndmask_b32_e64 v3, -1, 0x80000000, vcc_lo
	v_cmp_o_f32_e32 vcc_lo, v14, v14
	s_delay_alu instid0(VALU_DEP_2) | instskip(NEXT) | instid1(VALU_DEP_1)
	v_xor_b32_e32 v3, v3, v14
	v_cndmask_b32_e32 v3, -1, v3, vcc_lo
	s_delay_alu instid0(VALU_DEP_1) | instskip(NEXT) | instid1(VALU_DEP_1)
	v_and_b32_e32 v3, s91, v3
	v_cmp_eq_u32_e32 vcc_lo, s90, v3
	s_and_b32 exec_lo, exec_lo, vcc_lo
	s_cbranch_execz .LBB50_135
; %bb.140:                              ;   in Loop: Header=BB50_136 Depth=2
	ds_store_b64 v7, v[13:14] offset:3072
	s_branch .LBB50_135
.LBB50_141:                             ;   in Loop: Header=BB50_8 Depth=1
	s_set_inst_prefetch_distance 0x2
	s_or_b32 exec_lo, exec_lo, s17
	s_delay_alu instid0(SALU_CYCLE_1)
	s_and_b32 s24, s24, exec_lo
.LBB50_142:                             ;   in Loop: Header=BB50_8 Depth=1
	s_or_b32 exec_lo, exec_lo, s14
	s_mov_b32 s17, -1
	s_mov_b32 s15, 0
	s_mov_b32 s14, 0
.LBB50_143:                             ;   in Loop: Header=BB50_8 Depth=1
	s_mov_b32 s25, 0
                                        ; implicit-def: $sgpr9
	s_and_saveexec_b32 s20, s24
	s_cbranch_execz .LBB50_239
; %bb.144:                              ;   in Loop: Header=BB50_8 Depth=1
	s_xor_b32 s9, s23, -1
	s_mov_b32 s23, 0
	s_and_not1_b32 vcc_lo, exec_lo, s9
	s_mov_b32 s26, 1
	s_cbranch_vccnz .LBB50_155
; %bb.145:                              ;   in Loop: Header=BB50_8 Depth=1
	s_cmp_gt_i32 s22, s21
	s_mov_b32 s23, -1
                                        ; implicit-def: $sgpr9
                                        ; implicit-def: $sgpr24
                                        ; implicit-def: $sgpr25
	s_cbranch_scc1 .LBB50_151
; %bb.146:                              ;   in Loop: Header=BB50_8 Depth=1
	ds_load_b32 v1, v7 offset:4096
	s_waitcnt lgkmcnt(0)
	v_cmp_ne_u32_e32 vcc_lo, 0, v1
	s_cbranch_vccnz .LBB50_150
; %bb.147:                              ;   in Loop: Header=BB50_8 Depth=1
	s_and_saveexec_b32 s9, s0
	s_cbranch_execz .LBB50_149
; %bb.148:                              ;   in Loop: Header=BB50_8 Depth=1
	v_mov_b32_e32 v1, s21
	ds_store_b32 v7, v1 offset:4100
.LBB50_149:                             ;   in Loop: Header=BB50_8 Depth=1
	s_or_b32 exec_lo, exec_lo, s9
	s_waitcnt lgkmcnt(0)
	s_barrier
	buffer_gl0_inv
.LBB50_150:                             ;   in Loop: Header=BB50_8 Depth=1
	s_lshl_b32 s9, 1, s18
	s_and_b32 s23, s90, s19
	s_or_b32 s25, s91, s11
	s_or_b32 s24, s23, s9
	s_mov_b32 s23, 0
	s_mov_b32 s9, 8
.LBB50_151:                             ;   in Loop: Header=BB50_8 Depth=1
	s_and_not1_b32 vcc_lo, exec_lo, s23
	s_cbranch_vccnz .LBB50_153
; %bb.152:                              ;   in Loop: Header=BB50_8 Depth=1
	s_sub_i32 s22, s22, s21
	s_mov_b32 s23, -1
	s_mov_b32 s9, 0
	s_mov_b32 s24, s90
	;; [unrolled: 1-line block ×3, first 2 shown]
.LBB50_153:                             ;   in Loop: Header=BB50_8 Depth=1
	s_delay_alu instid0(SALU_CYCLE_1)
	s_mov_b32 s91, s25
	s_mov_b32 s90, s24
	;; [unrolled: 1-line block ×3, first 2 shown]
	s_and_not1_b32 vcc_lo, exec_lo, s23
	s_mov_b32 s28, -1
	s_cbranch_vccz .LBB50_156
.LBB50_154:                             ;   in Loop: Header=BB50_8 Depth=1
                                        ; implicit-def: $sgpr22
                                        ; implicit-def: $sgpr23
                                        ; implicit-def: $sgpr21
	s_branch .LBB50_238
.LBB50_155:                             ;   in Loop: Header=BB50_8 Depth=1
	s_mov_b32 s9, 1
	s_and_not1_b32 vcc_lo, exec_lo, s23
	s_mov_b32 s28, -1
	s_cbranch_vccnz .LBB50_154
.LBB50_156:                             ;   in Loop: Header=BB50_8 Depth=1
	s_cmp_eq_u32 s16, 1
	s_mov_b32 s27, -1
	s_cselect_b32 s9, -1, 0
	s_cmp_eq_u32 s26, 1
	s_cselect_b32 s21, -1, 0
	s_delay_alu instid0(SALU_CYCLE_1) | instskip(NEXT) | instid1(SALU_CYCLE_1)
	s_and_b32 s25, s9, s21
	s_and_b32 vcc_lo, exec_lo, s25
	s_cbranch_vccz .LBB50_168
; %bb.157:                              ;   in Loop: Header=BB50_8 Depth=1
	ds_load_b32 v1, v7 offset:4096
	s_waitcnt lgkmcnt(0)
	s_barrier
	buffer_gl0_inv
	v_readfirstlane_b32 s24, v1
	s_and_saveexec_b32 s9, s2
	s_cbranch_execz .LBB50_159
; %bb.158:                              ;   in Loop: Header=BB50_8 Depth=1
	ds_store_b32 v20, v7
.LBB50_159:                             ;   in Loop: Header=BB50_8 Depth=1
	s_or_b32 exec_lo, exec_lo, s9
	s_lshl_b32 s9, 2, s18
	s_and_b32 s21, s90, s19
	s_or_b32 s91, s91, s11
	s_or_b32 s90, s21, s9
	s_cmp_gt_i32 s24, 0
	s_waitcnt lgkmcnt(0)
	s_barrier
	buffer_gl0_inv
	s_cbranch_scc1 .LBB50_169
; %bb.160:                              ;   in Loop: Header=BB50_8 Depth=1
	s_mov_b32 s27, 0
                                        ; implicit-def: $vgpr15
	s_and_saveexec_b32 s21, s8
	s_cbranch_execz .LBB50_171
; %bb.161:                              ;   in Loop: Header=BB50_8 Depth=1
	v_mov_b32_e32 v1, v5
	v_mov_b32_e32 v3, v0
	s_mov_b32 s22, 0
                                        ; implicit-def: $sgpr23
	s_set_inst_prefetch_distance 0x1
	s_branch .LBB50_163
	.p2align	6
.LBB50_162:                             ;   in Loop: Header=BB50_163 Depth=2
	s_or_b32 exec_lo, exec_lo, s9
	s_waitcnt vmcnt(0) lgkmcnt(0)
	s_barrier
	buffer_gl0_inv
	ds_load_b64 v[14:15], v7 offset:3072
	v_add_nc_u32_e32 v3, s64, v3
	v_add_nc_u32_e32 v1, s67, v1
	s_waitcnt lgkmcnt(0)
	s_barrier
	buffer_gl0_inv
	v_cmp_le_i32_e32 vcc_lo, s79, v3
	v_cmp_neq_f32_e64 s9, 0, v14
	s_delay_alu instid0(VALU_DEP_1) | instskip(NEXT) | instid1(SALU_CYCLE_1)
	s_or_b32 s27, vcc_lo, s9
	s_and_b32 s27, exec_lo, s27
	s_delay_alu instid0(SALU_CYCLE_1) | instskip(SKIP_2) | instid1(SALU_CYCLE_1)
	s_or_b32 s22, s27, s22
	s_and_not1_b32 s23, s23, exec_lo
	s_and_b32 s9, s9, exec_lo
	s_or_b32 s23, s23, s9
	s_and_not1_b32 exec_lo, exec_lo, s22
	s_cbranch_execz .LBB50_170
.LBB50_163:                             ;   Parent Loop BB50_8 Depth=1
                                        ; =>  This Inner Loop Header: Depth=2
	s_delay_alu instid0(VALU_DEP_1)
	v_cmp_gt_i32_e32 vcc_lo, s44, v3
	v_mov_b32_e32 v14, 0
	s_and_saveexec_b32 s27, vcc_lo
	s_cbranch_execz .LBB50_165
; %bb.164:                              ;   in Loop: Header=BB50_163 Depth=2
	v_ashrrev_i32_e32 v2, 31, v1
	s_delay_alu instid0(VALU_DEP_1) | instskip(NEXT) | instid1(VALU_DEP_1)
	v_lshlrev_b64 v[14:15], 2, v[1:2]
	v_add_co_u32 v14, s9, s62, v14
	s_delay_alu instid0(VALU_DEP_1)
	v_add_co_ci_u32_e64 v15, s9, s63, v15, s9
	global_load_b32 v14, v[14:15], off
.LBB50_165:                             ;   in Loop: Header=BB50_163 Depth=2
	s_or_b32 exec_lo, exec_lo, s27
	s_and_saveexec_b32 s9, vcc_lo
	s_cbranch_execz .LBB50_162
; %bb.166:                              ;   in Loop: Header=BB50_163 Depth=2
	s_waitcnt vmcnt(0)
	v_cmp_lt_i32_e32 vcc_lo, -1, v14
	v_cndmask_b32_e64 v2, -1, 0x80000000, vcc_lo
	v_cmp_o_f32_e32 vcc_lo, v14, v14
	s_delay_alu instid0(VALU_DEP_2) | instskip(NEXT) | instid1(VALU_DEP_1)
	v_xor_b32_e32 v2, v2, v14
	v_cndmask_b32_e32 v2, -1, v2, vcc_lo
	s_delay_alu instid0(VALU_DEP_1) | instskip(NEXT) | instid1(VALU_DEP_1)
	v_and_b32_e32 v2, s91, v2
	v_cmp_eq_u32_e32 vcc_lo, s90, v2
	s_and_b32 exec_lo, exec_lo, vcc_lo
	s_cbranch_execz .LBB50_162
; %bb.167:                              ;   in Loop: Header=BB50_163 Depth=2
	ds_store_b64 v7, v[13:14] offset:3072
	s_branch .LBB50_162
.LBB50_168:                             ;   in Loop: Header=BB50_8 Depth=1
                                        ; implicit-def: $sgpr21
                                        ; implicit-def: $sgpr23
                                        ; implicit-def: $sgpr22
	s_branch .LBB50_182
.LBB50_169:                             ;   in Loop: Header=BB50_8 Depth=1
	s_mov_b32 s21, -1
	s_mov_b32 s27, 0
                                        ; implicit-def: $sgpr22
                                        ; implicit-def: $vgpr15
	s_mov_b32 s23, s21
	s_cbranch_execnz .LBB50_172
	s_branch .LBB50_182
.LBB50_170:                             ;   in Loop: Header=BB50_8 Depth=1
	s_set_inst_prefetch_distance 0x2
	s_or_b32 exec_lo, exec_lo, s22
	s_delay_alu instid0(SALU_CYCLE_1)
	s_and_b32 s27, s23, exec_lo
.LBB50_171:                             ;   in Loop: Header=BB50_8 Depth=1
	s_or_b32 exec_lo, exec_lo, s21
	s_mov_b32 s22, -1
	s_mov_b32 s21, 0
	s_delay_alu instid0(SALU_CYCLE_1)
	s_mov_b32 s23, s21
	s_branch .LBB50_182
.LBB50_172:                             ;   in Loop: Header=BB50_8 Depth=1
	s_add_i32 s22, s24, s68
	s_mov_b32 s27, 0
	s_abs_i32 s9, s22
                                        ; implicit-def: $vgpr15
	s_delay_alu instid0(SALU_CYCLE_1) | instskip(NEXT) | instid1(SALU_CYCLE_1)
	s_mul_hi_u32 s21, s9, s78
	s_mul_i32 s21, s21, s64
	s_delay_alu instid0(SALU_CYCLE_1) | instskip(SKIP_4) | instid1(SALU_CYCLE_1)
	s_sub_i32 s9, s9, s21
	s_ashr_i32 s21, s22, 31
	s_sub_i32 s23, s9, s64
	s_cmp_ge_u32 s9, s64
	s_cselect_b32 s9, s23, s9
	s_sub_i32 s23, s9, s64
	s_cmp_ge_u32 s9, s64
	s_cselect_b32 s9, s23, s9
	s_delay_alu instid0(SALU_CYCLE_1) | instskip(NEXT) | instid1(SALU_CYCLE_1)
	s_xor_b32 s9, s9, s21
	s_sub_i32 s9, s21, s9
	s_mov_b32 s21, exec_lo
	s_add_i32 s22, s22, s9
	s_delay_alu instid0(SALU_CYCLE_1)
	v_cmpx_gt_i32_e64 s22, v0
	s_cbranch_execz .LBB50_181
; %bb.173:                              ;   in Loop: Header=BB50_8 Depth=1
	v_dual_mov_b32 v1, v19 :: v_dual_mov_b32 v2, v0
	s_mov_b32 s23, 0
                                        ; implicit-def: $sgpr27
	s_set_inst_prefetch_distance 0x1
	s_branch .LBB50_175
	.p2align	6
.LBB50_174:                             ;   in Loop: Header=BB50_175 Depth=2
	s_or_b32 exec_lo, exec_lo, s9
	s_waitcnt lgkmcnt(0)
	s_barrier
	buffer_gl0_inv
	ds_load_b64 v[14:15], v7 offset:3072
	v_add_nc_u32_e32 v2, s64, v2
	v_add_nc_u32_e32 v1, s66, v1
	s_waitcnt lgkmcnt(0)
	s_barrier
	buffer_gl0_inv
	v_cmp_le_i32_e32 vcc_lo, s22, v2
	v_cmp_neq_f32_e64 s9, 0, v14
	s_delay_alu instid0(VALU_DEP_1) | instskip(NEXT) | instid1(SALU_CYCLE_1)
	s_or_b32 s28, vcc_lo, s9
	s_and_b32 s28, exec_lo, s28
	s_delay_alu instid0(SALU_CYCLE_1) | instskip(SKIP_2) | instid1(SALU_CYCLE_1)
	s_or_b32 s23, s28, s23
	s_and_not1_b32 s27, s27, exec_lo
	s_and_b32 s9, s9, exec_lo
	s_or_b32 s27, s27, s9
	s_and_not1_b32 exec_lo, exec_lo, s23
	s_cbranch_execz .LBB50_180
.LBB50_175:                             ;   Parent Loop BB50_8 Depth=1
                                        ; =>  This Inner Loop Header: Depth=2
	s_delay_alu instid0(VALU_DEP_1)
	v_cmp_gt_i32_e32 vcc_lo, s24, v2
	v_mov_b32_e32 v14, 0
	s_and_saveexec_b32 s9, vcc_lo
	s_cbranch_execz .LBB50_177
; %bb.176:                              ;   in Loop: Header=BB50_175 Depth=2
	ds_load_b32 v14, v1
.LBB50_177:                             ;   in Loop: Header=BB50_175 Depth=2
	s_or_b32 exec_lo, exec_lo, s9
	s_and_saveexec_b32 s9, vcc_lo
	s_cbranch_execz .LBB50_174
; %bb.178:                              ;   in Loop: Header=BB50_175 Depth=2
	s_waitcnt lgkmcnt(0)
	v_cmp_lt_i32_e32 vcc_lo, -1, v14
	v_cndmask_b32_e64 v3, -1, 0x80000000, vcc_lo
	v_cmp_o_f32_e32 vcc_lo, v14, v14
	s_delay_alu instid0(VALU_DEP_2) | instskip(NEXT) | instid1(VALU_DEP_1)
	v_xor_b32_e32 v3, v3, v14
	v_cndmask_b32_e32 v3, -1, v3, vcc_lo
	s_delay_alu instid0(VALU_DEP_1) | instskip(NEXT) | instid1(VALU_DEP_1)
	v_and_b32_e32 v3, s91, v3
	v_cmp_eq_u32_e32 vcc_lo, s90, v3
	s_and_b32 exec_lo, exec_lo, vcc_lo
	s_cbranch_execz .LBB50_174
; %bb.179:                              ;   in Loop: Header=BB50_175 Depth=2
	ds_store_b64 v7, v[13:14] offset:3072
	s_branch .LBB50_174
.LBB50_180:                             ;   in Loop: Header=BB50_8 Depth=1
	s_set_inst_prefetch_distance 0x2
	s_or_b32 exec_lo, exec_lo, s23
	s_delay_alu instid0(SALU_CYCLE_1)
	s_and_b32 s27, s27, exec_lo
.LBB50_181:                             ;   in Loop: Header=BB50_8 Depth=1
	s_or_b32 exec_lo, exec_lo, s21
	s_mov_b32 s23, -1
	s_mov_b32 s21, 0
	s_mov_b32 s22, 0
.LBB50_182:                             ;   in Loop: Header=BB50_8 Depth=1
	s_mov_b32 s28, 0
                                        ; implicit-def: $sgpr9
	s_and_saveexec_b32 s24, s27
	s_cbranch_execz .LBB50_237
; %bb.183:                              ;   in Loop: Header=BB50_8 Depth=1
	s_xor_b32 s9, s25, -1
	s_mov_b32 s27, 0
	s_and_not1_b32 vcc_lo, exec_lo, s9
	s_mov_b32 s25, 1
	s_cbranch_vccnz .LBB50_194
; %bb.184:                              ;   in Loop: Header=BB50_8 Depth=1
	s_cmp_gt_i32 s26, s16
	s_mov_b32 s27, -1
                                        ; implicit-def: $sgpr9
                                        ; implicit-def: $sgpr25
                                        ; implicit-def: $sgpr28
	s_cbranch_scc1 .LBB50_190
; %bb.185:                              ;   in Loop: Header=BB50_8 Depth=1
	ds_load_b32 v1, v7 offset:4096
	s_waitcnt lgkmcnt(0)
	v_cmp_ne_u32_e32 vcc_lo, 0, v1
	s_cbranch_vccnz .LBB50_189
; %bb.186:                              ;   in Loop: Header=BB50_8 Depth=1
	s_and_saveexec_b32 s9, s0
	s_cbranch_execz .LBB50_188
; %bb.187:                              ;   in Loop: Header=BB50_8 Depth=1
	v_mov_b32_e32 v1, s16
	ds_store_b32 v7, v1 offset:4100
.LBB50_188:                             ;   in Loop: Header=BB50_8 Depth=1
	s_or_b32 exec_lo, exec_lo, s9
	s_waitcnt lgkmcnt(0)
	s_barrier
	buffer_gl0_inv
.LBB50_189:                             ;   in Loop: Header=BB50_8 Depth=1
	s_lshl_b32 s9, 2, s18
	s_and_b32 s18, s90, s19
	s_or_b32 s28, s91, s11
	s_or_b32 s25, s18, s9
	s_mov_b32 s27, 0
	s_mov_b32 s9, 8
.LBB50_190:                             ;   in Loop: Header=BB50_8 Depth=1
	s_and_not1_b32 vcc_lo, exec_lo, s27
	s_cbranch_vccnz .LBB50_192
; %bb.191:                              ;   in Loop: Header=BB50_8 Depth=1
	s_sub_i32 s26, s26, s16
	s_mov_b32 s27, -1
	s_mov_b32 s9, 0
	s_mov_b32 s25, s90
	;; [unrolled: 1-line block ×3, first 2 shown]
.LBB50_192:                             ;   in Loop: Header=BB50_8 Depth=1
	s_delay_alu instid0(SALU_CYCLE_1)
	s_mov_b32 s91, s28
	s_mov_b32 s90, s25
	;; [unrolled: 1-line block ×3, first 2 shown]
	s_and_not1_b32 vcc_lo, exec_lo, s27
	s_mov_b32 s45, -1
	s_cbranch_vccz .LBB50_195
.LBB50_193:                             ;   in Loop: Header=BB50_8 Depth=1
                                        ; implicit-def: $sgpr19
                                        ; implicit-def: $sgpr27
                                        ; implicit-def: $sgpr26
	s_branch .LBB50_236
.LBB50_194:                             ;   in Loop: Header=BB50_8 Depth=1
	s_mov_b32 s9, 1
	s_and_not1_b32 vcc_lo, exec_lo, s27
	s_mov_b32 s45, -1
	s_cbranch_vccnz .LBB50_193
.LBB50_195:                             ;   in Loop: Header=BB50_8 Depth=1
	s_cmp_eq_u32 s10, 1
	s_mov_b32 s28, -1
	s_cselect_b32 s9, -1, 0
	s_cmp_eq_u32 s25, 1
	s_cselect_b32 s16, -1, 0
	s_delay_alu instid0(SALU_CYCLE_1) | instskip(NEXT) | instid1(SALU_CYCLE_1)
	s_and_b32 s16, s9, s16
	s_and_b32 vcc_lo, exec_lo, s16
	s_cbranch_vccz .LBB50_207
; %bb.196:                              ;   in Loop: Header=BB50_8 Depth=1
	ds_load_b32 v1, v7 offset:4096
	s_waitcnt lgkmcnt(0)
	s_barrier
	buffer_gl0_inv
	v_readfirstlane_b32 s18, v1
	s_and_saveexec_b32 s9, s2
	s_cbranch_execz .LBB50_198
; %bb.197:                              ;   in Loop: Header=BB50_8 Depth=1
	ds_store_b32 v20, v7
.LBB50_198:                             ;   in Loop: Header=BB50_8 Depth=1
	s_or_b32 exec_lo, exec_lo, s9
	s_or_b32 s90, s90, s11
	s_or_b32 s91, s91, s11
	s_cmp_gt_i32 s18, 0
	s_waitcnt lgkmcnt(0)
	s_barrier
	buffer_gl0_inv
	s_cbranch_scc1 .LBB50_208
; %bb.199:                              ;   in Loop: Header=BB50_8 Depth=1
	s_mov_b32 s28, 0
                                        ; implicit-def: $vgpr15
	s_and_saveexec_b32 s19, s8
	s_cbranch_execz .LBB50_210
; %bb.200:                              ;   in Loop: Header=BB50_8 Depth=1
	v_mov_b32_e32 v1, v5
	v_mov_b32_e32 v3, v0
	s_mov_b32 s26, 0
                                        ; implicit-def: $sgpr27
	s_set_inst_prefetch_distance 0x1
	s_branch .LBB50_202
	.p2align	6
.LBB50_201:                             ;   in Loop: Header=BB50_202 Depth=2
	s_or_b32 exec_lo, exec_lo, s9
	s_waitcnt vmcnt(0) lgkmcnt(0)
	s_barrier
	buffer_gl0_inv
	ds_load_b64 v[14:15], v7 offset:3072
	v_add_nc_u32_e32 v3, s64, v3
	v_add_nc_u32_e32 v1, s67, v1
	s_waitcnt lgkmcnt(0)
	s_barrier
	buffer_gl0_inv
	v_cmp_le_i32_e32 vcc_lo, s79, v3
	v_cmp_neq_f32_e64 s9, 0, v14
	s_delay_alu instid0(VALU_DEP_1) | instskip(NEXT) | instid1(SALU_CYCLE_1)
	s_or_b32 s28, vcc_lo, s9
	s_and_b32 s28, exec_lo, s28
	s_delay_alu instid0(SALU_CYCLE_1) | instskip(SKIP_2) | instid1(SALU_CYCLE_1)
	s_or_b32 s26, s28, s26
	s_and_not1_b32 s27, s27, exec_lo
	s_and_b32 s9, s9, exec_lo
	s_or_b32 s27, s27, s9
	s_and_not1_b32 exec_lo, exec_lo, s26
	s_cbranch_execz .LBB50_209
.LBB50_202:                             ;   Parent Loop BB50_8 Depth=1
                                        ; =>  This Inner Loop Header: Depth=2
	s_delay_alu instid0(VALU_DEP_1)
	v_cmp_gt_i32_e32 vcc_lo, s44, v3
	v_mov_b32_e32 v14, 0
	s_and_saveexec_b32 s28, vcc_lo
	s_cbranch_execz .LBB50_204
; %bb.203:                              ;   in Loop: Header=BB50_202 Depth=2
	v_ashrrev_i32_e32 v2, 31, v1
	s_delay_alu instid0(VALU_DEP_1) | instskip(NEXT) | instid1(VALU_DEP_1)
	v_lshlrev_b64 v[14:15], 2, v[1:2]
	v_add_co_u32 v14, s9, s62, v14
	s_delay_alu instid0(VALU_DEP_1)
	v_add_co_ci_u32_e64 v15, s9, s63, v15, s9
	global_load_b32 v14, v[14:15], off
.LBB50_204:                             ;   in Loop: Header=BB50_202 Depth=2
	s_or_b32 exec_lo, exec_lo, s28
	s_and_saveexec_b32 s9, vcc_lo
	s_cbranch_execz .LBB50_201
; %bb.205:                              ;   in Loop: Header=BB50_202 Depth=2
	s_waitcnt vmcnt(0)
	v_cmp_lt_i32_e32 vcc_lo, -1, v14
	v_cndmask_b32_e64 v2, -1, 0x80000000, vcc_lo
	v_cmp_o_f32_e32 vcc_lo, v14, v14
	s_delay_alu instid0(VALU_DEP_2) | instskip(NEXT) | instid1(VALU_DEP_1)
	v_xor_b32_e32 v2, v2, v14
	v_cndmask_b32_e32 v2, -1, v2, vcc_lo
	s_delay_alu instid0(VALU_DEP_1) | instskip(NEXT) | instid1(VALU_DEP_1)
	v_and_b32_e32 v2, s91, v2
	v_cmp_eq_u32_e32 vcc_lo, s90, v2
	s_and_b32 exec_lo, exec_lo, vcc_lo
	s_cbranch_execz .LBB50_201
; %bb.206:                              ;   in Loop: Header=BB50_202 Depth=2
	ds_store_b64 v7, v[13:14] offset:3072
	s_branch .LBB50_201
.LBB50_207:                             ;   in Loop: Header=BB50_8 Depth=1
                                        ; implicit-def: $sgpr19
                                        ; implicit-def: $sgpr27
                                        ; implicit-def: $sgpr26
	s_branch .LBB50_221
.LBB50_208:                             ;   in Loop: Header=BB50_8 Depth=1
	s_mov_b32 s19, -1
	s_mov_b32 s28, 0
                                        ; implicit-def: $sgpr26
                                        ; implicit-def: $vgpr15
	s_mov_b32 s27, s19
	s_cbranch_execnz .LBB50_211
	s_branch .LBB50_221
.LBB50_209:                             ;   in Loop: Header=BB50_8 Depth=1
	s_set_inst_prefetch_distance 0x2
	s_or_b32 exec_lo, exec_lo, s26
	s_delay_alu instid0(SALU_CYCLE_1)
	s_and_b32 s28, s27, exec_lo
.LBB50_210:                             ;   in Loop: Header=BB50_8 Depth=1
	s_or_b32 exec_lo, exec_lo, s19
	s_mov_b32 s26, -1
	s_mov_b32 s19, 0
	s_delay_alu instid0(SALU_CYCLE_1)
	s_mov_b32 s27, s19
	s_branch .LBB50_221
.LBB50_211:                             ;   in Loop: Header=BB50_8 Depth=1
	s_add_i32 s26, s18, s68
	s_mov_b32 s28, 0
	s_abs_i32 s9, s26
                                        ; implicit-def: $vgpr15
	s_delay_alu instid0(SALU_CYCLE_1) | instskip(NEXT) | instid1(SALU_CYCLE_1)
	s_mul_hi_u32 s19, s9, s78
	s_mul_i32 s19, s19, s64
	s_delay_alu instid0(SALU_CYCLE_1) | instskip(SKIP_4) | instid1(SALU_CYCLE_1)
	s_sub_i32 s9, s9, s19
	s_ashr_i32 s19, s26, 31
	s_sub_i32 s27, s9, s64
	s_cmp_ge_u32 s9, s64
	s_cselect_b32 s9, s27, s9
	s_sub_i32 s27, s9, s64
	s_cmp_ge_u32 s9, s64
	s_cselect_b32 s9, s27, s9
	s_delay_alu instid0(SALU_CYCLE_1) | instskip(NEXT) | instid1(SALU_CYCLE_1)
	s_xor_b32 s9, s9, s19
	s_sub_i32 s9, s19, s9
	s_mov_b32 s19, exec_lo
	s_add_i32 s26, s26, s9
	s_delay_alu instid0(SALU_CYCLE_1)
	v_cmpx_gt_i32_e64 s26, v0
	s_cbranch_execz .LBB50_220
; %bb.212:                              ;   in Loop: Header=BB50_8 Depth=1
	v_dual_mov_b32 v1, v19 :: v_dual_mov_b32 v2, v0
	s_mov_b32 s27, 0
                                        ; implicit-def: $sgpr28
	s_set_inst_prefetch_distance 0x1
	s_branch .LBB50_214
	.p2align	6
.LBB50_213:                             ;   in Loop: Header=BB50_214 Depth=2
	s_or_b32 exec_lo, exec_lo, s9
	s_waitcnt lgkmcnt(0)
	s_barrier
	buffer_gl0_inv
	ds_load_b64 v[14:15], v7 offset:3072
	v_add_nc_u32_e32 v2, s64, v2
	v_add_nc_u32_e32 v1, s66, v1
	s_waitcnt lgkmcnt(0)
	s_barrier
	buffer_gl0_inv
	v_cmp_le_i32_e32 vcc_lo, s26, v2
	v_cmp_neq_f32_e64 s9, 0, v14
	s_delay_alu instid0(VALU_DEP_1) | instskip(NEXT) | instid1(SALU_CYCLE_1)
	s_or_b32 s45, vcc_lo, s9
	s_and_b32 s45, exec_lo, s45
	s_delay_alu instid0(SALU_CYCLE_1) | instskip(SKIP_2) | instid1(SALU_CYCLE_1)
	s_or_b32 s27, s45, s27
	s_and_not1_b32 s28, s28, exec_lo
	s_and_b32 s9, s9, exec_lo
	s_or_b32 s28, s28, s9
	s_and_not1_b32 exec_lo, exec_lo, s27
	s_cbranch_execz .LBB50_219
.LBB50_214:                             ;   Parent Loop BB50_8 Depth=1
                                        ; =>  This Inner Loop Header: Depth=2
	s_delay_alu instid0(VALU_DEP_1)
	v_cmp_gt_i32_e32 vcc_lo, s18, v2
	v_mov_b32_e32 v14, 0
	s_and_saveexec_b32 s9, vcc_lo
	s_cbranch_execz .LBB50_216
; %bb.215:                              ;   in Loop: Header=BB50_214 Depth=2
	ds_load_b32 v14, v1
.LBB50_216:                             ;   in Loop: Header=BB50_214 Depth=2
	s_or_b32 exec_lo, exec_lo, s9
	s_and_saveexec_b32 s9, vcc_lo
	s_cbranch_execz .LBB50_213
; %bb.217:                              ;   in Loop: Header=BB50_214 Depth=2
	s_waitcnt lgkmcnt(0)
	v_cmp_lt_i32_e32 vcc_lo, -1, v14
	v_cndmask_b32_e64 v3, -1, 0x80000000, vcc_lo
	v_cmp_o_f32_e32 vcc_lo, v14, v14
	s_delay_alu instid0(VALU_DEP_2) | instskip(NEXT) | instid1(VALU_DEP_1)
	v_xor_b32_e32 v3, v3, v14
	v_cndmask_b32_e32 v3, -1, v3, vcc_lo
	s_delay_alu instid0(VALU_DEP_1) | instskip(NEXT) | instid1(VALU_DEP_1)
	v_and_b32_e32 v3, s91, v3
	v_cmp_eq_u32_e32 vcc_lo, s90, v3
	s_and_b32 exec_lo, exec_lo, vcc_lo
	s_cbranch_execz .LBB50_213
; %bb.218:                              ;   in Loop: Header=BB50_214 Depth=2
	ds_store_b64 v7, v[13:14] offset:3072
	s_branch .LBB50_213
.LBB50_219:                             ;   in Loop: Header=BB50_8 Depth=1
	s_set_inst_prefetch_distance 0x2
	s_or_b32 exec_lo, exec_lo, s27
	s_delay_alu instid0(SALU_CYCLE_1)
	s_and_b32 s28, s28, exec_lo
.LBB50_220:                             ;   in Loop: Header=BB50_8 Depth=1
	s_or_b32 exec_lo, exec_lo, s19
	s_mov_b32 s27, -1
	s_mov_b32 s19, 0
	s_mov_b32 s26, 0
.LBB50_221:                             ;   in Loop: Header=BB50_8 Depth=1
	s_mov_b32 s45, 0
                                        ; implicit-def: $sgpr9
	s_and_saveexec_b32 s18, s28
	s_cbranch_execz .LBB50_235
; %bb.222:                              ;   in Loop: Header=BB50_8 Depth=1
	s_xor_b32 s9, s16, -1
	s_delay_alu instid0(SALU_CYCLE_1)
	s_and_not1_b32 vcc_lo, exec_lo, s9
	s_mov_b32 s9, 1
	s_cbranch_vccnz .LBB50_229
; %bb.223:                              ;   in Loop: Header=BB50_8 Depth=1
	s_cmp_gt_i32 s25, s10
	s_cbranch_scc1 .LBB50_230
; %bb.224:                              ;   in Loop: Header=BB50_8 Depth=1
	ds_load_b32 v1, v7 offset:4096
	s_waitcnt lgkmcnt(0)
	v_cmp_ne_u32_e32 vcc_lo, 0, v1
	s_cbranch_vccnz .LBB50_228
; %bb.225:                              ;   in Loop: Header=BB50_8 Depth=1
	s_and_saveexec_b32 s9, s0
	s_cbranch_execz .LBB50_227
; %bb.226:                              ;   in Loop: Header=BB50_8 Depth=1
	v_mov_b32_e32 v1, s10
	ds_store_b32 v7, v1 offset:4100
.LBB50_227:                             ;   in Loop: Header=BB50_8 Depth=1
	s_or_b32 exec_lo, exec_lo, s9
	s_waitcnt lgkmcnt(0)
	s_barrier
	buffer_gl0_inv
.LBB50_228:                             ;   in Loop: Header=BB50_8 Depth=1
	s_or_b32 s16, s90, s11
	s_or_b32 s11, s91, s11
	s_mov_b32 s28, 0
	s_mov_b32 s9, 8
	s_branch .LBB50_231
.LBB50_229:                             ;   in Loop: Header=BB50_8 Depth=1
	s_mov_b32 s25, 1
	s_branch .LBB50_234
.LBB50_230:                             ;   in Loop: Header=BB50_8 Depth=1
	s_mov_b32 s28, -1
                                        ; implicit-def: $sgpr9
                                        ; implicit-def: $sgpr16
                                        ; implicit-def: $sgpr11
.LBB50_231:                             ;   in Loop: Header=BB50_8 Depth=1
	s_delay_alu instid0(SALU_CYCLE_1)
	s_and_not1_b32 vcc_lo, exec_lo, s28
	s_cbranch_vccnz .LBB50_233
; %bb.232:                              ;   in Loop: Header=BB50_8 Depth=1
	s_sub_i32 s25, s25, s10
	s_mov_b32 s9, 8
	s_mov_b32 s16, s90
	;; [unrolled: 1-line block ×3, first 2 shown]
.LBB50_233:                             ;   in Loop: Header=BB50_8 Depth=1
	s_mov_b32 s90, s16
	s_mov_b32 s91, s11
.LBB50_234:                             ;   in Loop: Header=BB50_8 Depth=1
	s_mov_b32 s45, exec_lo
.LBB50_235:                             ;   in Loop: Header=BB50_8 Depth=1
	s_or_b32 exec_lo, exec_lo, s18
.LBB50_236:                             ;   in Loop: Header=BB50_8 Depth=1
	s_delay_alu instid0(SALU_CYCLE_1)
	s_and_not1_b32 s10, s21, exec_lo
	s_and_b32 s11, s19, exec_lo
	s_and_not1_b32 s16, s22, exec_lo
	s_or_b32 s21, s10, s11
	s_and_not1_b32 s10, s23, exec_lo
	s_and_b32 s11, s27, exec_lo
	s_and_b32 s18, s26, exec_lo
	s_or_b32 s23, s10, s11
	s_or_b32 s22, s16, s18
	s_and_b32 s28, s45, exec_lo
	s_mov_b32 s26, s25
.LBB50_237:                             ;   in Loop: Header=BB50_8 Depth=1
	s_or_b32 exec_lo, exec_lo, s24
.LBB50_238:                             ;   in Loop: Header=BB50_8 Depth=1
	s_delay_alu instid0(SALU_CYCLE_1)
	s_and_not1_b32 s10, s15, exec_lo
	s_and_b32 s11, s21, exec_lo
	s_and_not1_b32 s14, s14, exec_lo
	s_or_b32 s15, s10, s11
	s_and_not1_b32 s10, s17, exec_lo
	s_and_b32 s11, s23, exec_lo
	s_and_b32 s16, s22, exec_lo
	s_or_b32 s17, s10, s11
	s_or_b32 s14, s14, s16
	s_and_b32 s25, s28, exec_lo
	s_mov_b32 s22, s26
.LBB50_239:                             ;   in Loop: Header=BB50_8 Depth=1
	s_or_b32 exec_lo, exec_lo, s20
	s_and_saveexec_b32 s10, s25
	s_delay_alu instid0(SALU_CYCLE_1)
	s_xor_b32 s10, exec_lo, s10
	s_cbranch_execz .LBB50_6
.LBB50_240:                             ;   in Loop: Header=BB50_8 Depth=1
	s_and_b32 s9, s9, -9
	s_delay_alu instid0(SALU_CYCLE_1)
	s_cmp_eq_u32 s9, 0
	s_cbranch_scc1 .LBB50_4
; %bb.241:                              ;   in Loop: Header=BB50_8 Depth=1
	s_mov_b32 s9, -1
	s_mov_b32 s11, -1
                                        ; implicit-def: $sgpr91
                                        ; implicit-def: $sgpr22
                                        ; implicit-def: $sgpr85
                                        ; implicit-def: $sgpr88
	s_branch .LBB50_5
.LBB50_242:
	s_or_b32 exec_lo, exec_lo, s65
	s_xor_b32 s3, s84, -1
	s_xor_b32 s2, s82, -1
	;; [unrolled: 1-line block ×3, first 2 shown]
	s_mov_b32 s1, 0
	s_and_saveexec_b32 s5, s2
	s_delay_alu instid0(SALU_CYCLE_1)
	s_xor_b32 s2, exec_lo, s5
	s_cbranch_execz .LBB50_263
; %bb.243:
	s_and_saveexec_b32 s1, s3
	s_delay_alu instid0(SALU_CYCLE_1)
	s_xor_b32 s3, exec_lo, s1
	s_cbranch_execz .LBB50_261
; %bb.244:
	s_and_saveexec_b32 s1, s4
	s_delay_alu instid0(SALU_CYCLE_1)
	s_xor_b32 s1, exec_lo, s1
; %bb.245:
	v_cmp_lt_i32_e32 vcc_lo, -1, v1
	v_cndmask_b32_e64 v2, 0x80000000, -1, vcc_lo
	s_delay_alu instid0(VALU_DEP_1)
	v_xor_b32_e32 v15, v2, v1
; %bb.246:
	s_or_b32 exec_lo, exec_lo, s1
	s_and_saveexec_b32 s1, s0
	s_cbranch_execz .LBB50_248
; %bb.247:
	v_dual_mov_b32 v1, 0 :: v_dual_mov_b32 v2, s44
	ds_store_b32 v1, v2 offset:4108
.LBB50_248:
	s_or_b32 exec_lo, exec_lo, s1
	v_mov_b32_e32 v1, 0
	s_waitcnt lgkmcnt(0)
	s_barrier
	buffer_gl0_inv
	s_mov_b32 s4, exec_lo
	ds_load_b32 v1, v1 offset:4108
	s_waitcnt lgkmcnt(0)
	v_min_i32_e32 v1, s44, v1
	s_delay_alu instid0(VALU_DEP_1)
	v_cmpx_lt_i32_e64 v0, v1
	s_cbranch_execz .LBB50_258
; %bb.249:
	v_cmp_u_f32_e32 vcc_lo, v15, v15
	s_mov_b32 s5, 0
                                        ; implicit-def: $sgpr6
                                        ; implicit-def: $sgpr9
                                        ; implicit-def: $sgpr8
	s_xor_b32 s7, vcc_lo, -1
	s_set_inst_prefetch_distance 0x1
	s_branch .LBB50_251
	.p2align	6
.LBB50_250:                             ;   in Loop: Header=BB50_251 Depth=1
	s_or_b32 exec_lo, exec_lo, s1
	s_delay_alu instid0(SALU_CYCLE_1) | instskip(NEXT) | instid1(SALU_CYCLE_1)
	s_and_b32 s1, exec_lo, s9
	s_or_b32 s5, s1, s5
	s_and_not1_b32 s1, s6, exec_lo
	s_and_b32 s6, s8, exec_lo
	s_delay_alu instid0(SALU_CYCLE_1)
	s_or_b32 s6, s1, s6
	s_and_not1_b32 exec_lo, exec_lo, s5
	s_cbranch_execz .LBB50_253
.LBB50_251:                             ; =>This Inner Loop Header: Depth=1
	v_ashrrev_i32_e32 v6, 31, v5
	s_or_b32 s8, s8, exec_lo
	s_or_b32 s9, s9, exec_lo
	s_delay_alu instid0(VALU_DEP_1) | instskip(NEXT) | instid1(VALU_DEP_1)
	v_lshlrev_b64 v[2:3], 2, v[5:6]
	v_add_co_u32 v2, vcc_lo, s62, v2
	s_delay_alu instid0(VALU_DEP_2)
	v_add_co_ci_u32_e32 v3, vcc_lo, s63, v3, vcc_lo
	global_load_b32 v2, v[2:3], off
	s_waitcnt vmcnt(0)
	v_cmp_o_f32_e32 vcc_lo, v2, v2
	v_cmp_neq_f32_e64 s1, v2, v15
	v_mov_b32_e32 v2, v0
                                        ; implicit-def: $vgpr0
	s_or_b32 s10, vcc_lo, s7
	s_delay_alu instid0(VALU_DEP_2) | instid1(SALU_CYCLE_1)
	s_and_b32 s10, s1, s10
	s_delay_alu instid0(SALU_CYCLE_1)
	s_and_saveexec_b32 s1, s10
	s_cbranch_execz .LBB50_250
; %bb.252:                              ;   in Loop: Header=BB50_251 Depth=1
	v_add_nc_u32_e32 v0, s64, v2
	s_and_not1_b32 s9, s9, exec_lo
	v_add_nc_u32_e32 v5, s67, v5
	s_and_not1_b32 s8, s8, exec_lo
	s_delay_alu instid0(VALU_DEP_2) | instskip(SKIP_1) | instid1(SALU_CYCLE_1)
	v_cmp_ge_i32_e32 vcc_lo, v0, v1
	s_and_b32 s10, vcc_lo, exec_lo
	s_or_b32 s9, s9, s10
	s_branch .LBB50_250
.LBB50_253:
	s_set_inst_prefetch_distance 0x2
	s_or_b32 exec_lo, exec_lo, s5
	s_and_saveexec_b32 s1, s6
	s_delay_alu instid0(SALU_CYCLE_1)
	s_xor_b32 s1, exec_lo, s1
	s_cbranch_execz .LBB50_258
; %bb.254:
	s_mov_b32 s5, exec_lo
	s_brev_b32 s1, -2
.LBB50_255:                             ; =>This Inner Loop Header: Depth=1
	s_ctz_i32_b32 s6, s5
	s_delay_alu instid0(SALU_CYCLE_1) | instskip(SKIP_1) | instid1(SALU_CYCLE_1)
	v_readlane_b32 s7, v2, s6
	s_lshl_b32 s6, 1, s6
	s_and_not1_b32 s5, s5, s6
	s_delay_alu instid0(VALU_DEP_1)
	s_min_i32 s1, s1, s7
	s_cmp_lg_u32 s5, 0
	s_cbranch_scc1 .LBB50_255
; %bb.256:
	v_mbcnt_lo_u32_b32 v0, exec_lo, 0
	s_mov_b32 s5, exec_lo
	s_delay_alu instid0(VALU_DEP_1)
	v_cmpx_eq_u32_e32 0, v0
	s_xor_b32 s5, exec_lo, s5
	s_cbranch_execz .LBB50_258
; %bb.257:
	v_dual_mov_b32 v0, 0 :: v_dual_mov_b32 v1, s1
	ds_min_i32 v0, v1 offset:4108
.LBB50_258:
	s_or_b32 exec_lo, exec_lo, s4
	s_waitcnt lgkmcnt(0)
	s_barrier
	buffer_gl0_inv
	s_and_saveexec_b32 s1, s0
	s_cbranch_execz .LBB50_260
; %bb.259:
	s_mul_i32 s4, s59, s54
	s_mul_i32 s0, s46, s31
	s_sub_i32 s4, s55, s4
	s_sub_i32 s0, s29, s0
	s_xor_b32 s5, s60, s61
	s_add_i32 s6, s59, 1
	s_sub_i32 s7, s4, s54
	s_cmp_ge_u32 s4, s54
	s_mul_i32 s0, s0, s42
	s_cselect_b32 s6, s6, s59
	s_cselect_b32 s4, s7, s4
	s_add_i32 s7, s6, 1
	s_cmp_ge_u32 s4, s54
	v_mov_b32_e32 v2, 0
	s_cselect_b32 s4, s7, s6
	s_mul_i32 s7, s43, s33
	s_xor_b32 s4, s4, s5
	s_mul_i32 s6, s39, s35
	s_sub_i32 s4, s4, s5
	s_sub_i32 s6, s29, s6
	s_mul_i32 s5, s4, s30
	s_mul_i32 s4, s4, s40
	s_sub_i32 s5, s46, s5
	s_xor_b32 s8, s57, s58
	s_mul_i32 s5, s5, s41
	ds_load_b32 v0, v2 offset:4108
	s_add_i32 s0, s5, s0
	s_sub_i32 s5, s56, s7
	s_add_i32 s4, s0, s4
	s_add_i32 s0, s43, 1
	s_sub_i32 s7, s5, s33
	s_cmp_ge_u32 s5, s33
	s_mul_i32 s6, s6, s38
	s_cselect_b32 s0, s0, s43
	s_cselect_b32 s5, s7, s5
	s_add_i32 s7, s0, 1
	s_cmp_ge_u32 s5, s33
	s_cselect_b32 s0, s7, s0
	s_delay_alu instid0(SALU_CYCLE_1) | instskip(NEXT) | instid1(SALU_CYCLE_1)
	s_xor_b32 s0, s0, s8
	s_sub_i32 s0, s0, s8
	s_delay_alu instid0(SALU_CYCLE_1)
	s_mul_i32 s5, s0, s34
	s_mul_i32 s0, s0, s36
	s_sub_i32 s7, s39, s5
	s_ashr_i32 s5, s4, 31
	s_mul_i32 s7, s7, s37
	s_lshl_b64 s[4:5], s[4:5], 2
	s_add_i32 s6, s7, s6
	s_waitcnt lgkmcnt(0)
	v_ashrrev_i32_e32 v1, 31, v0
	s_add_i32 s6, s6, s0
	s_add_u32 s4, s50, s4
	s_addc_u32 s5, s51, s5
	s_ashr_i32 s7, s6, 31
	s_delay_alu instid0(SALU_CYCLE_1) | instskip(NEXT) | instid1(SALU_CYCLE_1)
	s_lshl_b64 s[6:7], s[6:7], 3
	s_add_u32 s6, s48, s6
	s_addc_u32 s7, s49, s7
	s_clause 0x1
	global_store_b64 v2, v[0:1], s[6:7]
	global_store_b32 v2, v15, s[4:5]
.LBB50_260:
	s_or_b32 exec_lo, exec_lo, s1
.LBB50_261:
	s_or_saveexec_b32 s0, s3
	s_mov_b32 s1, 0
	s_xor_b32 exec_lo, exec_lo, s0
	s_cbranch_execnz .LBB50_269
.LBB50_262:
	s_or_b32 exec_lo, exec_lo, s0
	s_delay_alu instid0(SALU_CYCLE_1)
	s_and_b32 s1, s1, exec_lo
.LBB50_263:
	s_and_not1_saveexec_b32 s0, s2
	s_cbranch_execnz .LBB50_267
; %bb.264:
	s_or_b32 exec_lo, exec_lo, s0
	s_and_saveexec_b32 s0, s1
.LBB50_265:
	; divergent unreachable
.LBB50_266:
	s_nop 0
	s_sendmsg sendmsg(MSG_DEALLOC_VGPRS)
	s_endpgm
.LBB50_267:
	s_cbranch_execnz .LBB50_271
; %bb.268:
	s_or_b32 s1, s1, exec_lo
	s_or_b32 exec_lo, exec_lo, s0
	s_and_saveexec_b32 s0, s1
	s_cbranch_execnz .LBB50_265
	s_branch .LBB50_266
.LBB50_269:
	s_cbranch_execnz .LBB50_273
; %bb.270:
	s_mov_b32 s1, exec_lo
	s_branch .LBB50_262
.LBB50_271:
	s_trap 2
	s_sendmsg_rtn_b32 s0, sendmsg(MSG_RTN_GET_DOORBELL)
	s_mov_b32 ttmp2, m0
	s_waitcnt lgkmcnt(0)
	s_and_b32 s0, s0, 0x3ff
	s_delay_alu instid0(SALU_CYCLE_1) | instskip(NEXT) | instid1(SALU_CYCLE_1)
	s_bitset1_b32 s0, 10
	s_mov_b32 m0, s0
	s_sendmsg sendmsg(MSG_INTERRUPT)
	s_mov_b32 m0, ttmp2
.LBB50_272:                             ; =>This Inner Loop Header: Depth=1
	s_sethalt 5
	s_branch .LBB50_272
.LBB50_273:
	s_trap 2
	s_sendmsg_rtn_b32 s0, sendmsg(MSG_RTN_GET_DOORBELL)
	s_mov_b32 ttmp2, m0
	s_waitcnt lgkmcnt(0)
	s_and_b32 s0, s0, 0x3ff
	s_delay_alu instid0(SALU_CYCLE_1) | instskip(NEXT) | instid1(SALU_CYCLE_1)
	s_bitset1_b32 s0, 10
	s_mov_b32 m0, s0
	s_sendmsg sendmsg(MSG_INTERRUPT)
	s_mov_b32 m0, ttmp2
.LBB50_274:                             ; =>This Inner Loop Header: Depth=1
	s_sethalt 5
	s_branch .LBB50_274
	.section	.rodata,"a",@progbits
	.p2align	6, 0x0
	.amdhsa_kernel _ZN2at6native12_GLOBAL__N_114gatherKthValueIfiLi3EEEvNS_4cuda6detail10TensorInfoIKT_T0_EES8_S8_S8_S8_NS5_IS6_S8_EENS5_IlS8_EE
		.amdhsa_group_segment_fixed_size 4112
		.amdhsa_private_segment_fixed_size 0
		.amdhsa_kernarg_size 920
		.amdhsa_user_sgpr_count 13
		.amdhsa_user_sgpr_dispatch_ptr 0
		.amdhsa_user_sgpr_queue_ptr 0
		.amdhsa_user_sgpr_kernarg_segment_ptr 1
		.amdhsa_user_sgpr_dispatch_id 0
		.amdhsa_user_sgpr_private_segment_size 0
		.amdhsa_wavefront_size32 1
		.amdhsa_uses_dynamic_stack 0
		.amdhsa_enable_private_segment 0
		.amdhsa_system_sgpr_workgroup_id_x 1
		.amdhsa_system_sgpr_workgroup_id_y 1
		.amdhsa_system_sgpr_workgroup_id_z 1
		.amdhsa_system_sgpr_workgroup_info 0
		.amdhsa_system_vgpr_workitem_id 0
		.amdhsa_next_free_vgpr 40
		.amdhsa_next_free_sgpr 101
		.amdhsa_reserve_vcc 1
		.amdhsa_float_round_mode_32 0
		.amdhsa_float_round_mode_16_64 0
		.amdhsa_float_denorm_mode_32 3
		.amdhsa_float_denorm_mode_16_64 3
		.amdhsa_dx10_clamp 1
		.amdhsa_ieee_mode 1
		.amdhsa_fp16_overflow 0
		.amdhsa_workgroup_processor_mode 1
		.amdhsa_memory_ordered 1
		.amdhsa_forward_progress 0
		.amdhsa_shared_vgpr_count 0
		.amdhsa_exception_fp_ieee_invalid_op 0
		.amdhsa_exception_fp_denorm_src 0
		.amdhsa_exception_fp_ieee_div_zero 0
		.amdhsa_exception_fp_ieee_overflow 0
		.amdhsa_exception_fp_ieee_underflow 0
		.amdhsa_exception_fp_ieee_inexact 0
		.amdhsa_exception_int_div_zero 0
	.end_amdhsa_kernel
	.section	.text._ZN2at6native12_GLOBAL__N_114gatherKthValueIfiLi3EEEvNS_4cuda6detail10TensorInfoIKT_T0_EES8_S8_S8_S8_NS5_IS6_S8_EENS5_IlS8_EE,"axG",@progbits,_ZN2at6native12_GLOBAL__N_114gatherKthValueIfiLi3EEEvNS_4cuda6detail10TensorInfoIKT_T0_EES8_S8_S8_S8_NS5_IS6_S8_EENS5_IlS8_EE,comdat
.Lfunc_end50:
	.size	_ZN2at6native12_GLOBAL__N_114gatherKthValueIfiLi3EEEvNS_4cuda6detail10TensorInfoIKT_T0_EES8_S8_S8_S8_NS5_IS6_S8_EENS5_IlS8_EE, .Lfunc_end50-_ZN2at6native12_GLOBAL__N_114gatherKthValueIfiLi3EEEvNS_4cuda6detail10TensorInfoIKT_T0_EES8_S8_S8_S8_NS5_IS6_S8_EENS5_IlS8_EE
                                        ; -- End function
	.section	.AMDGPU.csdata,"",@progbits
; Kernel info:
; codeLenInByte = 11080
; NumSgprs: 103
; NumVgprs: 40
; ScratchSize: 0
; MemoryBound: 0
; FloatMode: 240
; IeeeMode: 1
; LDSByteSize: 4112 bytes/workgroup (compile time only)
; SGPRBlocks: 12
; VGPRBlocks: 4
; NumSGPRsForWavesPerEU: 103
; NumVGPRsForWavesPerEU: 40
; Occupancy: 16
; WaveLimiterHint : 1
; COMPUTE_PGM_RSRC2:SCRATCH_EN: 0
; COMPUTE_PGM_RSRC2:USER_SGPR: 13
; COMPUTE_PGM_RSRC2:TRAP_HANDLER: 0
; COMPUTE_PGM_RSRC2:TGID_X_EN: 1
; COMPUTE_PGM_RSRC2:TGID_Y_EN: 1
; COMPUTE_PGM_RSRC2:TGID_Z_EN: 1
; COMPUTE_PGM_RSRC2:TIDIG_COMP_CNT: 0
	.section	.text._ZN2at6native12_GLOBAL__N_114gatherKthValueIfiLin1EEEvNS_4cuda6detail10TensorInfoIKT_T0_EES8_S8_S8_S8_NS5_IS6_S8_EENS5_IlS8_EE,"axG",@progbits,_ZN2at6native12_GLOBAL__N_114gatherKthValueIfiLin1EEEvNS_4cuda6detail10TensorInfoIKT_T0_EES8_S8_S8_S8_NS5_IS6_S8_EENS5_IlS8_EE,comdat
	.globl	_ZN2at6native12_GLOBAL__N_114gatherKthValueIfiLin1EEEvNS_4cuda6detail10TensorInfoIKT_T0_EES8_S8_S8_S8_NS5_IS6_S8_EENS5_IlS8_EE ; -- Begin function _ZN2at6native12_GLOBAL__N_114gatherKthValueIfiLin1EEEvNS_4cuda6detail10TensorInfoIKT_T0_EES8_S8_S8_S8_NS5_IS6_S8_EENS5_IlS8_EE
	.p2align	8
	.type	_ZN2at6native12_GLOBAL__N_114gatherKthValueIfiLin1EEEvNS_4cuda6detail10TensorInfoIKT_T0_EES8_S8_S8_S8_NS5_IS6_S8_EENS5_IlS8_EE,@function
_ZN2at6native12_GLOBAL__N_114gatherKthValueIfiLin1EEEvNS_4cuda6detail10TensorInfoIKT_T0_EES8_S8_S8_S8_NS5_IS6_S8_EENS5_IlS8_EE: ; @_ZN2at6native12_GLOBAL__N_114gatherKthValueIfiLin1EEEvNS_4cuda6detail10TensorInfoIKT_T0_EES8_S8_S8_S8_NS5_IS6_S8_EENS5_IlS8_EE
; %bb.0:
	s_clause 0x1
	s_load_b64 s[6:7], s[0:1], 0x298
	s_load_b128 s[36:39], s[0:1], 0xd8
	s_add_u32 s4, s0, 0x298
	s_addc_u32 s5, s1, 0
	s_waitcnt lgkmcnt(0)
	s_mul_i32 s2, s7, s15
	s_delay_alu instid0(SALU_CYCLE_1) | instskip(NEXT) | instid1(SALU_CYCLE_1)
	s_add_i32 s2, s2, s14
	s_mul_i32 s2, s2, s6
	s_delay_alu instid0(SALU_CYCLE_1) | instskip(NEXT) | instid1(SALU_CYCLE_1)
	s_add_i32 s33, s2, s13
	s_cmp_ge_i32 s33, s38
	s_cbranch_scc1 .LBB51_275
; %bb.1:
	s_load_b32 s8, s[0:1], 0xd0
	s_mov_b32 s3, 0
	s_mov_b32 s7, s33
	s_waitcnt lgkmcnt(0)
	s_cmp_lt_i32 s8, 2
	s_cbranch_scc1 .LBB51_4
; %bb.2:
	s_add_i32 s2, s8, -1
	s_delay_alu instid0(SALU_CYCLE_1)
	s_lshl_b64 s[10:11], s[2:3], 2
	s_add_i32 s2, s8, 1
	s_add_u32 s7, s10, s0
	s_addc_u32 s9, s11, s1
	s_add_u32 s8, s7, 8
	s_addc_u32 s9, s9, 0
	s_mov_b32 s7, s33
	s_set_inst_prefetch_distance 0x1
	.p2align	6
.LBB51_3:                               ; =>This Inner Loop Header: Depth=1
	s_clause 0x1
	s_load_b32 s10, s[8:9], 0x0
	s_load_b32 s11, s[8:9], 0x64
	s_mov_b32 s16, s7
	s_waitcnt lgkmcnt(0)
	s_abs_i32 s12, s10
	s_delay_alu instid0(SALU_CYCLE_1)
	v_cvt_f32_u32_e32 v1, s12
	s_sub_i32 s15, 0, s12
	s_waitcnt_depctr 0xfff
	v_rcp_iflag_f32_e32 v1, v1
	s_waitcnt_depctr 0xfff
	v_mul_f32_e32 v1, 0x4f7ffffe, v1
	s_delay_alu instid0(VALU_DEP_1) | instskip(NEXT) | instid1(VALU_DEP_1)
	v_cvt_u32_f32_e32 v1, v1
	v_readfirstlane_b32 s14, v1
	s_delay_alu instid0(VALU_DEP_1) | instskip(NEXT) | instid1(SALU_CYCLE_1)
	s_mul_i32 s15, s15, s14
	s_mul_hi_u32 s7, s14, s15
	s_abs_i32 s15, s16
	s_add_i32 s14, s14, s7
	s_delay_alu instid0(SALU_CYCLE_1)
	s_mul_hi_u32 s7, s15, s14
	s_xor_b32 s14, s16, s10
	s_mul_i32 s17, s7, s12
	s_ashr_i32 s14, s14, 31
	s_sub_i32 s15, s15, s17
	s_add_i32 s17, s7, 1
	s_sub_i32 s18, s15, s12
	s_cmp_ge_u32 s15, s12
	s_cselect_b32 s7, s17, s7
	s_cselect_b32 s15, s18, s15
	s_add_i32 s17, s7, 1
	s_cmp_ge_u32 s15, s12
	s_cselect_b32 s7, s17, s7
	s_add_i32 s2, s2, -1
	s_xor_b32 s7, s7, s14
	s_delay_alu instid0(SALU_CYCLE_1) | instskip(NEXT) | instid1(SALU_CYCLE_1)
	s_sub_i32 s7, s7, s14
	s_mul_i32 s10, s7, s10
	s_delay_alu instid0(SALU_CYCLE_1) | instskip(NEXT) | instid1(SALU_CYCLE_1)
	s_sub_i32 s10, s16, s10
	s_mul_i32 s10, s11, s10
	s_delay_alu instid0(SALU_CYCLE_1)
	s_add_i32 s3, s10, s3
	s_add_u32 s8, s8, -4
	s_addc_u32 s9, s9, -1
	s_cmp_gt_u32 s2, 2
	s_cbranch_scc1 .LBB51_3
.LBB51_4:
	s_set_inst_prefetch_distance 0x2
	s_load_b32 s2, s[0:1], 0x1b8
	s_add_u32 s8, s0, 0xe8
	s_addc_u32 s9, s1, 0
	s_mov_b32 s29, 0
	s_mov_b32 s38, s33
	s_waitcnt lgkmcnt(0)
	s_cmp_lt_i32 s2, 2
	s_cbranch_scc1 .LBB51_7
; %bb.5:
	s_add_i32 s28, s2, -1
	s_add_i32 s2, s2, 1
	s_lshl_b64 s[10:11], s[28:29], 2
	s_mov_b32 s38, s33
	s_add_u32 s10, s10, s8
	s_addc_u32 s11, s11, s9
	s_add_u32 s10, s10, 8
	s_addc_u32 s11, s11, 0
	s_set_inst_prefetch_distance 0x1
	.p2align	6
.LBB51_6:                               ; =>This Inner Loop Header: Depth=1
	s_clause 0x1
	s_load_b32 s12, s[10:11], 0x0
	s_load_b32 s14, s[10:11], 0x64
	s_abs_i32 s19, s38
	s_mov_b32 s18, s38
	s_waitcnt lgkmcnt(0)
	s_abs_i32 s15, s12
	s_delay_alu instid0(SALU_CYCLE_1)
	v_cvt_f32_u32_e32 v1, s15
	s_sub_i32 s17, 0, s15
	s_waitcnt_depctr 0xfff
	v_rcp_iflag_f32_e32 v1, v1
	s_waitcnt_depctr 0xfff
	v_mul_f32_e32 v1, 0x4f7ffffe, v1
	s_delay_alu instid0(VALU_DEP_1) | instskip(NEXT) | instid1(VALU_DEP_1)
	v_cvt_u32_f32_e32 v1, v1
	v_readfirstlane_b32 s16, v1
	s_delay_alu instid0(VALU_DEP_1) | instskip(NEXT) | instid1(SALU_CYCLE_1)
	s_mul_i32 s17, s17, s16
	s_mul_hi_u32 s17, s16, s17
	s_delay_alu instid0(SALU_CYCLE_1) | instskip(SKIP_4) | instid1(SALU_CYCLE_1)
	s_add_i32 s16, s16, s17
	s_xor_b32 s17, s38, s12
	s_mul_hi_u32 s16, s19, s16
	s_ashr_i32 s17, s17, 31
	s_mul_i32 s20, s16, s15
	s_sub_i32 s19, s19, s20
	s_add_i32 s20, s16, 1
	s_sub_i32 s21, s19, s15
	s_cmp_ge_u32 s19, s15
	s_cselect_b32 s16, s20, s16
	s_cselect_b32 s19, s21, s19
	s_add_i32 s20, s16, 1
	s_cmp_ge_u32 s19, s15
	s_cselect_b32 s15, s20, s16
	s_add_i32 s2, s2, -1
	s_xor_b32 s15, s15, s17
	s_delay_alu instid0(SALU_CYCLE_1) | instskip(NEXT) | instid1(SALU_CYCLE_1)
	s_sub_i32 s38, s15, s17
	s_mul_i32 s12, s38, s12
	s_delay_alu instid0(SALU_CYCLE_1) | instskip(NEXT) | instid1(SALU_CYCLE_1)
	s_sub_i32 s12, s18, s12
	s_mul_i32 s12, s14, s12
	s_delay_alu instid0(SALU_CYCLE_1)
	s_add_i32 s29, s12, s29
	s_add_u32 s10, s10, -4
	s_addc_u32 s11, s11, -1
	s_cmp_gt_u32 s2, 2
	s_cbranch_scc1 .LBB51_6
.LBB51_7:
	s_set_inst_prefetch_distance 0x2
	s_clause 0x1
	s_load_b32 s12, s[0:1], 0x6c
	s_load_b32 s2, s[0:1], 0x290
	s_add_u32 s10, s0, 0x1c0
	s_addc_u32 s11, s1, 0
	s_mov_b32 s31, 0
	s_waitcnt lgkmcnt(0)
	s_cmp_lt_i32 s2, 2
	s_cbranch_scc1 .LBB51_10
; %bb.8:
	s_add_i32 s30, s2, -1
	s_add_i32 s2, s2, 1
	s_lshl_b64 s[14:15], s[30:31], 2
	s_delay_alu instid0(SALU_CYCLE_1)
	s_add_u32 s10, s14, s10
	s_addc_u32 s11, s15, s11
	s_add_u32 s10, s10, 8
	s_addc_u32 s11, s11, 0
	s_set_inst_prefetch_distance 0x1
	.p2align	6
.LBB51_9:                               ; =>This Inner Loop Header: Depth=1
	s_clause 0x1
	s_load_b32 s14, s[10:11], 0x0
	s_load_b32 s15, s[10:11], 0x64
	s_abs_i32 s20, s33
	s_mov_b32 s19, s33
	s_waitcnt lgkmcnt(0)
	s_abs_i32 s16, s14
	s_delay_alu instid0(SALU_CYCLE_1)
	v_cvt_f32_u32_e32 v1, s16
	s_sub_i32 s18, 0, s16
	s_waitcnt_depctr 0xfff
	v_rcp_iflag_f32_e32 v1, v1
	s_waitcnt_depctr 0xfff
	v_mul_f32_e32 v1, 0x4f7ffffe, v1
	s_delay_alu instid0(VALU_DEP_1) | instskip(NEXT) | instid1(VALU_DEP_1)
	v_cvt_u32_f32_e32 v1, v1
	v_readfirstlane_b32 s17, v1
	s_delay_alu instid0(VALU_DEP_1) | instskip(NEXT) | instid1(SALU_CYCLE_1)
	s_mul_i32 s18, s18, s17
	s_mul_hi_u32 s18, s17, s18
	s_delay_alu instid0(SALU_CYCLE_1) | instskip(SKIP_4) | instid1(SALU_CYCLE_1)
	s_add_i32 s17, s17, s18
	s_xor_b32 s18, s33, s14
	s_mul_hi_u32 s17, s20, s17
	s_ashr_i32 s18, s18, 31
	s_mul_i32 s21, s17, s16
	s_sub_i32 s20, s20, s21
	s_add_i32 s21, s17, 1
	s_sub_i32 s22, s20, s16
	s_cmp_ge_u32 s20, s16
	s_cselect_b32 s17, s21, s17
	s_cselect_b32 s20, s22, s20
	s_add_i32 s21, s17, 1
	s_cmp_ge_u32 s20, s16
	s_cselect_b32 s16, s21, s17
	s_add_i32 s2, s2, -1
	s_xor_b32 s16, s16, s18
	s_delay_alu instid0(SALU_CYCLE_1) | instskip(NEXT) | instid1(SALU_CYCLE_1)
	s_sub_i32 s33, s16, s18
	s_mul_i32 s14, s33, s14
	s_delay_alu instid0(SALU_CYCLE_1) | instskip(NEXT) | instid1(SALU_CYCLE_1)
	s_sub_i32 s14, s19, s14
	s_mul_i32 s14, s15, s14
	s_delay_alu instid0(SALU_CYCLE_1)
	s_add_i32 s31, s14, s31
	s_add_u32 s10, s10, -4
	s_addc_u32 s11, s11, -1
	s_cmp_gt_u32 s2, 2
	s_cbranch_scc1 .LBB51_9
.LBB51_10:
	s_set_inst_prefetch_distance 0x2
	s_clause 0x3
	s_load_b32 s30, s[8:9], 0x6c
	s_load_b64 s[8:9], s[0:1], 0x0
	s_load_b64 s[40:41], s[0:1], 0xe8
	;; [unrolled: 1-line block ×3, first 2 shown]
	v_cmp_eq_u32_e64 s2, 0, v0
	s_mov_b32 s48, 0
	s_delay_alu instid0(VALU_DEP_1)
	s_and_saveexec_b32 s10, s2
	s_cbranch_execz .LBB51_12
; %bb.11:
	v_dual_mov_b32 v1, 0 :: v_dual_mov_b32 v2, s36
	s_delay_alu instid0(VALU_DEP_1)
	v_mov_b32_e32 v3, v1
	ds_store_b96 v1, v[1:3] offset:4096
.LBB51_12:
	s_or_b32 exec_lo, exec_lo, s10
	s_waitcnt lgkmcnt(0)
	s_barrier
	buffer_gl0_inv
	s_load_b32 s14, s[4:5], 0xc
	s_mul_i32 s7, s12, s7
	v_mbcnt_lo_u32_b32 v18, -1, 0
	s_add_i32 s10, s7, s3
	s_load_b32 s44, s[0:1], 0x22c
	s_ashr_i32 s11, s10, 31
	v_cmp_gt_u32_e32 vcc_lo, 32, v0
	s_lshl_b64 s[10:11], s[10:11], 2
	v_cmp_gt_i32_e64 s0, 4, v18
	s_add_u32 s45, s8, s10
	s_addc_u32 s46, s9, s11
	v_mul_lo_u32 v5, v0, s39
	v_mov_b32_e32 v7, 0
	s_and_b32 s50, vcc_lo, s0
	v_lshrrev_b32_e32 v3, 3, v0
	v_lshlrev_b32_e32 v19, 2, v0
	s_mov_b32 s10, s39
	v_mov_b32_e32 v6, v7
	v_cmp_gt_u32_e64 s0, 2, v0
	v_and_b32_e32 v22, 0x7c, v3
	s_waitcnt lgkmcnt(0)
	s_and_b32 s47, s14, 0xffff
	s_bfe_u32 s3, s14, 0xb0005
	s_lshl_b32 s49, s47, 2
	s_add_i32 s52, s47, -1
	v_cvt_f32_u32_e32 v1, s49
	s_add_i32 s62, s52, s36
	s_cmpk_gt_i32 s36, 0x300
	v_cvt_f32_u32_e32 v2, s47
	s_cselect_b32 s53, -1, 0
	v_rcp_iflag_f32_e32 v1, v1
	s_cmp_gt_u32 s47, 31
	v_lshlrev_b64 v[8:9], 2, v[5:6]
	s_cselect_b32 s54, -1, 0
	s_cmp_lt_u32 s13, s6
	v_rcp_iflag_f32_e32 v2, v2
	s_cselect_b32 s6, 12, 18
	v_lshlrev_b32_e32 v28, 4, v0
	s_add_u32 s42, s4, s6
	s_addc_u32 s43, s5, 0
	s_waitcnt_depctr 0xfff
	v_mul_f32_e32 v1, 0x4f7ffffe, v1
	s_add_i32 s4, s3, -1
	s_bfe_u32 s55, s47, 0x30005
	s_cmp_gt_u32 s4, 6
	v_add_co_u32 v8, vcc_lo, s45, v8
	v_cvt_u32_f32_e32 v1, v1
	s_cselect_b32 s56, -1, 0
	s_and_b32 s57, s3, 0x7f8
	s_cmp_lg_u32 s55, 0
	v_lshlrev_b32_e32 v26, 2, v5
	v_readfirstlane_b32 s4, v1
	s_cselect_b32 s58, -1, 0
	s_sub_i32 s3, 0, s49
	v_mul_f32_e32 v1, 0x4f7ffffe, v2
	v_add_co_ci_u32_e32 v9, vcc_lo, s46, v9, vcc_lo
	s_mul_i32 s5, s3, s4
	v_mad_u64_u32 v[12:13], null, s39, v19, s[10:11]
	s_mul_hi_u32 s5, s4, s5
	v_cvt_u32_f32_e32 v1, v1
	s_add_i32 s59, s4, s5
	v_cmp_gt_u32_e64 s1, s36, v0
	s_mul_hi_u32 s5, s36, s59
	v_cmp_gt_i32_e64 s3, s36, v0
	s_mul_i32 s5, s5, s49
	v_cmp_eq_u32_e64 s4, 0, v18
	s_sub_i32 s5, s36, s5
	v_add_nc_u32_e32 v20, 0xc00, v19
	s_sub_i32 s6, s5, s49
	s_cmp_ge_u32 s5, s49
	v_lshl_or_b32 v29, v18, 2, 0xc00
	s_cselect_b32 s5, s6, s5
	v_readfirstlane_b32 s6, v1
	s_sub_i32 s7, s5, s49
	s_cmp_ge_u32 s5, s49
	v_lshlrev_b64 v[1:2], v18, -1
	s_cselect_b32 s9, s7, s5
	s_sub_i32 s5, 0, s47
	s_sub_i32 s60, s36, s9
	s_mul_i32 s5, s5, s6
	v_add_nc_u32_e32 v21, s60, v0
	s_mul_hi_u32 s5, s6, s5
	s_abs_i32 s7, s62
	s_add_i32 s61, s6, s5
	v_not_b32_e32 v23, v1
	v_mul_lo_u32 v2, v21, s39
	s_mul_hi_u32 s5, s7, s61
	v_mov_b32_e32 v13, 1.0
	s_mul_i32 s5, s5, s47
	v_mov_b32_e32 v15, 0
	s_sub_i32 s5, s7, s5
	s_ashr_i32 s7, s62, 31
	s_sub_i32 s6, s5, s47
	v_ashrrev_i32_e32 v3, 31, v2
	s_cmp_ge_u32 s5, s47
	s_mul_i32 s51, s39, s47
	s_cselect_b32 s5, s6, s5
	s_mov_b32 s68, 30
	v_lshlrev_b64 v[1:2], 2, v[2:3]
	s_sub_i32 s6, s5, s47
	s_cmp_ge_u32 s5, s47
	v_or_b32_e32 v3, 3, v19
	s_cselect_b32 s6, s6, s5
	v_cmp_gt_i32_e64 s5, s60, v19
	v_add_co_u32 v10, vcc_lo, s45, v1
	v_add3_u32 v1, s47, s36, v0
	v_add_co_ci_u32_e32 v11, vcc_lo, s46, v2, vcc_lo
	v_or_b32_e32 v2, 2, v19
	s_xor_b32 s8, s6, s7
	s_delay_alu instid0(VALU_DEP_3)
	v_subrev_nc_u32_e32 v1, s9, v1
	s_sub_i32 s7, s7, s8
	v_mul_lo_u32 v25, s39, v3
	v_mul_lo_u32 v24, s39, v2
	s_add_i32 s62, s62, s7
	v_mul_lo_u32 v27, s39, v1
	v_cmp_gt_u32_e64 s6, s36, v21
	v_cmp_gt_i32_e64 s7, s36, v21
	v_cmp_gt_i32_e64 s8, s62, v0
	s_lshl_b32 s63, s51, 2
	s_lshl_b32 s64, s47, 4
	s_mov_b32 s71, 0
	s_mov_b32 s73, 0
	;; [unrolled: 1-line block ×3, first 2 shown]
                                        ; implicit-def: $sgpr65
                                        ; implicit-def: $sgpr67
                                        ; implicit-def: $sgpr66
                                        ; implicit-def: $sgpr70
                                        ; implicit-def: $sgpr72
                                        ; implicit-def: $sgpr69
	s_branch .LBB51_17
.LBB51_13:                              ;   in Loop: Header=BB51_17 Depth=1
	s_xor_b32 s71, s71, 1
	s_add_i32 s13, s68, -2
	s_cmp_eq_u32 s68, 0
	s_mov_b32 s9, 0
	s_cselect_b32 s11, -1, 0
	s_mov_b32 s68, s13
.LBB51_14:                              ;   in Loop: Header=BB51_17 Depth=1
	s_and_not1_b32 s13, s15, exec_lo
	s_and_b32 s9, s9, exec_lo
	s_and_not1_b32 s17, s17, exec_lo
	s_or_b32 s15, s13, s9
	s_and_not1_b32 s14, s14, exec_lo
	s_or_not1_b32 s13, s11, exec_lo
	s_mov_b32 s37, s22
.LBB51_15:                              ;   in Loop: Header=BB51_17 Depth=1
	s_or_b32 exec_lo, exec_lo, s10
	s_delay_alu instid0(SALU_CYCLE_1)
	s_and_not1_b32 s9, s69, exec_lo
	s_and_b32 s10, s15, exec_lo
	s_and_not1_b32 s11, s70, exec_lo
	s_or_b32 s69, s9, s10
	s_and_not1_b32 s9, s72, exec_lo
	s_and_b32 s10, s17, exec_lo
	s_and_b32 s14, s14, exec_lo
	s_or_b32 s72, s9, s10
	s_or_b32 s70, s11, s14
	s_or_not1_b32 s14, s13, exec_lo
.LBB51_16:                              ;   in Loop: Header=BB51_17 Depth=1
	s_or_b32 exec_lo, exec_lo, s12
	s_delay_alu instid0(SALU_CYCLE_1)
	s_and_b32 s9, exec_lo, s14
	v_mov_b32_e32 v1, s73
	s_or_b32 s48, s9, s48
	s_and_not1_b32 s9, s66, exec_lo
	s_and_b32 s10, s69, exec_lo
	s_and_not1_b32 s11, s65, exec_lo
	s_or_b32 s66, s9, s10
	s_and_not1_b32 s9, s67, exec_lo
	s_and_b32 s10, s72, exec_lo
	s_and_b32 s12, s70, exec_lo
	s_or_b32 s67, s9, s10
	s_or_b32 s65, s11, s12
	s_and_not1_b32 exec_lo, exec_lo, s48
	s_cbranch_execz .LBB51_251
.LBB51_17:                              ; =>This Loop Header: Depth=1
                                        ;     Child Loop BB51_25 Depth 2
                                        ;     Child Loop BB51_44 Depth 2
	;; [unrolled: 1-line block ×16, first 2 shown]
	ds_load_b64 v[1:2], v7 offset:4096
	s_waitcnt lgkmcnt(0)
	v_readfirstlane_b32 s75, v1
	s_delay_alu instid0(VALU_DEP_1)
	s_cmp_gt_i32 s75, 0
	s_cbranch_scc1 .LBB51_51
; %bb.18:                               ;   in Loop: Header=BB51_17 Depth=1
	s_and_b32 vcc_lo, exec_lo, s53
	s_cbranch_vccz .LBB51_33
; %bb.19:                               ;   in Loop: Header=BB51_17 Depth=1
	v_cmp_gt_i32_e32 vcc_lo, 0x301, v2
	s_mov_b32 s10, 0
	s_mov_b32 s9, 0
	s_cbranch_vccz .LBB51_38
; %bb.20:                               ;   in Loop: Header=BB51_17 Depth=1
	v_mov_b32_e32 v1, 0
	s_and_saveexec_b32 s9, s1
	s_cbranch_execz .LBB51_22
; %bb.21:                               ;   in Loop: Header=BB51_17 Depth=1
	global_load_b32 v1, v[8:9], off
.LBB51_22:                              ;   in Loop: Header=BB51_17 Depth=1
	s_or_b32 exec_lo, exec_lo, s9
	s_and_saveexec_b32 s11, s1
	s_cbranch_execz .LBB51_34
; %bb.23:                               ;   in Loop: Header=BB51_17 Depth=1
	global_load_u16 v2, v7, s[42:43]
	v_mov_b32_e32 v4, v0
	s_mov_b32 s12, 0
	s_waitcnt vmcnt(0)
	v_add_nc_u32_e32 v3, v0, v2
	s_delay_alu instid0(VALU_DEP_1)
	v_mul_lo_u32 v6, s39, v3
	v_mul_lo_u32 v3, s39, v2
	s_branch .LBB51_25
.LBB51_24:                              ;   in Loop: Header=BB51_25 Depth=2
	s_or_b32 exec_lo, exec_lo, s9
	v_cmp_le_i32_e32 vcc_lo, s36, v4
	v_add_nc_u32_e32 v6, v6, v3
	s_waitcnt vmcnt(0)
	v_mov_b32_e32 v1, v14
	s_or_b32 s12, vcc_lo, s12
	s_delay_alu instid0(SALU_CYCLE_1)
	s_and_not1_b32 exec_lo, exec_lo, s12
	s_cbranch_execz .LBB51_34
.LBB51_25:                              ;   Parent Loop BB51_17 Depth=1
                                        ; =>  This Inner Loop Header: Depth=2
	v_add_nc_u32_e32 v4, v4, v2
	s_waitcnt lgkmcnt(0)
	v_mov_b32_e32 v16, 0
	v_mov_b32_e32 v14, 0
	s_mov_b32 s9, exec_lo
	v_cmpx_gt_u32_e64 s36, v4
	s_cbranch_execz .LBB51_27
; %bb.26:                               ;   in Loop: Header=BB51_25 Depth=2
	v_lshlrev_b64 v[30:31], 2, v[6:7]
	s_delay_alu instid0(VALU_DEP_1) | instskip(NEXT) | instid1(VALU_DEP_2)
	v_add_co_u32 v30, vcc_lo, s45, v30
	v_add_co_ci_u32_e32 v31, vcc_lo, s46, v31, vcc_lo
	global_load_b32 v14, v[30:31], off
.LBB51_27:                              ;   in Loop: Header=BB51_25 Depth=2
	s_or_b32 exec_lo, exec_lo, s9
	v_cmp_lt_i32_e32 vcc_lo, -1, v1
	v_cndmask_b32_e64 v17, -1, 0x80000000, vcc_lo
	v_cmp_o_f32_e32 vcc_lo, v1, v1
	s_delay_alu instid0(VALU_DEP_2) | instskip(NEXT) | instid1(VALU_DEP_1)
	v_xor_b32_e32 v17, v17, v1
	v_cndmask_b32_e32 v17, -1, v17, vcc_lo
	s_delay_alu instid0(VALU_DEP_1) | instskip(NEXT) | instid1(VALU_DEP_1)
	v_and_b32_e32 v17, s74, v17
	v_cmp_eq_u32_e32 vcc_lo, s73, v17
	s_cmp_lg_u32 vcc_lo, 0
	s_cselect_b32 s9, -1, 0
	s_delay_alu instid0(SALU_CYCLE_1) | instskip(NEXT) | instid1(SALU_CYCLE_1)
	s_and_b32 s9, s4, s9
	s_and_saveexec_b32 s13, s9
	s_cbranch_execz .LBB51_31
; %bb.28:                               ;   in Loop: Header=BB51_25 Depth=2
	s_mov_b32 s16, exec_lo
	s_bcnt1_i32_b32 s14, vcc_lo
	v_mbcnt_lo_u32_b32 v16, s16, 0
	s_mov_b32 s15, exec_lo
                                        ; implicit-def: $vgpr17
	s_delay_alu instid0(VALU_DEP_1)
	v_cmpx_eq_u32_e32 0, v16
	s_cbranch_execz .LBB51_30
; %bb.29:                               ;   in Loop: Header=BB51_25 Depth=2
	s_bcnt1_i32_b32 s9, s16
	s_delay_alu instid0(SALU_CYCLE_1) | instskip(NEXT) | instid1(SALU_CYCLE_1)
	s_mul_i32 s9, s14, s9
	v_mov_b32_e32 v17, s9
	ds_add_rtn_u32 v17, v7, v17 offset:4104
.LBB51_30:                              ;   in Loop: Header=BB51_25 Depth=2
	s_or_b32 exec_lo, exec_lo, s15
	s_waitcnt lgkmcnt(0)
	v_readfirstlane_b32 s9, v17
	s_delay_alu instid0(VALU_DEP_1)
	v_mad_u32_u24 v16, s14, v16, s9
.LBB51_31:                              ;   in Loop: Header=BB51_25 Depth=2
	s_or_b32 exec_lo, exec_lo, s13
	ds_bpermute_b32 v16, v7, v16
	s_and_saveexec_b32 s9, vcc_lo
	s_cbranch_execz .LBB51_24
; %bb.32:                               ;   in Loop: Header=BB51_25 Depth=2
	v_and_b32_e32 v17, vcc_lo, v23
	s_delay_alu instid0(VALU_DEP_1) | instskip(NEXT) | instid1(VALU_DEP_1)
	v_bcnt_u32_b32 v17, v17, 0
	v_lshlrev_b32_e32 v17, 2, v17
	s_waitcnt lgkmcnt(0)
	s_delay_alu instid0(VALU_DEP_1)
	v_lshl_add_u32 v16, v16, 2, v17
	ds_store_b32 v16, v1
	s_branch .LBB51_24
.LBB51_33:                              ;   in Loop: Header=BB51_17 Depth=1
	s_mov_b32 s10, -1
	s_mov_b32 s9, 0
	s_branch .LBB51_37
.LBB51_34:                              ;   in Loop: Header=BB51_17 Depth=1
	s_or_b32 exec_lo, exec_lo, s11
	s_waitcnt vmcnt(0) lgkmcnt(0)
	s_barrier
	buffer_gl0_inv
	s_and_saveexec_b32 s9, s2
	s_cbranch_execz .LBB51_36
; %bb.35:                               ;   in Loop: Header=BB51_17 Depth=1
	ds_load_b32 v1, v7 offset:4104
	s_waitcnt lgkmcnt(0)
	ds_store_b32 v7, v1 offset:4096
.LBB51_36:                              ;   in Loop: Header=BB51_17 Depth=1
	s_or_b32 exec_lo, exec_lo, s9
	s_waitcnt lgkmcnt(0)
	s_mov_b32 s9, -1
	s_barrier
.LBB51_37:                              ;   in Loop: Header=BB51_17 Depth=1
                                        ; implicit-def: $sgpr75
.LBB51_38:                              ;   in Loop: Header=BB51_17 Depth=1
	s_and_b32 vcc_lo, exec_lo, s10
	s_cbranch_vccz .LBB51_49
; %bb.39:                               ;   in Loop: Header=BB51_17 Depth=1
	v_mov_b32_e32 v1, 0
	s_and_saveexec_b32 s9, s1
	s_cbranch_execz .LBB51_41
; %bb.40:                               ;   in Loop: Header=BB51_17 Depth=1
	global_load_b32 v1, v[8:9], off
.LBB51_41:                              ;   in Loop: Header=BB51_17 Depth=1
	s_or_b32 exec_lo, exec_lo, s9
	s_and_saveexec_b32 s9, s3
	s_cbranch_execz .LBB51_46
; %bb.42:                               ;   in Loop: Header=BB51_17 Depth=1
	global_load_u16 v2, v7, s[42:43]
	v_mov_b32_e32 v16, v0
	s_mov_b32 s10, 0
	s_waitcnt vmcnt(0)
	v_dual_mov_b32 v14, v19 :: v_dual_add_nc_u32 v3, v0, v2
	v_lshlrev_b32_e32 v4, 2, v2
	s_delay_alu instid0(VALU_DEP_2)
	v_mul_lo_u32 v6, s39, v3
	v_mul_lo_u32 v3, s39, v2
	s_branch .LBB51_44
	.p2align	6
.LBB51_43:                              ;   in Loop: Header=BB51_44 Depth=2
	s_or_b32 exec_lo, exec_lo, s11
	v_cmp_le_i32_e32 vcc_lo, s36, v16
	ds_store_b32 v14, v1
	s_waitcnt vmcnt(0)
	v_dual_mov_b32 v1, v17 :: v_dual_add_nc_u32 v14, v14, v4
	v_add_nc_u32_e32 v6, v6, v3
	s_or_b32 s10, vcc_lo, s10
	s_delay_alu instid0(SALU_CYCLE_1)
	s_and_not1_b32 exec_lo, exec_lo, s10
	s_cbranch_execz .LBB51_46
.LBB51_44:                              ;   Parent Loop BB51_17 Depth=1
                                        ; =>  This Inner Loop Header: Depth=2
	v_dual_mov_b32 v17, 0 :: v_dual_add_nc_u32 v16, v16, v2
	s_mov_b32 s11, exec_lo
	s_delay_alu instid0(VALU_DEP_1)
	v_cmpx_gt_u32_e64 s36, v16
	s_cbranch_execz .LBB51_43
; %bb.45:                               ;   in Loop: Header=BB51_44 Depth=2
	s_delay_alu instid0(VALU_DEP_3) | instskip(NEXT) | instid1(VALU_DEP_1)
	v_lshlrev_b64 v[30:31], 2, v[6:7]
	v_add_co_u32 v30, vcc_lo, s45, v30
	s_delay_alu instid0(VALU_DEP_2)
	v_add_co_ci_u32_e32 v31, vcc_lo, s46, v31, vcc_lo
	global_load_b32 v17, v[30:31], off
	s_branch .LBB51_43
.LBB51_46:                              ;   in Loop: Header=BB51_17 Depth=1
	s_or_b32 exec_lo, exec_lo, s9
	s_waitcnt vmcnt(0) lgkmcnt(0)
	s_barrier
	buffer_gl0_inv
	s_and_saveexec_b32 s9, s2
	s_cbranch_execz .LBB51_48
; %bb.47:                               ;   in Loop: Header=BB51_17 Depth=1
	v_mov_b32_e32 v1, s36
	ds_store_b32 v7, v1 offset:4096
.LBB51_48:                              ;   in Loop: Header=BB51_17 Depth=1
	s_or_b32 exec_lo, exec_lo, s9
	s_mov_b32 s9, -1
	s_waitcnt lgkmcnt(0)
	s_barrier
                                        ; implicit-def: $sgpr75
.LBB51_49:                              ;   in Loop: Header=BB51_17 Depth=1
	s_and_b32 vcc_lo, exec_lo, s9
	s_cbranch_vccz .LBB51_51
; %bb.50:                               ;   in Loop: Header=BB51_17 Depth=1
	buffer_gl0_inv
	ds_load_b32 v1, v7 offset:4096
	s_waitcnt lgkmcnt(0)
	v_readfirstlane_b32 s75, v1
.LBB51_51:                              ;   in Loop: Header=BB51_17 Depth=1
	s_delay_alu instid0(VALU_DEP_1)
	s_cmp_lt_i32 s75, 1
	s_cbranch_scc0 .LBB51_55
; %bb.52:                               ;   in Loop: Header=BB51_17 Depth=1
	v_dual_mov_b32 v1, 0 :: v_dual_mov_b32 v2, 0
	v_dual_mov_b32 v3, 0 :: v_dual_mov_b32 v4, 0
	s_mov_b32 s77, 0
	s_and_saveexec_b32 s76, s5
	s_cbranch_execnz .LBB51_56
; %bb.53:                               ;   in Loop: Header=BB51_17 Depth=1
	s_or_b32 exec_lo, exec_lo, s76
	v_mov_b32_e32 v14, 0
	s_and_saveexec_b32 s9, s6
	s_cbranch_execnz .LBB51_59
.LBB51_54:                              ;   in Loop: Header=BB51_17 Depth=1
	s_or_b32 exec_lo, exec_lo, s9
	s_and_saveexec_b32 s13, s7
	s_cbranch_execnz .LBB51_60
	s_branch .LBB51_65
.LBB51_55:                              ;   in Loop: Header=BB51_17 Depth=1
                                        ; implicit-def: $vgpr4
	s_cbranch_execnz .LBB51_66
	s_branch .LBB51_75
.LBB51_56:                              ;   in Loop: Header=BB51_17 Depth=1
	v_mov_b32_e32 v6, v19
	s_and_b32 s78, s68, 0xfe
	s_mov_b32 s79, 0
	s_mov_b32 s80, 0
	;; [unrolled: 1-line block ×5, first 2 shown]
.LBB51_57:                              ;   Parent Loop BB51_17 Depth=1
                                        ; =>  This Inner Loop Header: Depth=2
	v_add_nc_u32_e32 v1, s79, v26
	v_add_nc_u32_e32 v3, s79, v12
	;; [unrolled: 1-line block ×5, first 2 shown]
	v_ashrrev_i32_e32 v2, 31, v1
	v_ashrrev_i32_e32 v4, 31, v3
	;; [unrolled: 1-line block ×4, first 2 shown]
	s_add_i32 s79, s79, s63
	v_lshlrev_b64 v[1:2], 2, v[1:2]
	v_lshlrev_b64 v[3:4], 2, v[3:4]
	;; [unrolled: 1-line block ×4, first 2 shown]
	s_delay_alu instid0(VALU_DEP_4)
	v_add_co_u32 v1, vcc_lo, s45, v1
	v_add_co_ci_u32_e32 v2, vcc_lo, s46, v2, vcc_lo
	v_add_co_u32 v3, vcc_lo, s45, v3
	v_add_co_ci_u32_e32 v4, vcc_lo, s46, v4, vcc_lo
	;; [unrolled: 2-line block ×4, first 2 shown]
	s_clause 0x3
	global_load_b32 v1, v[1:2], off
	global_load_b32 v2, v[3:4], off
	;; [unrolled: 1-line block ×4, first 2 shown]
	v_cmp_le_i32_e32 vcc_lo, s60, v6
	s_waitcnt vmcnt(3)
	v_cmp_lt_i32_e64 s9, -1, v1
	v_cmp_o_f32_e64 s12, v1, v1
	s_waitcnt vmcnt(1)
	v_cmp_o_f32_e64 s10, v3, v3
	s_waitcnt vmcnt(0)
	v_cmp_o_f32_e64 s11, v4, v4
	v_cndmask_b32_e64 v14, -1, 0x80000000, s9
	v_cmp_lt_i32_e64 s9, -1, v2
	s_delay_alu instid0(VALU_DEP_2) | instskip(NEXT) | instid1(VALU_DEP_2)
	v_xor_b32_e32 v14, v14, v1
	v_cndmask_b32_e64 v16, -1, 0x80000000, s9
	v_cmp_lt_i32_e64 s9, -1, v3
	s_delay_alu instid0(VALU_DEP_3) | instskip(NEXT) | instid1(VALU_DEP_3)
	v_cndmask_b32_e64 v1, -1, v14, s12
	v_xor_b32_e32 v16, v16, v2
	s_delay_alu instid0(VALU_DEP_3) | instskip(SKIP_1) | instid1(VALU_DEP_4)
	v_cndmask_b32_e64 v17, -1, 0x80000000, s9
	v_cmp_lt_i32_e64 s9, -1, v4
	v_and_b32_e32 v14, s74, v1
	v_bfe_u32 v1, v1, s78, 2
	s_delay_alu instid0(VALU_DEP_3) | instskip(SKIP_2) | instid1(VALU_DEP_4)
	v_cndmask_b32_e64 v30, -1, 0x80000000, s9
	v_cmp_o_f32_e64 s9, v2, v2
	v_xor_b32_e32 v2, v17, v3
	v_cmp_eq_u32_e64 s13, 0, v1
	v_cmp_eq_u32_e64 s17, 1, v1
	v_xor_b32_e32 v3, v30, v4
	v_cndmask_b32_e64 v4, -1, v16, s9
	v_cndmask_b32_e64 v2, -1, v2, s10
	v_cmp_eq_u32_e64 s9, s73, v14
	v_cmp_eq_u32_e64 s21, 2, v1
	v_cndmask_b32_e64 v3, -1, v3, s11
	v_and_b32_e32 v16, s74, v4
	v_bfe_u32 v4, v4, s78, 2
	v_and_b32_e32 v17, s74, v2
	v_bfe_u32 v2, v2, s78, 2
	;; [unrolled: 2-line block ×3, first 2 shown]
	v_cmp_eq_u32_e64 s10, s73, v16
	v_cmp_eq_u32_e64 s14, 0, v4
	;; [unrolled: 1-line block ×4, first 2 shown]
	s_and_b32 s13, s9, s13
	v_cmp_eq_u32_e64 s12, s73, v30
	v_cmp_eq_u32_e64 s16, 0, v3
	;; [unrolled: 1-line block ×3, first 2 shown]
	v_cndmask_b32_e64 v1, 0, 1, s13
	s_and_b32 s13, s10, s14
	v_cmp_eq_u32_e64 s19, 1, v2
	v_cmp_eq_u32_e64 s23, 2, v2
	v_cmp_eq_u32_e64 s27, 3, v2
	v_cndmask_b32_e64 v2, 0, 1, s13
	s_and_b32 s13, s11, s15
	v_cmp_eq_u32_e64 s18, 1, v4
	v_cmp_eq_u32_e64 s20, 1, v3
	;; [unrolled: 1-line block ×4, first 2 shown]
	v_cndmask_b32_e64 v3, 0, 1, s13
	s_and_b32 s13, s12, s16
	v_cmp_eq_u32_e64 s22, 2, v4
	v_cmp_eq_u32_e64 s26, 3, v4
	v_cndmask_b32_e64 v4, 0, 1, s13
	s_and_b32 s13, s9, s17
	s_delay_alu instid0(SALU_CYCLE_1) | instskip(SKIP_1) | instid1(SALU_CYCLE_1)
	v_cndmask_b32_e64 v14, 0, 1, s13
	s_and_b32 s13, s10, s18
	v_cndmask_b32_e64 v16, 0, 1, s13
	s_and_b32 s13, s11, s19
	s_delay_alu instid0(SALU_CYCLE_1) | instskip(SKIP_1) | instid1(VALU_DEP_2)
	v_cndmask_b32_e64 v17, 0, 1, s13
	s_and_b32 s13, s12, s20
	v_cmp_ne_u32_e64 s14, 0, v16
	v_cndmask_b32_e64 v30, 0, 1, s13
	s_and_b32 s13, s9, s21
	s_and_b32 s9, s9, s25
	v_cndmask_b32_e64 v31, 0, 1, s13
	s_and_b32 s13, s10, s22
	v_cndmask_b32_e64 v35, 0, 1, s9
	;; [unrolled: 2-line block ×7, first 2 shown]
	v_cndmask_b32_e64 v38, 0, 1, s9
	v_cmp_ne_u32_e64 s9, 0, v1
	v_cmp_ne_u32_e64 s13, 0, v14
	v_cmp_ne_u32_e64 s17, 0, v31
	v_cmp_ne_u32_e64 s21, 0, v35
	v_cmp_ne_u32_e64 s10, 0, v2
	v_cmp_ne_u32_e64 s18, 0, v32
	v_cmp_ne_u32_e64 s22, 0, v36
	v_cmp_ne_u32_e64 s11, 0, v3
	v_cmp_ne_u32_e64 s15, 0, v17
	v_cmp_ne_u32_e64 s19, 0, v33
	v_cmp_ne_u32_e64 s23, 0, v37
	s_bcnt1_i32_b32 s9, s9
	s_bcnt1_i32_b32 s13, s13
	;; [unrolled: 1-line block ×4, first 2 shown]
	v_cmp_ne_u32_e64 s12, 0, v4
	v_cmp_ne_u32_e64 s16, 0, v30
	;; [unrolled: 1-line block ×4, first 2 shown]
	s_bcnt1_i32_b32 s10, s10
	s_bcnt1_i32_b32 s14, s14
	s_bcnt1_i32_b32 s18, s18
	s_bcnt1_i32_b32 s22, s22
	s_add_i32 s9, s9, s83
	s_add_i32 s13, s13, s82
	s_add_i32 s17, s17, s81
	s_add_i32 s21, s21, s80
	s_bcnt1_i32_b32 s11, s11
	s_bcnt1_i32_b32 s15, s15
	s_bcnt1_i32_b32 s19, s19
	s_bcnt1_i32_b32 s23, s23
	s_add_i32 s9, s9, s10
	s_add_i32 s10, s13, s14
	s_add_i32 s13, s17, s18
	s_add_i32 s14, s21, s22
	;; [unrolled: 8-line block ×3, first 2 shown]
	s_add_i32 s83, s9, s12
	s_add_i32 s82, s10, s16
	;; [unrolled: 1-line block ×4, first 2 shown]
	v_mov_b32_e32 v3, s81
	v_dual_mov_b32 v1, s83 :: v_dual_mov_b32 v2, s82
	v_mov_b32_e32 v4, s80
	s_or_b32 s77, vcc_lo, s77
	s_delay_alu instid0(SALU_CYCLE_1)
	s_and_not1_b32 exec_lo, exec_lo, s77
	s_cbranch_execnz .LBB51_57
; %bb.58:                               ;   in Loop: Header=BB51_17 Depth=1
	s_or_b32 exec_lo, exec_lo, s77
	s_delay_alu instid0(SALU_CYCLE_1)
	s_or_b32 exec_lo, exec_lo, s76
	v_mov_b32_e32 v14, 0
	s_and_saveexec_b32 s9, s6
	s_cbranch_execz .LBB51_54
.LBB51_59:                              ;   in Loop: Header=BB51_17 Depth=1
	global_load_b32 v14, v[10:11], off
	s_or_b32 exec_lo, exec_lo, s9
	s_and_saveexec_b32 s13, s7
	s_cbranch_execz .LBB51_65
.LBB51_60:                              ;   in Loop: Header=BB51_17 Depth=1
	v_mov_b32_e32 v16, v27
	v_mov_b32_e32 v6, v21
	s_and_b32 s15, s68, 0xfe
	s_mov_b32 s14, 0
	s_branch .LBB51_62
.LBB51_61:                              ;   in Loop: Header=BB51_62 Depth=2
	s_or_b32 exec_lo, exec_lo, s9
	s_waitcnt vmcnt(0)
	v_cmp_lt_i32_e32 vcc_lo, -1, v14
	v_add_nc_u32_e32 v16, s51, v16
	v_cndmask_b32_e64 v30, -1, 0x80000000, vcc_lo
	v_cmp_o_f32_e32 vcc_lo, v14, v14
	s_delay_alu instid0(VALU_DEP_2) | instskip(NEXT) | instid1(VALU_DEP_1)
	v_xor_b32_e32 v30, v30, v14
	v_cndmask_b32_e32 v14, -1, v30, vcc_lo
	s_delay_alu instid0(VALU_DEP_1) | instskip(SKIP_1) | instid1(VALU_DEP_2)
	v_and_b32_e32 v30, s74, v14
	v_bfe_u32 v14, v14, s15, 2
	v_cmp_eq_u32_e32 vcc_lo, s73, v30
	s_delay_alu instid0(VALU_DEP_2) | instskip(SKIP_3) | instid1(VALU_DEP_4)
	v_cmp_eq_u32_e64 s9, 0, v14
	v_cmp_eq_u32_e64 s10, 1, v14
	;; [unrolled: 1-line block ×4, first 2 shown]
	s_and_b32 s9, vcc_lo, s9
	s_delay_alu instid0(SALU_CYCLE_1) | instskip(SKIP_1) | instid1(SALU_CYCLE_1)
	v_cndmask_b32_e64 v14, 0, 1, s9
	s_and_b32 s9, vcc_lo, s10
	v_cndmask_b32_e64 v30, 0, 1, s9
	s_and_b32 s9, vcc_lo, s11
	s_delay_alu instid0(SALU_CYCLE_1)
	v_cndmask_b32_e64 v31, 0, 1, s9
	s_and_b32 s9, vcc_lo, s12
	v_cmp_ne_u32_e32 vcc_lo, 0, v14
	v_cndmask_b32_e64 v32, 0, 1, s9
	v_cmp_ne_u32_e64 s9, 0, v30
	v_cmp_ne_u32_e64 s10, 0, v31
	v_cmp_le_i32_e64 s12, s36, v6
	s_bcnt1_i32_b32 s16, vcc_lo
	v_cmp_ne_u32_e64 s11, 0, v32
	v_add_nc_u32_e32 v1, s16, v1
	s_bcnt1_i32_b32 s9, s9
	s_bcnt1_i32_b32 s10, s10
	v_add_nc_u32_e32 v2, s9, v2
	s_bcnt1_i32_b32 s11, s11
	v_dual_mov_b32 v14, v17 :: v_dual_add_nc_u32 v3, s10, v3
	v_add_nc_u32_e32 v4, s11, v4
	s_or_b32 s14, s12, s14
	s_delay_alu instid0(SALU_CYCLE_1)
	s_and_not1_b32 exec_lo, exec_lo, s14
	s_cbranch_execz .LBB51_64
.LBB51_62:                              ;   Parent Loop BB51_17 Depth=1
                                        ; =>  This Inner Loop Header: Depth=2
	s_delay_alu instid0(VALU_DEP_1) | instskip(SKIP_1) | instid1(VALU_DEP_1)
	v_dual_mov_b32 v17, 0 :: v_dual_add_nc_u32 v6, s47, v6
	s_mov_b32 s9, exec_lo
	v_cmpx_gt_u32_e64 s36, v6
	s_cbranch_execz .LBB51_61
; %bb.63:                               ;   in Loop: Header=BB51_62 Depth=2
	v_ashrrev_i32_e32 v17, 31, v16
	s_delay_alu instid0(VALU_DEP_1) | instskip(NEXT) | instid1(VALU_DEP_1)
	v_lshlrev_b64 v[30:31], 2, v[16:17]
	v_add_co_u32 v30, vcc_lo, s45, v30
	s_delay_alu instid0(VALU_DEP_2)
	v_add_co_ci_u32_e32 v31, vcc_lo, s46, v31, vcc_lo
	global_load_b32 v17, v[30:31], off
	s_branch .LBB51_61
.LBB51_64:                              ;   in Loop: Header=BB51_17 Depth=1
	s_or_b32 exec_lo, exec_lo, s14
.LBB51_65:                              ;   in Loop: Header=BB51_17 Depth=1
	s_delay_alu instid0(SALU_CYCLE_1)
	s_or_b32 exec_lo, exec_lo, s13
	s_branch .LBB51_75
.LBB51_66:                              ;   in Loop: Header=BB51_17 Depth=1
	s_mul_hi_u32 s9, s75, s59
	v_dual_mov_b32 v1, 0 :: v_dual_mov_b32 v2, 0
	s_mul_i32 s9, s9, s49
	v_dual_mov_b32 v3, 0 :: v_dual_mov_b32 v4, 0
	s_sub_i32 s9, s75, s9
	s_mov_b32 s78, 0
	s_sub_i32 s10, s9, s49
	s_cmp_ge_u32 s9, s49
	s_mov_b32 s77, exec_lo
	s_cselect_b32 s9, s10, s9
	s_delay_alu instid0(SALU_CYCLE_1) | instskip(SKIP_2) | instid1(SALU_CYCLE_1)
	s_sub_i32 s10, s9, s49
	s_cmp_ge_u32 s9, s49
	s_cselect_b32 s9, s10, s9
	s_sub_i32 s76, s75, s9
	s_delay_alu instid0(SALU_CYCLE_1)
	v_cmpx_gt_u32_e64 s76, v19
	s_cbranch_execz .LBB51_70
; %bb.67:                               ;   in Loop: Header=BB51_17 Depth=1
	v_mov_b32_e32 v6, v28
	s_waitcnt vmcnt(0)
	v_mov_b32_e32 v14, v19
	s_and_b32 s79, s68, 0xfe
	s_mov_b32 s80, 0
	s_mov_b32 s81, 0
	;; [unrolled: 1-line block ×4, first 2 shown]
.LBB51_68:                              ;   Parent Loop BB51_17 Depth=1
                                        ; =>  This Inner Loop Header: Depth=2
	ds_load_b128 v[1:4], v6
	s_waitcnt lgkmcnt(0)
	v_cmp_lt_i32_e64 s9, -1, v1
	v_cmp_o_f32_e64 s12, v1, v1
	v_cmp_o_f32_e64 s10, v3, v3
	;; [unrolled: 1-line block ×3, first 2 shown]
	s_delay_alu instid0(VALU_DEP_4) | instskip(SKIP_1) | instid1(VALU_DEP_2)
	v_cndmask_b32_e64 v16, -1, 0x80000000, s9
	v_cmp_lt_i32_e64 s9, -1, v2
	v_xor_b32_e32 v16, v16, v1
	s_delay_alu instid0(VALU_DEP_2) | instskip(SKIP_1) | instid1(VALU_DEP_3)
	v_cndmask_b32_e64 v17, -1, 0x80000000, s9
	v_cmp_lt_i32_e64 s9, -1, v3
	v_cndmask_b32_e64 v1, -1, v16, s12
	s_delay_alu instid0(VALU_DEP_3) | instskip(NEXT) | instid1(VALU_DEP_3)
	v_xor_b32_e32 v17, v17, v2
	v_cndmask_b32_e64 v30, -1, 0x80000000, s9
	v_cmp_lt_i32_e64 s9, -1, v4
	s_delay_alu instid0(VALU_DEP_4) | instskip(SKIP_1) | instid1(VALU_DEP_3)
	v_and_b32_e32 v16, s74, v1
	v_bfe_u32 v1, v1, s79, 2
	v_cndmask_b32_e64 v31, -1, 0x80000000, s9
	v_cmp_o_f32_e64 s9, v2, v2
	v_xor_b32_e32 v2, v30, v3
	s_delay_alu instid0(VALU_DEP_4)
	v_cmp_eq_u32_e64 s13, 0, v1
	v_cmp_eq_u32_e64 s17, 1, v1
	v_xor_b32_e32 v3, v31, v4
	v_cndmask_b32_e64 v4, -1, v17, s9
	v_cndmask_b32_e64 v2, -1, v2, s10
	v_cmp_eq_u32_e64 s9, s73, v16
	v_cmp_eq_u32_e64 s21, 2, v1
	v_cndmask_b32_e64 v3, -1, v3, s11
	v_and_b32_e32 v17, s74, v4
	v_bfe_u32 v4, v4, s79, 2
	v_and_b32_e32 v30, s74, v2
	v_bfe_u32 v2, v2, s79, 2
	;; [unrolled: 2-line block ×3, first 2 shown]
	v_cmp_eq_u32_e64 s10, s73, v17
	v_cmp_eq_u32_e64 s14, 0, v4
	v_cmp_eq_u32_e64 s11, s73, v30
	v_cmp_eq_u32_e64 s15, 0, v2
	s_and_b32 s13, s9, s13
	v_cmp_eq_u32_e64 s12, s73, v31
	v_cmp_eq_u32_e64 s16, 0, v3
	;; [unrolled: 1-line block ×3, first 2 shown]
	v_cndmask_b32_e64 v1, 0, 1, s13
	s_and_b32 s13, s10, s14
	v_cmp_eq_u32_e64 s19, 1, v2
	v_cmp_eq_u32_e64 s23, 2, v2
	;; [unrolled: 1-line block ×3, first 2 shown]
	v_cndmask_b32_e64 v2, 0, 1, s13
	s_and_b32 s13, s11, s15
	v_cmp_eq_u32_e64 s18, 1, v4
	v_cmp_eq_u32_e64 s20, 1, v3
	;; [unrolled: 1-line block ×4, first 2 shown]
	v_cndmask_b32_e64 v3, 0, 1, s13
	s_and_b32 s13, s12, s16
	v_cmp_eq_u32_e64 s22, 2, v4
	v_cmp_eq_u32_e64 s26, 3, v4
	v_cndmask_b32_e64 v4, 0, 1, s13
	s_and_b32 s13, s9, s17
	s_delay_alu instid0(SALU_CYCLE_1) | instskip(SKIP_1) | instid1(SALU_CYCLE_1)
	v_cndmask_b32_e64 v16, 0, 1, s13
	s_and_b32 s13, s10, s18
	v_cndmask_b32_e64 v17, 0, 1, s13
	s_and_b32 s13, s11, s19
	s_delay_alu instid0(SALU_CYCLE_1) | instskip(SKIP_1) | instid1(VALU_DEP_2)
	v_cndmask_b32_e64 v30, 0, 1, s13
	s_and_b32 s13, s12, s20
	v_cmp_ne_u32_e64 s14, 0, v17
	v_cndmask_b32_e64 v31, 0, 1, s13
	s_and_b32 s13, s9, s21
	s_and_b32 s9, s9, s25
	v_cndmask_b32_e64 v32, 0, 1, s13
	v_cndmask_b32_e64 v36, 0, 1, s9
	s_and_b32 s9, s10, s26
	s_and_b32 s13, s10, s22
	v_cndmask_b32_e64 v37, 0, 1, s9
	s_and_b32 s9, s11, s27
	v_cndmask_b32_e64 v33, 0, 1, s13
	v_cndmask_b32_e64 v38, 0, 1, s9
	s_and_b32 s9, s12, s28
	s_and_b32 s13, s11, s23
	v_cndmask_b32_e64 v39, 0, 1, s9
	v_cmp_ne_u32_e64 s9, 0, v1
	v_cmp_ne_u32_e64 s10, 0, v2
	v_cndmask_b32_e64 v34, 0, 1, s13
	s_and_b32 s13, s12, s24
	v_cmp_ne_u32_e64 s11, 0, v3
	v_cndmask_b32_e64 v35, 0, 1, s13
	v_cmp_ne_u32_e64 s13, 0, v16
	v_cmp_ne_u32_e64 s17, 0, v32
	v_cmp_ne_u32_e64 s21, 0, v36
	s_bcnt1_i32_b32 s9, s9
	v_cmp_ne_u32_e64 s12, 0, v4
	v_cmp_ne_u32_e64 s18, 0, v33
	;; [unrolled: 1-line block ×3, first 2 shown]
	s_bcnt1_i32_b32 s10, s10
	s_add_i32 s9, s9, s83
	v_cmp_ne_u32_e64 s15, 0, v30
	v_cmp_ne_u32_e64 s19, 0, v34
	;; [unrolled: 1-line block ×3, first 2 shown]
	s_bcnt1_i32_b32 s11, s11
	s_add_i32 s9, s9, s10
	s_bcnt1_i32_b32 s13, s13
	s_bcnt1_i32_b32 s17, s17
	;; [unrolled: 1-line block ×3, first 2 shown]
	v_cmp_ne_u32_e64 s16, 0, v31
	v_cmp_ne_u32_e64 s20, 0, v35
	;; [unrolled: 1-line block ×3, first 2 shown]
	s_bcnt1_i32_b32 s12, s12
	s_add_i32 s9, s9, s11
	s_bcnt1_i32_b32 s14, s14
	s_bcnt1_i32_b32 s18, s18
	;; [unrolled: 1-line block ×3, first 2 shown]
	s_add_i32 s13, s13, s82
	s_add_i32 s17, s17, s81
	;; [unrolled: 1-line block ×4, first 2 shown]
	s_delay_alu instid0(SALU_CYCLE_1)
	v_dual_mov_b32 v1, s83 :: v_dual_add_nc_u32 v14, s49, v14
	s_bcnt1_i32_b32 s15, s15
	s_bcnt1_i32_b32 s19, s19
	;; [unrolled: 1-line block ×3, first 2 shown]
	s_add_i32 s10, s13, s14
	s_add_i32 s13, s17, s18
	;; [unrolled: 1-line block ×3, first 2 shown]
	s_bcnt1_i32_b32 s16, s16
	s_bcnt1_i32_b32 s20, s20
	;; [unrolled: 1-line block ×3, first 2 shown]
	s_add_i32 s10, s10, s15
	s_add_i32 s11, s13, s19
	;; [unrolled: 1-line block ×3, first 2 shown]
	v_cmp_le_i32_e32 vcc_lo, s76, v14
	s_add_i32 s82, s10, s16
	s_add_i32 s81, s11, s20
	;; [unrolled: 1-line block ×3, first 2 shown]
	v_dual_mov_b32 v3, s81 :: v_dual_add_nc_u32 v6, s64, v6
	v_mov_b32_e32 v2, s82
	v_mov_b32_e32 v4, s80
	s_or_b32 s78, vcc_lo, s78
	s_delay_alu instid0(SALU_CYCLE_1)
	s_and_not1_b32 exec_lo, exec_lo, s78
	s_cbranch_execnz .LBB51_68
; %bb.69:                               ;   in Loop: Header=BB51_17 Depth=1
	s_or_b32 exec_lo, exec_lo, s78
.LBB51_70:                              ;   in Loop: Header=BB51_17 Depth=1
	s_delay_alu instid0(SALU_CYCLE_1) | instskip(SKIP_2) | instid1(VALU_DEP_1)
	s_or_b32 exec_lo, exec_lo, s77
	v_add_nc_u32_e32 v6, s76, v0
	s_mov_b32 s14, exec_lo
	v_cmpx_gt_i32_e64 s75, v6
	s_cbranch_execz .LBB51_74
; %bb.71:                               ;   in Loop: Header=BB51_17 Depth=1
	s_waitcnt vmcnt(0)
	v_lshlrev_b32_e32 v14, 2, v6
	s_and_b32 s16, s68, 0xfe
	s_mov_b32 s15, 0
.LBB51_72:                              ;   Parent Loop BB51_17 Depth=1
                                        ; =>  This Inner Loop Header: Depth=2
	ds_load_b32 v16, v14
	v_add_nc_u32_e32 v6, s47, v6
	v_add_nc_u32_e32 v14, s49, v14
	s_delay_alu instid0(VALU_DEP_2) | instskip(SKIP_2) | instid1(VALU_DEP_1)
	v_cmp_le_i32_e32 vcc_lo, s75, v6
	s_waitcnt lgkmcnt(0)
	v_cmp_lt_i32_e64 s9, -1, v16
	v_cndmask_b32_e64 v17, -1, 0x80000000, s9
	v_cmp_o_f32_e64 s9, v16, v16
	s_delay_alu instid0(VALU_DEP_2) | instskip(NEXT) | instid1(VALU_DEP_1)
	v_xor_b32_e32 v17, v17, v16
	v_cndmask_b32_e64 v16, -1, v17, s9
	s_delay_alu instid0(VALU_DEP_1) | instskip(SKIP_1) | instid1(VALU_DEP_2)
	v_and_b32_e32 v17, s74, v16
	v_bfe_u32 v16, v16, s16, 2
	v_cmp_eq_u32_e64 s9, s73, v17
	s_delay_alu instid0(VALU_DEP_2) | instskip(SKIP_3) | instid1(VALU_DEP_4)
	v_cmp_eq_u32_e64 s10, 0, v16
	v_cmp_eq_u32_e64 s11, 1, v16
	v_cmp_eq_u32_e64 s12, 2, v16
	v_cmp_eq_u32_e64 s13, 3, v16
	s_and_b32 s10, s9, s10
	s_delay_alu instid0(SALU_CYCLE_1) | instskip(SKIP_1) | instid1(SALU_CYCLE_1)
	v_cndmask_b32_e64 v16, 0, 1, s10
	s_and_b32 s10, s9, s11
	v_cndmask_b32_e64 v17, 0, 1, s10
	s_and_b32 s10, s9, s12
	s_and_b32 s9, s9, s13
	v_cndmask_b32_e64 v30, 0, 1, s10
	v_cndmask_b32_e64 v31, 0, 1, s9
	v_cmp_ne_u32_e64 s9, 0, v16
	v_cmp_ne_u32_e64 s10, 0, v17
	s_delay_alu instid0(VALU_DEP_4) | instskip(NEXT) | instid1(VALU_DEP_4)
	v_cmp_ne_u32_e64 s11, 0, v30
	v_cmp_ne_u32_e64 s12, 0, v31
	s_delay_alu instid0(VALU_DEP_4) | instskip(NEXT) | instid1(VALU_DEP_3)
	s_bcnt1_i32_b32 s9, s9
	s_bcnt1_i32_b32 s10, s10
	v_add_nc_u32_e32 v1, s9, v1
	s_bcnt1_i32_b32 s11, s11
	s_bcnt1_i32_b32 s12, s12
	v_add_nc_u32_e32 v2, s10, v2
	v_add_nc_u32_e32 v3, s11, v3
	;; [unrolled: 1-line block ×3, first 2 shown]
	s_or_b32 s15, vcc_lo, s15
	s_delay_alu instid0(SALU_CYCLE_1)
	s_and_not1_b32 exec_lo, exec_lo, s15
	s_cbranch_execnz .LBB51_72
; %bb.73:                               ;   in Loop: Header=BB51_17 Depth=1
	s_or_b32 exec_lo, exec_lo, s15
.LBB51_74:                              ;   in Loop: Header=BB51_17 Depth=1
	s_delay_alu instid0(SALU_CYCLE_1)
	s_or_b32 exec_lo, exec_lo, s14
.LBB51_75:                              ;   in Loop: Header=BB51_17 Depth=1
	s_lshl_b32 s9, s71, 7
	s_and_saveexec_b32 s10, s4
	s_cbranch_execz .LBB51_77
; %bb.76:                               ;   in Loop: Header=BB51_17 Depth=1
	v_or_b32_e32 v6, s9, v22
	s_delay_alu instid0(VALU_DEP_1)
	v_lshlrev_b32_e32 v6, 2, v6
	ds_store_b128 v6, v[1:4] offset:3072
.LBB51_77:                              ;   in Loop: Header=BB51_17 Depth=1
	s_or_b32 exec_lo, exec_lo, s10
	s_waitcnt vmcnt(0) lgkmcnt(0)
	s_barrier
	buffer_gl0_inv
	s_and_saveexec_b32 s10, s50
	s_cbranch_execz .LBB51_87
; %bb.78:                               ;   in Loop: Header=BB51_17 Depth=1
	v_mov_b32_e32 v1, 0
	s_and_not1_b32 vcc_lo, exec_lo, s54
	s_cbranch_vccnz .LBB51_86
; %bb.79:                               ;   in Loop: Header=BB51_17 Depth=1
	v_mov_b32_e32 v1, 0
	s_and_not1_b32 vcc_lo, exec_lo, s56
	s_mov_b32 s11, 0
	s_cbranch_vccnz .LBB51_83
; %bb.80:                               ;   in Loop: Header=BB51_17 Depth=1
	v_lshl_add_u32 v2, s71, 9, v29
	v_mov_b32_e32 v1, 0
	.p2align	6
.LBB51_81:                              ;   Parent Loop BB51_17 Depth=1
                                        ; =>  This Inner Loop Header: Depth=2
	ds_load_2addr_b32 v[3:4], v2 offset1:4
	ds_load_2addr_b32 v[16:17], v2 offset0:8 offset1:12
	ds_load_2addr_b32 v[30:31], v2 offset0:16 offset1:20
	;; [unrolled: 1-line block ×3, first 2 shown]
	v_add_nc_u32_e32 v2, 0x80, v2
	s_add_i32 s11, s11, 8
	s_delay_alu instid0(SALU_CYCLE_1) | instskip(SKIP_3) | instid1(VALU_DEP_1)
	s_cmp_eq_u32 s57, s11
	s_waitcnt lgkmcnt(3)
	v_add3_u32 v1, v3, v1, v4
	s_waitcnt lgkmcnt(2)
	v_add3_u32 v1, v16, v1, v17
	s_waitcnt lgkmcnt(1)
	s_delay_alu instid0(VALU_DEP_1) | instskip(SKIP_1) | instid1(VALU_DEP_1)
	v_add3_u32 v1, v30, v1, v31
	s_waitcnt lgkmcnt(0)
	v_add3_u32 v1, v32, v1, v33
	s_cbranch_scc0 .LBB51_81
; %bb.82:                               ;   in Loop: Header=BB51_17 Depth=1
	s_mov_b32 s11, s57
.LBB51_83:                              ;   in Loop: Header=BB51_17 Depth=1
	s_and_not1_b32 vcc_lo, exec_lo, s58
	s_cbranch_vccnz .LBB51_86
; %bb.84:                               ;   in Loop: Header=BB51_17 Depth=1
	s_lshl_b32 s12, s71, 9
	s_lshl_b32 s11, s11, 4
	s_delay_alu instid0(SALU_CYCLE_1)
	v_add3_u32 v2, s12, s11, v29
	s_mov_b32 s11, s55
.LBB51_85:                              ;   Parent Loop BB51_17 Depth=1
                                        ; =>  This Inner Loop Header: Depth=2
	ds_load_b32 v3, v2
	v_add_nc_u32_e32 v2, 16, v2
	s_add_i32 s11, s11, -1
	s_delay_alu instid0(SALU_CYCLE_1)
	s_cmp_lg_u32 s11, 0
	s_waitcnt lgkmcnt(0)
	v_add_nc_u32_e32 v1, v3, v1
	s_cbranch_scc1 .LBB51_85
.LBB51_86:                              ;   in Loop: Header=BB51_17 Depth=1
	v_add_lshl_u32 v2, s9, v18, 2
	ds_store_b32 v2, v1 offset:3072
.LBB51_87:                              ;   in Loop: Header=BB51_17 Depth=1
	s_or_b32 exec_lo, exec_lo, s10
	s_lshl_b32 s9, s9, 2
	s_waitcnt lgkmcnt(0)
	v_mov_b32_e32 v1, s9
	s_barrier
	buffer_gl0_inv
	s_and_b32 s18, s68, 0xfe
	s_mov_b32 s14, -1
	ds_load_b128 v[1:4], v1 offset:3072
	s_lshl_b32 s11, 3, s18
	s_delay_alu instid0(SALU_CYCLE_1) | instskip(SKIP_4) | instid1(VALU_DEP_3)
	s_not_b32 s19, s11
	s_waitcnt lgkmcnt(0)
	v_readfirstlane_b32 s13, v1
	v_readfirstlane_b32 s21, v2
	;; [unrolled: 1-line block ×3, first 2 shown]
	s_cmp_eq_u32 s13, 1
	s_cselect_b32 s9, -1, 0
	s_cmp_eq_u32 s37, 1
	s_cselect_b32 s10, -1, 0
	s_delay_alu instid0(SALU_CYCLE_1)
	s_and_b32 s15, s9, s10
	v_readfirstlane_b32 s10, v4
	s_and_b32 vcc_lo, exec_lo, s15
	s_cbranch_vccz .LBB51_99
; %bb.88:                               ;   in Loop: Header=BB51_17 Depth=1
	ds_load_b32 v1, v7 offset:4096
	s_waitcnt lgkmcnt(0)
	s_barrier
	buffer_gl0_inv
	v_readfirstlane_b32 s12, v1
	s_and_saveexec_b32 s9, s0
	s_cbranch_execz .LBB51_90
; %bb.89:                               ;   in Loop: Header=BB51_17 Depth=1
	ds_store_b32 v20, v7
.LBB51_90:                              ;   in Loop: Header=BB51_17 Depth=1
	s_or_b32 exec_lo, exec_lo, s9
	s_and_b32 s73, s73, s19
	s_or_b32 s74, s74, s11
	s_cmp_lt_i32 s12, 1
	s_waitcnt lgkmcnt(0)
	s_barrier
	buffer_gl0_inv
	s_cbranch_scc0 .LBB51_100
; %bb.91:                               ;   in Loop: Header=BB51_17 Depth=1
	s_mov_b32 s9, 0
                                        ; implicit-def: $vgpr15
	s_and_saveexec_b32 s17, s8
	s_cbranch_execz .LBB51_102
; %bb.92:                               ;   in Loop: Header=BB51_17 Depth=1
	v_mov_b32_e32 v1, v5
	v_mov_b32_e32 v3, v0
	s_mov_b32 s20, 0
                                        ; implicit-def: $sgpr22
	s_set_inst_prefetch_distance 0x1
	s_branch .LBB51_94
	.p2align	6
.LBB51_93:                              ;   in Loop: Header=BB51_94 Depth=2
	s_or_b32 exec_lo, exec_lo, s9
	s_waitcnt vmcnt(0) lgkmcnt(0)
	s_barrier
	buffer_gl0_inv
	ds_load_b64 v[14:15], v7 offset:3072
	v_add_nc_u32_e32 v3, s47, v3
	v_add_nc_u32_e32 v1, s51, v1
	s_waitcnt lgkmcnt(0)
	s_barrier
	buffer_gl0_inv
	v_cmp_le_i32_e32 vcc_lo, s62, v3
	v_cmp_neq_f32_e64 s9, 0, v14
	s_delay_alu instid0(VALU_DEP_1) | instskip(NEXT) | instid1(SALU_CYCLE_1)
	s_or_b32 s23, vcc_lo, s9
	s_and_b32 s23, exec_lo, s23
	s_delay_alu instid0(SALU_CYCLE_1) | instskip(SKIP_2) | instid1(SALU_CYCLE_1)
	s_or_b32 s20, s23, s20
	s_and_not1_b32 s22, s22, exec_lo
	s_and_b32 s9, s9, exec_lo
	s_or_b32 s22, s22, s9
	s_and_not1_b32 exec_lo, exec_lo, s20
	s_cbranch_execz .LBB51_101
.LBB51_94:                              ;   Parent Loop BB51_17 Depth=1
                                        ; =>  This Inner Loop Header: Depth=2
	s_delay_alu instid0(VALU_DEP_1)
	v_cmp_gt_i32_e32 vcc_lo, s36, v3
	v_mov_b32_e32 v14, 0
	s_and_saveexec_b32 s23, vcc_lo
	s_cbranch_execz .LBB51_96
; %bb.95:                               ;   in Loop: Header=BB51_94 Depth=2
	v_ashrrev_i32_e32 v2, 31, v1
	s_delay_alu instid0(VALU_DEP_1) | instskip(NEXT) | instid1(VALU_DEP_1)
	v_lshlrev_b64 v[14:15], 2, v[1:2]
	v_add_co_u32 v14, s9, s45, v14
	s_delay_alu instid0(VALU_DEP_1)
	v_add_co_ci_u32_e64 v15, s9, s46, v15, s9
	global_load_b32 v14, v[14:15], off
.LBB51_96:                              ;   in Loop: Header=BB51_94 Depth=2
	s_or_b32 exec_lo, exec_lo, s23
	s_and_saveexec_b32 s9, vcc_lo
	s_cbranch_execz .LBB51_93
; %bb.97:                               ;   in Loop: Header=BB51_94 Depth=2
	s_waitcnt vmcnt(0)
	v_cmp_lt_i32_e32 vcc_lo, -1, v14
	v_cndmask_b32_e64 v2, -1, 0x80000000, vcc_lo
	v_cmp_o_f32_e32 vcc_lo, v14, v14
	s_delay_alu instid0(VALU_DEP_2) | instskip(NEXT) | instid1(VALU_DEP_1)
	v_xor_b32_e32 v2, v2, v14
	v_cndmask_b32_e32 v2, -1, v2, vcc_lo
	s_delay_alu instid0(VALU_DEP_1) | instskip(NEXT) | instid1(VALU_DEP_1)
	v_and_b32_e32 v2, s74, v2
	v_cmp_eq_u32_e32 vcc_lo, s73, v2
	s_and_b32 exec_lo, exec_lo, vcc_lo
	s_cbranch_execz .LBB51_93
; %bb.98:                               ;   in Loop: Header=BB51_94 Depth=2
	ds_store_b64 v7, v[13:14] offset:3072
	s_branch .LBB51_93
.LBB51_99:                              ;   in Loop: Header=BB51_17 Depth=1
	s_mov_b32 s9, -1
                                        ; implicit-def: $sgpr17
                                        ; implicit-def: $sgpr22
                                        ; implicit-def: $sgpr20
	s_branch .LBB51_113
.LBB51_100:                             ;   in Loop: Header=BB51_17 Depth=1
	s_mov_b32 s17, -1
	s_mov_b32 s9, 0
                                        ; implicit-def: $sgpr20
                                        ; implicit-def: $vgpr15
	s_mov_b32 s22, s17
	s_cbranch_execnz .LBB51_103
	s_branch .LBB51_113
.LBB51_101:                             ;   in Loop: Header=BB51_17 Depth=1
	s_set_inst_prefetch_distance 0x2
	s_or_b32 exec_lo, exec_lo, s20
	s_delay_alu instid0(SALU_CYCLE_1)
	s_and_b32 s9, s22, exec_lo
.LBB51_102:                             ;   in Loop: Header=BB51_17 Depth=1
	s_or_b32 exec_lo, exec_lo, s17
	s_mov_b32 s20, -1
	s_mov_b32 s17, 0
	s_delay_alu instid0(SALU_CYCLE_1)
	s_mov_b32 s22, s17
	s_branch .LBB51_113
.LBB51_103:                             ;   in Loop: Header=BB51_17 Depth=1
	s_add_i32 s20, s12, s52
                                        ; implicit-def: $vgpr15
	s_delay_alu instid0(SALU_CYCLE_1) | instskip(NEXT) | instid1(SALU_CYCLE_1)
	s_abs_i32 s9, s20
	s_mul_hi_u32 s17, s9, s61
	s_delay_alu instid0(SALU_CYCLE_1) | instskip(NEXT) | instid1(SALU_CYCLE_1)
	s_mul_i32 s17, s17, s47
	s_sub_i32 s9, s9, s17
	s_ashr_i32 s17, s20, 31
	s_sub_i32 s22, s9, s47
	s_cmp_ge_u32 s9, s47
	s_cselect_b32 s9, s22, s9
	s_delay_alu instid0(SALU_CYCLE_1) | instskip(SKIP_2) | instid1(SALU_CYCLE_1)
	s_sub_i32 s22, s9, s47
	s_cmp_ge_u32 s9, s47
	s_cselect_b32 s9, s22, s9
	s_xor_b32 s9, s9, s17
	s_delay_alu instid0(SALU_CYCLE_1)
	s_sub_i32 s9, s17, s9
	s_mov_b32 s17, exec_lo
	s_add_i32 s20, s20, s9
	s_mov_b32 s9, 0
	v_cmpx_gt_i32_e64 s20, v0
	s_cbranch_execz .LBB51_112
; %bb.104:                              ;   in Loop: Header=BB51_17 Depth=1
	v_dual_mov_b32 v1, v19 :: v_dual_mov_b32 v2, v0
	s_mov_b32 s22, 0
                                        ; implicit-def: $sgpr23
	s_set_inst_prefetch_distance 0x1
	s_branch .LBB51_106
	.p2align	6
.LBB51_105:                             ;   in Loop: Header=BB51_106 Depth=2
	s_or_b32 exec_lo, exec_lo, s9
	s_waitcnt lgkmcnt(0)
	s_barrier
	buffer_gl0_inv
	ds_load_b64 v[14:15], v7 offset:3072
	v_add_nc_u32_e32 v2, s47, v2
	v_add_nc_u32_e32 v1, s49, v1
	s_waitcnt lgkmcnt(0)
	s_barrier
	buffer_gl0_inv
	v_cmp_le_i32_e32 vcc_lo, s20, v2
	v_cmp_neq_f32_e64 s9, 0, v14
	s_delay_alu instid0(VALU_DEP_1) | instskip(NEXT) | instid1(SALU_CYCLE_1)
	s_or_b32 s24, vcc_lo, s9
	s_and_b32 s24, exec_lo, s24
	s_delay_alu instid0(SALU_CYCLE_1) | instskip(SKIP_2) | instid1(SALU_CYCLE_1)
	s_or_b32 s22, s24, s22
	s_and_not1_b32 s23, s23, exec_lo
	s_and_b32 s9, s9, exec_lo
	s_or_b32 s23, s23, s9
	s_and_not1_b32 exec_lo, exec_lo, s22
	s_cbranch_execz .LBB51_111
.LBB51_106:                             ;   Parent Loop BB51_17 Depth=1
                                        ; =>  This Inner Loop Header: Depth=2
	s_delay_alu instid0(VALU_DEP_1)
	v_cmp_gt_i32_e32 vcc_lo, s12, v2
	v_mov_b32_e32 v14, 0
	s_and_saveexec_b32 s9, vcc_lo
	s_cbranch_execz .LBB51_108
; %bb.107:                              ;   in Loop: Header=BB51_106 Depth=2
	ds_load_b32 v14, v1
.LBB51_108:                             ;   in Loop: Header=BB51_106 Depth=2
	s_or_b32 exec_lo, exec_lo, s9
	s_and_saveexec_b32 s9, vcc_lo
	s_cbranch_execz .LBB51_105
; %bb.109:                              ;   in Loop: Header=BB51_106 Depth=2
	s_waitcnt lgkmcnt(0)
	v_cmp_lt_i32_e32 vcc_lo, -1, v14
	v_cndmask_b32_e64 v3, -1, 0x80000000, vcc_lo
	v_cmp_o_f32_e32 vcc_lo, v14, v14
	s_delay_alu instid0(VALU_DEP_2) | instskip(NEXT) | instid1(VALU_DEP_1)
	v_xor_b32_e32 v3, v3, v14
	v_cndmask_b32_e32 v3, -1, v3, vcc_lo
	s_delay_alu instid0(VALU_DEP_1) | instskip(NEXT) | instid1(VALU_DEP_1)
	v_and_b32_e32 v3, s74, v3
	v_cmp_eq_u32_e32 vcc_lo, s73, v3
	s_and_b32 exec_lo, exec_lo, vcc_lo
	s_cbranch_execz .LBB51_105
; %bb.110:                              ;   in Loop: Header=BB51_106 Depth=2
	ds_store_b64 v7, v[13:14] offset:3072
	s_branch .LBB51_105
.LBB51_111:                             ;   in Loop: Header=BB51_17 Depth=1
	s_set_inst_prefetch_distance 0x2
	s_or_b32 exec_lo, exec_lo, s22
	s_delay_alu instid0(SALU_CYCLE_1)
	s_and_b32 s9, s23, exec_lo
.LBB51_112:                             ;   in Loop: Header=BB51_17 Depth=1
	s_or_b32 exec_lo, exec_lo, s17
	s_mov_b32 s22, -1
	s_mov_b32 s17, 0
	s_mov_b32 s20, 0
.LBB51_113:                             ;   in Loop: Header=BB51_17 Depth=1
	s_and_not1_b32 s12, s69, exec_lo
	s_and_b32 s17, s17, exec_lo
	s_and_b32 s20, s20, exec_lo
	s_or_b32 s69, s12, s17
	s_and_not1_b32 s12, s72, exec_lo
	s_and_b32 s17, s22, exec_lo
	s_and_not1_b32 s22, s70, exec_lo
	s_or_b32 s72, s12, s17
	s_or_b32 s70, s22, s20
	s_and_saveexec_b32 s12, s9
	s_cbranch_execz .LBB51_16
; %bb.114:                              ;   in Loop: Header=BB51_17 Depth=1
	s_xor_b32 s9, s15, -1
	s_mov_b32 s14, 0
	s_and_not1_b32 vcc_lo, exec_lo, s9
	s_mov_b32 s22, 1
	s_cbranch_vccnz .LBB51_125
; %bb.115:                              ;   in Loop: Header=BB51_17 Depth=1
	s_cmp_gt_i32 s37, s13
	s_mov_b32 s14, -1
                                        ; implicit-def: $sgpr9
                                        ; implicit-def: $sgpr15
                                        ; implicit-def: $sgpr17
	s_cbranch_scc1 .LBB51_121
; %bb.116:                              ;   in Loop: Header=BB51_17 Depth=1
	ds_load_b32 v1, v7 offset:4096
	s_waitcnt lgkmcnt(0)
	v_cmp_ne_u32_e32 vcc_lo, 0, v1
	s_cbranch_vccnz .LBB51_120
; %bb.117:                              ;   in Loop: Header=BB51_17 Depth=1
	s_and_saveexec_b32 s9, s2
	s_cbranch_execz .LBB51_119
; %bb.118:                              ;   in Loop: Header=BB51_17 Depth=1
	v_mov_b32_e32 v1, s13
	ds_store_b32 v7, v1 offset:4100
.LBB51_119:                             ;   in Loop: Header=BB51_17 Depth=1
	s_or_b32 exec_lo, exec_lo, s9
	s_waitcnt lgkmcnt(0)
	s_barrier
	buffer_gl0_inv
.LBB51_120:                             ;   in Loop: Header=BB51_17 Depth=1
	s_and_b32 s15, s73, s19
	s_or_b32 s17, s74, s11
	s_mov_b32 s14, 0
	s_mov_b32 s9, 8
.LBB51_121:                             ;   in Loop: Header=BB51_17 Depth=1
	s_and_not1_b32 vcc_lo, exec_lo, s14
	s_cbranch_vccnz .LBB51_123
; %bb.122:                              ;   in Loop: Header=BB51_17 Depth=1
	s_sub_i32 s37, s37, s13
	s_mov_b32 s14, -1
	s_mov_b32 s9, 0
	s_mov_b32 s15, s73
	;; [unrolled: 1-line block ×3, first 2 shown]
.LBB51_123:                             ;   in Loop: Header=BB51_17 Depth=1
	s_delay_alu instid0(SALU_CYCLE_1)
	s_mov_b32 s74, s17
	s_mov_b32 s73, s15
	;; [unrolled: 1-line block ×3, first 2 shown]
	s_and_b32 vcc_lo, exec_lo, s14
	s_mov_b32 s13, -1
	s_cbranch_vccnz .LBB51_126
.LBB51_124:                             ;   in Loop: Header=BB51_17 Depth=1
	s_mov_b32 s25, -1
                                        ; implicit-def: $sgpr14
                                        ; implicit-def: $sgpr17
                                        ; implicit-def: $sgpr15
	s_delay_alu instid0(SALU_CYCLE_1) | instskip(NEXT) | instid1(SALU_CYCLE_1)
	s_and_saveexec_b32 s10, s25
	s_xor_b32 s10, exec_lo, s10
	s_cbranch_execz .LBB51_15
	s_branch .LBB51_249
.LBB51_125:                             ;   in Loop: Header=BB51_17 Depth=1
	s_mov_b32 s9, 1
	s_and_b32 vcc_lo, exec_lo, s14
	s_mov_b32 s13, -1
	s_cbranch_vccz .LBB51_124
.LBB51_126:                             ;   in Loop: Header=BB51_17 Depth=1
	s_cmp_eq_u32 s21, 1
	s_mov_b32 s24, -1
	s_cselect_b32 s9, -1, 0
	s_cmp_eq_u32 s22, 1
	s_cselect_b32 s14, -1, 0
	s_delay_alu instid0(SALU_CYCLE_1) | instskip(NEXT) | instid1(SALU_CYCLE_1)
	s_and_b32 s23, s9, s14
	s_and_b32 vcc_lo, exec_lo, s23
	s_cbranch_vccz .LBB51_138
; %bb.127:                              ;   in Loop: Header=BB51_17 Depth=1
	ds_load_b32 v1, v7 offset:4096
	s_waitcnt lgkmcnt(0)
	s_barrier
	buffer_gl0_inv
	v_readfirstlane_b32 s20, v1
	s_and_saveexec_b32 s9, s0
	s_cbranch_execz .LBB51_129
; %bb.128:                              ;   in Loop: Header=BB51_17 Depth=1
	ds_store_b32 v20, v7
.LBB51_129:                             ;   in Loop: Header=BB51_17 Depth=1
	s_or_b32 exec_lo, exec_lo, s9
	s_lshl_b32 s9, 1, s18
	s_and_b32 s14, s73, s19
	s_or_b32 s74, s74, s11
	s_or_b32 s73, s14, s9
	s_cmp_gt_i32 s20, 0
	s_waitcnt lgkmcnt(0)
	s_barrier
	buffer_gl0_inv
	s_cbranch_scc1 .LBB51_139
; %bb.130:                              ;   in Loop: Header=BB51_17 Depth=1
	s_mov_b32 s24, 0
                                        ; implicit-def: $vgpr15
	s_and_saveexec_b32 s14, s8
	s_cbranch_execz .LBB51_141
; %bb.131:                              ;   in Loop: Header=BB51_17 Depth=1
	v_mov_b32_e32 v1, v5
	v_mov_b32_e32 v3, v0
	s_mov_b32 s15, 0
                                        ; implicit-def: $sgpr17
	s_set_inst_prefetch_distance 0x1
	s_branch .LBB51_133
	.p2align	6
.LBB51_132:                             ;   in Loop: Header=BB51_133 Depth=2
	s_or_b32 exec_lo, exec_lo, s9
	s_waitcnt vmcnt(0) lgkmcnt(0)
	s_barrier
	buffer_gl0_inv
	ds_load_b64 v[14:15], v7 offset:3072
	v_add_nc_u32_e32 v3, s47, v3
	v_add_nc_u32_e32 v1, s51, v1
	s_waitcnt lgkmcnt(0)
	s_barrier
	buffer_gl0_inv
	v_cmp_le_i32_e32 vcc_lo, s62, v3
	v_cmp_neq_f32_e64 s9, 0, v14
	s_delay_alu instid0(VALU_DEP_1) | instskip(NEXT) | instid1(SALU_CYCLE_1)
	s_or_b32 s24, vcc_lo, s9
	s_and_b32 s24, exec_lo, s24
	s_delay_alu instid0(SALU_CYCLE_1) | instskip(SKIP_2) | instid1(SALU_CYCLE_1)
	s_or_b32 s15, s24, s15
	s_and_not1_b32 s17, s17, exec_lo
	s_and_b32 s9, s9, exec_lo
	s_or_b32 s17, s17, s9
	s_and_not1_b32 exec_lo, exec_lo, s15
	s_cbranch_execz .LBB51_140
.LBB51_133:                             ;   Parent Loop BB51_17 Depth=1
                                        ; =>  This Inner Loop Header: Depth=2
	s_delay_alu instid0(VALU_DEP_1)
	v_cmp_gt_i32_e32 vcc_lo, s36, v3
	v_mov_b32_e32 v14, 0
	s_and_saveexec_b32 s24, vcc_lo
	s_cbranch_execz .LBB51_135
; %bb.134:                              ;   in Loop: Header=BB51_133 Depth=2
	v_ashrrev_i32_e32 v2, 31, v1
	s_delay_alu instid0(VALU_DEP_1) | instskip(NEXT) | instid1(VALU_DEP_1)
	v_lshlrev_b64 v[14:15], 2, v[1:2]
	v_add_co_u32 v14, s9, s45, v14
	s_delay_alu instid0(VALU_DEP_1)
	v_add_co_ci_u32_e64 v15, s9, s46, v15, s9
	global_load_b32 v14, v[14:15], off
.LBB51_135:                             ;   in Loop: Header=BB51_133 Depth=2
	s_or_b32 exec_lo, exec_lo, s24
	s_and_saveexec_b32 s9, vcc_lo
	s_cbranch_execz .LBB51_132
; %bb.136:                              ;   in Loop: Header=BB51_133 Depth=2
	s_waitcnt vmcnt(0)
	v_cmp_lt_i32_e32 vcc_lo, -1, v14
	v_cndmask_b32_e64 v2, -1, 0x80000000, vcc_lo
	v_cmp_o_f32_e32 vcc_lo, v14, v14
	s_delay_alu instid0(VALU_DEP_2) | instskip(NEXT) | instid1(VALU_DEP_1)
	v_xor_b32_e32 v2, v2, v14
	v_cndmask_b32_e32 v2, -1, v2, vcc_lo
	s_delay_alu instid0(VALU_DEP_1) | instskip(NEXT) | instid1(VALU_DEP_1)
	v_and_b32_e32 v2, s74, v2
	v_cmp_eq_u32_e32 vcc_lo, s73, v2
	s_and_b32 exec_lo, exec_lo, vcc_lo
	s_cbranch_execz .LBB51_132
; %bb.137:                              ;   in Loop: Header=BB51_133 Depth=2
	ds_store_b64 v7, v[13:14] offset:3072
	s_branch .LBB51_132
.LBB51_138:                             ;   in Loop: Header=BB51_17 Depth=1
                                        ; implicit-def: $sgpr15
                                        ; implicit-def: $sgpr17
                                        ; implicit-def: $sgpr14
	s_branch .LBB51_152
.LBB51_139:                             ;   in Loop: Header=BB51_17 Depth=1
	s_mov_b32 s15, -1
	s_mov_b32 s24, 0
                                        ; implicit-def: $sgpr14
                                        ; implicit-def: $vgpr15
	s_mov_b32 s17, s15
	s_cbranch_execnz .LBB51_142
	s_branch .LBB51_152
.LBB51_140:                             ;   in Loop: Header=BB51_17 Depth=1
	s_set_inst_prefetch_distance 0x2
	s_or_b32 exec_lo, exec_lo, s15
	s_delay_alu instid0(SALU_CYCLE_1)
	s_and_b32 s24, s17, exec_lo
.LBB51_141:                             ;   in Loop: Header=BB51_17 Depth=1
	s_or_b32 exec_lo, exec_lo, s14
	s_mov_b32 s14, -1
	s_mov_b32 s15, 0
	s_delay_alu instid0(SALU_CYCLE_1)
	s_mov_b32 s17, s15
	s_branch .LBB51_152
.LBB51_142:                             ;   in Loop: Header=BB51_17 Depth=1
	s_add_i32 s15, s20, s52
	s_mov_b32 s24, 0
	s_abs_i32 s9, s15
                                        ; implicit-def: $vgpr15
	s_delay_alu instid0(SALU_CYCLE_1) | instskip(NEXT) | instid1(SALU_CYCLE_1)
	s_mul_hi_u32 s14, s9, s61
	s_mul_i32 s14, s14, s47
	s_delay_alu instid0(SALU_CYCLE_1) | instskip(SKIP_4) | instid1(SALU_CYCLE_1)
	s_sub_i32 s9, s9, s14
	s_ashr_i32 s14, s15, 31
	s_sub_i32 s17, s9, s47
	s_cmp_ge_u32 s9, s47
	s_cselect_b32 s9, s17, s9
	s_sub_i32 s17, s9, s47
	s_cmp_ge_u32 s9, s47
	s_cselect_b32 s9, s17, s9
	s_delay_alu instid0(SALU_CYCLE_1) | instskip(NEXT) | instid1(SALU_CYCLE_1)
	s_xor_b32 s9, s9, s14
	s_sub_i32 s9, s14, s9
	s_mov_b32 s14, exec_lo
	s_add_i32 s15, s15, s9
	s_delay_alu instid0(SALU_CYCLE_1)
	v_cmpx_gt_i32_e64 s15, v0
	s_cbranch_execz .LBB51_151
; %bb.143:                              ;   in Loop: Header=BB51_17 Depth=1
	v_dual_mov_b32 v1, v19 :: v_dual_mov_b32 v2, v0
	s_mov_b32 s17, 0
                                        ; implicit-def: $sgpr24
	s_set_inst_prefetch_distance 0x1
	s_branch .LBB51_145
	.p2align	6
.LBB51_144:                             ;   in Loop: Header=BB51_145 Depth=2
	s_or_b32 exec_lo, exec_lo, s9
	s_waitcnt lgkmcnt(0)
	s_barrier
	buffer_gl0_inv
	ds_load_b64 v[14:15], v7 offset:3072
	v_add_nc_u32_e32 v2, s47, v2
	v_add_nc_u32_e32 v1, s49, v1
	s_waitcnt lgkmcnt(0)
	s_barrier
	buffer_gl0_inv
	v_cmp_le_i32_e32 vcc_lo, s15, v2
	v_cmp_neq_f32_e64 s9, 0, v14
	s_delay_alu instid0(VALU_DEP_1) | instskip(NEXT) | instid1(SALU_CYCLE_1)
	s_or_b32 s25, vcc_lo, s9
	s_and_b32 s25, exec_lo, s25
	s_delay_alu instid0(SALU_CYCLE_1) | instskip(SKIP_2) | instid1(SALU_CYCLE_1)
	s_or_b32 s17, s25, s17
	s_and_not1_b32 s24, s24, exec_lo
	s_and_b32 s9, s9, exec_lo
	s_or_b32 s24, s24, s9
	s_and_not1_b32 exec_lo, exec_lo, s17
	s_cbranch_execz .LBB51_150
.LBB51_145:                             ;   Parent Loop BB51_17 Depth=1
                                        ; =>  This Inner Loop Header: Depth=2
	s_delay_alu instid0(VALU_DEP_1)
	v_cmp_gt_i32_e32 vcc_lo, s20, v2
	v_mov_b32_e32 v14, 0
	s_and_saveexec_b32 s9, vcc_lo
	s_cbranch_execz .LBB51_147
; %bb.146:                              ;   in Loop: Header=BB51_145 Depth=2
	ds_load_b32 v14, v1
.LBB51_147:                             ;   in Loop: Header=BB51_145 Depth=2
	s_or_b32 exec_lo, exec_lo, s9
	s_and_saveexec_b32 s9, vcc_lo
	s_cbranch_execz .LBB51_144
; %bb.148:                              ;   in Loop: Header=BB51_145 Depth=2
	s_waitcnt lgkmcnt(0)
	v_cmp_lt_i32_e32 vcc_lo, -1, v14
	v_cndmask_b32_e64 v3, -1, 0x80000000, vcc_lo
	v_cmp_o_f32_e32 vcc_lo, v14, v14
	s_delay_alu instid0(VALU_DEP_2) | instskip(NEXT) | instid1(VALU_DEP_1)
	v_xor_b32_e32 v3, v3, v14
	v_cndmask_b32_e32 v3, -1, v3, vcc_lo
	s_delay_alu instid0(VALU_DEP_1) | instskip(NEXT) | instid1(VALU_DEP_1)
	v_and_b32_e32 v3, s74, v3
	v_cmp_eq_u32_e32 vcc_lo, s73, v3
	s_and_b32 exec_lo, exec_lo, vcc_lo
	s_cbranch_execz .LBB51_144
; %bb.149:                              ;   in Loop: Header=BB51_145 Depth=2
	ds_store_b64 v7, v[13:14] offset:3072
	s_branch .LBB51_144
.LBB51_150:                             ;   in Loop: Header=BB51_17 Depth=1
	s_set_inst_prefetch_distance 0x2
	s_or_b32 exec_lo, exec_lo, s17
	s_delay_alu instid0(SALU_CYCLE_1)
	s_and_b32 s24, s24, exec_lo
.LBB51_151:                             ;   in Loop: Header=BB51_17 Depth=1
	s_or_b32 exec_lo, exec_lo, s14
	s_mov_b32 s17, -1
	s_mov_b32 s15, 0
	s_mov_b32 s14, 0
.LBB51_152:                             ;   in Loop: Header=BB51_17 Depth=1
	s_mov_b32 s25, 0
                                        ; implicit-def: $sgpr9
	s_and_saveexec_b32 s20, s24
	s_cbranch_execz .LBB51_248
; %bb.153:                              ;   in Loop: Header=BB51_17 Depth=1
	s_xor_b32 s9, s23, -1
	s_mov_b32 s23, 0
	s_and_not1_b32 vcc_lo, exec_lo, s9
	s_mov_b32 s26, 1
	s_cbranch_vccnz .LBB51_164
; %bb.154:                              ;   in Loop: Header=BB51_17 Depth=1
	s_cmp_gt_i32 s22, s21
	s_mov_b32 s23, -1
                                        ; implicit-def: $sgpr9
                                        ; implicit-def: $sgpr24
                                        ; implicit-def: $sgpr25
	s_cbranch_scc1 .LBB51_160
; %bb.155:                              ;   in Loop: Header=BB51_17 Depth=1
	ds_load_b32 v1, v7 offset:4096
	s_waitcnt lgkmcnt(0)
	v_cmp_ne_u32_e32 vcc_lo, 0, v1
	s_cbranch_vccnz .LBB51_159
; %bb.156:                              ;   in Loop: Header=BB51_17 Depth=1
	s_and_saveexec_b32 s9, s2
	s_cbranch_execz .LBB51_158
; %bb.157:                              ;   in Loop: Header=BB51_17 Depth=1
	v_mov_b32_e32 v1, s21
	ds_store_b32 v7, v1 offset:4100
.LBB51_158:                             ;   in Loop: Header=BB51_17 Depth=1
	s_or_b32 exec_lo, exec_lo, s9
	s_waitcnt lgkmcnt(0)
	s_barrier
	buffer_gl0_inv
.LBB51_159:                             ;   in Loop: Header=BB51_17 Depth=1
	s_lshl_b32 s9, 1, s18
	s_and_b32 s23, s73, s19
	s_or_b32 s25, s74, s11
	s_or_b32 s24, s23, s9
	s_mov_b32 s23, 0
	s_mov_b32 s9, 8
.LBB51_160:                             ;   in Loop: Header=BB51_17 Depth=1
	s_and_not1_b32 vcc_lo, exec_lo, s23
	s_cbranch_vccnz .LBB51_162
; %bb.161:                              ;   in Loop: Header=BB51_17 Depth=1
	s_sub_i32 s22, s22, s21
	s_mov_b32 s23, -1
	s_mov_b32 s9, 0
	s_mov_b32 s24, s73
	s_mov_b32 s25, s74
.LBB51_162:                             ;   in Loop: Header=BB51_17 Depth=1
	s_delay_alu instid0(SALU_CYCLE_1)
	s_mov_b32 s74, s25
	s_mov_b32 s73, s24
	;; [unrolled: 1-line block ×3, first 2 shown]
	s_and_not1_b32 vcc_lo, exec_lo, s23
	s_mov_b32 s28, -1
	s_cbranch_vccz .LBB51_165
.LBB51_163:                             ;   in Loop: Header=BB51_17 Depth=1
                                        ; implicit-def: $sgpr22
                                        ; implicit-def: $sgpr23
                                        ; implicit-def: $sgpr21
	s_branch .LBB51_247
.LBB51_164:                             ;   in Loop: Header=BB51_17 Depth=1
	s_mov_b32 s9, 1
	s_and_not1_b32 vcc_lo, exec_lo, s23
	s_mov_b32 s28, -1
	s_cbranch_vccnz .LBB51_163
.LBB51_165:                             ;   in Loop: Header=BB51_17 Depth=1
	s_cmp_eq_u32 s16, 1
	s_mov_b32 s27, -1
	s_cselect_b32 s9, -1, 0
	s_cmp_eq_u32 s26, 1
	s_cselect_b32 s21, -1, 0
	s_delay_alu instid0(SALU_CYCLE_1) | instskip(NEXT) | instid1(SALU_CYCLE_1)
	s_and_b32 s25, s9, s21
	s_and_b32 vcc_lo, exec_lo, s25
	s_cbranch_vccz .LBB51_177
; %bb.166:                              ;   in Loop: Header=BB51_17 Depth=1
	ds_load_b32 v1, v7 offset:4096
	s_waitcnt lgkmcnt(0)
	s_barrier
	buffer_gl0_inv
	v_readfirstlane_b32 s24, v1
	s_and_saveexec_b32 s9, s0
	s_cbranch_execz .LBB51_168
; %bb.167:                              ;   in Loop: Header=BB51_17 Depth=1
	ds_store_b32 v20, v7
.LBB51_168:                             ;   in Loop: Header=BB51_17 Depth=1
	s_or_b32 exec_lo, exec_lo, s9
	s_lshl_b32 s9, 2, s18
	s_and_b32 s21, s73, s19
	s_or_b32 s74, s74, s11
	s_or_b32 s73, s21, s9
	s_cmp_gt_i32 s24, 0
	s_waitcnt lgkmcnt(0)
	s_barrier
	buffer_gl0_inv
	s_cbranch_scc1 .LBB51_178
; %bb.169:                              ;   in Loop: Header=BB51_17 Depth=1
	s_mov_b32 s27, 0
                                        ; implicit-def: $vgpr15
	s_and_saveexec_b32 s21, s8
	s_cbranch_execz .LBB51_180
; %bb.170:                              ;   in Loop: Header=BB51_17 Depth=1
	v_mov_b32_e32 v1, v5
	v_mov_b32_e32 v3, v0
	s_mov_b32 s22, 0
                                        ; implicit-def: $sgpr23
	s_set_inst_prefetch_distance 0x1
	s_branch .LBB51_172
	.p2align	6
.LBB51_171:                             ;   in Loop: Header=BB51_172 Depth=2
	s_or_b32 exec_lo, exec_lo, s9
	s_waitcnt vmcnt(0) lgkmcnt(0)
	s_barrier
	buffer_gl0_inv
	ds_load_b64 v[14:15], v7 offset:3072
	v_add_nc_u32_e32 v3, s47, v3
	v_add_nc_u32_e32 v1, s51, v1
	s_waitcnt lgkmcnt(0)
	s_barrier
	buffer_gl0_inv
	v_cmp_le_i32_e32 vcc_lo, s62, v3
	v_cmp_neq_f32_e64 s9, 0, v14
	s_delay_alu instid0(VALU_DEP_1) | instskip(NEXT) | instid1(SALU_CYCLE_1)
	s_or_b32 s27, vcc_lo, s9
	s_and_b32 s27, exec_lo, s27
	s_delay_alu instid0(SALU_CYCLE_1) | instskip(SKIP_2) | instid1(SALU_CYCLE_1)
	s_or_b32 s22, s27, s22
	s_and_not1_b32 s23, s23, exec_lo
	s_and_b32 s9, s9, exec_lo
	s_or_b32 s23, s23, s9
	s_and_not1_b32 exec_lo, exec_lo, s22
	s_cbranch_execz .LBB51_179
.LBB51_172:                             ;   Parent Loop BB51_17 Depth=1
                                        ; =>  This Inner Loop Header: Depth=2
	s_delay_alu instid0(VALU_DEP_1)
	v_cmp_gt_i32_e32 vcc_lo, s36, v3
	v_mov_b32_e32 v14, 0
	s_and_saveexec_b32 s27, vcc_lo
	s_cbranch_execz .LBB51_174
; %bb.173:                              ;   in Loop: Header=BB51_172 Depth=2
	v_ashrrev_i32_e32 v2, 31, v1
	s_delay_alu instid0(VALU_DEP_1) | instskip(NEXT) | instid1(VALU_DEP_1)
	v_lshlrev_b64 v[14:15], 2, v[1:2]
	v_add_co_u32 v14, s9, s45, v14
	s_delay_alu instid0(VALU_DEP_1)
	v_add_co_ci_u32_e64 v15, s9, s46, v15, s9
	global_load_b32 v14, v[14:15], off
.LBB51_174:                             ;   in Loop: Header=BB51_172 Depth=2
	s_or_b32 exec_lo, exec_lo, s27
	s_and_saveexec_b32 s9, vcc_lo
	s_cbranch_execz .LBB51_171
; %bb.175:                              ;   in Loop: Header=BB51_172 Depth=2
	s_waitcnt vmcnt(0)
	v_cmp_lt_i32_e32 vcc_lo, -1, v14
	v_cndmask_b32_e64 v2, -1, 0x80000000, vcc_lo
	v_cmp_o_f32_e32 vcc_lo, v14, v14
	s_delay_alu instid0(VALU_DEP_2) | instskip(NEXT) | instid1(VALU_DEP_1)
	v_xor_b32_e32 v2, v2, v14
	v_cndmask_b32_e32 v2, -1, v2, vcc_lo
	s_delay_alu instid0(VALU_DEP_1) | instskip(NEXT) | instid1(VALU_DEP_1)
	v_and_b32_e32 v2, s74, v2
	v_cmp_eq_u32_e32 vcc_lo, s73, v2
	s_and_b32 exec_lo, exec_lo, vcc_lo
	s_cbranch_execz .LBB51_171
; %bb.176:                              ;   in Loop: Header=BB51_172 Depth=2
	ds_store_b64 v7, v[13:14] offset:3072
	s_branch .LBB51_171
.LBB51_177:                             ;   in Loop: Header=BB51_17 Depth=1
                                        ; implicit-def: $sgpr21
                                        ; implicit-def: $sgpr23
                                        ; implicit-def: $sgpr22
	s_branch .LBB51_191
.LBB51_178:                             ;   in Loop: Header=BB51_17 Depth=1
	s_mov_b32 s21, -1
	s_mov_b32 s27, 0
                                        ; implicit-def: $sgpr22
                                        ; implicit-def: $vgpr15
	s_mov_b32 s23, s21
	s_cbranch_execnz .LBB51_181
	s_branch .LBB51_191
.LBB51_179:                             ;   in Loop: Header=BB51_17 Depth=1
	s_set_inst_prefetch_distance 0x2
	s_or_b32 exec_lo, exec_lo, s22
	s_delay_alu instid0(SALU_CYCLE_1)
	s_and_b32 s27, s23, exec_lo
.LBB51_180:                             ;   in Loop: Header=BB51_17 Depth=1
	s_or_b32 exec_lo, exec_lo, s21
	s_mov_b32 s22, -1
	s_mov_b32 s21, 0
	s_delay_alu instid0(SALU_CYCLE_1)
	s_mov_b32 s23, s21
	s_branch .LBB51_191
.LBB51_181:                             ;   in Loop: Header=BB51_17 Depth=1
	s_add_i32 s22, s24, s52
	s_mov_b32 s27, 0
	s_abs_i32 s9, s22
                                        ; implicit-def: $vgpr15
	s_delay_alu instid0(SALU_CYCLE_1) | instskip(NEXT) | instid1(SALU_CYCLE_1)
	s_mul_hi_u32 s21, s9, s61
	s_mul_i32 s21, s21, s47
	s_delay_alu instid0(SALU_CYCLE_1) | instskip(SKIP_4) | instid1(SALU_CYCLE_1)
	s_sub_i32 s9, s9, s21
	s_ashr_i32 s21, s22, 31
	s_sub_i32 s23, s9, s47
	s_cmp_ge_u32 s9, s47
	s_cselect_b32 s9, s23, s9
	s_sub_i32 s23, s9, s47
	s_cmp_ge_u32 s9, s47
	s_cselect_b32 s9, s23, s9
	s_delay_alu instid0(SALU_CYCLE_1) | instskip(NEXT) | instid1(SALU_CYCLE_1)
	s_xor_b32 s9, s9, s21
	s_sub_i32 s9, s21, s9
	s_mov_b32 s21, exec_lo
	s_add_i32 s22, s22, s9
	s_delay_alu instid0(SALU_CYCLE_1)
	v_cmpx_gt_i32_e64 s22, v0
	s_cbranch_execz .LBB51_190
; %bb.182:                              ;   in Loop: Header=BB51_17 Depth=1
	v_dual_mov_b32 v1, v19 :: v_dual_mov_b32 v2, v0
	s_mov_b32 s23, 0
                                        ; implicit-def: $sgpr27
	s_set_inst_prefetch_distance 0x1
	s_branch .LBB51_184
	.p2align	6
.LBB51_183:                             ;   in Loop: Header=BB51_184 Depth=2
	s_or_b32 exec_lo, exec_lo, s9
	s_waitcnt lgkmcnt(0)
	s_barrier
	buffer_gl0_inv
	ds_load_b64 v[14:15], v7 offset:3072
	v_add_nc_u32_e32 v2, s47, v2
	v_add_nc_u32_e32 v1, s49, v1
	s_waitcnt lgkmcnt(0)
	s_barrier
	buffer_gl0_inv
	v_cmp_le_i32_e32 vcc_lo, s22, v2
	v_cmp_neq_f32_e64 s9, 0, v14
	s_delay_alu instid0(VALU_DEP_1) | instskip(NEXT) | instid1(SALU_CYCLE_1)
	s_or_b32 s28, vcc_lo, s9
	s_and_b32 s28, exec_lo, s28
	s_delay_alu instid0(SALU_CYCLE_1) | instskip(SKIP_2) | instid1(SALU_CYCLE_1)
	s_or_b32 s23, s28, s23
	s_and_not1_b32 s27, s27, exec_lo
	s_and_b32 s9, s9, exec_lo
	s_or_b32 s27, s27, s9
	s_and_not1_b32 exec_lo, exec_lo, s23
	s_cbranch_execz .LBB51_189
.LBB51_184:                             ;   Parent Loop BB51_17 Depth=1
                                        ; =>  This Inner Loop Header: Depth=2
	s_delay_alu instid0(VALU_DEP_1)
	v_cmp_gt_i32_e32 vcc_lo, s24, v2
	v_mov_b32_e32 v14, 0
	s_and_saveexec_b32 s9, vcc_lo
	s_cbranch_execz .LBB51_186
; %bb.185:                              ;   in Loop: Header=BB51_184 Depth=2
	ds_load_b32 v14, v1
.LBB51_186:                             ;   in Loop: Header=BB51_184 Depth=2
	s_or_b32 exec_lo, exec_lo, s9
	s_and_saveexec_b32 s9, vcc_lo
	s_cbranch_execz .LBB51_183
; %bb.187:                              ;   in Loop: Header=BB51_184 Depth=2
	s_waitcnt lgkmcnt(0)
	v_cmp_lt_i32_e32 vcc_lo, -1, v14
	v_cndmask_b32_e64 v3, -1, 0x80000000, vcc_lo
	v_cmp_o_f32_e32 vcc_lo, v14, v14
	s_delay_alu instid0(VALU_DEP_2) | instskip(NEXT) | instid1(VALU_DEP_1)
	v_xor_b32_e32 v3, v3, v14
	v_cndmask_b32_e32 v3, -1, v3, vcc_lo
	s_delay_alu instid0(VALU_DEP_1) | instskip(NEXT) | instid1(VALU_DEP_1)
	v_and_b32_e32 v3, s74, v3
	v_cmp_eq_u32_e32 vcc_lo, s73, v3
	s_and_b32 exec_lo, exec_lo, vcc_lo
	s_cbranch_execz .LBB51_183
; %bb.188:                              ;   in Loop: Header=BB51_184 Depth=2
	ds_store_b64 v7, v[13:14] offset:3072
	s_branch .LBB51_183
.LBB51_189:                             ;   in Loop: Header=BB51_17 Depth=1
	s_set_inst_prefetch_distance 0x2
	s_or_b32 exec_lo, exec_lo, s23
	s_delay_alu instid0(SALU_CYCLE_1)
	s_and_b32 s27, s27, exec_lo
.LBB51_190:                             ;   in Loop: Header=BB51_17 Depth=1
	s_or_b32 exec_lo, exec_lo, s21
	s_mov_b32 s23, -1
	s_mov_b32 s21, 0
	s_mov_b32 s22, 0
.LBB51_191:                             ;   in Loop: Header=BB51_17 Depth=1
	s_mov_b32 s28, 0
                                        ; implicit-def: $sgpr9
	s_and_saveexec_b32 s24, s27
	s_cbranch_execz .LBB51_246
; %bb.192:                              ;   in Loop: Header=BB51_17 Depth=1
	s_xor_b32 s9, s25, -1
	s_mov_b32 s27, 0
	s_and_not1_b32 vcc_lo, exec_lo, s9
	s_mov_b32 s25, 1
	s_cbranch_vccnz .LBB51_203
; %bb.193:                              ;   in Loop: Header=BB51_17 Depth=1
	s_cmp_gt_i32 s26, s16
	s_mov_b32 s27, -1
                                        ; implicit-def: $sgpr9
                                        ; implicit-def: $sgpr25
                                        ; implicit-def: $sgpr28
	s_cbranch_scc1 .LBB51_199
; %bb.194:                              ;   in Loop: Header=BB51_17 Depth=1
	ds_load_b32 v1, v7 offset:4096
	s_waitcnt lgkmcnt(0)
	v_cmp_ne_u32_e32 vcc_lo, 0, v1
	s_cbranch_vccnz .LBB51_198
; %bb.195:                              ;   in Loop: Header=BB51_17 Depth=1
	s_and_saveexec_b32 s9, s2
	s_cbranch_execz .LBB51_197
; %bb.196:                              ;   in Loop: Header=BB51_17 Depth=1
	v_mov_b32_e32 v1, s16
	ds_store_b32 v7, v1 offset:4100
.LBB51_197:                             ;   in Loop: Header=BB51_17 Depth=1
	s_or_b32 exec_lo, exec_lo, s9
	s_waitcnt lgkmcnt(0)
	s_barrier
	buffer_gl0_inv
.LBB51_198:                             ;   in Loop: Header=BB51_17 Depth=1
	s_lshl_b32 s9, 2, s18
	s_and_b32 s18, s73, s19
	s_or_b32 s28, s74, s11
	s_or_b32 s25, s18, s9
	s_mov_b32 s27, 0
	s_mov_b32 s9, 8
.LBB51_199:                             ;   in Loop: Header=BB51_17 Depth=1
	s_and_not1_b32 vcc_lo, exec_lo, s27
	s_cbranch_vccnz .LBB51_201
; %bb.200:                              ;   in Loop: Header=BB51_17 Depth=1
	s_sub_i32 s26, s26, s16
	s_mov_b32 s27, -1
	s_mov_b32 s9, 0
	s_mov_b32 s25, s73
	;; [unrolled: 1-line block ×3, first 2 shown]
.LBB51_201:                             ;   in Loop: Header=BB51_17 Depth=1
	s_delay_alu instid0(SALU_CYCLE_1)
	s_mov_b32 s74, s28
	s_mov_b32 s73, s25
	;; [unrolled: 1-line block ×3, first 2 shown]
	s_and_not1_b32 vcc_lo, exec_lo, s27
	s_mov_b32 s37, -1
	s_cbranch_vccz .LBB51_204
.LBB51_202:                             ;   in Loop: Header=BB51_17 Depth=1
                                        ; implicit-def: $sgpr19
                                        ; implicit-def: $sgpr27
                                        ; implicit-def: $sgpr26
	s_branch .LBB51_245
.LBB51_203:                             ;   in Loop: Header=BB51_17 Depth=1
	s_mov_b32 s9, 1
	s_and_not1_b32 vcc_lo, exec_lo, s27
	s_mov_b32 s37, -1
	s_cbranch_vccnz .LBB51_202
.LBB51_204:                             ;   in Loop: Header=BB51_17 Depth=1
	s_cmp_eq_u32 s10, 1
	s_mov_b32 s28, -1
	s_cselect_b32 s9, -1, 0
	s_cmp_eq_u32 s25, 1
	s_cselect_b32 s16, -1, 0
	s_delay_alu instid0(SALU_CYCLE_1) | instskip(NEXT) | instid1(SALU_CYCLE_1)
	s_and_b32 s16, s9, s16
	s_and_b32 vcc_lo, exec_lo, s16
	s_cbranch_vccz .LBB51_216
; %bb.205:                              ;   in Loop: Header=BB51_17 Depth=1
	ds_load_b32 v1, v7 offset:4096
	s_waitcnt lgkmcnt(0)
	s_barrier
	buffer_gl0_inv
	v_readfirstlane_b32 s18, v1
	s_and_saveexec_b32 s9, s0
	s_cbranch_execz .LBB51_207
; %bb.206:                              ;   in Loop: Header=BB51_17 Depth=1
	ds_store_b32 v20, v7
.LBB51_207:                             ;   in Loop: Header=BB51_17 Depth=1
	s_or_b32 exec_lo, exec_lo, s9
	s_or_b32 s73, s73, s11
	s_or_b32 s74, s74, s11
	s_cmp_gt_i32 s18, 0
	s_waitcnt lgkmcnt(0)
	s_barrier
	buffer_gl0_inv
	s_cbranch_scc1 .LBB51_217
; %bb.208:                              ;   in Loop: Header=BB51_17 Depth=1
	s_mov_b32 s28, 0
                                        ; implicit-def: $vgpr15
	s_and_saveexec_b32 s19, s8
	s_cbranch_execz .LBB51_219
; %bb.209:                              ;   in Loop: Header=BB51_17 Depth=1
	v_mov_b32_e32 v1, v5
	v_mov_b32_e32 v3, v0
	s_mov_b32 s26, 0
                                        ; implicit-def: $sgpr27
	s_set_inst_prefetch_distance 0x1
	s_branch .LBB51_211
	.p2align	6
.LBB51_210:                             ;   in Loop: Header=BB51_211 Depth=2
	s_or_b32 exec_lo, exec_lo, s9
	s_waitcnt vmcnt(0) lgkmcnt(0)
	s_barrier
	buffer_gl0_inv
	ds_load_b64 v[14:15], v7 offset:3072
	v_add_nc_u32_e32 v3, s47, v3
	v_add_nc_u32_e32 v1, s51, v1
	s_waitcnt lgkmcnt(0)
	s_barrier
	buffer_gl0_inv
	v_cmp_le_i32_e32 vcc_lo, s62, v3
	v_cmp_neq_f32_e64 s9, 0, v14
	s_delay_alu instid0(VALU_DEP_1) | instskip(NEXT) | instid1(SALU_CYCLE_1)
	s_or_b32 s28, vcc_lo, s9
	s_and_b32 s28, exec_lo, s28
	s_delay_alu instid0(SALU_CYCLE_1) | instskip(SKIP_2) | instid1(SALU_CYCLE_1)
	s_or_b32 s26, s28, s26
	s_and_not1_b32 s27, s27, exec_lo
	s_and_b32 s9, s9, exec_lo
	s_or_b32 s27, s27, s9
	s_and_not1_b32 exec_lo, exec_lo, s26
	s_cbranch_execz .LBB51_218
.LBB51_211:                             ;   Parent Loop BB51_17 Depth=1
                                        ; =>  This Inner Loop Header: Depth=2
	s_delay_alu instid0(VALU_DEP_1)
	v_cmp_gt_i32_e32 vcc_lo, s36, v3
	v_mov_b32_e32 v14, 0
	s_and_saveexec_b32 s28, vcc_lo
	s_cbranch_execz .LBB51_213
; %bb.212:                              ;   in Loop: Header=BB51_211 Depth=2
	v_ashrrev_i32_e32 v2, 31, v1
	s_delay_alu instid0(VALU_DEP_1) | instskip(NEXT) | instid1(VALU_DEP_1)
	v_lshlrev_b64 v[14:15], 2, v[1:2]
	v_add_co_u32 v14, s9, s45, v14
	s_delay_alu instid0(VALU_DEP_1)
	v_add_co_ci_u32_e64 v15, s9, s46, v15, s9
	global_load_b32 v14, v[14:15], off
.LBB51_213:                             ;   in Loop: Header=BB51_211 Depth=2
	s_or_b32 exec_lo, exec_lo, s28
	s_and_saveexec_b32 s9, vcc_lo
	s_cbranch_execz .LBB51_210
; %bb.214:                              ;   in Loop: Header=BB51_211 Depth=2
	s_waitcnt vmcnt(0)
	v_cmp_lt_i32_e32 vcc_lo, -1, v14
	v_cndmask_b32_e64 v2, -1, 0x80000000, vcc_lo
	v_cmp_o_f32_e32 vcc_lo, v14, v14
	s_delay_alu instid0(VALU_DEP_2) | instskip(NEXT) | instid1(VALU_DEP_1)
	v_xor_b32_e32 v2, v2, v14
	v_cndmask_b32_e32 v2, -1, v2, vcc_lo
	s_delay_alu instid0(VALU_DEP_1) | instskip(NEXT) | instid1(VALU_DEP_1)
	v_and_b32_e32 v2, s74, v2
	v_cmp_eq_u32_e32 vcc_lo, s73, v2
	s_and_b32 exec_lo, exec_lo, vcc_lo
	s_cbranch_execz .LBB51_210
; %bb.215:                              ;   in Loop: Header=BB51_211 Depth=2
	ds_store_b64 v7, v[13:14] offset:3072
	s_branch .LBB51_210
.LBB51_216:                             ;   in Loop: Header=BB51_17 Depth=1
                                        ; implicit-def: $sgpr19
                                        ; implicit-def: $sgpr27
                                        ; implicit-def: $sgpr26
	s_branch .LBB51_230
.LBB51_217:                             ;   in Loop: Header=BB51_17 Depth=1
	s_mov_b32 s19, -1
	s_mov_b32 s28, 0
                                        ; implicit-def: $sgpr26
                                        ; implicit-def: $vgpr15
	s_mov_b32 s27, s19
	s_cbranch_execnz .LBB51_220
	s_branch .LBB51_230
.LBB51_218:                             ;   in Loop: Header=BB51_17 Depth=1
	s_set_inst_prefetch_distance 0x2
	s_or_b32 exec_lo, exec_lo, s26
	s_delay_alu instid0(SALU_CYCLE_1)
	s_and_b32 s28, s27, exec_lo
.LBB51_219:                             ;   in Loop: Header=BB51_17 Depth=1
	s_or_b32 exec_lo, exec_lo, s19
	s_mov_b32 s26, -1
	s_mov_b32 s19, 0
	s_delay_alu instid0(SALU_CYCLE_1)
	s_mov_b32 s27, s19
	s_branch .LBB51_230
.LBB51_220:                             ;   in Loop: Header=BB51_17 Depth=1
	s_add_i32 s26, s18, s52
	s_mov_b32 s28, 0
	s_abs_i32 s9, s26
                                        ; implicit-def: $vgpr15
	s_delay_alu instid0(SALU_CYCLE_1) | instskip(NEXT) | instid1(SALU_CYCLE_1)
	s_mul_hi_u32 s19, s9, s61
	s_mul_i32 s19, s19, s47
	s_delay_alu instid0(SALU_CYCLE_1) | instskip(SKIP_4) | instid1(SALU_CYCLE_1)
	s_sub_i32 s9, s9, s19
	s_ashr_i32 s19, s26, 31
	s_sub_i32 s27, s9, s47
	s_cmp_ge_u32 s9, s47
	s_cselect_b32 s9, s27, s9
	s_sub_i32 s27, s9, s47
	s_cmp_ge_u32 s9, s47
	s_cselect_b32 s9, s27, s9
	s_delay_alu instid0(SALU_CYCLE_1) | instskip(NEXT) | instid1(SALU_CYCLE_1)
	s_xor_b32 s9, s9, s19
	s_sub_i32 s9, s19, s9
	s_mov_b32 s19, exec_lo
	s_add_i32 s26, s26, s9
	s_delay_alu instid0(SALU_CYCLE_1)
	v_cmpx_gt_i32_e64 s26, v0
	s_cbranch_execz .LBB51_229
; %bb.221:                              ;   in Loop: Header=BB51_17 Depth=1
	v_dual_mov_b32 v1, v19 :: v_dual_mov_b32 v2, v0
	s_mov_b32 s27, 0
                                        ; implicit-def: $sgpr28
	s_set_inst_prefetch_distance 0x1
	s_branch .LBB51_223
	.p2align	6
.LBB51_222:                             ;   in Loop: Header=BB51_223 Depth=2
	s_or_b32 exec_lo, exec_lo, s9
	s_waitcnt lgkmcnt(0)
	s_barrier
	buffer_gl0_inv
	ds_load_b64 v[14:15], v7 offset:3072
	v_add_nc_u32_e32 v2, s47, v2
	v_add_nc_u32_e32 v1, s49, v1
	s_waitcnt lgkmcnt(0)
	s_barrier
	buffer_gl0_inv
	v_cmp_le_i32_e32 vcc_lo, s26, v2
	v_cmp_neq_f32_e64 s9, 0, v14
	s_delay_alu instid0(VALU_DEP_1) | instskip(NEXT) | instid1(SALU_CYCLE_1)
	s_or_b32 s37, vcc_lo, s9
	s_and_b32 s37, exec_lo, s37
	s_delay_alu instid0(SALU_CYCLE_1) | instskip(SKIP_2) | instid1(SALU_CYCLE_1)
	s_or_b32 s27, s37, s27
	s_and_not1_b32 s28, s28, exec_lo
	s_and_b32 s9, s9, exec_lo
	s_or_b32 s28, s28, s9
	s_and_not1_b32 exec_lo, exec_lo, s27
	s_cbranch_execz .LBB51_228
.LBB51_223:                             ;   Parent Loop BB51_17 Depth=1
                                        ; =>  This Inner Loop Header: Depth=2
	s_delay_alu instid0(VALU_DEP_1)
	v_cmp_gt_i32_e32 vcc_lo, s18, v2
	v_mov_b32_e32 v14, 0
	s_and_saveexec_b32 s9, vcc_lo
	s_cbranch_execz .LBB51_225
; %bb.224:                              ;   in Loop: Header=BB51_223 Depth=2
	ds_load_b32 v14, v1
.LBB51_225:                             ;   in Loop: Header=BB51_223 Depth=2
	s_or_b32 exec_lo, exec_lo, s9
	s_and_saveexec_b32 s9, vcc_lo
	s_cbranch_execz .LBB51_222
; %bb.226:                              ;   in Loop: Header=BB51_223 Depth=2
	s_waitcnt lgkmcnt(0)
	v_cmp_lt_i32_e32 vcc_lo, -1, v14
	v_cndmask_b32_e64 v3, -1, 0x80000000, vcc_lo
	v_cmp_o_f32_e32 vcc_lo, v14, v14
	s_delay_alu instid0(VALU_DEP_2) | instskip(NEXT) | instid1(VALU_DEP_1)
	v_xor_b32_e32 v3, v3, v14
	v_cndmask_b32_e32 v3, -1, v3, vcc_lo
	s_delay_alu instid0(VALU_DEP_1) | instskip(NEXT) | instid1(VALU_DEP_1)
	v_and_b32_e32 v3, s74, v3
	v_cmp_eq_u32_e32 vcc_lo, s73, v3
	s_and_b32 exec_lo, exec_lo, vcc_lo
	s_cbranch_execz .LBB51_222
; %bb.227:                              ;   in Loop: Header=BB51_223 Depth=2
	ds_store_b64 v7, v[13:14] offset:3072
	s_branch .LBB51_222
.LBB51_228:                             ;   in Loop: Header=BB51_17 Depth=1
	s_set_inst_prefetch_distance 0x2
	s_or_b32 exec_lo, exec_lo, s27
	s_delay_alu instid0(SALU_CYCLE_1)
	s_and_b32 s28, s28, exec_lo
.LBB51_229:                             ;   in Loop: Header=BB51_17 Depth=1
	s_or_b32 exec_lo, exec_lo, s19
	s_mov_b32 s27, -1
	s_mov_b32 s19, 0
	s_mov_b32 s26, 0
.LBB51_230:                             ;   in Loop: Header=BB51_17 Depth=1
	s_mov_b32 s37, 0
                                        ; implicit-def: $sgpr9
	s_and_saveexec_b32 s18, s28
	s_cbranch_execz .LBB51_244
; %bb.231:                              ;   in Loop: Header=BB51_17 Depth=1
	s_xor_b32 s9, s16, -1
	s_delay_alu instid0(SALU_CYCLE_1)
	s_and_not1_b32 vcc_lo, exec_lo, s9
	s_mov_b32 s9, 1
	s_cbranch_vccnz .LBB51_238
; %bb.232:                              ;   in Loop: Header=BB51_17 Depth=1
	s_cmp_gt_i32 s25, s10
	s_cbranch_scc1 .LBB51_239
; %bb.233:                              ;   in Loop: Header=BB51_17 Depth=1
	ds_load_b32 v1, v7 offset:4096
	s_waitcnt lgkmcnt(0)
	v_cmp_ne_u32_e32 vcc_lo, 0, v1
	s_cbranch_vccnz .LBB51_237
; %bb.234:                              ;   in Loop: Header=BB51_17 Depth=1
	s_and_saveexec_b32 s9, s2
	s_cbranch_execz .LBB51_236
; %bb.235:                              ;   in Loop: Header=BB51_17 Depth=1
	v_mov_b32_e32 v1, s10
	ds_store_b32 v7, v1 offset:4100
.LBB51_236:                             ;   in Loop: Header=BB51_17 Depth=1
	s_or_b32 exec_lo, exec_lo, s9
	s_waitcnt lgkmcnt(0)
	s_barrier
	buffer_gl0_inv
.LBB51_237:                             ;   in Loop: Header=BB51_17 Depth=1
	s_or_b32 s16, s73, s11
	s_or_b32 s11, s74, s11
	s_mov_b32 s28, 0
	s_mov_b32 s9, 8
	s_branch .LBB51_240
.LBB51_238:                             ;   in Loop: Header=BB51_17 Depth=1
	s_mov_b32 s25, 1
	s_branch .LBB51_243
.LBB51_239:                             ;   in Loop: Header=BB51_17 Depth=1
	s_mov_b32 s28, -1
                                        ; implicit-def: $sgpr9
                                        ; implicit-def: $sgpr16
                                        ; implicit-def: $sgpr11
.LBB51_240:                             ;   in Loop: Header=BB51_17 Depth=1
	s_delay_alu instid0(SALU_CYCLE_1)
	s_and_not1_b32 vcc_lo, exec_lo, s28
	s_cbranch_vccnz .LBB51_242
; %bb.241:                              ;   in Loop: Header=BB51_17 Depth=1
	s_sub_i32 s25, s25, s10
	s_mov_b32 s9, 8
	s_mov_b32 s16, s73
	;; [unrolled: 1-line block ×3, first 2 shown]
.LBB51_242:                             ;   in Loop: Header=BB51_17 Depth=1
	s_mov_b32 s73, s16
	s_mov_b32 s74, s11
.LBB51_243:                             ;   in Loop: Header=BB51_17 Depth=1
	s_mov_b32 s37, exec_lo
.LBB51_244:                             ;   in Loop: Header=BB51_17 Depth=1
	s_or_b32 exec_lo, exec_lo, s18
.LBB51_245:                             ;   in Loop: Header=BB51_17 Depth=1
	s_delay_alu instid0(SALU_CYCLE_1)
	s_and_not1_b32 s10, s21, exec_lo
	s_and_b32 s11, s19, exec_lo
	s_and_not1_b32 s16, s22, exec_lo
	s_or_b32 s21, s10, s11
	s_and_not1_b32 s10, s23, exec_lo
	s_and_b32 s11, s27, exec_lo
	s_and_b32 s18, s26, exec_lo
	s_or_b32 s23, s10, s11
	s_or_b32 s22, s16, s18
	s_and_b32 s28, s37, exec_lo
	s_mov_b32 s26, s25
.LBB51_246:                             ;   in Loop: Header=BB51_17 Depth=1
	s_or_b32 exec_lo, exec_lo, s24
.LBB51_247:                             ;   in Loop: Header=BB51_17 Depth=1
	s_delay_alu instid0(SALU_CYCLE_1)
	s_and_not1_b32 s10, s15, exec_lo
	s_and_b32 s11, s21, exec_lo
	s_and_not1_b32 s14, s14, exec_lo
	s_or_b32 s15, s10, s11
	s_and_not1_b32 s10, s17, exec_lo
	s_and_b32 s11, s23, exec_lo
	s_and_b32 s16, s22, exec_lo
	s_or_b32 s17, s10, s11
	s_or_b32 s14, s14, s16
	s_and_b32 s25, s28, exec_lo
	s_mov_b32 s22, s26
.LBB51_248:                             ;   in Loop: Header=BB51_17 Depth=1
	s_or_b32 exec_lo, exec_lo, s20
	s_and_saveexec_b32 s10, s25
	s_delay_alu instid0(SALU_CYCLE_1)
	s_xor_b32 s10, exec_lo, s10
	s_cbranch_execz .LBB51_15
.LBB51_249:                             ;   in Loop: Header=BB51_17 Depth=1
	s_and_b32 s9, s9, -9
	s_delay_alu instid0(SALU_CYCLE_1)
	s_cmp_eq_u32 s9, 0
	s_cbranch_scc1 .LBB51_13
; %bb.250:                              ;   in Loop: Header=BB51_17 Depth=1
	s_mov_b32 s9, -1
	s_mov_b32 s11, -1
                                        ; implicit-def: $sgpr74
                                        ; implicit-def: $sgpr22
                                        ; implicit-def: $sgpr68
                                        ; implicit-def: $sgpr71
	s_branch .LBB51_14
.LBB51_251:
	s_or_b32 exec_lo, exec_lo, s48
	s_xor_b32 s3, s67, -1
	s_xor_b32 s1, s65, -1
	;; [unrolled: 1-line block ×3, first 2 shown]
	s_mov_b32 s0, 0
	s_and_saveexec_b32 s5, s1
	s_delay_alu instid0(SALU_CYCLE_1)
	s_xor_b32 s1, exec_lo, s5
	s_cbranch_execz .LBB51_272
; %bb.252:
	s_and_saveexec_b32 s0, s3
	s_delay_alu instid0(SALU_CYCLE_1)
	s_xor_b32 s3, exec_lo, s0
	s_cbranch_execz .LBB51_270
; %bb.253:
	s_and_saveexec_b32 s0, s4
	s_delay_alu instid0(SALU_CYCLE_1)
	s_xor_b32 s0, exec_lo, s0
; %bb.254:
	v_cmp_lt_i32_e32 vcc_lo, -1, v1
	v_cndmask_b32_e64 v2, 0x80000000, -1, vcc_lo
	s_delay_alu instid0(VALU_DEP_1)
	v_xor_b32_e32 v15, v2, v1
; %bb.255:
	s_or_b32 exec_lo, exec_lo, s0
	s_and_saveexec_b32 s0, s2
	s_cbranch_execz .LBB51_257
; %bb.256:
	v_dual_mov_b32 v1, 0 :: v_dual_mov_b32 v2, s36
	ds_store_b32 v1, v2 offset:4108
.LBB51_257:
	s_or_b32 exec_lo, exec_lo, s0
	v_mov_b32_e32 v1, 0
	s_waitcnt lgkmcnt(0)
	s_barrier
	buffer_gl0_inv
	s_mov_b32 s4, exec_lo
	ds_load_b32 v1, v1 offset:4108
	s_waitcnt lgkmcnt(0)
	v_min_i32_e32 v1, s36, v1
	s_delay_alu instid0(VALU_DEP_1)
	v_cmpx_lt_i32_e64 v0, v1
	s_cbranch_execz .LBB51_267
; %bb.258:
	v_cmp_u_f32_e32 vcc_lo, v15, v15
	s_mov_b32 s5, 0
                                        ; implicit-def: $sgpr6
                                        ; implicit-def: $sgpr9
                                        ; implicit-def: $sgpr8
	s_xor_b32 s7, vcc_lo, -1
	s_set_inst_prefetch_distance 0x1
	s_branch .LBB51_260
	.p2align	6
.LBB51_259:                             ;   in Loop: Header=BB51_260 Depth=1
	s_or_b32 exec_lo, exec_lo, s0
	s_delay_alu instid0(SALU_CYCLE_1) | instskip(NEXT) | instid1(SALU_CYCLE_1)
	s_and_b32 s0, exec_lo, s9
	s_or_b32 s5, s0, s5
	s_and_not1_b32 s0, s6, exec_lo
	s_and_b32 s6, s8, exec_lo
	s_delay_alu instid0(SALU_CYCLE_1)
	s_or_b32 s6, s0, s6
	s_and_not1_b32 exec_lo, exec_lo, s5
	s_cbranch_execz .LBB51_262
.LBB51_260:                             ; =>This Inner Loop Header: Depth=1
	v_ashrrev_i32_e32 v6, 31, v5
	s_or_b32 s8, s8, exec_lo
	s_or_b32 s9, s9, exec_lo
	s_delay_alu instid0(VALU_DEP_1) | instskip(NEXT) | instid1(VALU_DEP_1)
	v_lshlrev_b64 v[2:3], 2, v[5:6]
	v_add_co_u32 v2, vcc_lo, s45, v2
	s_delay_alu instid0(VALU_DEP_2)
	v_add_co_ci_u32_e32 v3, vcc_lo, s46, v3, vcc_lo
	global_load_b32 v2, v[2:3], off
	s_waitcnt vmcnt(0)
	v_cmp_o_f32_e32 vcc_lo, v2, v2
	v_cmp_neq_f32_e64 s0, v2, v15
	v_mov_b32_e32 v2, v0
                                        ; implicit-def: $vgpr0
	s_or_b32 s10, vcc_lo, s7
	s_delay_alu instid0(VALU_DEP_2) | instid1(SALU_CYCLE_1)
	s_and_b32 s10, s0, s10
	s_delay_alu instid0(SALU_CYCLE_1)
	s_and_saveexec_b32 s0, s10
	s_cbranch_execz .LBB51_259
; %bb.261:                              ;   in Loop: Header=BB51_260 Depth=1
	v_add_nc_u32_e32 v0, s47, v2
	s_and_not1_b32 s9, s9, exec_lo
	v_add_nc_u32_e32 v5, s51, v5
	s_and_not1_b32 s8, s8, exec_lo
	s_delay_alu instid0(VALU_DEP_2) | instskip(SKIP_1) | instid1(SALU_CYCLE_1)
	v_cmp_ge_i32_e32 vcc_lo, v0, v1
	s_and_b32 s10, vcc_lo, exec_lo
	s_or_b32 s9, s9, s10
	s_branch .LBB51_259
.LBB51_262:
	s_set_inst_prefetch_distance 0x2
	s_or_b32 exec_lo, exec_lo, s5
	s_and_saveexec_b32 s0, s6
	s_delay_alu instid0(SALU_CYCLE_1)
	s_xor_b32 s0, exec_lo, s0
	s_cbranch_execz .LBB51_267
; %bb.263:
	s_mov_b32 s5, exec_lo
	s_brev_b32 s0, -2
.LBB51_264:                             ; =>This Inner Loop Header: Depth=1
	s_ctz_i32_b32 s6, s5
	s_delay_alu instid0(SALU_CYCLE_1) | instskip(SKIP_1) | instid1(SALU_CYCLE_1)
	v_readlane_b32 s7, v2, s6
	s_lshl_b32 s6, 1, s6
	s_and_not1_b32 s5, s5, s6
	s_delay_alu instid0(VALU_DEP_1)
	s_min_i32 s0, s0, s7
	s_cmp_lg_u32 s5, 0
	s_cbranch_scc1 .LBB51_264
; %bb.265:
	v_mbcnt_lo_u32_b32 v0, exec_lo, 0
	s_mov_b32 s5, exec_lo
	s_delay_alu instid0(VALU_DEP_1)
	v_cmpx_eq_u32_e32 0, v0
	s_xor_b32 s5, exec_lo, s5
	s_cbranch_execz .LBB51_267
; %bb.266:
	v_dual_mov_b32 v0, 0 :: v_dual_mov_b32 v1, s0
	ds_min_i32 v0, v1 offset:4108
.LBB51_267:
	s_or_b32 exec_lo, exec_lo, s4
	s_waitcnt lgkmcnt(0)
	s_barrier
	buffer_gl0_inv
	s_and_saveexec_b32 s0, s2
	s_cbranch_execz .LBB51_269
; %bb.268:
	v_mov_b32_e32 v2, 0
	s_mul_i32 s2, s30, s38
	s_delay_alu instid0(SALU_CYCLE_1)
	s_add_i32 s4, s2, s29
	s_mul_i32 s2, s44, s33
	ds_load_b32 v0, v2 offset:4108
	s_ashr_i32 s5, s4, 31
	s_add_i32 s6, s2, s31
	s_lshl_b64 s[4:5], s[4:5], 2
	s_delay_alu instid0(SALU_CYCLE_1) | instskip(SKIP_2) | instid1(SALU_CYCLE_1)
	s_add_u32 s4, s40, s4
	s_addc_u32 s5, s41, s5
	s_ashr_i32 s7, s6, 31
	s_lshl_b64 s[6:7], s[6:7], 3
	s_delay_alu instid0(SALU_CYCLE_1)
	s_add_u32 s6, s34, s6
	s_addc_u32 s7, s35, s7
	s_waitcnt lgkmcnt(0)
	v_ashrrev_i32_e32 v1, 31, v0
	s_clause 0x1
	global_store_b64 v2, v[0:1], s[6:7]
	global_store_b32 v2, v15, s[4:5]
.LBB51_269:
	s_or_b32 exec_lo, exec_lo, s0
.LBB51_270:
	s_or_saveexec_b32 s0, s3
	s_mov_b32 s2, 0
	s_xor_b32 exec_lo, exec_lo, s0
	s_cbranch_execnz .LBB51_278
.LBB51_271:
	s_or_b32 exec_lo, exec_lo, s0
	s_delay_alu instid0(SALU_CYCLE_1)
	s_and_b32 s0, s2, exec_lo
.LBB51_272:
	s_and_not1_saveexec_b32 s1, s1
	s_cbranch_execnz .LBB51_276
; %bb.273:
	s_or_b32 exec_lo, exec_lo, s1
	s_and_saveexec_b32 s1, s0
.LBB51_274:
	; divergent unreachable
.LBB51_275:
	s_nop 0
	s_sendmsg sendmsg(MSG_DEALLOC_VGPRS)
	s_endpgm
.LBB51_276:
	s_cbranch_execnz .LBB51_280
; %bb.277:
	s_or_b32 s0, s0, exec_lo
	s_or_b32 exec_lo, exec_lo, s1
	s_and_saveexec_b32 s1, s0
	s_cbranch_execnz .LBB51_274
	s_branch .LBB51_275
.LBB51_278:
	s_cbranch_execnz .LBB51_282
; %bb.279:
	s_mov_b32 s2, exec_lo
	s_branch .LBB51_271
.LBB51_280:
	s_trap 2
	s_sendmsg_rtn_b32 s0, sendmsg(MSG_RTN_GET_DOORBELL)
	s_mov_b32 ttmp2, m0
	s_waitcnt lgkmcnt(0)
	s_and_b32 s0, s0, 0x3ff
	s_delay_alu instid0(SALU_CYCLE_1) | instskip(NEXT) | instid1(SALU_CYCLE_1)
	s_bitset1_b32 s0, 10
	s_mov_b32 m0, s0
	s_sendmsg sendmsg(MSG_INTERRUPT)
	s_mov_b32 m0, ttmp2
.LBB51_281:                             ; =>This Inner Loop Header: Depth=1
	s_sethalt 5
	s_branch .LBB51_281
.LBB51_282:
	s_trap 2
	s_sendmsg_rtn_b32 s0, sendmsg(MSG_RTN_GET_DOORBELL)
	s_mov_b32 ttmp2, m0
	s_waitcnt lgkmcnt(0)
	s_and_b32 s0, s0, 0x3ff
	s_delay_alu instid0(SALU_CYCLE_1) | instskip(NEXT) | instid1(SALU_CYCLE_1)
	s_bitset1_b32 s0, 10
	s_mov_b32 m0, s0
	s_sendmsg sendmsg(MSG_INTERRUPT)
	s_mov_b32 m0, ttmp2
.LBB51_283:                             ; =>This Inner Loop Header: Depth=1
	s_sethalt 5
	s_branch .LBB51_283
	.section	.rodata,"a",@progbits
	.p2align	6, 0x0
	.amdhsa_kernel _ZN2at6native12_GLOBAL__N_114gatherKthValueIfiLin1EEEvNS_4cuda6detail10TensorInfoIKT_T0_EES8_S8_S8_S8_NS5_IS6_S8_EENS5_IlS8_EE
		.amdhsa_group_segment_fixed_size 4112
		.amdhsa_private_segment_fixed_size 0
		.amdhsa_kernarg_size 920
		.amdhsa_user_sgpr_count 13
		.amdhsa_user_sgpr_dispatch_ptr 0
		.amdhsa_user_sgpr_queue_ptr 0
		.amdhsa_user_sgpr_kernarg_segment_ptr 1
		.amdhsa_user_sgpr_dispatch_id 0
		.amdhsa_user_sgpr_private_segment_size 0
		.amdhsa_wavefront_size32 1
		.amdhsa_uses_dynamic_stack 0
		.amdhsa_enable_private_segment 0
		.amdhsa_system_sgpr_workgroup_id_x 1
		.amdhsa_system_sgpr_workgroup_id_y 1
		.amdhsa_system_sgpr_workgroup_id_z 1
		.amdhsa_system_sgpr_workgroup_info 0
		.amdhsa_system_vgpr_workitem_id 0
		.amdhsa_next_free_vgpr 40
		.amdhsa_next_free_sgpr 84
		.amdhsa_reserve_vcc 1
		.amdhsa_float_round_mode_32 0
		.amdhsa_float_round_mode_16_64 0
		.amdhsa_float_denorm_mode_32 3
		.amdhsa_float_denorm_mode_16_64 3
		.amdhsa_dx10_clamp 1
		.amdhsa_ieee_mode 1
		.amdhsa_fp16_overflow 0
		.amdhsa_workgroup_processor_mode 1
		.amdhsa_memory_ordered 1
		.amdhsa_forward_progress 0
		.amdhsa_shared_vgpr_count 0
		.amdhsa_exception_fp_ieee_invalid_op 0
		.amdhsa_exception_fp_denorm_src 0
		.amdhsa_exception_fp_ieee_div_zero 0
		.amdhsa_exception_fp_ieee_overflow 0
		.amdhsa_exception_fp_ieee_underflow 0
		.amdhsa_exception_fp_ieee_inexact 0
		.amdhsa_exception_int_div_zero 0
	.end_amdhsa_kernel
	.section	.text._ZN2at6native12_GLOBAL__N_114gatherKthValueIfiLin1EEEvNS_4cuda6detail10TensorInfoIKT_T0_EES8_S8_S8_S8_NS5_IS6_S8_EENS5_IlS8_EE,"axG",@progbits,_ZN2at6native12_GLOBAL__N_114gatherKthValueIfiLin1EEEvNS_4cuda6detail10TensorInfoIKT_T0_EES8_S8_S8_S8_NS5_IS6_S8_EENS5_IlS8_EE,comdat
.Lfunc_end51:
	.size	_ZN2at6native12_GLOBAL__N_114gatherKthValueIfiLin1EEEvNS_4cuda6detail10TensorInfoIKT_T0_EES8_S8_S8_S8_NS5_IS6_S8_EENS5_IlS8_EE, .Lfunc_end51-_ZN2at6native12_GLOBAL__N_114gatherKthValueIfiLin1EEEvNS_4cuda6detail10TensorInfoIKT_T0_EES8_S8_S8_S8_NS5_IS6_S8_EENS5_IlS8_EE
                                        ; -- End function
	.section	.AMDGPU.csdata,"",@progbits
; Kernel info:
; codeLenInByte = 11048
; NumSgprs: 86
; NumVgprs: 40
; ScratchSize: 0
; MemoryBound: 0
; FloatMode: 240
; IeeeMode: 1
; LDSByteSize: 4112 bytes/workgroup (compile time only)
; SGPRBlocks: 10
; VGPRBlocks: 4
; NumSGPRsForWavesPerEU: 86
; NumVGPRsForWavesPerEU: 40
; Occupancy: 16
; WaveLimiterHint : 1
; COMPUTE_PGM_RSRC2:SCRATCH_EN: 0
; COMPUTE_PGM_RSRC2:USER_SGPR: 13
; COMPUTE_PGM_RSRC2:TRAP_HANDLER: 0
; COMPUTE_PGM_RSRC2:TGID_X_EN: 1
; COMPUTE_PGM_RSRC2:TGID_Y_EN: 1
; COMPUTE_PGM_RSRC2:TGID_Z_EN: 1
; COMPUTE_PGM_RSRC2:TIDIG_COMP_CNT: 0
	.section	.text._ZN2at6native12_GLOBAL__N_114gatherKthValueIflLi1EEEvNS_4cuda6detail10TensorInfoIKT_T0_EES8_S8_S8_S8_NS5_IS6_S8_EENS5_IlS8_EE,"axG",@progbits,_ZN2at6native12_GLOBAL__N_114gatherKthValueIflLi1EEEvNS_4cuda6detail10TensorInfoIKT_T0_EES8_S8_S8_S8_NS5_IS6_S8_EENS5_IlS8_EE,comdat
	.globl	_ZN2at6native12_GLOBAL__N_114gatherKthValueIflLi1EEEvNS_4cuda6detail10TensorInfoIKT_T0_EES8_S8_S8_S8_NS5_IS6_S8_EENS5_IlS8_EE ; -- Begin function _ZN2at6native12_GLOBAL__N_114gatherKthValueIflLi1EEEvNS_4cuda6detail10TensorInfoIKT_T0_EES8_S8_S8_S8_NS5_IS6_S8_EENS5_IlS8_EE
	.p2align	8
	.type	_ZN2at6native12_GLOBAL__N_114gatherKthValueIflLi1EEEvNS_4cuda6detail10TensorInfoIKT_T0_EES8_S8_S8_S8_NS5_IS6_S8_EENS5_IlS8_EE,@function
_ZN2at6native12_GLOBAL__N_114gatherKthValueIflLi1EEEvNS_4cuda6detail10TensorInfoIKT_T0_EES8_S8_S8_S8_NS5_IS6_S8_EENS5_IlS8_EE: ; @_ZN2at6native12_GLOBAL__N_114gatherKthValueIflLi1EEEvNS_4cuda6detail10TensorInfoIKT_T0_EES8_S8_S8_S8_NS5_IS6_S8_EENS5_IlS8_EE
; %bb.0:
	s_clause 0x1
	s_load_b64 s[8:9], s[0:1], 0x500
	s_load_b256 s[36:43], s[0:1], 0x1a0
	s_add_u32 s6, s0, 0x500
	s_addc_u32 s7, s1, 0
	s_mov_b32 s27, 0
	s_waitcnt lgkmcnt(0)
	s_mul_i32 s2, s9, s15
	s_delay_alu instid0(SALU_CYCLE_1) | instskip(NEXT) | instid1(SALU_CYCLE_1)
	s_add_i32 s2, s2, s14
	s_mul_i32 s2, s2, s8
	s_delay_alu instid0(SALU_CYCLE_1) | instskip(NEXT) | instid1(SALU_CYCLE_1)
	s_add_i32 s26, s2, s13
	v_cmp_ge_i64_e64 s2, s[26:27], s[40:41]
	s_delay_alu instid0(VALU_DEP_1)
	s_and_b32 vcc_lo, exec_lo, s2
	s_cbranch_vccnz .LBB52_303
; %bb.1:
	s_clause 0x5
	s_load_b64 s[34:35], s[0:1], 0x430
	s_load_b64 s[28:29], s[0:1], 0x360
	;; [unrolled: 1-line block ×6, first 2 shown]
	v_cmp_eq_u32_e64 s0, 0, v0
	s_delay_alu instid0(VALU_DEP_1)
	s_and_saveexec_b32 s1, s0
	s_cbranch_execz .LBB52_3
; %bb.2:
	v_dual_mov_b32 v1, 0 :: v_dual_mov_b32 v4, s37
	s_delay_alu instid0(VALU_DEP_1)
	v_dual_mov_b32 v3, s36 :: v_dual_mov_b32 v2, v1
	ds_store_b32 v1, v1 offset:5136
	ds_store_b128 v1, v[1:4] offset:5120
.LBB52_3:
	s_or_b32 exec_lo, exec_lo, s1
	v_mad_u64_u32 v[2:3], null, v0, s42, 0
	v_lshlrev_b32_e32 v35, 4, v0
	s_waitcnt lgkmcnt(0)
	s_mul_i32 s1, s5, s26
	s_mul_hi_u32 s5, s4, s26
	s_mul_i32 s4, s4, s26
	s_add_i32 s5, s5, s1
	v_or_b32_e32 v22, 4, v35
	v_dual_mov_b32 v1, v3 :: v_dual_lshlrev_b32 v14, 2, v0
	s_lshl_b64 s[4:5], s[4:5], 2
	v_mbcnt_lo_u32_b32 v32, -1, 0
	s_delay_alu instid0(VALU_DEP_3) | instskip(NEXT) | instid1(VALU_DEP_3)
	v_mad_u64_u32 v[20:21], null, s42, v22, 0
	v_mad_u64_u32 v[3:4], null, v0, s43, v[1:2]
	v_lshrrev_b32_e32 v6, 3, v0
	s_add_u32 s46, s2, s4
	s_addc_u32 s47, s3, s5
	s_barrier
	buffer_gl0_inv
	s_load_b32 s5, s[6:7], 0xc
	v_lshlrev_b64 v[4:5], 2, v[2:3]
	v_cmp_gt_u32_e32 vcc_lo, 32, v0
	v_cmp_gt_i32_e64 s1, 4, v32
	v_dual_mov_b32 v13, 0 :: v_dual_and_b32 v34, 0x7c, v6
	v_mov_b32_e32 v6, v21
	v_or_b32_e32 v9, 12, v35
	v_or_b32_e32 v12, 8, v35
	s_and_b32 s33, vcc_lo, s1
	v_add_co_u32 v10, vcc_lo, s46, v4
	s_delay_alu instid0(VALU_DEP_3) | instskip(NEXT) | instid1(VALU_DEP_3)
	v_mad_u64_u32 v[16:17], null, s42, v9, 0
	v_mad_u64_u32 v[18:19], null, s42, v12, 0
	v_add_co_ci_u32_e32 v11, vcc_lo, s47, v5, vcc_lo
	v_lshlrev_b64 v[4:5], v32, -1
	v_add_nc_u32_e32 v33, 0xc00, v14
	s_waitcnt lgkmcnt(0)
	s_and_b32 s27, s5, 0xffff
	s_bfe_u32 s9, s5, 0xb0005
	s_delay_alu instid0(VALU_DEP_4)
	v_mov_b32_e32 v5, v19
	s_add_u32 s69, s27, -1
	v_not_b32_e32 v36, v4
	v_mov_b32_e32 v4, v17
	s_addc_u32 s70, 0, -1
	s_add_u32 s71, s69, s36
	s_addc_u32 s25, s70, s37
	s_cmp_lt_u32 s13, s8
	v_mad_u64_u32 v[7:8], null, s43, v9, v[4:5]
	s_cselect_b32 s8, 12, 18
	v_mad_u64_u32 v[8:9], null, s43, v12, v[5:6]
	s_add_u32 s50, s6, s8
	v_mov_b32_e32 v1, v13
	s_addc_u32 s51, s7, 0
	s_delay_alu instid0(VALU_DEP_3)
	v_mad_u64_u32 v[4:5], null, s43, v22, v[6:7]
	s_add_i32 s6, s9, -1
	s_bfe_u32 s72, s27, 0x30005
	s_cmp_gt_u32 s6, 6
	v_add_co_u32 v38, s7, s36, v0
	s_cselect_b32 s73, -1, 0
	s_and_b32 s74, s9, 0x7f8
	v_cmp_lt_i64_e64 s68, 0x300, s[36:37]
	v_cmp_gt_u64_e64 s4, s[36:37], v[0:1]
	v_cmp_gt_i64_e64 s1, s[36:37], v[0:1]
	s_cmp_lg_u32 s72, 0
	v_cmp_gt_u16_e64 s75, s5, 31
	v_lshlrev_b64 v[21:22], 4, v[2:3]
	s_mul_i32 s5, s43, s27
	s_mul_hi_u32 s6, s42, s27
	v_cmp_eq_u32_e64 s2, 0, v32
	v_cmp_gt_u32_e64 s3, 2, v0
	v_mov_b32_e32 v15, v13
	v_mov_b32_e32 v17, v7
	;; [unrolled: 1-line block ×4, first 2 shown]
	v_add_co_ci_u32_e64 v39, null, s37, 0, s7
	v_lshl_or_b32 v40, v32, 3, 0xc00
	v_mov_b32_e32 v23, 1.0
	v_cvt_f32_ubyte0_e32 v41, 0
	v_mov_b32_e32 v25, 0
	s_cselect_b32 s76, -1, 0
	s_add_i32 s7, s6, s5
	s_mul_i32 s6, s42, s27
	s_mov_b32 s49, 0
	s_lshl_b64 s[52:53], s[42:43], 2
	s_lshl_b64 s[54:55], s[42:43], 4
	;; [unrolled: 1-line block ×3, first 2 shown]
	s_lshl_b32 s77, s27, 2
	s_mov_b32 s81, 30
	s_mov_b32 s78, 0
	;; [unrolled: 1-line block ×5, first 2 shown]
                                        ; implicit-def: $sgpr79
                                        ; implicit-def: $sgpr82
                                        ; implicit-def: $sgpr80
                                        ; implicit-def: $sgpr85
                                        ; implicit-def: $sgpr86
                                        ; implicit-def: $sgpr84
	s_branch .LBB52_8
.LBB52_4:                               ;   in Loop: Header=BB52_8 Depth=1
	s_xor_b32 s83, s83, 1
	s_add_i32 s8, s81, -2
	s_cmp_eq_u32 s81, 0
	s_mov_b32 s5, 0
	s_cselect_b32 s7, -1, 0
	s_mov_b32 s81, s8
.LBB52_5:                               ;   in Loop: Header=BB52_8 Depth=1
	s_and_not1_b32 s8, s15, exec_lo
	s_and_b32 s5, s5, exec_lo
	s_and_not1_b32 s21, s21, exec_lo
	s_or_b32 s15, s8, s5
	s_and_not1_b32 s14, s14, exec_lo
	s_or_not1_b32 s17, s7, exec_lo
.LBB52_6:                               ;   in Loop: Header=BB52_8 Depth=1
	s_or_b32 exec_lo, exec_lo, s6
	s_delay_alu instid0(SALU_CYCLE_1)
	s_and_not1_b32 s5, s84, exec_lo
	s_and_b32 s6, s15, exec_lo
	s_and_not1_b32 s7, s85, exec_lo
	s_or_b32 s84, s5, s6
	s_and_not1_b32 s5, s86, exec_lo
	s_and_b32 s6, s21, exec_lo
	s_and_b32 s8, s14, exec_lo
	s_or_b32 s86, s5, s6
	s_or_b32 s85, s7, s8
	s_or_not1_b32 s21, s17, exec_lo
.LBB52_7:                               ;   in Loop: Header=BB52_8 Depth=1
	s_or_b32 exec_lo, exec_lo, s16
	s_delay_alu instid0(SALU_CYCLE_1)
	s_and_b32 s5, exec_lo, s21
	v_mov_b32_e32 v2, s88
	s_or_b32 s78, s5, s78
	s_and_not1_b32 s5, s80, exec_lo
	s_and_b32 s6, s84, exec_lo
	s_and_not1_b32 s7, s79, exec_lo
	s_or_b32 s80, s5, s6
	s_and_not1_b32 s5, s82, exec_lo
	s_and_b32 s6, s86, exec_lo
	s_and_b32 s8, s85, exec_lo
	s_or_b32 s82, s5, s6
	s_or_b32 s79, s7, s8
	s_and_not1_b32 exec_lo, exec_lo, s78
	s_cbranch_execz .LBB52_277
.LBB52_8:                               ; =>This Loop Header: Depth=1
                                        ;     Child Loop BB52_16 Depth 2
                                        ;     Child Loop BB52_35 Depth 2
                                        ;     Child Loop BB52_62 Depth 2
                                        ;     Child Loop BB52_66 Depth 2
                                        ;     Child Loop BB52_48 Depth 2
                                        ;     Child Loop BB52_55 Depth 2
                                        ;     Child Loop BB52_75 Depth 2
                                        ;     Child Loop BB52_80 Depth 2
                                        ;     Child Loop BB52_107 Depth 2
                                        ;     Child Loop BB52_92 Depth 2
                                        ;     Child Loop BB52_154 Depth 2
                                        ;     Child Loop BB52_137 Depth 2
                                        ;     Child Loop BB52_201 Depth 2
                                        ;     Child Loop BB52_184 Depth 2
                                        ;     Child Loop BB52_248 Depth 2
                                        ;     Child Loop BB52_231 Depth 2
	ds_load_b128 v[2:5], v13 offset:5120
	s_waitcnt lgkmcnt(0)
	v_readfirstlane_b32 s57, v3
	v_readfirstlane_b32 s56, v2
	s_delay_alu instid0(VALU_DEP_1) | instskip(NEXT) | instid1(VALU_DEP_1)
	v_cmp_gt_i64_e64 s5, s[56:57], 0
	s_and_b32 vcc_lo, exec_lo, s5
	s_cbranch_vccnz .LBB52_42
; %bb.9:                                ;   in Loop: Header=BB52_8 Depth=1
	s_and_b32 vcc_lo, exec_lo, s68
	s_cbranch_vccz .LBB52_24
; %bb.10:                               ;   in Loop: Header=BB52_8 Depth=1
	v_cmp_gt_i64_e32 vcc_lo, 0x301, v[4:5]
	s_mov_b32 s7, 0
	s_mov_b32 s5, 0
	s_cbranch_vccz .LBB52_29
; %bb.11:                               ;   in Loop: Header=BB52_8 Depth=1
	v_mov_b32_e32 v6, 0
	s_and_saveexec_b32 s5, s4
	s_cbranch_execz .LBB52_13
; %bb.12:                               ;   in Loop: Header=BB52_8 Depth=1
	global_load_b32 v6, v[10:11], off
.LBB52_13:                              ;   in Loop: Header=BB52_8 Depth=1
	s_or_b32 exec_lo, exec_lo, s5
	s_and_saveexec_b32 s8, s4
	s_cbranch_execz .LBB52_25
; %bb.14:                               ;   in Loop: Header=BB52_8 Depth=1
	global_load_u16 v7, v13, s[50:51]
	s_mov_b32 s11, 0
	s_waitcnt vmcnt(0)
	v_readfirstlane_b32 s5, v7
	v_and_b32_e32 v7, 0xffff, v7
	s_delay_alu instid0(VALU_DEP_2) | instskip(NEXT) | instid1(SALU_CYCLE_1)
	s_and_b32 s5, 0xffff, s5
	v_add_nc_u32_e32 v8, s5, v0
	s_mul_i32 s6, s53, s5
	s_mul_hi_u32 s9, s52, s5
	s_mul_i32 s10, s52, s5
	s_add_i32 s9, s9, s6
	v_mad_u64_u32 v[2:3], null, s52, v8, s[46:47]
	s_delay_alu instid0(VALU_DEP_1) | instskip(NEXT) | instid1(VALU_DEP_1)
	v_mad_u64_u32 v[4:5], null, s53, v8, v[3:4]
	v_mov_b32_e32 v3, v4
	v_dual_mov_b32 v5, v1 :: v_dual_mov_b32 v4, v0
	s_branch .LBB52_16
.LBB52_15:                              ;   in Loop: Header=BB52_16 Depth=2
	s_or_b32 exec_lo, exec_lo, s6
	v_add_co_u32 v2, vcc_lo, v2, s10
	v_add_co_ci_u32_e32 v3, vcc_lo, s9, v3, vcc_lo
	s_waitcnt vmcnt(0)
	v_mov_b32_e32 v6, v8
	s_and_not1_b32 exec_lo, exec_lo, s11
	s_cbranch_execz .LBB52_25
.LBB52_16:                              ;   Parent Loop BB52_8 Depth=1
                                        ; =>  This Inner Loop Header: Depth=2
	s_delay_alu instid0(VALU_DEP_1) | instskip(NEXT) | instid1(VALU_DEP_2)
	v_add_co_u32 v4, vcc_lo, v4, v7
	v_add_co_ci_u32_e32 v5, vcc_lo, 0, v5, vcc_lo
	s_waitcnt lgkmcnt(0)
	v_dual_mov_b32 v9, 0 :: v_dual_mov_b32 v8, 0
	s_mov_b32 s6, exec_lo
	s_delay_alu instid0(VALU_DEP_2)
	v_cmp_le_i64_e32 vcc_lo, s[36:37], v[4:5]
	v_cmpx_gt_i64_e64 s[36:37], v[4:5]
	s_cbranch_execz .LBB52_18
; %bb.17:                               ;   in Loop: Header=BB52_16 Depth=2
	global_load_b32 v8, v[2:3], off
.LBB52_18:                              ;   in Loop: Header=BB52_16 Depth=2
	s_or_b32 exec_lo, exec_lo, s6
	v_cmp_lt_i32_e64 s5, -1, v6
	s_delay_alu instid0(VALU_DEP_1) | instskip(SKIP_1) | instid1(VALU_DEP_2)
	v_cndmask_b32_e64 v12, -1, 0x80000000, s5
	v_cmp_o_f32_e64 s5, v6, v6
	v_xor_b32_e32 v12, v12, v6
	s_delay_alu instid0(VALU_DEP_1) | instskip(NEXT) | instid1(VALU_DEP_1)
	v_cndmask_b32_e64 v12, -1, v12, s5
	v_and_b32_e32 v12, s87, v12
	s_delay_alu instid0(VALU_DEP_1) | instskip(NEXT) | instid1(VALU_DEP_1)
	v_cmp_eq_u32_e64 s5, s88, v12
	s_cmp_lg_u32 s5, 0
	s_cselect_b32 s6, -1, 0
	s_delay_alu instid0(SALU_CYCLE_1) | instskip(NEXT) | instid1(SALU_CYCLE_1)
	s_and_b32 s6, s2, s6
	s_and_saveexec_b32 s12, s6
	s_cbranch_execz .LBB52_22
; %bb.19:                               ;   in Loop: Header=BB52_16 Depth=2
	s_mov_b32 s15, exec_lo
	s_bcnt1_i32_b32 s13, s5
	v_mbcnt_lo_u32_b32 v9, s15, 0
	s_mov_b32 s14, exec_lo
                                        ; implicit-def: $vgpr12
	s_delay_alu instid0(VALU_DEP_1)
	v_cmpx_eq_u32_e32 0, v9
	s_cbranch_execz .LBB52_21
; %bb.20:                               ;   in Loop: Header=BB52_16 Depth=2
	s_bcnt1_i32_b32 s6, s15
	s_delay_alu instid0(SALU_CYCLE_1) | instskip(NEXT) | instid1(SALU_CYCLE_1)
	s_mul_i32 s6, s13, s6
	v_mov_b32_e32 v12, s6
	ds_add_rtn_u32 v12, v13, v12 offset:5136
.LBB52_21:                              ;   in Loop: Header=BB52_16 Depth=2
	s_or_b32 exec_lo, exec_lo, s14
	s_waitcnt lgkmcnt(0)
	v_readfirstlane_b32 s6, v12
	s_delay_alu instid0(VALU_DEP_1)
	v_mad_u32_u24 v9, s13, v9, s6
.LBB52_22:                              ;   in Loop: Header=BB52_16 Depth=2
	s_or_b32 exec_lo, exec_lo, s12
	ds_bpermute_b32 v9, v13, v9
	s_and_b32 s6, exec_lo, vcc_lo
	s_delay_alu instid0(SALU_CYCLE_1)
	s_or_b32 s11, s6, s11
	s_and_saveexec_b32 s6, s5
	s_cbranch_execz .LBB52_15
; %bb.23:                               ;   in Loop: Header=BB52_16 Depth=2
	v_and_b32_e32 v12, s5, v36
	s_delay_alu instid0(VALU_DEP_1) | instskip(NEXT) | instid1(VALU_DEP_1)
	v_bcnt_u32_b32 v12, v12, 0
	v_lshlrev_b32_e32 v12, 2, v12
	s_waitcnt lgkmcnt(0)
	s_delay_alu instid0(VALU_DEP_1)
	v_lshl_add_u32 v9, v9, 2, v12
	ds_store_b32 v9, v6
	s_branch .LBB52_15
.LBB52_24:                              ;   in Loop: Header=BB52_8 Depth=1
	s_mov_b32 s7, -1
	s_mov_b32 s5, 0
	s_branch .LBB52_28
.LBB52_25:                              ;   in Loop: Header=BB52_8 Depth=1
	s_or_b32 exec_lo, exec_lo, s8
	s_waitcnt vmcnt(0) lgkmcnt(0)
	s_barrier
	buffer_gl0_inv
	s_and_saveexec_b32 s5, s0
	s_cbranch_execz .LBB52_27
; %bb.26:                               ;   in Loop: Header=BB52_8 Depth=1
	ds_load_b32 v2, v13 offset:5136
	s_waitcnt lgkmcnt(0)
	v_ashrrev_i32_e32 v3, 31, v2
	ds_store_b64 v13, v[2:3] offset:5120
.LBB52_27:                              ;   in Loop: Header=BB52_8 Depth=1
	s_or_b32 exec_lo, exec_lo, s5
	s_waitcnt lgkmcnt(0)
	s_mov_b32 s5, -1
	s_barrier
.LBB52_28:                              ;   in Loop: Header=BB52_8 Depth=1
                                        ; implicit-def: $sgpr56_sgpr57
.LBB52_29:                              ;   in Loop: Header=BB52_8 Depth=1
	s_and_b32 vcc_lo, exec_lo, s7
	s_cbranch_vccz .LBB52_40
; %bb.30:                               ;   in Loop: Header=BB52_8 Depth=1
	v_mov_b32_e32 v6, 0
	s_and_saveexec_b32 s5, s1
	s_cbranch_execz .LBB52_32
; %bb.31:                               ;   in Loop: Header=BB52_8 Depth=1
	global_load_b32 v6, v[10:11], off
.LBB52_32:                              ;   in Loop: Header=BB52_8 Depth=1
	s_or_b32 exec_lo, exec_lo, s5
	s_and_saveexec_b32 s6, s1
	s_cbranch_execz .LBB52_37
; %bb.33:                               ;   in Loop: Header=BB52_8 Depth=1
	global_load_u16 v8, v13, s[50:51]
	s_mov_b32 s10, 0
	s_waitcnt vmcnt(0)
	v_readfirstlane_b32 s5, v8
	v_and_b32_e32 v8, 0xffff, v8
	s_delay_alu instid0(VALU_DEP_2) | instskip(NEXT) | instid1(SALU_CYCLE_1)
	s_and_b32 s5, 0xffff, s5
	v_add_nc_u32_e32 v7, s5, v0
	s_mul_i32 s8, s53, s5
	s_mul_hi_u32 s9, s52, s5
	s_lshl_b32 s7, s5, 2
	s_add_i32 s8, s9, s8
	v_mad_u64_u32 v[2:3], null, s52, v7, s[46:47]
	s_mul_i32 s9, s52, s5
	s_delay_alu instid0(VALU_DEP_1) | instskip(SKIP_1) | instid1(VALU_DEP_2)
	v_mad_u64_u32 v[4:5], null, s53, v7, v[3:4]
	v_mov_b32_e32 v7, v14
	v_mov_b32_e32 v3, v4
	v_dual_mov_b32 v5, v1 :: v_dual_mov_b32 v4, v0
	s_branch .LBB52_35
	.p2align	6
.LBB52_34:                              ;   in Loop: Header=BB52_35 Depth=2
	s_or_b32 exec_lo, exec_lo, s11
	s_delay_alu instid0(SALU_CYCLE_1)
	s_and_b32 s5, exec_lo, vcc_lo
	v_add_co_u32 v2, vcc_lo, v2, s9
	ds_store_b32 v7, v6
	s_waitcnt vmcnt(0)
	v_dual_mov_b32 v6, v9 :: v_dual_add_nc_u32 v7, s7, v7
	v_add_co_ci_u32_e32 v3, vcc_lo, s8, v3, vcc_lo
	s_or_b32 s10, s5, s10
	s_delay_alu instid0(SALU_CYCLE_1)
	s_and_not1_b32 exec_lo, exec_lo, s10
	s_cbranch_execz .LBB52_37
.LBB52_35:                              ;   Parent Loop BB52_8 Depth=1
                                        ; =>  This Inner Loop Header: Depth=2
	s_delay_alu instid0(VALU_DEP_1) | instskip(NEXT) | instid1(VALU_DEP_2)
	v_add_co_u32 v4, vcc_lo, v4, v8
	v_add_co_ci_u32_e32 v5, vcc_lo, 0, v5, vcc_lo
	v_mov_b32_e32 v9, 0
	s_mov_b32 s11, exec_lo
	s_delay_alu instid0(VALU_DEP_2)
	v_cmp_le_i64_e32 vcc_lo, s[36:37], v[4:5]
	v_cmpx_gt_i64_e64 s[36:37], v[4:5]
	s_cbranch_execz .LBB52_34
; %bb.36:                               ;   in Loop: Header=BB52_35 Depth=2
	global_load_b32 v9, v[2:3], off
	s_branch .LBB52_34
.LBB52_37:                              ;   in Loop: Header=BB52_8 Depth=1
	s_or_b32 exec_lo, exec_lo, s6
	s_waitcnt vmcnt(0) lgkmcnt(0)
	s_barrier
	buffer_gl0_inv
	s_and_saveexec_b32 s5, s0
	s_cbranch_execz .LBB52_39
; %bb.38:                               ;   in Loop: Header=BB52_8 Depth=1
	v_dual_mov_b32 v2, s36 :: v_dual_mov_b32 v3, s37
	ds_store_b64 v13, v[2:3] offset:5120
.LBB52_39:                              ;   in Loop: Header=BB52_8 Depth=1
	s_or_b32 exec_lo, exec_lo, s5
	s_mov_b32 s5, -1
	s_waitcnt lgkmcnt(0)
	s_barrier
                                        ; implicit-def: $sgpr56_sgpr57
.LBB52_40:                              ;   in Loop: Header=BB52_8 Depth=1
	s_and_b32 vcc_lo, exec_lo, s5
	s_cbranch_vccz .LBB52_42
; %bb.41:                               ;   in Loop: Header=BB52_8 Depth=1
	buffer_gl0_inv
	ds_load_b64 v[2:3], v13 offset:5120
	s_waitcnt lgkmcnt(0)
	v_readfirstlane_b32 s56, v2
.LBB52_42:                              ;   in Loop: Header=BB52_8 Depth=1
	s_delay_alu instid0(VALU_DEP_1)
	s_cmp_lt_i32 s56, 1
	s_cbranch_scc0 .LBB52_57
; %bb.43:                               ;   in Loop: Header=BB52_8 Depth=1
	global_load_u16 v2, v13, s[50:51]
	s_mov_b32 s6, s49
	s_mov_b32 s7, s37
	s_waitcnt vmcnt(0)
	v_readfirstlane_b32 s5, v2
	s_delay_alu instid0(VALU_DEP_1) | instskip(NEXT) | instid1(SALU_CYCLE_1)
	s_and_b32 s48, s5, 0xffff
	s_lshl_b32 s57, s48, 2
	s_cmp_lg_u64 s[6:7], 0
	s_cbranch_scc0 .LBB52_77
; %bb.44:                               ;   in Loop: Header=BB52_8 Depth=1
	v_cvt_f32_u32_e32 v2, s57
	s_sub_u32 s7, 0, s57
	s_subb_u32 s8, 0, 0
	s_delay_alu instid0(VALU_DEP_1) | instskip(NEXT) | instid1(VALU_DEP_1)
	v_fmac_f32_e32 v2, 0x4f800000, v41
	v_rcp_f32_e32 v2, v2
	s_waitcnt_depctr 0xfff
	v_mul_f32_e32 v2, 0x5f7ffffc, v2
	s_delay_alu instid0(VALU_DEP_1) | instskip(NEXT) | instid1(VALU_DEP_1)
	v_mul_f32_e32 v3, 0x2f800000, v2
	v_trunc_f32_e32 v3, v3
	s_delay_alu instid0(VALU_DEP_1) | instskip(SKIP_1) | instid1(VALU_DEP_2)
	v_fmac_f32_e32 v2, 0xcf800000, v3
	v_cvt_u32_f32_e32 v3, v3
	v_cvt_u32_f32_e32 v2, v2
	s_delay_alu instid0(VALU_DEP_2) | instskip(NEXT) | instid1(VALU_DEP_2)
	v_readfirstlane_b32 s5, v3
	v_readfirstlane_b32 s6, v2
	s_delay_alu instid0(VALU_DEP_2) | instskip(NEXT) | instid1(VALU_DEP_1)
	s_mul_i32 s9, s7, s5
	s_mul_hi_u32 s11, s7, s6
	s_mul_i32 s10, s8, s6
	s_add_i32 s9, s11, s9
	s_mul_i32 s12, s7, s6
	s_add_i32 s9, s9, s10
	s_mul_hi_u32 s11, s6, s12
	s_mul_hi_u32 s13, s5, s12
	s_mul_i32 s10, s5, s12
	s_mul_hi_u32 s12, s6, s9
	s_mul_i32 s6, s6, s9
	s_mul_hi_u32 s14, s5, s9
	s_add_u32 s6, s11, s6
	s_addc_u32 s11, 0, s12
	s_add_u32 s6, s6, s10
	s_mul_i32 s9, s5, s9
	s_addc_u32 s6, s11, s13
	s_addc_u32 s10, s14, 0
	s_add_u32 s6, s6, s9
	s_addc_u32 s9, 0, s10
	v_add_co_u32 v2, s6, v2, s6
	s_delay_alu instid0(VALU_DEP_1) | instskip(SKIP_1) | instid1(VALU_DEP_1)
	s_cmp_lg_u32 s6, 0
	s_addc_u32 s5, s5, s9
	v_readfirstlane_b32 s6, v2
	s_mul_i32 s9, s7, s5
	s_delay_alu instid0(VALU_DEP_1)
	s_mul_hi_u32 s10, s7, s6
	s_mul_i32 s8, s8, s6
	s_add_i32 s9, s10, s9
	s_mul_i32 s7, s7, s6
	s_add_i32 s9, s9, s8
	s_mul_hi_u32 s10, s5, s7
	s_mul_i32 s11, s5, s7
	s_mul_hi_u32 s7, s6, s7
	s_mul_hi_u32 s12, s6, s9
	s_mul_i32 s6, s6, s9
	s_mul_hi_u32 s8, s5, s9
	s_add_u32 s6, s7, s6
	s_addc_u32 s7, 0, s12
	s_add_u32 s6, s6, s11
	s_mul_i32 s9, s5, s9
	s_addc_u32 s6, s7, s10
	s_addc_u32 s7, s8, 0
	s_add_u32 s6, s6, s9
	s_addc_u32 s7, 0, s7
	v_add_co_u32 v2, s6, v2, s6
	s_delay_alu instid0(VALU_DEP_1) | instskip(SKIP_2) | instid1(VALU_DEP_1)
	s_cmp_lg_u32 s6, 0
	s_addc_u32 s5, s5, s7
	s_ashr_i32 s6, s37, 31
	v_readfirstlane_b32 s10, v2
	s_add_u32 s8, s36, s6
	s_mov_b32 s7, s6
	s_addc_u32 s9, s37, s6
	s_delay_alu instid0(SALU_CYCLE_1) | instskip(NEXT) | instid1(SALU_CYCLE_1)
	s_xor_b64 s[8:9], s[8:9], s[6:7]
	s_mul_i32 s11, s8, s5
	s_mul_hi_u32 s12, s8, s10
	s_mul_hi_u32 s7, s8, s5
	;; [unrolled: 1-line block ×3, first 2 shown]
	s_mul_i32 s10, s9, s10
	s_add_u32 s11, s12, s11
	s_addc_u32 s7, 0, s7
	s_mul_hi_u32 s13, s9, s5
	s_add_u32 s10, s11, s10
	s_mul_i32 s5, s9, s5
	s_addc_u32 s7, s7, s14
	s_addc_u32 s10, s13, 0
	s_add_u32 s5, s7, s5
	s_addc_u32 s7, 0, s10
	s_mul_hi_u32 s10, s57, s5
	s_mul_i32 s5, s57, s5
	s_mul_i32 s7, s57, s7
	v_sub_co_u32 v2, s5, s8, s5
	s_add_i32 s10, s10, s7
	s_cmp_lg_u32 s5, 0
	s_delay_alu instid0(VALU_DEP_1) | instskip(SKIP_2) | instid1(VALU_DEP_1)
	v_sub_co_u32 v3, s5, v2, s57
	s_subb_u32 s7, s9, s10
	s_cmp_lg_u32 s5, 0
	v_cmp_le_u32_e32 vcc_lo, s57, v3
	v_sub_co_u32 v4, s5, v3, s57
	s_subb_u32 s8, s7, 0
	s_cmp_lg_u32 s5, 0
	v_cndmask_b32_e64 v5, 0, -1, vcc_lo
	s_subb_u32 s5, s8, 0
	s_cmp_eq_u32 s8, 0
	v_mov_b32_e32 v7, s5
	s_cselect_b32 vcc_lo, -1, 0
	s_cmp_eq_u32 s7, 0
	v_cndmask_b32_e32 v5, -1, v5, vcc_lo
	v_cmp_le_u32_e32 vcc_lo, s57, v2
	s_cselect_b32 s5, -1, 0
	v_cndmask_b32_e64 v6, 0, -1, vcc_lo
	s_delay_alu instid0(VALU_DEP_3) | instskip(NEXT) | instid1(VALU_DEP_2)
	v_cmp_ne_u32_e32 vcc_lo, 0, v5
	v_cndmask_b32_e64 v5, -1, v6, s5
	v_cndmask_b32_e32 v3, v3, v4, vcc_lo
	v_cndmask_b32_e32 v6, s8, v7, vcc_lo
	s_delay_alu instid0(VALU_DEP_3) | instskip(NEXT) | instid1(VALU_DEP_3)
	v_cmp_ne_u32_e32 vcc_lo, 0, v5
	v_cndmask_b32_e32 v2, v2, v3, vcc_lo
	s_delay_alu instid0(VALU_DEP_3) | instskip(NEXT) | instid1(VALU_DEP_2)
	v_cndmask_b32_e32 v4, s7, v6, vcc_lo
	v_xor_b32_e32 v2, s6, v2
	s_delay_alu instid0(VALU_DEP_2) | instskip(NEXT) | instid1(VALU_DEP_2)
	v_xor_b32_e32 v3, s6, v4
	v_sub_co_u32 v26, vcc_lo, v2, s6
	s_delay_alu instid0(VALU_DEP_2)
	v_subrev_co_ci_u32_e32 v27, vcc_lo, s6, v3, vcc_lo
	s_cbranch_execnz .LBB52_46
.LBB52_45:                              ;   in Loop: Header=BB52_8 Depth=1
	v_cvt_f32_u32_e32 v2, s57
	s_sub_i32 s5, 0, s57
	s_delay_alu instid0(VALU_DEP_1) | instskip(SKIP_2) | instid1(VALU_DEP_1)
	v_rcp_iflag_f32_e32 v2, v2
	s_waitcnt_depctr 0xfff
	v_mul_f32_e32 v2, 0x4f7ffffe, v2
	v_cvt_u32_f32_e32 v2, v2
	s_delay_alu instid0(VALU_DEP_1) | instskip(NEXT) | instid1(VALU_DEP_1)
	v_mul_lo_u32 v3, s5, v2
	v_mul_hi_u32 v3, v2, v3
	s_delay_alu instid0(VALU_DEP_1) | instskip(NEXT) | instid1(VALU_DEP_1)
	v_add_nc_u32_e32 v2, v2, v3
	v_mul_hi_u32 v2, s36, v2
	s_delay_alu instid0(VALU_DEP_1) | instskip(NEXT) | instid1(VALU_DEP_1)
	v_mul_lo_u32 v2, v2, s57
	v_sub_nc_u32_e32 v2, s36, v2
	s_delay_alu instid0(VALU_DEP_1) | instskip(SKIP_1) | instid1(VALU_DEP_2)
	v_subrev_nc_u32_e32 v3, s57, v2
	v_cmp_le_u32_e32 vcc_lo, s57, v2
	v_cndmask_b32_e32 v2, v2, v3, vcc_lo
	s_delay_alu instid0(VALU_DEP_1) | instskip(SKIP_1) | instid1(VALU_DEP_2)
	v_subrev_nc_u32_e32 v3, s57, v2
	v_cmp_le_u32_e32 vcc_lo, s57, v2
	v_cndmask_b32_e32 v12, v2, v3, vcc_lo
	s_delay_alu instid0(VALU_DEP_1)
	v_dual_mov_b32 v27, v13 :: v_dual_mov_b32 v26, v12
.LBB52_46:                              ;   in Loop: Header=BB52_8 Depth=1
	v_mov_b32_e32 v2, 0
	v_mov_b32_e32 v3, 0
	s_delay_alu instid0(VALU_DEP_3) | instskip(NEXT) | instid1(VALU_DEP_4)
	v_sub_co_u32 v28, vcc_lo, s36, v26
	v_sub_co_ci_u32_e32 v29, vcc_lo, s37, v27, vcc_lo
	s_delay_alu instid0(VALU_DEP_3)
	v_dual_mov_b32 v5, v3 :: v_dual_mov_b32 v4, v2
	v_dual_mov_b32 v7, v3 :: v_dual_mov_b32 v6, v2
	;; [unrolled: 1-line block ×3, first 2 shown]
	s_mov_b64 s[58:59], 0
	s_mov_b32 s89, exec_lo
	v_cmpx_gt_i64_e64 v[28:29], v[14:15]
	s_cbranch_execz .LBB52_50
; %bb.47:                               ;   in Loop: Header=BB52_8 Depth=1
	v_dual_mov_b32 v31, v15 :: v_dual_mov_b32 v30, v14
	s_mul_i32 s5, s55, s48
	s_mul_hi_u32 s6, s54, s48
	s_and_b32 s90, s81, 0xfe
	s_add_i32 s91, s6, s5
	s_mul_i32 s92, s54, s48
	s_mov_b32 s93, 0
	s_mov_b64 s[60:61], s[46:47]
	s_mov_b64 s[62:63], 0
	s_mov_b64 s[64:65], 0
	s_mov_b64 s[66:67], 0
.LBB52_48:                              ;   Parent Loop BB52_8 Depth=1
                                        ; =>  This Inner Loop Header: Depth=2
	v_add_co_u32 v2, vcc_lo, s60, v21
	v_add_co_ci_u32_e32 v3, vcc_lo, s61, v22, vcc_lo
	v_add_co_u32 v4, vcc_lo, s60, v20
	v_add_co_ci_u32_e32 v5, vcc_lo, s61, v37, vcc_lo
	;; [unrolled: 2-line block ×4, first 2 shown]
	s_clause 0x3
	global_load_b32 v2, v[2:3], off
	global_load_b32 v3, v[4:5], off
	;; [unrolled: 1-line block ×4, first 2 shown]
	v_add_co_u32 v30, vcc_lo, v30, s57
	v_add_co_ci_u32_e32 v31, vcc_lo, 0, v31, vcc_lo
	s_delay_alu instid0(VALU_DEP_1)
	v_cmp_ge_i64_e32 vcc_lo, v[30:31], v[28:29]
	s_waitcnt vmcnt(3)
	v_cmp_lt_i32_e64 s5, -1, v2
	v_cmp_o_f32_e64 s8, v2, v2
	s_waitcnt vmcnt(1)
	v_cmp_o_f32_e64 s6, v4, v4
	s_waitcnt vmcnt(0)
	v_cmp_o_f32_e64 s7, v5, v5
	v_cndmask_b32_e64 v6, -1, 0x80000000, s5
	v_cmp_lt_i32_e64 s5, -1, v3
	s_delay_alu instid0(VALU_DEP_2) | instskip(NEXT) | instid1(VALU_DEP_2)
	v_xor_b32_e32 v6, v6, v2
	v_cndmask_b32_e64 v7, -1, 0x80000000, s5
	v_cmp_lt_i32_e64 s5, -1, v4
	s_delay_alu instid0(VALU_DEP_3) | instskip(NEXT) | instid1(VALU_DEP_3)
	v_cndmask_b32_e64 v2, -1, v6, s8
	v_xor_b32_e32 v7, v7, v3
	s_delay_alu instid0(VALU_DEP_3) | instskip(SKIP_1) | instid1(VALU_DEP_4)
	v_cndmask_b32_e64 v8, -1, 0x80000000, s5
	v_cmp_lt_i32_e64 s5, -1, v5
	v_and_b32_e32 v6, s87, v2
	v_bfe_u32 v2, v2, s90, 2
	s_delay_alu instid0(VALU_DEP_3) | instskip(SKIP_2) | instid1(VALU_DEP_4)
	v_cndmask_b32_e64 v9, -1, 0x80000000, s5
	v_cmp_o_f32_e64 s5, v3, v3
	v_xor_b32_e32 v3, v8, v4
	v_cmp_eq_u32_e64 s9, 0, v2
	v_cmp_eq_u32_e64 s13, 1, v2
	v_xor_b32_e32 v4, v9, v5
	v_cndmask_b32_e64 v5, -1, v7, s5
	v_cndmask_b32_e64 v3, -1, v3, s6
	v_cmp_eq_u32_e64 s5, s88, v6
	v_cmp_eq_u32_e64 s17, 2, v2
	v_cndmask_b32_e64 v4, -1, v4, s7
	v_and_b32_e32 v7, s87, v5
	v_bfe_u32 v5, v5, s90, 2
	v_and_b32_e32 v8, s87, v3
	v_bfe_u32 v3, v3, s90, 2
	v_and_b32_e32 v9, s87, v4
	v_bfe_u32 v4, v4, s90, 2
	v_cmp_eq_u32_e64 s6, s88, v7
	v_cmp_eq_u32_e64 s10, 0, v5
	;; [unrolled: 1-line block ×4, first 2 shown]
	s_and_b32 s9, s5, s9
	v_cmp_eq_u32_e64 s8, s88, v9
	v_cmp_eq_u32_e64 s12, 0, v4
	v_cmp_eq_u32_e64 s21, 3, v2
	v_cndmask_b32_e64 v2, 0, 1, s9
	s_and_b32 s9, s6, s10
	v_cmp_eq_u32_e64 s15, 1, v3
	v_cmp_eq_u32_e64 s19, 2, v3
	v_cmp_eq_u32_e64 s23, 3, v3
	v_cndmask_b32_e64 v3, 0, 1, s9
	;; [unrolled: 5-line block ×4, first 2 shown]
	v_cmp_ne_u32_e64 s9, 0, v2
	v_cmp_ne_u32_e64 s10, 0, v3
	;; [unrolled: 1-line block ×3, first 2 shown]
	s_delay_alu instid0(VALU_DEP_4) | instskip(NEXT) | instid1(VALU_DEP_4)
	v_cmp_ne_u32_e64 s12, 0, v5
	s_bcnt1_i32_b32 s9, s9
	s_delay_alu instid0(VALU_DEP_3) | instskip(NEXT) | instid1(VALU_DEP_2)
	s_bcnt1_i32_b32 s10, s10
	s_bcnt1_i32_b32 s11, s11
	s_add_i32 s9, s10, s9
	s_bcnt1_i32_b32 s12, s12
	s_add_i32 s9, s9, s11
	s_delay_alu instid0(SALU_CYCLE_1) | instskip(NEXT) | instid1(SALU_CYCLE_1)
	s_add_i32 s9, s9, s12
	s_add_u32 s66, s66, s9
	s_addc_u32 s67, s67, 0
	s_and_b32 s9, s5, s13
	v_mov_b32_e32 v2, s66
	v_cndmask_b32_e64 v4, 0, 1, s9
	s_and_b32 s9, s6, s14
	v_mov_b32_e32 v3, s67
	v_cndmask_b32_e64 v5, 0, 1, s9
	s_and_b32 s9, s7, s15
	s_delay_alu instid0(SALU_CYCLE_1) | instskip(SKIP_1) | instid1(VALU_DEP_2)
	v_cndmask_b32_e64 v6, 0, 1, s9
	s_and_b32 s9, s8, s16
	v_cmp_ne_u32_e64 s10, 0, v5
	v_cndmask_b32_e64 v7, 0, 1, s9
	v_cmp_ne_u32_e64 s9, 0, v4
	v_cmp_ne_u32_e64 s11, 0, v6
	s_delay_alu instid0(VALU_DEP_4) | instskip(NEXT) | instid1(VALU_DEP_3)
	s_bcnt1_i32_b32 s10, s10
	v_cmp_ne_u32_e64 s12, 0, v7
	s_delay_alu instid0(VALU_DEP_3) | instskip(NEXT) | instid1(VALU_DEP_2)
	s_bcnt1_i32_b32 s9, s9
	s_bcnt1_i32_b32 s11, s11
	s_add_i32 s9, s10, s9
	s_delay_alu instid0(VALU_DEP_1) | instskip(SKIP_1) | instid1(SALU_CYCLE_1)
	s_bcnt1_i32_b32 s12, s12
	s_add_i32 s9, s9, s11
	s_add_i32 s9, s9, s12
	s_delay_alu instid0(SALU_CYCLE_1) | instskip(SKIP_2) | instid1(SALU_CYCLE_1)
	s_add_u32 s64, s64, s9
	s_addc_u32 s65, s65, 0
	s_and_b32 s9, s5, s17
	v_cndmask_b32_e64 v4, 0, 1, s9
	s_and_b32 s9, s6, s18
	s_delay_alu instid0(SALU_CYCLE_1) | instskip(SKIP_1) | instid1(SALU_CYCLE_1)
	v_cndmask_b32_e64 v5, 0, 1, s9
	s_and_b32 s9, s7, s19
	v_cndmask_b32_e64 v6, 0, 1, s9
	s_and_b32 s9, s8, s20
	s_delay_alu instid0(VALU_DEP_2) | instskip(SKIP_3) | instid1(VALU_DEP_4)
	v_cmp_ne_u32_e64 s10, 0, v5
	v_cndmask_b32_e64 v7, 0, 1, s9
	v_cmp_ne_u32_e64 s9, 0, v4
	v_cmp_ne_u32_e64 s11, 0, v6
	s_bcnt1_i32_b32 s10, s10
	s_delay_alu instid0(VALU_DEP_3) | instskip(NEXT) | instid1(VALU_DEP_3)
	v_cmp_ne_u32_e64 s12, 0, v7
	s_bcnt1_i32_b32 s9, s9
	s_delay_alu instid0(VALU_DEP_2) | instskip(SKIP_1) | instid1(VALU_DEP_1)
	s_bcnt1_i32_b32 s11, s11
	s_add_i32 s9, s10, s9
	s_bcnt1_i32_b32 s12, s12
	s_add_i32 s9, s9, s11
	s_delay_alu instid0(SALU_CYCLE_1) | instskip(NEXT) | instid1(SALU_CYCLE_1)
	s_add_i32 s9, s9, s12
	s_add_u32 s62, s62, s9
	s_addc_u32 s63, s63, 0
	s_and_b32 s5, s5, s21
	s_delay_alu instid0(SALU_CYCLE_1) | instskip(SKIP_1) | instid1(SALU_CYCLE_1)
	v_cndmask_b32_e64 v4, 0, 1, s5
	s_and_b32 s5, s6, s22
	v_cndmask_b32_e64 v5, 0, 1, s5
	s_and_b32 s5, s7, s23
	s_delay_alu instid0(SALU_CYCLE_1) | instskip(SKIP_1) | instid1(VALU_DEP_2)
	v_cndmask_b32_e64 v6, 0, 1, s5
	s_and_b32 s5, s8, s24
	v_cmp_ne_u32_e64 s6, 0, v5
	v_cndmask_b32_e64 v7, 0, 1, s5
	v_cmp_ne_u32_e64 s5, 0, v4
	v_mov_b32_e32 v4, s64
	v_cmp_ne_u32_e64 s7, 0, v6
	s_bcnt1_i32_b32 s6, s6
	v_cmp_ne_u32_e64 s8, 0, v7
	s_bcnt1_i32_b32 s5, s5
	v_mov_b32_e32 v5, s65
	s_bcnt1_i32_b32 s7, s7
	s_add_i32 s5, s6, s5
	s_bcnt1_i32_b32 s6, s8
	s_add_i32 s5, s5, s7
	v_dual_mov_b32 v6, s62 :: v_dual_mov_b32 v7, s63
	s_add_i32 s5, s5, s6
	s_delay_alu instid0(SALU_CYCLE_1) | instskip(SKIP_1) | instid1(SALU_CYCLE_1)
	s_add_u32 s58, s58, s5
	s_addc_u32 s59, s59, 0
	v_dual_mov_b32 v8, s58 :: v_dual_mov_b32 v9, s59
	s_add_u32 s60, s60, s92
	s_addc_u32 s61, s61, s91
	s_or_b32 s93, vcc_lo, s93
	s_delay_alu instid0(SALU_CYCLE_1)
	s_and_not1_b32 exec_lo, exec_lo, s93
	s_cbranch_execnz .LBB52_48
; %bb.49:                               ;   in Loop: Header=BB52_8 Depth=1
	s_or_b32 exec_lo, exec_lo, s93
.LBB52_50:                              ;   in Loop: Header=BB52_8 Depth=1
	s_delay_alu instid0(SALU_CYCLE_1) | instskip(SKIP_3) | instid1(VALU_DEP_2)
	s_or_b32 exec_lo, exec_lo, s89
	v_add_co_u32 v28, vcc_lo, v28, v0
	v_add_co_ci_u32_e32 v29, vcc_lo, 0, v29, vcc_lo
	v_mov_b32_e32 v24, 0
	v_cmp_gt_i64_e32 vcc_lo, s[36:37], v[28:29]
	s_and_saveexec_b32 s6, vcc_lo
	s_cbranch_execz .LBB52_52
; %bb.51:                               ;   in Loop: Header=BB52_8 Depth=1
	v_mul_lo_u32 v12, v29, s42
	v_mul_lo_u32 v24, v28, s43
	v_mad_u64_u32 v[30:31], null, v28, s42, 0
	s_delay_alu instid0(VALU_DEP_1) | instskip(NEXT) | instid1(VALU_DEP_1)
	v_add3_u32 v31, v31, v24, v12
	v_lshlrev_b64 v[30:31], 2, v[30:31]
	s_delay_alu instid0(VALU_DEP_1) | instskip(NEXT) | instid1(VALU_DEP_1)
	v_add_co_u32 v30, s5, s46, v30
	v_add_co_ci_u32_e64 v31, s5, s47, v31, s5
	global_load_b32 v24, v[30:31], off
.LBB52_52:                              ;   in Loop: Header=BB52_8 Depth=1
	s_or_b32 exec_lo, exec_lo, s6
	s_and_saveexec_b32 s9, vcc_lo
	s_cbranch_execz .LBB52_59
; %bb.53:                               ;   in Loop: Header=BB52_8 Depth=1
	v_add_co_u32 v12, vcc_lo, v38, s48
	v_add_co_ci_u32_e32 v30, vcc_lo, 0, v39, vcc_lo
	s_mul_i32 s5, s53, s48
	s_delay_alu instid0(VALU_DEP_2) | instskip(NEXT) | instid1(VALU_DEP_2)
	v_sub_co_u32 v12, vcc_lo, v12, v26
	v_sub_co_ci_u32_e32 v26, vcc_lo, v30, v27, vcc_lo
	s_mul_hi_u32 s6, s52, s48
	s_delay_alu instid0(VALU_DEP_2) | instskip(SKIP_1) | instid1(VALU_DEP_2)
	v_mul_lo_u32 v31, s53, v12
	s_and_b32 s10, s81, 0xfe
	v_mul_lo_u32 v30, s52, v26
	v_mad_u64_u32 v[26:27], null, s52, v12, s[46:47]
	s_add_i32 s11, s6, s5
	s_mul_i32 s12, s52, s48
	s_mov_b32 s13, 0
	s_delay_alu instid0(VALU_DEP_1)
	v_add3_u32 v27, v31, v27, v30
	s_branch .LBB52_55
.LBB52_54:                              ;   in Loop: Header=BB52_55 Depth=2
	s_or_b32 exec_lo, exec_lo, s6
	s_waitcnt vmcnt(0)
	v_cmp_lt_i32_e64 s5, -1, v24
	s_and_b32 s6, exec_lo, vcc_lo
	s_delay_alu instid0(SALU_CYCLE_1) | instskip(NEXT) | instid1(VALU_DEP_1)
	s_or_b32 s13, s6, s13
	v_cndmask_b32_e64 v30, -1, 0x80000000, s5
	v_cmp_o_f32_e64 s5, v24, v24
	s_delay_alu instid0(VALU_DEP_2) | instskip(NEXT) | instid1(VALU_DEP_1)
	v_xor_b32_e32 v30, v30, v24
	v_cndmask_b32_e64 v24, -1, v30, s5
	s_delay_alu instid0(VALU_DEP_1) | instskip(SKIP_1) | instid1(VALU_DEP_2)
	v_and_b32_e32 v30, s87, v24
	v_bfe_u32 v24, v24, s10, 2
	v_cmp_eq_u32_e32 vcc_lo, s88, v30
	s_delay_alu instid0(VALU_DEP_2) | instskip(SKIP_3) | instid1(VALU_DEP_4)
	v_cmp_eq_u32_e64 s5, 0, v24
	v_cmp_eq_u32_e64 s6, 1, v24
	;; [unrolled: 1-line block ×4, first 2 shown]
	s_and_b32 s5, vcc_lo, s5
	s_delay_alu instid0(SALU_CYCLE_1) | instskip(SKIP_1) | instid1(SALU_CYCLE_1)
	v_cndmask_b32_e64 v24, 0, 1, s5
	s_and_b32 s5, vcc_lo, s6
	v_cndmask_b32_e64 v30, 0, 1, s5
	s_and_b32 s5, vcc_lo, s7
	s_delay_alu instid0(SALU_CYCLE_1)
	v_cndmask_b32_e64 v31, 0, 1, s5
	s_and_b32 s5, vcc_lo, s8
	v_cmp_ne_u32_e32 vcc_lo, 0, v24
	v_cndmask_b32_e64 v42, 0, 1, s5
	v_cmp_ne_u32_e64 s5, 0, v30
	v_cmp_ne_u32_e64 s6, 0, v31
	v_mov_b32_e32 v24, v12
	s_bcnt1_i32_b32 s8, vcc_lo
	v_cmp_ne_u32_e64 s7, 0, v42
	v_add_co_u32 v2, vcc_lo, v2, s8
	s_bcnt1_i32_b32 s5, s5
	v_add_co_ci_u32_e32 v3, vcc_lo, 0, v3, vcc_lo
	v_add_co_u32 v4, vcc_lo, v4, s5
	s_bcnt1_i32_b32 s6, s6
	v_add_co_ci_u32_e32 v5, vcc_lo, 0, v5, vcc_lo
	;; [unrolled: 3-line block ×3, first 2 shown]
	v_add_co_u32 v8, vcc_lo, v8, s5
	v_add_co_ci_u32_e32 v9, vcc_lo, 0, v9, vcc_lo
	v_add_co_u32 v26, vcc_lo, v26, s12
	v_add_co_ci_u32_e32 v27, vcc_lo, s11, v27, vcc_lo
	s_and_not1_b32 exec_lo, exec_lo, s13
	s_cbranch_execz .LBB52_58
.LBB52_55:                              ;   Parent Loop BB52_8 Depth=1
                                        ; =>  This Inner Loop Header: Depth=2
	v_add_co_u32 v28, vcc_lo, v28, s48
	v_add_co_ci_u32_e32 v29, vcc_lo, 0, v29, vcc_lo
	v_mov_b32_e32 v12, 0
	s_mov_b32 s6, exec_lo
	s_delay_alu instid0(VALU_DEP_2)
	v_cmp_le_i64_e32 vcc_lo, s[36:37], v[28:29]
	v_cmpx_gt_i64_e64 s[36:37], v[28:29]
	s_cbranch_execz .LBB52_54
; %bb.56:                               ;   in Loop: Header=BB52_55 Depth=2
	global_load_b32 v12, v[26:27], off
	s_branch .LBB52_54
.LBB52_57:                              ;   in Loop: Header=BB52_8 Depth=1
                                        ; implicit-def: $vgpr8_vgpr9
                                        ; implicit-def: $vgpr4_vgpr5
	s_cbranch_execnz .LBB52_60
	s_branch .LBB52_69
.LBB52_58:                              ;   in Loop: Header=BB52_8 Depth=1
	s_or_b32 exec_lo, exec_lo, s13
.LBB52_59:                              ;   in Loop: Header=BB52_8 Depth=1
	s_delay_alu instid0(SALU_CYCLE_1)
	s_or_b32 exec_lo, exec_lo, s9
	s_branch .LBB52_69
.LBB52_60:                              ;   in Loop: Header=BB52_8 Depth=1
	global_load_u16 v8, v13, s[50:51]
	s_mov_b64 s[58:59], 0
	s_mov_b32 s66, exec_lo
	s_waitcnt vmcnt(0)
	v_readfirstlane_b32 s5, v8
	v_and_b32_e32 v24, 0xffff, v8
	s_delay_alu instid0(VALU_DEP_2) | instskip(NEXT) | instid1(SALU_CYCLE_1)
	s_and_b32 s5, 0xffff, s5
	s_lshl_b32 s57, s5, 2
	s_delay_alu instid0(SALU_CYCLE_1) | instskip(SKIP_1) | instid1(VALU_DEP_1)
	v_cvt_f32_u32_e32 v2, s57
	s_sub_i32 s6, 0, s57
	v_rcp_iflag_f32_e32 v2, v2
	s_waitcnt_depctr 0xfff
	v_mul_f32_e32 v2, 0x4f7ffffe, v2
	s_delay_alu instid0(VALU_DEP_1) | instskip(NEXT) | instid1(VALU_DEP_1)
	v_cvt_u32_f32_e32 v2, v2
	v_readfirstlane_b32 s5, v2
	v_mov_b32_e32 v2, 0
	v_mov_b32_e32 v3, 0
	s_delay_alu instid0(VALU_DEP_3) | instskip(NEXT) | instid1(VALU_DEP_1)
	s_mul_i32 s6, s6, s5
	v_dual_mov_b32 v5, v3 :: v_dual_mov_b32 v4, v2
	s_mul_hi_u32 s6, s5, s6
	v_dual_mov_b32 v7, v3 :: v_dual_mov_b32 v6, v2
	s_add_i32 s5, s5, s6
	v_dual_mov_b32 v9, v3 :: v_dual_mov_b32 v8, v2
	s_mul_hi_u32 s5, s56, s5
	s_delay_alu instid0(SALU_CYCLE_1) | instskip(NEXT) | instid1(SALU_CYCLE_1)
	s_mul_i32 s5, s5, s57
	s_sub_i32 s5, s56, s5
	s_delay_alu instid0(SALU_CYCLE_1) | instskip(SKIP_2) | instid1(SALU_CYCLE_1)
	s_sub_i32 s6, s5, s57
	s_cmp_ge_u32 s5, s57
	s_cselect_b32 s5, s6, s5
	s_sub_i32 s6, s5, s57
	s_cmp_ge_u32 s5, s57
	s_cselect_b32 s5, s6, s5
	s_delay_alu instid0(SALU_CYCLE_1) | instskip(NEXT) | instid1(SALU_CYCLE_1)
	s_sub_i32 s48, s56, s5
	v_cmpx_gt_u32_e64 s48, v14
	s_cbranch_execz .LBB52_64
; %bb.61:                               ;   in Loop: Header=BB52_8 Depth=1
	v_dual_mov_b32 v27, v15 :: v_dual_lshlrev_b32 v12, 4, v24
	v_mov_b32_e32 v28, v35
	v_mov_b32_e32 v26, v14
	s_and_b32 s67, s81, 0xfe
	s_mov_b32 s89, 0
	s_mov_b64 s[60:61], 0
	s_mov_b64 s[62:63], 0
	;; [unrolled: 1-line block ×3, first 2 shown]
.LBB52_62:                              ;   Parent Loop BB52_8 Depth=1
                                        ; =>  This Inner Loop Header: Depth=2
	ds_load_b128 v[2:5], v28
	v_add_co_u32 v26, vcc_lo, v26, s57
	v_add_co_ci_u32_e32 v27, vcc_lo, 0, v27, vcc_lo
	s_delay_alu instid0(VALU_DEP_1)
	v_cmp_le_u64_e32 vcc_lo, s[48:49], v[26:27]
	s_waitcnt lgkmcnt(0)
	v_cmp_lt_i32_e64 s5, -1, v2
	v_cmp_o_f32_e64 s8, v2, v2
	v_cmp_o_f32_e64 s6, v4, v4
	;; [unrolled: 1-line block ×3, first 2 shown]
	s_delay_alu instid0(VALU_DEP_4) | instskip(SKIP_1) | instid1(VALU_DEP_2)
	v_cndmask_b32_e64 v6, -1, 0x80000000, s5
	v_cmp_lt_i32_e64 s5, -1, v3
	v_xor_b32_e32 v6, v6, v2
	s_delay_alu instid0(VALU_DEP_2) | instskip(SKIP_1) | instid1(VALU_DEP_3)
	v_cndmask_b32_e64 v7, -1, 0x80000000, s5
	v_cmp_lt_i32_e64 s5, -1, v4
	v_cndmask_b32_e64 v2, -1, v6, s8
	s_delay_alu instid0(VALU_DEP_3) | instskip(NEXT) | instid1(VALU_DEP_3)
	v_xor_b32_e32 v7, v7, v3
	v_cndmask_b32_e64 v8, -1, 0x80000000, s5
	v_cmp_lt_i32_e64 s5, -1, v5
	s_delay_alu instid0(VALU_DEP_4) | instskip(SKIP_1) | instid1(VALU_DEP_3)
	v_and_b32_e32 v6, s87, v2
	v_bfe_u32 v2, v2, s67, 2
	v_cndmask_b32_e64 v9, -1, 0x80000000, s5
	v_cmp_o_f32_e64 s5, v3, v3
	v_xor_b32_e32 v3, v8, v4
	s_delay_alu instid0(VALU_DEP_4)
	v_cmp_eq_u32_e64 s9, 0, v2
	v_cmp_eq_u32_e64 s13, 1, v2
	v_xor_b32_e32 v4, v9, v5
	v_cndmask_b32_e64 v5, -1, v7, s5
	v_cndmask_b32_e64 v3, -1, v3, s6
	v_cmp_eq_u32_e64 s5, s88, v6
	v_cmp_eq_u32_e64 s17, 2, v2
	v_cndmask_b32_e64 v4, -1, v4, s7
	v_and_b32_e32 v7, s87, v5
	v_bfe_u32 v5, v5, s67, 2
	v_and_b32_e32 v8, s87, v3
	v_bfe_u32 v3, v3, s67, 2
	;; [unrolled: 2-line block ×3, first 2 shown]
	v_cmp_eq_u32_e64 s6, s88, v7
	v_cmp_eq_u32_e64 s10, 0, v5
	;; [unrolled: 1-line block ×4, first 2 shown]
	s_and_b32 s9, s5, s9
	v_cmp_eq_u32_e64 s8, s88, v9
	v_cmp_eq_u32_e64 s12, 0, v4
	v_cmp_eq_u32_e64 s21, 3, v2
	v_cndmask_b32_e64 v2, 0, 1, s9
	s_and_b32 s9, s6, s10
	v_cmp_eq_u32_e64 s15, 1, v3
	v_cmp_eq_u32_e64 s19, 2, v3
	v_cmp_eq_u32_e64 s23, 3, v3
	v_cndmask_b32_e64 v3, 0, 1, s9
	;; [unrolled: 5-line block ×4, first 2 shown]
	v_cmp_ne_u32_e64 s9, 0, v2
	v_cmp_ne_u32_e64 s10, 0, v3
	;; [unrolled: 1-line block ×3, first 2 shown]
	s_delay_alu instid0(VALU_DEP_4) | instskip(NEXT) | instid1(VALU_DEP_4)
	v_cmp_ne_u32_e64 s12, 0, v5
	s_bcnt1_i32_b32 s9, s9
	s_delay_alu instid0(VALU_DEP_3) | instskip(NEXT) | instid1(VALU_DEP_2)
	s_bcnt1_i32_b32 s10, s10
	s_bcnt1_i32_b32 s11, s11
	s_add_i32 s9, s10, s9
	s_bcnt1_i32_b32 s12, s12
	s_add_i32 s9, s9, s11
	s_delay_alu instid0(SALU_CYCLE_1) | instskip(NEXT) | instid1(SALU_CYCLE_1)
	s_add_i32 s9, s9, s12
	s_add_u32 s64, s64, s9
	s_addc_u32 s65, s65, 0
	s_and_b32 s9, s5, s13
	v_add_nc_u32_e32 v28, v28, v12
	v_cndmask_b32_e64 v2, 0, 1, s9
	s_and_b32 s9, s6, s14
	s_delay_alu instid0(SALU_CYCLE_1) | instskip(SKIP_1) | instid1(SALU_CYCLE_1)
	v_cndmask_b32_e64 v3, 0, 1, s9
	s_and_b32 s9, s7, s15
	v_cndmask_b32_e64 v4, 0, 1, s9
	s_and_b32 s9, s8, s16
	s_delay_alu instid0(VALU_DEP_2) | instskip(SKIP_3) | instid1(VALU_DEP_4)
	v_cmp_ne_u32_e64 s10, 0, v3
	v_cndmask_b32_e64 v5, 0, 1, s9
	v_cmp_ne_u32_e64 s9, 0, v2
	v_cmp_ne_u32_e64 s11, 0, v4
	s_bcnt1_i32_b32 s10, s10
	s_delay_alu instid0(VALU_DEP_3) | instskip(NEXT) | instid1(VALU_DEP_3)
	v_cmp_ne_u32_e64 s12, 0, v5
	s_bcnt1_i32_b32 s9, s9
	s_delay_alu instid0(VALU_DEP_2) | instskip(SKIP_1) | instid1(VALU_DEP_1)
	s_bcnt1_i32_b32 s11, s11
	s_add_i32 s9, s10, s9
	s_bcnt1_i32_b32 s12, s12
	s_add_i32 s9, s9, s11
	s_delay_alu instid0(SALU_CYCLE_1) | instskip(NEXT) | instid1(SALU_CYCLE_1)
	s_add_i32 s9, s9, s12
	s_add_u32 s62, s62, s9
	s_addc_u32 s63, s63, 0
	s_and_b32 s9, s5, s17
	s_delay_alu instid0(SALU_CYCLE_1) | instskip(SKIP_1) | instid1(SALU_CYCLE_1)
	v_cndmask_b32_e64 v2, 0, 1, s9
	s_and_b32 s9, s6, s18
	v_cndmask_b32_e64 v3, 0, 1, s9
	s_and_b32 s9, s7, s19
	s_delay_alu instid0(SALU_CYCLE_1) | instskip(SKIP_1) | instid1(VALU_DEP_2)
	v_cndmask_b32_e64 v4, 0, 1, s9
	s_and_b32 s9, s8, s20
	v_cmp_ne_u32_e64 s10, 0, v3
	v_cndmask_b32_e64 v5, 0, 1, s9
	v_cmp_ne_u32_e64 s9, 0, v2
	v_cmp_ne_u32_e64 s11, 0, v4
	s_delay_alu instid0(VALU_DEP_4) | instskip(NEXT) | instid1(VALU_DEP_3)
	s_bcnt1_i32_b32 s10, s10
	v_cmp_ne_u32_e64 s12, 0, v5
	s_delay_alu instid0(VALU_DEP_3) | instskip(NEXT) | instid1(VALU_DEP_2)
	s_bcnt1_i32_b32 s9, s9
	s_bcnt1_i32_b32 s11, s11
	s_add_i32 s9, s10, s9
	s_delay_alu instid0(VALU_DEP_1) | instskip(SKIP_1) | instid1(SALU_CYCLE_1)
	s_bcnt1_i32_b32 s12, s12
	s_add_i32 s9, s9, s11
	s_add_i32 s9, s9, s12
	s_delay_alu instid0(SALU_CYCLE_1) | instskip(SKIP_2) | instid1(SALU_CYCLE_1)
	s_add_u32 s60, s60, s9
	s_addc_u32 s61, s61, 0
	s_and_b32 s5, s5, s21
	v_cndmask_b32_e64 v2, 0, 1, s5
	s_and_b32 s5, s6, s22
	s_delay_alu instid0(SALU_CYCLE_1) | instskip(SKIP_1) | instid1(SALU_CYCLE_1)
	v_cndmask_b32_e64 v3, 0, 1, s5
	s_and_b32 s5, s7, s23
	v_cndmask_b32_e64 v4, 0, 1, s5
	s_and_b32 s5, s8, s24
	s_delay_alu instid0(VALU_DEP_2) | instskip(SKIP_4) | instid1(VALU_DEP_4)
	v_cmp_ne_u32_e64 s6, 0, v3
	v_cndmask_b32_e64 v5, 0, 1, s5
	v_cmp_ne_u32_e64 s5, 0, v2
	v_cmp_ne_u32_e64 s7, 0, v4
	v_dual_mov_b32 v2, s64 :: v_dual_mov_b32 v3, s65
	v_cmp_ne_u32_e64 s8, 0, v5
	s_delay_alu instid0(VALU_DEP_4)
	s_bcnt1_i32_b32 s5, s5
	s_bcnt1_i32_b32 s6, s6
	;; [unrolled: 1-line block ×3, first 2 shown]
	s_add_i32 s5, s6, s5
	s_bcnt1_i32_b32 s6, s8
	s_add_i32 s5, s5, s7
	v_mov_b32_e32 v4, s62
	s_add_i32 s5, s5, s6
	v_mov_b32_e32 v5, s63
	s_add_u32 s58, s58, s5
	s_addc_u32 s59, s59, 0
	v_mov_b32_e32 v6, s60
	v_dual_mov_b32 v8, s58 :: v_dual_mov_b32 v9, s59
	v_mov_b32_e32 v7, s61
	s_or_b32 s89, vcc_lo, s89
	s_delay_alu instid0(SALU_CYCLE_1)
	s_and_not1_b32 exec_lo, exec_lo, s89
	s_cbranch_execnz .LBB52_62
; %bb.63:                               ;   in Loop: Header=BB52_8 Depth=1
	s_or_b32 exec_lo, exec_lo, s89
.LBB52_64:                              ;   in Loop: Header=BB52_8 Depth=1
	s_delay_alu instid0(SALU_CYCLE_1) | instskip(SKIP_2) | instid1(VALU_DEP_1)
	s_or_b32 exec_lo, exec_lo, s66
	v_add_nc_u32_e32 v12, s48, v0
	s_mov_b32 s12, exec_lo
	v_cmpx_gt_u32_e64 s56, v12
	s_cbranch_execz .LBB52_68
; %bb.65:                               ;   in Loop: Header=BB52_8 Depth=1
	v_dual_mov_b32 v27, v13 :: v_dual_lshlrev_b32 v28, 2, v12
	v_mov_b32_e32 v26, v12
	s_mov_b32 s11, 0
	s_and_b32 s10, s56, 0x7fffffff
	s_and_b32 s14, s81, 0xfe
	s_mov_b32 s13, s11
.LBB52_66:                              ;   Parent Loop BB52_8 Depth=1
                                        ; =>  This Inner Loop Header: Depth=2
	ds_load_b32 v12, v28
	v_add_co_u32 v26, vcc_lo, v26, v24
	v_add_co_ci_u32_e32 v27, vcc_lo, 0, v27, vcc_lo
	v_add_nc_u32_e32 v28, s57, v28
	s_delay_alu instid0(VALU_DEP_2) | instskip(SKIP_2) | instid1(VALU_DEP_1)
	v_cmp_le_u64_e32 vcc_lo, s[10:11], v[26:27]
	s_waitcnt lgkmcnt(0)
	v_cmp_lt_i32_e64 s5, -1, v12
	v_cndmask_b32_e64 v29, -1, 0x80000000, s5
	v_cmp_o_f32_e64 s5, v12, v12
	s_delay_alu instid0(VALU_DEP_2) | instskip(NEXT) | instid1(VALU_DEP_1)
	v_xor_b32_e32 v29, v29, v12
	v_cndmask_b32_e64 v12, -1, v29, s5
	s_delay_alu instid0(VALU_DEP_1) | instskip(SKIP_1) | instid1(VALU_DEP_2)
	v_and_b32_e32 v29, s87, v12
	v_bfe_u32 v12, v12, s14, 2
	v_cmp_eq_u32_e64 s5, s88, v29
	s_delay_alu instid0(VALU_DEP_2) | instskip(SKIP_3) | instid1(VALU_DEP_4)
	v_cmp_eq_u32_e64 s6, 0, v12
	v_cmp_eq_u32_e64 s7, 1, v12
	;; [unrolled: 1-line block ×4, first 2 shown]
	s_and_b32 s6, s5, s6
	s_delay_alu instid0(SALU_CYCLE_1) | instskip(SKIP_1) | instid1(SALU_CYCLE_1)
	v_cndmask_b32_e64 v12, 0, 1, s6
	s_and_b32 s6, s5, s7
	v_cndmask_b32_e64 v29, 0, 1, s6
	s_and_b32 s6, s5, s8
	s_and_b32 s5, s5, s9
	v_cndmask_b32_e64 v30, 0, 1, s6
	v_cndmask_b32_e64 v31, 0, 1, s5
	v_cmp_ne_u32_e64 s5, 0, v12
	v_cmp_ne_u32_e64 s6, 0, v29
	s_delay_alu instid0(VALU_DEP_4) | instskip(NEXT) | instid1(VALU_DEP_4)
	v_cmp_ne_u32_e64 s7, 0, v30
	v_cmp_ne_u32_e64 s8, 0, v31
	s_delay_alu instid0(VALU_DEP_4) | instskip(NEXT) | instid1(VALU_DEP_3)
	s_bcnt1_i32_b32 s5, s5
	s_bcnt1_i32_b32 s6, s6
	v_add_co_u32 v2, s5, v2, s5
	s_delay_alu instid0(VALU_DEP_1)
	v_add_co_ci_u32_e64 v3, s5, 0, v3, s5
	v_add_co_u32 v4, s5, v4, s6
	s_bcnt1_i32_b32 s7, s7
	v_add_co_ci_u32_e64 v5, s5, 0, v5, s5
	v_add_co_u32 v6, s5, v6, s7
	s_bcnt1_i32_b32 s8, s8
	v_add_co_ci_u32_e64 v7, s5, 0, v7, s5
	v_add_co_u32 v8, s5, v8, s8
	s_delay_alu instid0(VALU_DEP_1) | instskip(SKIP_1) | instid1(SALU_CYCLE_1)
	v_add_co_ci_u32_e64 v9, s5, 0, v9, s5
	s_or_b32 s13, vcc_lo, s13
	s_and_not1_b32 exec_lo, exec_lo, s13
	s_cbranch_execnz .LBB52_66
; %bb.67:                               ;   in Loop: Header=BB52_8 Depth=1
	s_or_b32 exec_lo, exec_lo, s13
.LBB52_68:                              ;   in Loop: Header=BB52_8 Depth=1
	s_delay_alu instid0(SALU_CYCLE_1)
	s_or_b32 exec_lo, exec_lo, s12
.LBB52_69:                              ;   in Loop: Header=BB52_8 Depth=1
	s_lshl_b32 s5, s83, 7
	s_and_saveexec_b32 s6, s2
	s_cbranch_execz .LBB52_71
; %bb.70:                               ;   in Loop: Header=BB52_8 Depth=1
	v_or_b32_e32 v12, s5, v34
	s_delay_alu instid0(VALU_DEP_1)
	v_lshlrev_b32_e32 v12, 3, v12
	ds_store_b128 v12, v[2:5] offset:3072
	ds_store_b128 v12, v[6:9] offset:3088
.LBB52_71:                              ;   in Loop: Header=BB52_8 Depth=1
	s_or_b32 exec_lo, exec_lo, s6
	s_waitcnt vmcnt(0) lgkmcnt(0)
	s_barrier
	buffer_gl0_inv
	s_and_saveexec_b32 s6, s33
	s_cbranch_execz .LBB52_82
; %bb.72:                               ;   in Loop: Header=BB52_8 Depth=1
	v_mov_b32_e32 v2, 0
	v_mov_b32_e32 v3, 0
	s_and_not1_b32 vcc_lo, exec_lo, s75
	s_cbranch_vccnz .LBB52_81
; %bb.73:                               ;   in Loop: Header=BB52_8 Depth=1
	v_mov_b32_e32 v2, 0
	v_mov_b32_e32 v3, 0
	s_and_not1_b32 vcc_lo, exec_lo, s73
	s_cbranch_vccnz .LBB52_78
; %bb.74:                               ;   in Loop: Header=BB52_8 Depth=1
	v_lshl_add_u32 v4, s83, 10, v40
	s_mov_b32 s7, 0
	s_set_inst_prefetch_distance 0x1
	.p2align	6
.LBB52_75:                              ;   Parent Loop BB52_8 Depth=1
                                        ; =>  This Inner Loop Header: Depth=2
	ds_load_2addr_b64 v[5:8], v4 offset1:4
	ds_load_2addr_b64 v[26:29], v4 offset0:8 offset1:12
	ds_load_2addr_b64 v[42:45], v4 offset0:16 offset1:20
	s_add_i32 s7, s7, 8
	s_delay_alu instid0(SALU_CYCLE_1) | instskip(SKIP_3) | instid1(VALU_DEP_2)
	s_cmp_eq_u32 s74, s7
	s_waitcnt lgkmcnt(2)
	v_add_co_u32 v2, vcc_lo, v5, v2
	v_add_co_ci_u32_e32 v3, vcc_lo, v6, v3, vcc_lo
	v_add_co_u32 v2, vcc_lo, v7, v2
	s_delay_alu instid0(VALU_DEP_2)
	v_add_co_ci_u32_e32 v3, vcc_lo, v8, v3, vcc_lo
	ds_load_2addr_b64 v[5:8], v4 offset0:24 offset1:28
	s_waitcnt lgkmcnt(2)
	v_add_co_u32 v2, vcc_lo, v26, v2
	v_add_co_ci_u32_e32 v3, vcc_lo, v27, v3, vcc_lo
	v_add_nc_u32_e32 v4, 0x100, v4
	s_delay_alu instid0(VALU_DEP_3) | instskip(NEXT) | instid1(VALU_DEP_3)
	v_add_co_u32 v2, vcc_lo, v28, v2
	v_add_co_ci_u32_e32 v3, vcc_lo, v29, v3, vcc_lo
	s_waitcnt lgkmcnt(1)
	s_delay_alu instid0(VALU_DEP_2) | instskip(NEXT) | instid1(VALU_DEP_2)
	v_add_co_u32 v2, vcc_lo, v42, v2
	v_add_co_ci_u32_e32 v3, vcc_lo, v43, v3, vcc_lo
	s_delay_alu instid0(VALU_DEP_2) | instskip(NEXT) | instid1(VALU_DEP_2)
	v_add_co_u32 v2, vcc_lo, v44, v2
	v_add_co_ci_u32_e32 v3, vcc_lo, v45, v3, vcc_lo
	s_waitcnt lgkmcnt(0)
	s_delay_alu instid0(VALU_DEP_2) | instskip(NEXT) | instid1(VALU_DEP_2)
	v_add_co_u32 v2, vcc_lo, v5, v2
	v_add_co_ci_u32_e32 v3, vcc_lo, v6, v3, vcc_lo
	s_delay_alu instid0(VALU_DEP_2) | instskip(NEXT) | instid1(VALU_DEP_2)
	v_add_co_u32 v2, vcc_lo, v7, v2
	v_add_co_ci_u32_e32 v3, vcc_lo, v8, v3, vcc_lo
	s_cbranch_scc0 .LBB52_75
; %bb.76:                               ;   in Loop: Header=BB52_8 Depth=1
	s_set_inst_prefetch_distance 0x2
	s_mov_b32 s7, s74
	s_and_not1_b32 vcc_lo, exec_lo, s76
	s_cbranch_vccz .LBB52_79
	s_branch .LBB52_81
.LBB52_77:                              ;   in Loop: Header=BB52_8 Depth=1
                                        ; implicit-def: $vgpr26_vgpr27
	s_branch .LBB52_45
.LBB52_78:                              ;   in Loop: Header=BB52_8 Depth=1
	s_mov_b32 s7, 0
	s_and_not1_b32 vcc_lo, exec_lo, s76
	s_cbranch_vccnz .LBB52_81
.LBB52_79:                              ;   in Loop: Header=BB52_8 Depth=1
	s_lshl_b32 s8, s83, 10
	s_lshl_b32 s7, s7, 5
	s_delay_alu instid0(SALU_CYCLE_1)
	v_add3_u32 v4, s8, s7, v40
	s_mov_b32 s7, s72
.LBB52_80:                              ;   Parent Loop BB52_8 Depth=1
                                        ; =>  This Inner Loop Header: Depth=2
	ds_load_b64 v[5:6], v4
	v_add_nc_u32_e32 v4, 32, v4
	s_add_i32 s7, s7, -1
	s_delay_alu instid0(SALU_CYCLE_1)
	s_cmp_lg_u32 s7, 0
	s_waitcnt lgkmcnt(0)
	v_add_co_u32 v2, vcc_lo, v5, v2
	v_add_co_ci_u32_e32 v3, vcc_lo, v6, v3, vcc_lo
	s_cbranch_scc1 .LBB52_80
.LBB52_81:                              ;   in Loop: Header=BB52_8 Depth=1
	v_add_lshl_u32 v4, s5, v32, 3
	ds_store_b64 v4, v[2:3] offset:3072
.LBB52_82:                              ;   in Loop: Header=BB52_8 Depth=1
	s_or_b32 exec_lo, exec_lo, s6
	s_lshl_b32 s5, s5, 3
	s_waitcnt lgkmcnt(0)
	v_mov_b32_e32 v6, s5
	s_barrier
	buffer_gl0_inv
	s_and_b32 s19, s81, 0xfe
	s_mov_b32 s21, -1
	ds_load_b128 v[2:5], v6 offset:3072
	ds_load_b128 v[6:9], v6 offset:3088
	s_lshl_b32 s18, 3, s19
	s_delay_alu instid0(SALU_CYCLE_1)
	s_not_b32 s20, s18
	s_waitcnt lgkmcnt(1)
	v_readfirstlane_b32 s13, v3
	v_readfirstlane_b32 s12, v2
	;; [unrolled: 1-line block ×4, first 2 shown]
	s_waitcnt lgkmcnt(0)
	v_readfirstlane_b32 s8, v6
	v_readfirstlane_b32 s9, v7
	s_cmp_eq_u64 s[12:13], 1
	v_readfirstlane_b32 s6, v8
	s_cselect_b32 s5, -1, 0
	s_cmp_eq_u64 s[38:39], 1
	s_cselect_b32 s7, -1, 0
	s_delay_alu instid0(SALU_CYCLE_1)
	s_and_b32 s22, s5, s7
	v_readfirstlane_b32 s7, v9
	s_and_b32 vcc_lo, exec_lo, s22
	s_cbranch_vccz .LBB52_97
; %bb.83:                               ;   in Loop: Header=BB52_8 Depth=1
	ds_load_b64 v[2:3], v13 offset:5120
	s_waitcnt lgkmcnt(0)
	s_barrier
	buffer_gl0_inv
	v_readfirstlane_b32 s14, v2
	v_readfirstlane_b32 s15, v3
	s_and_saveexec_b32 s5, s3
	s_cbranch_execz .LBB52_85
; %bb.84:                               ;   in Loop: Header=BB52_8 Depth=1
	ds_store_b32 v33, v13
.LBB52_85:                              ;   in Loop: Header=BB52_8 Depth=1
	s_or_b32 exec_lo, exec_lo, s5
	s_delay_alu instid0(VALU_DEP_1)
	v_cmp_lt_i64_e64 s5, s[14:15], 1
	s_and_b32 s88, s88, s20
	s_or_b32 s87, s87, s18
	s_waitcnt lgkmcnt(0)
	s_barrier
	buffer_gl0_inv
	s_and_b32 vcc_lo, exec_lo, s5
	s_cbranch_vccz .LBB52_98
; %bb.86:                               ;   in Loop: Header=BB52_8 Depth=1
	s_mov_b32 s24, s49
	s_delay_alu instid0(SALU_CYCLE_1)
	s_cmp_lg_u64 s[24:25], 0
	s_cbranch_scc0 .LBB52_143
; %bb.87:                               ;   in Loop: Header=BB52_8 Depth=1
	v_cvt_f32_u32_e32 v2, s27
	s_sub_u32 s17, 0, s27
	s_subb_u32 s23, 0, 0
	s_delay_alu instid0(VALU_DEP_1) | instskip(NEXT) | instid1(VALU_DEP_1)
	v_fmac_f32_e32 v2, 0x4f800000, v41
	v_rcp_f32_e32 v2, v2
	s_waitcnt_depctr 0xfff
	v_mul_f32_e32 v2, 0x5f7ffffc, v2
	s_delay_alu instid0(VALU_DEP_1) | instskip(NEXT) | instid1(VALU_DEP_1)
	v_mul_f32_e32 v3, 0x2f800000, v2
	v_trunc_f32_e32 v3, v3
	s_delay_alu instid0(VALU_DEP_1) | instskip(SKIP_1) | instid1(VALU_DEP_2)
	v_fmac_f32_e32 v2, 0xcf800000, v3
	v_cvt_u32_f32_e32 v3, v3
	v_cvt_u32_f32_e32 v2, v2
	s_delay_alu instid0(VALU_DEP_2) | instskip(NEXT) | instid1(VALU_DEP_2)
	v_readfirstlane_b32 s5, v3
	v_readfirstlane_b32 s16, v2
	s_delay_alu instid0(VALU_DEP_2) | instskip(NEXT) | instid1(VALU_DEP_1)
	s_mul_i32 s24, s17, s5
	s_mul_hi_u32 s56, s17, s16
	s_mul_i32 s48, s23, s16
	s_add_i32 s24, s56, s24
	s_mul_i32 s57, s17, s16
	s_add_i32 s24, s24, s48
	s_mul_hi_u32 s56, s16, s57
	s_mul_hi_u32 s58, s5, s57
	s_mul_i32 s48, s5, s57
	s_mul_hi_u32 s57, s16, s24
	s_mul_i32 s16, s16, s24
	s_mul_hi_u32 s59, s5, s24
	s_add_u32 s16, s56, s16
	s_addc_u32 s56, 0, s57
	s_add_u32 s16, s16, s48
	s_mul_i32 s24, s5, s24
	s_addc_u32 s16, s56, s58
	s_addc_u32 s48, s59, 0
	s_add_u32 s16, s16, s24
	s_addc_u32 s24, 0, s48
	v_add_co_u32 v2, s16, v2, s16
	s_delay_alu instid0(VALU_DEP_1) | instskip(SKIP_1) | instid1(VALU_DEP_1)
	s_cmp_lg_u32 s16, 0
	s_addc_u32 s5, s5, s24
	v_readfirstlane_b32 s16, v2
	s_mul_i32 s24, s17, s5
	s_delay_alu instid0(VALU_DEP_1)
	s_mul_hi_u32 s48, s17, s16
	s_mul_i32 s23, s23, s16
	s_add_i32 s24, s48, s24
	s_mul_i32 s17, s17, s16
	s_add_i32 s24, s24, s23
	s_mul_hi_u32 s48, s5, s17
	s_mul_i32 s56, s5, s17
	s_mul_hi_u32 s17, s16, s17
	s_mul_hi_u32 s57, s16, s24
	s_mul_i32 s16, s16, s24
	s_mul_hi_u32 s23, s5, s24
	s_add_u32 s16, s17, s16
	s_addc_u32 s17, 0, s57
	s_add_u32 s16, s16, s56
	s_mul_i32 s24, s5, s24
	s_addc_u32 s16, s17, s48
	s_addc_u32 s17, s23, 0
	s_add_u32 s16, s16, s24
	s_addc_u32 s17, 0, s17
	v_add_co_u32 v2, s16, v2, s16
	s_delay_alu instid0(VALU_DEP_1) | instskip(SKIP_2) | instid1(VALU_DEP_1)
	s_cmp_lg_u32 s16, 0
	s_addc_u32 s5, s5, s17
	s_ashr_i32 s16, s25, 31
	v_readfirstlane_b32 s23, v2
	s_add_u32 s56, s71, s16
	s_mov_b32 s17, s16
	s_addc_u32 s57, s25, s16
	s_delay_alu instid0(SALU_CYCLE_1) | instskip(NEXT) | instid1(SALU_CYCLE_1)
	s_xor_b64 s[56:57], s[56:57], s[16:17]
	s_mul_i32 s24, s56, s5
	s_mul_hi_u32 s48, s56, s23
	s_mul_hi_u32 s17, s56, s5
	;; [unrolled: 1-line block ×3, first 2 shown]
	s_mul_i32 s23, s57, s23
	s_add_u32 s24, s48, s24
	s_addc_u32 s17, 0, s17
	s_mul_hi_u32 s58, s57, s5
	s_add_u32 s23, s24, s23
	s_mul_i32 s5, s57, s5
	s_addc_u32 s17, s17, s59
	s_addc_u32 s23, s58, 0
	s_add_u32 s5, s17, s5
	s_addc_u32 s17, 0, s23
	s_mul_hi_u32 s23, s27, s5
	s_mul_i32 s5, s27, s5
	s_mul_i32 s17, s27, s17
	v_sub_co_u32 v2, s5, s56, s5
	s_add_i32 s23, s23, s17
	s_cmp_lg_u32 s5, 0
	s_delay_alu instid0(VALU_DEP_1) | instskip(SKIP_2) | instid1(VALU_DEP_1)
	v_sub_co_u32 v3, s5, v2, s27
	s_subb_u32 s17, s57, s23
	s_cmp_lg_u32 s5, 0
	v_cmp_le_u32_e32 vcc_lo, s27, v3
	v_sub_co_u32 v4, s5, v3, s27
	s_subb_u32 s23, s17, 0
	s_cmp_lg_u32 s5, 0
	v_cndmask_b32_e64 v5, 0, -1, vcc_lo
	s_subb_u32 s5, s23, 0
	s_cmp_eq_u32 s23, 0
	v_mov_b32_e32 v7, s5
	s_cselect_b32 vcc_lo, -1, 0
	s_cmp_eq_u32 s17, 0
	v_cndmask_b32_e32 v5, -1, v5, vcc_lo
	v_cmp_le_u32_e32 vcc_lo, s27, v2
	s_cselect_b32 s5, -1, 0
	v_cndmask_b32_e64 v6, 0, -1, vcc_lo
	s_delay_alu instid0(VALU_DEP_3) | instskip(NEXT) | instid1(VALU_DEP_2)
	v_cmp_ne_u32_e32 vcc_lo, 0, v5
	v_cndmask_b32_e64 v5, -1, v6, s5
	v_cndmask_b32_e32 v3, v3, v4, vcc_lo
	v_cndmask_b32_e32 v6, s23, v7, vcc_lo
	s_delay_alu instid0(VALU_DEP_3) | instskip(NEXT) | instid1(VALU_DEP_3)
	v_cmp_ne_u32_e32 vcc_lo, 0, v5
	v_cndmask_b32_e32 v2, v2, v3, vcc_lo
	s_delay_alu instid0(VALU_DEP_3) | instskip(NEXT) | instid1(VALU_DEP_2)
	v_cndmask_b32_e32 v4, s17, v6, vcc_lo
	v_xor_b32_e32 v2, s16, v2
	s_delay_alu instid0(VALU_DEP_2) | instskip(NEXT) | instid1(VALU_DEP_2)
	v_xor_b32_e32 v3, s16, v4
	v_sub_co_u32 v2, vcc_lo, v2, s16
	s_delay_alu instid0(VALU_DEP_2)
	v_subrev_co_ci_u32_e32 v3, vcc_lo, s16, v3, vcc_lo
	s_cbranch_execnz .LBB52_89
.LBB52_88:                              ;   in Loop: Header=BB52_8 Depth=1
	v_cvt_f32_u32_e32 v2, s27
	s_sub_i32 s5, 0, s27
	s_delay_alu instid0(VALU_DEP_1) | instskip(SKIP_2) | instid1(VALU_DEP_1)
	v_rcp_iflag_f32_e32 v2, v2
	s_waitcnt_depctr 0xfff
	v_mul_f32_e32 v2, 0x4f7ffffe, v2
	v_cvt_u32_f32_e32 v2, v2
	s_delay_alu instid0(VALU_DEP_1) | instskip(NEXT) | instid1(VALU_DEP_1)
	v_mul_lo_u32 v3, s5, v2
	v_mul_hi_u32 v3, v2, v3
	s_delay_alu instid0(VALU_DEP_1) | instskip(NEXT) | instid1(VALU_DEP_1)
	v_add_nc_u32_e32 v2, v2, v3
	v_mul_hi_u32 v2, s71, v2
	s_delay_alu instid0(VALU_DEP_1) | instskip(NEXT) | instid1(VALU_DEP_1)
	v_mul_lo_u32 v2, v2, s27
	v_sub_nc_u32_e32 v2, s71, v2
	s_delay_alu instid0(VALU_DEP_1) | instskip(SKIP_1) | instid1(VALU_DEP_2)
	v_subrev_nc_u32_e32 v3, s27, v2
	v_cmp_le_u32_e32 vcc_lo, s27, v2
	v_cndmask_b32_e32 v2, v2, v3, vcc_lo
	s_delay_alu instid0(VALU_DEP_1) | instskip(SKIP_1) | instid1(VALU_DEP_2)
	v_subrev_nc_u32_e32 v3, s27, v2
	v_cmp_le_u32_e32 vcc_lo, s27, v2
	v_cndmask_b32_e32 v12, v2, v3, vcc_lo
	s_delay_alu instid0(VALU_DEP_1)
	v_dual_mov_b32 v2, v12 :: v_dual_mov_b32 v3, v13
.LBB52_89:                              ;   in Loop: Header=BB52_8 Depth=1
	s_delay_alu instid0(VALU_DEP_1) | instskip(NEXT) | instid1(VALU_DEP_2)
	v_sub_co_u32 v2, vcc_lo, s71, v2
	v_sub_co_ci_u32_e32 v3, vcc_lo, s25, v3, vcc_lo
	s_mov_b32 s5, 0
	s_mov_b32 s16, exec_lo
                                        ; implicit-def: $vgpr25
	s_delay_alu instid0(VALU_DEP_1)
	v_cmpx_gt_i64_e64 v[2:3], v[0:1]
	s_cbranch_execz .LBB52_100
; %bb.90:                               ;   in Loop: Header=BB52_8 Depth=1
	v_dual_mov_b32 v4, v10 :: v_dual_mov_b32 v5, v11
	v_dual_mov_b32 v7, v1 :: v_dual_mov_b32 v6, v0
	s_mov_b32 s17, 0
                                        ; implicit-def: $sgpr23
	s_set_inst_prefetch_distance 0x1
	s_branch .LBB52_92
	.p2align	6
.LBB52_91:                              ;   in Loop: Header=BB52_92 Depth=2
	s_or_b32 exec_lo, exec_lo, s5
	s_waitcnt vmcnt(0) lgkmcnt(0)
	s_barrier
	buffer_gl0_inv
	ds_load_b64 v[24:25], v13 offset:3072
	v_add_co_u32 v6, vcc_lo, v6, s27
	v_add_co_ci_u32_e32 v7, vcc_lo, 0, v7, vcc_lo
	s_waitcnt lgkmcnt(0)
	s_barrier
	buffer_gl0_inv
	v_cmp_ge_i64_e32 vcc_lo, v[6:7], v[2:3]
	v_cmp_neq_f32_e64 s5, 0, v24
	s_delay_alu instid0(VALU_DEP_1)
	s_or_b32 s24, s5, vcc_lo
	v_add_co_u32 v4, vcc_lo, v4, s44
	s_and_b32 s24, exec_lo, s24
	v_add_co_ci_u32_e32 v5, vcc_lo, s45, v5, vcc_lo
	s_or_b32 s17, s24, s17
	s_and_not1_b32 s23, s23, exec_lo
	s_and_b32 s5, s5, exec_lo
	s_delay_alu instid0(SALU_CYCLE_1)
	s_or_b32 s23, s23, s5
	s_and_not1_b32 exec_lo, exec_lo, s17
	s_cbranch_execz .LBB52_99
.LBB52_92:                              ;   Parent Loop BB52_8 Depth=1
                                        ; =>  This Inner Loop Header: Depth=2
	s_delay_alu instid0(VALU_DEP_1)
	v_cmp_gt_i64_e32 vcc_lo, s[36:37], v[6:7]
	v_mov_b32_e32 v24, 0
	s_and_saveexec_b32 s5, vcc_lo
	s_cbranch_execz .LBB52_94
; %bb.93:                               ;   in Loop: Header=BB52_92 Depth=2
	global_load_b32 v24, v[4:5], off
.LBB52_94:                              ;   in Loop: Header=BB52_92 Depth=2
	s_or_b32 exec_lo, exec_lo, s5
	s_and_saveexec_b32 s5, vcc_lo
	s_cbranch_execz .LBB52_91
; %bb.95:                               ;   in Loop: Header=BB52_92 Depth=2
	s_waitcnt vmcnt(0)
	v_cmp_lt_i32_e32 vcc_lo, -1, v24
	v_cndmask_b32_e64 v8, -1, 0x80000000, vcc_lo
	v_cmp_o_f32_e32 vcc_lo, v24, v24
	s_delay_alu instid0(VALU_DEP_2) | instskip(NEXT) | instid1(VALU_DEP_1)
	v_xor_b32_e32 v8, v8, v24
	v_cndmask_b32_e32 v8, -1, v8, vcc_lo
	s_delay_alu instid0(VALU_DEP_1) | instskip(NEXT) | instid1(VALU_DEP_1)
	v_and_b32_e32 v8, s87, v8
	v_cmp_eq_u32_e32 vcc_lo, s88, v8
	s_and_b32 exec_lo, exec_lo, vcc_lo
	s_cbranch_execz .LBB52_91
; %bb.96:                               ;   in Loop: Header=BB52_92 Depth=2
	ds_store_b64 v13, v[23:24] offset:3072
	s_branch .LBB52_91
.LBB52_97:                              ;   in Loop: Header=BB52_8 Depth=1
	s_mov_b32 s5, -1
                                        ; implicit-def: $sgpr16
                                        ; implicit-def: $sgpr23
                                        ; implicit-def: $sgpr17
	s_branch .LBB52_114
.LBB52_98:                              ;   in Loop: Header=BB52_8 Depth=1
	s_mov_b32 s16, -1
	s_mov_b32 s5, 0
                                        ; implicit-def: $sgpr17
                                        ; implicit-def: $vgpr25
	s_mov_b32 s23, s16
	s_cbranch_execnz .LBB52_101
	s_branch .LBB52_114
.LBB52_99:                              ;   in Loop: Header=BB52_8 Depth=1
	s_set_inst_prefetch_distance 0x2
	s_or_b32 exec_lo, exec_lo, s17
	s_delay_alu instid0(SALU_CYCLE_1)
	s_and_b32 s5, s23, exec_lo
.LBB52_100:                             ;   in Loop: Header=BB52_8 Depth=1
	s_or_b32 exec_lo, exec_lo, s16
	s_mov_b32 s17, -1
	s_mov_b32 s16, 0
	s_delay_alu instid0(SALU_CYCLE_1)
	s_mov_b32 s23, s16
	s_branch .LBB52_114
.LBB52_101:                             ;   in Loop: Header=BB52_8 Depth=1
	s_add_u32 s23, s69, s14
	s_addc_u32 s17, s70, s15
	s_mov_b32 s16, s49
	s_delay_alu instid0(SALU_CYCLE_1)
	s_cmp_lg_u64 s[16:17], 0
	s_cbranch_scc0 .LBB52_144
; %bb.102:                              ;   in Loop: Header=BB52_8 Depth=1
	v_cvt_f32_u32_e32 v2, s27
	s_sub_u32 s24, 0, s27
	s_subb_u32 s48, 0, 0
	s_delay_alu instid0(VALU_DEP_1) | instskip(NEXT) | instid1(VALU_DEP_1)
	v_fmac_f32_e32 v2, 0x4f800000, v41
	v_rcp_f32_e32 v2, v2
	s_waitcnt_depctr 0xfff
	v_mul_f32_e32 v2, 0x5f7ffffc, v2
	s_delay_alu instid0(VALU_DEP_1) | instskip(NEXT) | instid1(VALU_DEP_1)
	v_mul_f32_e32 v3, 0x2f800000, v2
	v_trunc_f32_e32 v3, v3
	s_delay_alu instid0(VALU_DEP_1) | instskip(SKIP_1) | instid1(VALU_DEP_2)
	v_fmac_f32_e32 v2, 0xcf800000, v3
	v_cvt_u32_f32_e32 v3, v3
	v_cvt_u32_f32_e32 v2, v2
	s_delay_alu instid0(VALU_DEP_2) | instskip(NEXT) | instid1(VALU_DEP_2)
	v_readfirstlane_b32 s5, v3
	v_readfirstlane_b32 s16, v2
	s_delay_alu instid0(VALU_DEP_2) | instskip(NEXT) | instid1(VALU_DEP_1)
	s_mul_i32 s56, s24, s5
	s_mul_hi_u32 s58, s24, s16
	s_mul_i32 s57, s48, s16
	s_add_i32 s56, s58, s56
	s_mul_i32 s59, s24, s16
	s_add_i32 s56, s56, s57
	s_mul_hi_u32 s58, s16, s59
	s_mul_hi_u32 s60, s5, s59
	s_mul_i32 s57, s5, s59
	s_mul_hi_u32 s59, s16, s56
	s_mul_i32 s16, s16, s56
	s_mul_hi_u32 s61, s5, s56
	s_add_u32 s16, s58, s16
	s_addc_u32 s58, 0, s59
	s_add_u32 s16, s16, s57
	s_mul_i32 s56, s5, s56
	s_addc_u32 s16, s58, s60
	s_addc_u32 s57, s61, 0
	s_add_u32 s16, s16, s56
	s_addc_u32 s56, 0, s57
	v_add_co_u32 v2, s16, v2, s16
	s_delay_alu instid0(VALU_DEP_1) | instskip(SKIP_1) | instid1(VALU_DEP_1)
	s_cmp_lg_u32 s16, 0
	s_addc_u32 s5, s5, s56
	v_readfirstlane_b32 s16, v2
	s_mul_i32 s56, s24, s5
	s_delay_alu instid0(VALU_DEP_1)
	s_mul_hi_u32 s57, s24, s16
	s_mul_i32 s48, s48, s16
	s_add_i32 s56, s57, s56
	s_mul_i32 s24, s24, s16
	s_add_i32 s56, s56, s48
	s_mul_hi_u32 s57, s5, s24
	s_mul_i32 s58, s5, s24
	s_mul_hi_u32 s24, s16, s24
	s_mul_hi_u32 s59, s16, s56
	s_mul_i32 s16, s16, s56
	s_mul_hi_u32 s48, s5, s56
	s_add_u32 s16, s24, s16
	s_addc_u32 s24, 0, s59
	s_add_u32 s16, s16, s58
	s_mul_i32 s56, s5, s56
	s_addc_u32 s16, s24, s57
	s_addc_u32 s24, s48, 0
	s_add_u32 s16, s16, s56
	s_addc_u32 s24, 0, s24
	v_add_co_u32 v2, s16, v2, s16
	s_delay_alu instid0(VALU_DEP_1) | instskip(SKIP_2) | instid1(VALU_DEP_1)
	s_cmp_lg_u32 s16, 0
	s_addc_u32 s5, s5, s24
	s_ashr_i32 s56, s17, 31
	v_readfirstlane_b32 s16, v2
	s_add_u32 s58, s23, s56
	s_mov_b32 s57, s56
	s_addc_u32 s59, s17, s56
	s_delay_alu instid0(SALU_CYCLE_1) | instskip(NEXT) | instid1(SALU_CYCLE_1)
	s_xor_b64 s[58:59], s[58:59], s[56:57]
	s_mul_i32 s48, s58, s5
	s_mul_hi_u32 s57, s58, s16
	s_mul_hi_u32 s24, s58, s5
	;; [unrolled: 1-line block ×3, first 2 shown]
	s_mul_i32 s16, s59, s16
	s_add_u32 s48, s57, s48
	s_addc_u32 s24, 0, s24
	s_mul_hi_u32 s60, s59, s5
	s_add_u32 s16, s48, s16
	s_mul_i32 s5, s59, s5
	s_addc_u32 s16, s24, s61
	s_addc_u32 s24, s60, 0
	s_add_u32 s5, s16, s5
	s_addc_u32 s16, 0, s24
	s_mul_hi_u32 s24, s27, s5
	s_mul_i32 s5, s27, s5
	s_mul_i32 s16, s27, s16
	v_sub_co_u32 v2, s5, s58, s5
	s_add_i32 s24, s24, s16
	s_cmp_lg_u32 s5, 0
	s_delay_alu instid0(VALU_DEP_1) | instskip(SKIP_2) | instid1(VALU_DEP_1)
	v_sub_co_u32 v3, s5, v2, s27
	s_subb_u32 s16, s59, s24
	s_cmp_lg_u32 s5, 0
	v_cmp_le_u32_e32 vcc_lo, s27, v3
	v_sub_co_u32 v4, s5, v3, s27
	s_subb_u32 s24, s16, 0
	s_cmp_lg_u32 s5, 0
	v_cndmask_b32_e64 v5, 0, -1, vcc_lo
	s_subb_u32 s5, s24, 0
	s_cmp_eq_u32 s24, 0
	v_mov_b32_e32 v7, s5
	s_cselect_b32 vcc_lo, -1, 0
	s_cmp_eq_u32 s16, 0
	v_cndmask_b32_e32 v5, -1, v5, vcc_lo
	v_cmp_le_u32_e32 vcc_lo, s27, v2
	s_cselect_b32 s5, -1, 0
	v_cndmask_b32_e64 v6, 0, -1, vcc_lo
	s_delay_alu instid0(VALU_DEP_3) | instskip(NEXT) | instid1(VALU_DEP_2)
	v_cmp_ne_u32_e32 vcc_lo, 0, v5
	v_cndmask_b32_e64 v5, -1, v6, s5
	v_cndmask_b32_e32 v3, v3, v4, vcc_lo
	v_cndmask_b32_e32 v6, s24, v7, vcc_lo
	s_delay_alu instid0(VALU_DEP_3) | instskip(NEXT) | instid1(VALU_DEP_3)
	v_cmp_ne_u32_e32 vcc_lo, 0, v5
	v_cndmask_b32_e32 v2, v2, v3, vcc_lo
	s_delay_alu instid0(VALU_DEP_3) | instskip(NEXT) | instid1(VALU_DEP_2)
	v_cndmask_b32_e32 v4, s16, v6, vcc_lo
	v_xor_b32_e32 v2, s56, v2
	s_delay_alu instid0(VALU_DEP_2) | instskip(NEXT) | instid1(VALU_DEP_2)
	v_xor_b32_e32 v3, s56, v4
	v_sub_co_u32 v2, vcc_lo, v2, s56
	s_delay_alu instid0(VALU_DEP_2)
	v_subrev_co_ci_u32_e32 v3, vcc_lo, s56, v3, vcc_lo
	s_cbranch_execnz .LBB52_104
.LBB52_103:                             ;   in Loop: Header=BB52_8 Depth=1
	v_cvt_f32_u32_e32 v2, s27
	s_sub_i32 s5, 0, s27
	s_delay_alu instid0(VALU_DEP_1) | instskip(SKIP_2) | instid1(VALU_DEP_1)
	v_rcp_iflag_f32_e32 v2, v2
	s_waitcnt_depctr 0xfff
	v_mul_f32_e32 v2, 0x4f7ffffe, v2
	v_cvt_u32_f32_e32 v2, v2
	s_delay_alu instid0(VALU_DEP_1) | instskip(NEXT) | instid1(VALU_DEP_1)
	v_mul_lo_u32 v3, s5, v2
	v_mul_hi_u32 v3, v2, v3
	s_delay_alu instid0(VALU_DEP_1) | instskip(NEXT) | instid1(VALU_DEP_1)
	v_add_nc_u32_e32 v2, v2, v3
	v_mul_hi_u32 v2, s23, v2
	s_delay_alu instid0(VALU_DEP_1) | instskip(NEXT) | instid1(VALU_DEP_1)
	v_mul_lo_u32 v2, v2, s27
	v_sub_nc_u32_e32 v2, s23, v2
	s_delay_alu instid0(VALU_DEP_1) | instskip(SKIP_1) | instid1(VALU_DEP_2)
	v_subrev_nc_u32_e32 v3, s27, v2
	v_cmp_le_u32_e32 vcc_lo, s27, v2
	v_cndmask_b32_e32 v2, v2, v3, vcc_lo
	s_delay_alu instid0(VALU_DEP_1) | instskip(SKIP_1) | instid1(VALU_DEP_2)
	v_subrev_nc_u32_e32 v3, s27, v2
	v_cmp_le_u32_e32 vcc_lo, s27, v2
	v_cndmask_b32_e32 v12, v2, v3, vcc_lo
	s_delay_alu instid0(VALU_DEP_1)
	v_dual_mov_b32 v2, v12 :: v_dual_mov_b32 v3, v13
.LBB52_104:                             ;   in Loop: Header=BB52_8 Depth=1
	s_delay_alu instid0(VALU_DEP_1) | instskip(NEXT) | instid1(VALU_DEP_2)
	v_sub_co_u32 v2, vcc_lo, s23, v2
	v_sub_co_ci_u32_e32 v3, vcc_lo, s17, v3, vcc_lo
	s_mov_b32 s5, 0
	s_mov_b32 s16, exec_lo
                                        ; implicit-def: $vgpr25
	s_delay_alu instid0(VALU_DEP_1)
	v_cmpx_gt_i64_e64 v[2:3], v[0:1]
	s_cbranch_execz .LBB52_113
; %bb.105:                              ;   in Loop: Header=BB52_8 Depth=1
	v_dual_mov_b32 v6, v14 :: v_dual_mov_b32 v5, v1
	v_mov_b32_e32 v4, v0
	s_mov_b32 s17, 0
                                        ; implicit-def: $sgpr23
	s_set_inst_prefetch_distance 0x1
	s_branch .LBB52_107
	.p2align	6
.LBB52_106:                             ;   in Loop: Header=BB52_107 Depth=2
	s_or_b32 exec_lo, exec_lo, s5
	s_waitcnt lgkmcnt(0)
	s_barrier
	buffer_gl0_inv
	ds_load_b64 v[24:25], v13 offset:3072
	v_add_co_u32 v4, vcc_lo, v4, s27
	v_add_co_ci_u32_e32 v5, vcc_lo, 0, v5, vcc_lo
	v_add_nc_u32_e32 v6, s77, v6
	s_waitcnt lgkmcnt(0)
	s_barrier
	s_delay_alu instid0(VALU_DEP_2) | instskip(SKIP_2) | instid1(VALU_DEP_1)
	v_cmp_ge_i64_e32 vcc_lo, v[4:5], v[2:3]
	buffer_gl0_inv
	v_cmp_neq_f32_e64 s5, 0, v24
	s_or_b32 s24, s5, vcc_lo
	s_delay_alu instid0(SALU_CYCLE_1) | instskip(NEXT) | instid1(SALU_CYCLE_1)
	s_and_b32 s24, exec_lo, s24
	s_or_b32 s17, s24, s17
	s_and_not1_b32 s23, s23, exec_lo
	s_and_b32 s5, s5, exec_lo
	s_delay_alu instid0(SALU_CYCLE_1)
	s_or_b32 s23, s23, s5
	s_and_not1_b32 exec_lo, exec_lo, s17
	s_cbranch_execz .LBB52_112
.LBB52_107:                             ;   Parent Loop BB52_8 Depth=1
                                        ; =>  This Inner Loop Header: Depth=2
	s_delay_alu instid0(VALU_DEP_1)
	v_cmp_gt_i64_e32 vcc_lo, s[14:15], v[4:5]
	v_mov_b32_e32 v24, 0
	s_and_saveexec_b32 s5, vcc_lo
	s_cbranch_execz .LBB52_109
; %bb.108:                              ;   in Loop: Header=BB52_107 Depth=2
	ds_load_b32 v24, v6
.LBB52_109:                             ;   in Loop: Header=BB52_107 Depth=2
	s_or_b32 exec_lo, exec_lo, s5
	s_and_saveexec_b32 s5, vcc_lo
	s_cbranch_execz .LBB52_106
; %bb.110:                              ;   in Loop: Header=BB52_107 Depth=2
	s_waitcnt lgkmcnt(0)
	v_cmp_lt_i32_e32 vcc_lo, -1, v24
	v_cndmask_b32_e64 v7, -1, 0x80000000, vcc_lo
	v_cmp_o_f32_e32 vcc_lo, v24, v24
	s_delay_alu instid0(VALU_DEP_2) | instskip(NEXT) | instid1(VALU_DEP_1)
	v_xor_b32_e32 v7, v7, v24
	v_cndmask_b32_e32 v7, -1, v7, vcc_lo
	s_delay_alu instid0(VALU_DEP_1) | instskip(NEXT) | instid1(VALU_DEP_1)
	v_and_b32_e32 v7, s87, v7
	v_cmp_eq_u32_e32 vcc_lo, s88, v7
	s_and_b32 exec_lo, exec_lo, vcc_lo
	s_cbranch_execz .LBB52_106
; %bb.111:                              ;   in Loop: Header=BB52_107 Depth=2
	ds_store_b64 v13, v[23:24] offset:3072
	s_branch .LBB52_106
.LBB52_112:                             ;   in Loop: Header=BB52_8 Depth=1
	s_set_inst_prefetch_distance 0x2
	s_or_b32 exec_lo, exec_lo, s17
	s_delay_alu instid0(SALU_CYCLE_1)
	s_and_b32 s5, s23, exec_lo
.LBB52_113:                             ;   in Loop: Header=BB52_8 Depth=1
	s_or_b32 exec_lo, exec_lo, s16
	s_mov_b32 s23, -1
	s_mov_b32 s16, 0
	s_mov_b32 s17, 0
.LBB52_114:                             ;   in Loop: Header=BB52_8 Depth=1
	s_and_not1_b32 s14, s84, exec_lo
	s_and_b32 s15, s16, exec_lo
	s_and_not1_b32 s16, s85, exec_lo
	s_or_b32 s84, s14, s15
	s_and_not1_b32 s14, s86, exec_lo
	s_and_b32 s15, s23, exec_lo
	s_and_b32 s17, s17, exec_lo
	s_or_b32 s86, s14, s15
	s_or_b32 s85, s16, s17
	s_and_saveexec_b32 s16, s5
	s_cbranch_execz .LBB52_7
; %bb.115:                              ;   in Loop: Header=BB52_8 Depth=1
	s_xor_b32 s5, s22, -1
	s_delay_alu instid0(SALU_CYCLE_1)
	s_and_not1_b32 vcc_lo, exec_lo, s5
	s_mov_b32 s5, 1
	s_cbranch_vccnz .LBB52_126
; %bb.116:                              ;   in Loop: Header=BB52_8 Depth=1
	v_cmp_gt_i64_e64 s5, s[38:39], s[12:13]
	s_mov_b32 s14, -1
                                        ; implicit-def: $sgpr15
                                        ; implicit-def: $sgpr17
	s_delay_alu instid0(VALU_DEP_1)
	s_and_b32 vcc_lo, exec_lo, s5
                                        ; implicit-def: $sgpr5
	s_cbranch_vccnz .LBB52_122
; %bb.117:                              ;   in Loop: Header=BB52_8 Depth=1
	ds_load_b64 v[2:3], v13 offset:5120
	s_waitcnt lgkmcnt(0)
	v_cmp_ne_u64_e32 vcc_lo, 0, v[2:3]
	s_cbranch_vccnz .LBB52_121
; %bb.118:                              ;   in Loop: Header=BB52_8 Depth=1
	s_and_saveexec_b32 s5, s0
	s_cbranch_execz .LBB52_120
; %bb.119:                              ;   in Loop: Header=BB52_8 Depth=1
	v_dual_mov_b32 v2, s12 :: v_dual_mov_b32 v3, s13
	ds_store_b64 v13, v[2:3] offset:5128
.LBB52_120:                             ;   in Loop: Header=BB52_8 Depth=1
	s_or_b32 exec_lo, exec_lo, s5
	s_waitcnt lgkmcnt(0)
	s_barrier
	buffer_gl0_inv
.LBB52_121:                             ;   in Loop: Header=BB52_8 Depth=1
	s_and_b32 s15, s88, s20
	s_or_b32 s17, s87, s18
	s_mov_b32 s14, 0
	s_mov_b32 s5, 8
.LBB52_122:                             ;   in Loop: Header=BB52_8 Depth=1
	s_and_not1_b32 vcc_lo, exec_lo, s14
	s_cbranch_vccnz .LBB52_124
; %bb.123:                              ;   in Loop: Header=BB52_8 Depth=1
	s_sub_u32 s38, s38, s12
	s_subb_u32 s39, s39, s13
	s_mov_b32 s14, -1
	s_mov_b32 s5, 0
	s_mov_b32 s15, s88
	;; [unrolled: 1-line block ×3, first 2 shown]
.LBB52_124:                             ;   in Loop: Header=BB52_8 Depth=1
	s_delay_alu instid0(SALU_CYCLE_1)
	s_mov_b32 s87, s17
	s_mov_b32 s88, s15
	s_and_b32 vcc_lo, exec_lo, s14
	s_mov_b32 s17, -1
	s_cbranch_vccnz .LBB52_127
.LBB52_125:                             ;   in Loop: Header=BB52_8 Depth=1
	s_mov_b32 s12, -1
                                        ; implicit-def: $sgpr14
                                        ; implicit-def: $sgpr21
                                        ; implicit-def: $sgpr15
	s_delay_alu instid0(SALU_CYCLE_1) | instskip(NEXT) | instid1(SALU_CYCLE_1)
	s_and_saveexec_b32 s6, s12
	s_xor_b32 s6, exec_lo, s6
	s_cbranch_execz .LBB52_6
	s_branch .LBB52_273
.LBB52_126:                             ;   in Loop: Header=BB52_8 Depth=1
	s_mov_b64 s[38:39], 1
	s_mov_b32 s17, -1
	s_branch .LBB52_125
.LBB52_127:                             ;   in Loop: Header=BB52_8 Depth=1
	s_cmp_eq_u64 s[10:11], 1
	s_mov_b32 s24, -1
	s_cselect_b32 s5, -1, 0
	s_cmp_eq_u64 s[38:39], 1
	s_cselect_b32 s12, -1, 0
	s_delay_alu instid0(SALU_CYCLE_1) | instskip(NEXT) | instid1(SALU_CYCLE_1)
	s_and_b32 s23, s5, s12
	s_and_b32 vcc_lo, exec_lo, s23
	s_cbranch_vccz .LBB52_142
; %bb.128:                              ;   in Loop: Header=BB52_8 Depth=1
	ds_load_b64 v[2:3], v13 offset:5120
	s_waitcnt lgkmcnt(0)
	s_barrier
	buffer_gl0_inv
	v_readfirstlane_b32 s12, v2
	v_readfirstlane_b32 s13, v3
	s_and_saveexec_b32 s5, s3
	s_cbranch_execz .LBB52_130
; %bb.129:                              ;   in Loop: Header=BB52_8 Depth=1
	ds_store_b32 v33, v13
.LBB52_130:                             ;   in Loop: Header=BB52_8 Depth=1
	s_or_b32 exec_lo, exec_lo, s5
	s_delay_alu instid0(VALU_DEP_1)
	v_cmp_gt_i64_e64 s15, s[12:13], 0
	s_lshl_b32 s5, 1, s19
	s_and_b32 s14, s88, s20
	s_or_b32 s87, s87, s18
	s_or_b32 s88, s14, s5
	s_waitcnt lgkmcnt(0)
	s_and_b32 vcc_lo, exec_lo, s15
	s_barrier
	buffer_gl0_inv
	s_cbranch_vccnz .LBB52_145
; %bb.131:                              ;   in Loop: Header=BB52_8 Depth=1
	s_mov_b32 s24, s49
	s_delay_alu instid0(SALU_CYCLE_1)
	s_cmp_lg_u64 s[24:25], 0
	s_cbranch_scc0 .LBB52_190
; %bb.132:                              ;   in Loop: Header=BB52_8 Depth=1
	v_cvt_f32_u32_e32 v2, s27
	s_sub_u32 s15, 0, s27
	s_subb_u32 s21, 0, 0
	s_delay_alu instid0(VALU_DEP_1) | instskip(NEXT) | instid1(VALU_DEP_1)
	v_fmac_f32_e32 v2, 0x4f800000, v41
	v_rcp_f32_e32 v2, v2
	s_waitcnt_depctr 0xfff
	v_mul_f32_e32 v2, 0x5f7ffffc, v2
	s_delay_alu instid0(VALU_DEP_1) | instskip(NEXT) | instid1(VALU_DEP_1)
	v_mul_f32_e32 v3, 0x2f800000, v2
	v_trunc_f32_e32 v3, v3
	s_delay_alu instid0(VALU_DEP_1) | instskip(SKIP_1) | instid1(VALU_DEP_2)
	v_fmac_f32_e32 v2, 0xcf800000, v3
	v_cvt_u32_f32_e32 v3, v3
	v_cvt_u32_f32_e32 v2, v2
	s_delay_alu instid0(VALU_DEP_2) | instskip(NEXT) | instid1(VALU_DEP_2)
	v_readfirstlane_b32 s5, v3
	v_readfirstlane_b32 s14, v2
	s_delay_alu instid0(VALU_DEP_2) | instskip(NEXT) | instid1(VALU_DEP_1)
	s_mul_i32 s22, s15, s5
	s_mul_hi_u32 s48, s15, s14
	s_mul_i32 s24, s21, s14
	s_add_i32 s22, s48, s22
	s_mul_i32 s56, s15, s14
	s_add_i32 s22, s22, s24
	s_mul_hi_u32 s48, s14, s56
	s_mul_hi_u32 s57, s5, s56
	s_mul_i32 s24, s5, s56
	s_mul_hi_u32 s56, s14, s22
	s_mul_i32 s14, s14, s22
	s_mul_hi_u32 s58, s5, s22
	s_add_u32 s14, s48, s14
	s_addc_u32 s48, 0, s56
	s_add_u32 s14, s14, s24
	s_mul_i32 s22, s5, s22
	s_addc_u32 s14, s48, s57
	s_addc_u32 s24, s58, 0
	s_add_u32 s14, s14, s22
	s_addc_u32 s22, 0, s24
	v_add_co_u32 v2, s14, v2, s14
	s_delay_alu instid0(VALU_DEP_1) | instskip(SKIP_1) | instid1(VALU_DEP_1)
	s_cmp_lg_u32 s14, 0
	s_addc_u32 s5, s5, s22
	v_readfirstlane_b32 s14, v2
	s_mul_i32 s22, s15, s5
	s_delay_alu instid0(VALU_DEP_1)
	s_mul_hi_u32 s24, s15, s14
	s_mul_i32 s21, s21, s14
	s_add_i32 s22, s24, s22
	s_mul_i32 s15, s15, s14
	s_add_i32 s22, s22, s21
	s_mul_hi_u32 s24, s5, s15
	s_mul_i32 s48, s5, s15
	s_mul_hi_u32 s15, s14, s15
	s_mul_hi_u32 s56, s14, s22
	s_mul_i32 s14, s14, s22
	s_mul_hi_u32 s21, s5, s22
	s_add_u32 s14, s15, s14
	s_addc_u32 s15, 0, s56
	s_add_u32 s14, s14, s48
	s_mul_i32 s22, s5, s22
	s_addc_u32 s14, s15, s24
	s_addc_u32 s15, s21, 0
	s_add_u32 s14, s14, s22
	s_addc_u32 s15, 0, s15
	v_add_co_u32 v2, s14, v2, s14
	s_delay_alu instid0(VALU_DEP_1) | instskip(SKIP_2) | instid1(VALU_DEP_1)
	s_cmp_lg_u32 s14, 0
	s_addc_u32 s5, s5, s15
	s_ashr_i32 s14, s25, 31
	v_readfirstlane_b32 s21, v2
	s_add_u32 s56, s71, s14
	s_mov_b32 s15, s14
	s_addc_u32 s57, s25, s14
	s_delay_alu instid0(SALU_CYCLE_1) | instskip(NEXT) | instid1(SALU_CYCLE_1)
	s_xor_b64 s[56:57], s[56:57], s[14:15]
	s_mul_i32 s22, s56, s5
	s_mul_hi_u32 s24, s56, s21
	s_mul_hi_u32 s15, s56, s5
	;; [unrolled: 1-line block ×3, first 2 shown]
	s_mul_i32 s21, s57, s21
	s_add_u32 s22, s24, s22
	s_addc_u32 s15, 0, s15
	s_mul_hi_u32 s48, s57, s5
	s_add_u32 s21, s22, s21
	s_mul_i32 s5, s57, s5
	s_addc_u32 s15, s15, s58
	s_addc_u32 s21, s48, 0
	s_add_u32 s5, s15, s5
	s_addc_u32 s15, 0, s21
	s_mul_hi_u32 s21, s27, s5
	s_mul_i32 s5, s27, s5
	s_mul_i32 s15, s27, s15
	v_sub_co_u32 v2, s5, s56, s5
	s_add_i32 s21, s21, s15
	s_cmp_lg_u32 s5, 0
	s_delay_alu instid0(VALU_DEP_1) | instskip(SKIP_2) | instid1(VALU_DEP_1)
	v_sub_co_u32 v3, s5, v2, s27
	s_subb_u32 s15, s57, s21
	s_cmp_lg_u32 s5, 0
	v_cmp_le_u32_e32 vcc_lo, s27, v3
	v_sub_co_u32 v4, s5, v3, s27
	s_subb_u32 s21, s15, 0
	s_cmp_lg_u32 s5, 0
	v_cndmask_b32_e64 v5, 0, -1, vcc_lo
	s_subb_u32 s5, s21, 0
	s_cmp_eq_u32 s21, 0
	v_mov_b32_e32 v7, s5
	s_cselect_b32 vcc_lo, -1, 0
	s_cmp_eq_u32 s15, 0
	v_cndmask_b32_e32 v5, -1, v5, vcc_lo
	v_cmp_le_u32_e32 vcc_lo, s27, v2
	s_cselect_b32 s5, -1, 0
	v_cndmask_b32_e64 v6, 0, -1, vcc_lo
	s_delay_alu instid0(VALU_DEP_3) | instskip(NEXT) | instid1(VALU_DEP_2)
	v_cmp_ne_u32_e32 vcc_lo, 0, v5
	v_cndmask_b32_e64 v5, -1, v6, s5
	v_cndmask_b32_e32 v3, v3, v4, vcc_lo
	v_cndmask_b32_e32 v6, s21, v7, vcc_lo
	s_delay_alu instid0(VALU_DEP_3) | instskip(NEXT) | instid1(VALU_DEP_3)
	v_cmp_ne_u32_e32 vcc_lo, 0, v5
	v_cndmask_b32_e32 v2, v2, v3, vcc_lo
	s_delay_alu instid0(VALU_DEP_3) | instskip(NEXT) | instid1(VALU_DEP_2)
	v_cndmask_b32_e32 v4, s15, v6, vcc_lo
	v_xor_b32_e32 v2, s14, v2
	s_delay_alu instid0(VALU_DEP_2) | instskip(NEXT) | instid1(VALU_DEP_2)
	v_xor_b32_e32 v3, s14, v4
	v_sub_co_u32 v2, vcc_lo, v2, s14
	s_delay_alu instid0(VALU_DEP_2)
	v_subrev_co_ci_u32_e32 v3, vcc_lo, s14, v3, vcc_lo
	s_cbranch_execnz .LBB52_134
.LBB52_133:                             ;   in Loop: Header=BB52_8 Depth=1
	v_cvt_f32_u32_e32 v2, s27
	s_sub_i32 s5, 0, s27
	s_delay_alu instid0(VALU_DEP_1) | instskip(SKIP_2) | instid1(VALU_DEP_1)
	v_rcp_iflag_f32_e32 v2, v2
	s_waitcnt_depctr 0xfff
	v_mul_f32_e32 v2, 0x4f7ffffe, v2
	v_cvt_u32_f32_e32 v2, v2
	s_delay_alu instid0(VALU_DEP_1) | instskip(NEXT) | instid1(VALU_DEP_1)
	v_mul_lo_u32 v3, s5, v2
	v_mul_hi_u32 v3, v2, v3
	s_delay_alu instid0(VALU_DEP_1) | instskip(NEXT) | instid1(VALU_DEP_1)
	v_add_nc_u32_e32 v2, v2, v3
	v_mul_hi_u32 v2, s71, v2
	s_delay_alu instid0(VALU_DEP_1) | instskip(NEXT) | instid1(VALU_DEP_1)
	v_mul_lo_u32 v2, v2, s27
	v_sub_nc_u32_e32 v2, s71, v2
	s_delay_alu instid0(VALU_DEP_1) | instskip(SKIP_1) | instid1(VALU_DEP_2)
	v_subrev_nc_u32_e32 v3, s27, v2
	v_cmp_le_u32_e32 vcc_lo, s27, v2
	v_cndmask_b32_e32 v2, v2, v3, vcc_lo
	s_delay_alu instid0(VALU_DEP_1) | instskip(SKIP_1) | instid1(VALU_DEP_2)
	v_subrev_nc_u32_e32 v3, s27, v2
	v_cmp_le_u32_e32 vcc_lo, s27, v2
	v_cndmask_b32_e32 v12, v2, v3, vcc_lo
	s_delay_alu instid0(VALU_DEP_1)
	v_dual_mov_b32 v2, v12 :: v_dual_mov_b32 v3, v13
.LBB52_134:                             ;   in Loop: Header=BB52_8 Depth=1
	s_delay_alu instid0(VALU_DEP_1) | instskip(NEXT) | instid1(VALU_DEP_2)
	v_sub_co_u32 v2, vcc_lo, s71, v2
	v_sub_co_ci_u32_e32 v3, vcc_lo, s25, v3, vcc_lo
	s_mov_b32 s24, 0
	s_mov_b32 s14, exec_lo
                                        ; implicit-def: $vgpr25
	s_delay_alu instid0(VALU_DEP_1)
	v_cmpx_gt_i64_e64 v[2:3], v[0:1]
	s_cbranch_execz .LBB52_147
; %bb.135:                              ;   in Loop: Header=BB52_8 Depth=1
	v_dual_mov_b32 v4, v10 :: v_dual_mov_b32 v5, v11
	v_dual_mov_b32 v7, v1 :: v_dual_mov_b32 v6, v0
	s_mov_b32 s15, 0
                                        ; implicit-def: $sgpr21
	s_set_inst_prefetch_distance 0x1
	s_branch .LBB52_137
	.p2align	6
.LBB52_136:                             ;   in Loop: Header=BB52_137 Depth=2
	s_or_b32 exec_lo, exec_lo, s5
	s_waitcnt vmcnt(0) lgkmcnt(0)
	s_barrier
	buffer_gl0_inv
	ds_load_b64 v[24:25], v13 offset:3072
	v_add_co_u32 v6, vcc_lo, v6, s27
	v_add_co_ci_u32_e32 v7, vcc_lo, 0, v7, vcc_lo
	s_waitcnt lgkmcnt(0)
	s_barrier
	buffer_gl0_inv
	v_cmp_ge_i64_e32 vcc_lo, v[6:7], v[2:3]
	v_cmp_neq_f32_e64 s5, 0, v24
	s_delay_alu instid0(VALU_DEP_1)
	s_or_b32 s22, s5, vcc_lo
	v_add_co_u32 v4, vcc_lo, v4, s44
	s_and_b32 s22, exec_lo, s22
	v_add_co_ci_u32_e32 v5, vcc_lo, s45, v5, vcc_lo
	s_or_b32 s15, s22, s15
	s_and_not1_b32 s21, s21, exec_lo
	s_and_b32 s5, s5, exec_lo
	s_delay_alu instid0(SALU_CYCLE_1)
	s_or_b32 s21, s21, s5
	s_and_not1_b32 exec_lo, exec_lo, s15
	s_cbranch_execz .LBB52_146
.LBB52_137:                             ;   Parent Loop BB52_8 Depth=1
                                        ; =>  This Inner Loop Header: Depth=2
	s_delay_alu instid0(VALU_DEP_1)
	v_cmp_gt_i64_e32 vcc_lo, s[36:37], v[6:7]
	v_mov_b32_e32 v24, 0
	s_and_saveexec_b32 s5, vcc_lo
	s_cbranch_execz .LBB52_139
; %bb.138:                              ;   in Loop: Header=BB52_137 Depth=2
	global_load_b32 v24, v[4:5], off
.LBB52_139:                             ;   in Loop: Header=BB52_137 Depth=2
	s_or_b32 exec_lo, exec_lo, s5
	s_and_saveexec_b32 s5, vcc_lo
	s_cbranch_execz .LBB52_136
; %bb.140:                              ;   in Loop: Header=BB52_137 Depth=2
	s_waitcnt vmcnt(0)
	v_cmp_lt_i32_e32 vcc_lo, -1, v24
	v_cndmask_b32_e64 v8, -1, 0x80000000, vcc_lo
	v_cmp_o_f32_e32 vcc_lo, v24, v24
	s_delay_alu instid0(VALU_DEP_2) | instskip(NEXT) | instid1(VALU_DEP_1)
	v_xor_b32_e32 v8, v8, v24
	v_cndmask_b32_e32 v8, -1, v8, vcc_lo
	s_delay_alu instid0(VALU_DEP_1) | instskip(NEXT) | instid1(VALU_DEP_1)
	v_and_b32_e32 v8, s87, v8
	v_cmp_eq_u32_e32 vcc_lo, s88, v8
	s_and_b32 exec_lo, exec_lo, vcc_lo
	s_cbranch_execz .LBB52_136
; %bb.141:                              ;   in Loop: Header=BB52_137 Depth=2
	ds_store_b64 v13, v[23:24] offset:3072
	s_branch .LBB52_136
.LBB52_142:                             ;   in Loop: Header=BB52_8 Depth=1
                                        ; implicit-def: $sgpr15
                                        ; implicit-def: $sgpr21
                                        ; implicit-def: $sgpr14
	s_branch .LBB52_161
.LBB52_143:                             ;   in Loop: Header=BB52_8 Depth=1
                                        ; implicit-def: $vgpr2_vgpr3
	s_branch .LBB52_88
.LBB52_144:                             ;   in Loop: Header=BB52_8 Depth=1
                                        ; implicit-def: $vgpr2_vgpr3
	s_branch .LBB52_103
.LBB52_145:                             ;   in Loop: Header=BB52_8 Depth=1
	s_mov_b32 s15, -1
	s_mov_b32 s24, 0
                                        ; implicit-def: $sgpr14
                                        ; implicit-def: $vgpr25
	s_mov_b32 s21, s15
	s_cbranch_execnz .LBB52_148
	s_branch .LBB52_161
.LBB52_146:                             ;   in Loop: Header=BB52_8 Depth=1
	s_set_inst_prefetch_distance 0x2
	s_or_b32 exec_lo, exec_lo, s15
	s_delay_alu instid0(SALU_CYCLE_1)
	s_and_b32 s24, s21, exec_lo
.LBB52_147:                             ;   in Loop: Header=BB52_8 Depth=1
	s_or_b32 exec_lo, exec_lo, s14
	s_mov_b32 s14, -1
	s_mov_b32 s15, 0
	s_delay_alu instid0(SALU_CYCLE_1)
	s_mov_b32 s21, s15
	s_branch .LBB52_161
.LBB52_148:                             ;   in Loop: Header=BB52_8 Depth=1
	s_add_u32 s21, s69, s12
	s_addc_u32 s15, s70, s13
	s_mov_b32 s14, s49
	s_delay_alu instid0(SALU_CYCLE_1)
	s_cmp_lg_u64 s[14:15], 0
	s_cbranch_scc0 .LBB52_191
; %bb.149:                              ;   in Loop: Header=BB52_8 Depth=1
	v_cvt_f32_u32_e32 v2, s27
	s_sub_u32 s22, 0, s27
	s_subb_u32 s24, 0, 0
	s_delay_alu instid0(VALU_DEP_1) | instskip(NEXT) | instid1(VALU_DEP_1)
	v_fmac_f32_e32 v2, 0x4f800000, v41
	v_rcp_f32_e32 v2, v2
	s_waitcnt_depctr 0xfff
	v_mul_f32_e32 v2, 0x5f7ffffc, v2
	s_delay_alu instid0(VALU_DEP_1) | instskip(NEXT) | instid1(VALU_DEP_1)
	v_mul_f32_e32 v3, 0x2f800000, v2
	v_trunc_f32_e32 v3, v3
	s_delay_alu instid0(VALU_DEP_1) | instskip(SKIP_1) | instid1(VALU_DEP_2)
	v_fmac_f32_e32 v2, 0xcf800000, v3
	v_cvt_u32_f32_e32 v3, v3
	v_cvt_u32_f32_e32 v2, v2
	s_delay_alu instid0(VALU_DEP_2) | instskip(NEXT) | instid1(VALU_DEP_2)
	v_readfirstlane_b32 s5, v3
	v_readfirstlane_b32 s14, v2
	s_delay_alu instid0(VALU_DEP_2) | instskip(NEXT) | instid1(VALU_DEP_1)
	s_mul_i32 s48, s22, s5
	s_mul_hi_u32 s57, s22, s14
	s_mul_i32 s56, s24, s14
	s_add_i32 s48, s57, s48
	s_mul_i32 s58, s22, s14
	s_add_i32 s48, s48, s56
	s_mul_hi_u32 s57, s14, s58
	s_mul_hi_u32 s59, s5, s58
	s_mul_i32 s56, s5, s58
	s_mul_hi_u32 s58, s14, s48
	s_mul_i32 s14, s14, s48
	s_mul_hi_u32 s60, s5, s48
	s_add_u32 s14, s57, s14
	s_addc_u32 s57, 0, s58
	s_add_u32 s14, s14, s56
	s_mul_i32 s48, s5, s48
	s_addc_u32 s14, s57, s59
	s_addc_u32 s56, s60, 0
	s_add_u32 s14, s14, s48
	s_addc_u32 s48, 0, s56
	v_add_co_u32 v2, s14, v2, s14
	s_delay_alu instid0(VALU_DEP_1) | instskip(SKIP_1) | instid1(VALU_DEP_1)
	s_cmp_lg_u32 s14, 0
	s_addc_u32 s5, s5, s48
	v_readfirstlane_b32 s14, v2
	s_mul_i32 s48, s22, s5
	s_delay_alu instid0(VALU_DEP_1)
	s_mul_hi_u32 s56, s22, s14
	s_mul_i32 s24, s24, s14
	s_add_i32 s48, s56, s48
	s_mul_i32 s22, s22, s14
	s_add_i32 s48, s48, s24
	s_mul_hi_u32 s56, s5, s22
	s_mul_i32 s57, s5, s22
	s_mul_hi_u32 s22, s14, s22
	s_mul_hi_u32 s58, s14, s48
	s_mul_i32 s14, s14, s48
	s_mul_hi_u32 s24, s5, s48
	s_add_u32 s14, s22, s14
	s_addc_u32 s22, 0, s58
	s_add_u32 s14, s14, s57
	s_mul_i32 s48, s5, s48
	s_addc_u32 s14, s22, s56
	s_addc_u32 s22, s24, 0
	s_add_u32 s14, s14, s48
	s_addc_u32 s22, 0, s22
	v_add_co_u32 v2, s14, v2, s14
	s_delay_alu instid0(VALU_DEP_1) | instskip(SKIP_2) | instid1(VALU_DEP_1)
	s_cmp_lg_u32 s14, 0
	s_addc_u32 s5, s5, s22
	s_ashr_i32 s56, s15, 31
	v_readfirstlane_b32 s14, v2
	s_add_u32 s58, s21, s56
	s_mov_b32 s57, s56
	s_addc_u32 s59, s15, s56
	s_delay_alu instid0(SALU_CYCLE_1) | instskip(NEXT) | instid1(SALU_CYCLE_1)
	s_xor_b64 s[58:59], s[58:59], s[56:57]
	s_mul_i32 s24, s58, s5
	s_mul_hi_u32 s48, s58, s14
	s_mul_hi_u32 s22, s58, s5
	;; [unrolled: 1-line block ×3, first 2 shown]
	s_mul_i32 s14, s59, s14
	s_add_u32 s24, s48, s24
	s_addc_u32 s22, 0, s22
	s_mul_hi_u32 s57, s59, s5
	s_add_u32 s14, s24, s14
	s_mul_i32 s5, s59, s5
	s_addc_u32 s14, s22, s60
	s_addc_u32 s22, s57, 0
	s_add_u32 s5, s14, s5
	s_addc_u32 s14, 0, s22
	s_mul_hi_u32 s22, s27, s5
	s_mul_i32 s5, s27, s5
	s_mul_i32 s14, s27, s14
	v_sub_co_u32 v2, s5, s58, s5
	s_add_i32 s22, s22, s14
	s_cmp_lg_u32 s5, 0
	s_delay_alu instid0(VALU_DEP_1) | instskip(SKIP_2) | instid1(VALU_DEP_1)
	v_sub_co_u32 v3, s5, v2, s27
	s_subb_u32 s14, s59, s22
	s_cmp_lg_u32 s5, 0
	v_cmp_le_u32_e32 vcc_lo, s27, v3
	v_sub_co_u32 v4, s5, v3, s27
	s_subb_u32 s22, s14, 0
	s_cmp_lg_u32 s5, 0
	v_cndmask_b32_e64 v5, 0, -1, vcc_lo
	s_subb_u32 s5, s22, 0
	s_cmp_eq_u32 s22, 0
	v_mov_b32_e32 v7, s5
	s_cselect_b32 vcc_lo, -1, 0
	s_cmp_eq_u32 s14, 0
	v_cndmask_b32_e32 v5, -1, v5, vcc_lo
	v_cmp_le_u32_e32 vcc_lo, s27, v2
	s_cselect_b32 s5, -1, 0
	v_cndmask_b32_e64 v6, 0, -1, vcc_lo
	s_delay_alu instid0(VALU_DEP_3) | instskip(NEXT) | instid1(VALU_DEP_2)
	v_cmp_ne_u32_e32 vcc_lo, 0, v5
	v_cndmask_b32_e64 v5, -1, v6, s5
	v_cndmask_b32_e32 v3, v3, v4, vcc_lo
	v_cndmask_b32_e32 v6, s22, v7, vcc_lo
	s_delay_alu instid0(VALU_DEP_3) | instskip(NEXT) | instid1(VALU_DEP_3)
	v_cmp_ne_u32_e32 vcc_lo, 0, v5
	v_cndmask_b32_e32 v2, v2, v3, vcc_lo
	s_delay_alu instid0(VALU_DEP_3) | instskip(NEXT) | instid1(VALU_DEP_2)
	v_cndmask_b32_e32 v4, s14, v6, vcc_lo
	v_xor_b32_e32 v2, s56, v2
	s_delay_alu instid0(VALU_DEP_2) | instskip(NEXT) | instid1(VALU_DEP_2)
	v_xor_b32_e32 v3, s56, v4
	v_sub_co_u32 v2, vcc_lo, v2, s56
	s_delay_alu instid0(VALU_DEP_2)
	v_subrev_co_ci_u32_e32 v3, vcc_lo, s56, v3, vcc_lo
	s_cbranch_execnz .LBB52_151
.LBB52_150:                             ;   in Loop: Header=BB52_8 Depth=1
	v_cvt_f32_u32_e32 v2, s27
	s_sub_i32 s5, 0, s27
	s_delay_alu instid0(VALU_DEP_1) | instskip(SKIP_2) | instid1(VALU_DEP_1)
	v_rcp_iflag_f32_e32 v2, v2
	s_waitcnt_depctr 0xfff
	v_mul_f32_e32 v2, 0x4f7ffffe, v2
	v_cvt_u32_f32_e32 v2, v2
	s_delay_alu instid0(VALU_DEP_1) | instskip(NEXT) | instid1(VALU_DEP_1)
	v_mul_lo_u32 v3, s5, v2
	v_mul_hi_u32 v3, v2, v3
	s_delay_alu instid0(VALU_DEP_1) | instskip(NEXT) | instid1(VALU_DEP_1)
	v_add_nc_u32_e32 v2, v2, v3
	v_mul_hi_u32 v2, s21, v2
	s_delay_alu instid0(VALU_DEP_1) | instskip(NEXT) | instid1(VALU_DEP_1)
	v_mul_lo_u32 v2, v2, s27
	v_sub_nc_u32_e32 v2, s21, v2
	s_delay_alu instid0(VALU_DEP_1) | instskip(SKIP_1) | instid1(VALU_DEP_2)
	v_subrev_nc_u32_e32 v3, s27, v2
	v_cmp_le_u32_e32 vcc_lo, s27, v2
	v_cndmask_b32_e32 v2, v2, v3, vcc_lo
	s_delay_alu instid0(VALU_DEP_1) | instskip(SKIP_1) | instid1(VALU_DEP_2)
	v_subrev_nc_u32_e32 v3, s27, v2
	v_cmp_le_u32_e32 vcc_lo, s27, v2
	v_cndmask_b32_e32 v12, v2, v3, vcc_lo
	s_delay_alu instid0(VALU_DEP_1)
	v_dual_mov_b32 v2, v12 :: v_dual_mov_b32 v3, v13
.LBB52_151:                             ;   in Loop: Header=BB52_8 Depth=1
	s_delay_alu instid0(VALU_DEP_1) | instskip(NEXT) | instid1(VALU_DEP_2)
	v_sub_co_u32 v2, vcc_lo, s21, v2
	v_sub_co_ci_u32_e32 v3, vcc_lo, s15, v3, vcc_lo
	s_mov_b32 s24, 0
	s_mov_b32 s14, exec_lo
                                        ; implicit-def: $vgpr25
	s_delay_alu instid0(VALU_DEP_1)
	v_cmpx_gt_i64_e64 v[2:3], v[0:1]
	s_cbranch_execz .LBB52_160
; %bb.152:                              ;   in Loop: Header=BB52_8 Depth=1
	v_dual_mov_b32 v6, v14 :: v_dual_mov_b32 v5, v1
	v_mov_b32_e32 v4, v0
	s_mov_b32 s15, 0
                                        ; implicit-def: $sgpr21
	s_set_inst_prefetch_distance 0x1
	s_branch .LBB52_154
	.p2align	6
.LBB52_153:                             ;   in Loop: Header=BB52_154 Depth=2
	s_or_b32 exec_lo, exec_lo, s5
	s_waitcnt lgkmcnt(0)
	s_barrier
	buffer_gl0_inv
	ds_load_b64 v[24:25], v13 offset:3072
	v_add_co_u32 v4, vcc_lo, v4, s27
	v_add_co_ci_u32_e32 v5, vcc_lo, 0, v5, vcc_lo
	v_add_nc_u32_e32 v6, s77, v6
	s_waitcnt lgkmcnt(0)
	s_barrier
	s_delay_alu instid0(VALU_DEP_2) | instskip(SKIP_2) | instid1(VALU_DEP_1)
	v_cmp_ge_i64_e32 vcc_lo, v[4:5], v[2:3]
	buffer_gl0_inv
	v_cmp_neq_f32_e64 s5, 0, v24
	s_or_b32 s22, s5, vcc_lo
	s_delay_alu instid0(SALU_CYCLE_1) | instskip(NEXT) | instid1(SALU_CYCLE_1)
	s_and_b32 s22, exec_lo, s22
	s_or_b32 s15, s22, s15
	s_and_not1_b32 s21, s21, exec_lo
	s_and_b32 s5, s5, exec_lo
	s_delay_alu instid0(SALU_CYCLE_1)
	s_or_b32 s21, s21, s5
	s_and_not1_b32 exec_lo, exec_lo, s15
	s_cbranch_execz .LBB52_159
.LBB52_154:                             ;   Parent Loop BB52_8 Depth=1
                                        ; =>  This Inner Loop Header: Depth=2
	s_delay_alu instid0(VALU_DEP_1)
	v_cmp_gt_i64_e32 vcc_lo, s[12:13], v[4:5]
	v_mov_b32_e32 v24, 0
	s_and_saveexec_b32 s5, vcc_lo
	s_cbranch_execz .LBB52_156
; %bb.155:                              ;   in Loop: Header=BB52_154 Depth=2
	ds_load_b32 v24, v6
.LBB52_156:                             ;   in Loop: Header=BB52_154 Depth=2
	s_or_b32 exec_lo, exec_lo, s5
	s_and_saveexec_b32 s5, vcc_lo
	s_cbranch_execz .LBB52_153
; %bb.157:                              ;   in Loop: Header=BB52_154 Depth=2
	s_waitcnt lgkmcnt(0)
	v_cmp_lt_i32_e32 vcc_lo, -1, v24
	v_cndmask_b32_e64 v7, -1, 0x80000000, vcc_lo
	v_cmp_o_f32_e32 vcc_lo, v24, v24
	s_delay_alu instid0(VALU_DEP_2) | instskip(NEXT) | instid1(VALU_DEP_1)
	v_xor_b32_e32 v7, v7, v24
	v_cndmask_b32_e32 v7, -1, v7, vcc_lo
	s_delay_alu instid0(VALU_DEP_1) | instskip(NEXT) | instid1(VALU_DEP_1)
	v_and_b32_e32 v7, s87, v7
	v_cmp_eq_u32_e32 vcc_lo, s88, v7
	s_and_b32 exec_lo, exec_lo, vcc_lo
	s_cbranch_execz .LBB52_153
; %bb.158:                              ;   in Loop: Header=BB52_154 Depth=2
	ds_store_b64 v13, v[23:24] offset:3072
	s_branch .LBB52_153
.LBB52_159:                             ;   in Loop: Header=BB52_8 Depth=1
	s_set_inst_prefetch_distance 0x2
	s_or_b32 exec_lo, exec_lo, s15
	s_delay_alu instid0(SALU_CYCLE_1)
	s_and_b32 s24, s21, exec_lo
.LBB52_160:                             ;   in Loop: Header=BB52_8 Depth=1
	s_or_b32 exec_lo, exec_lo, s14
	s_mov_b32 s21, -1
	s_mov_b32 s15, 0
	s_mov_b32 s14, 0
.LBB52_161:                             ;   in Loop: Header=BB52_8 Depth=1
	s_mov_b32 s12, 0
                                        ; implicit-def: $sgpr5
	s_and_saveexec_b32 s22, s24
	s_cbranch_execz .LBB52_272
; %bb.162:                              ;   in Loop: Header=BB52_8 Depth=1
	s_xor_b32 s5, s23, -1
	s_delay_alu instid0(SALU_CYCLE_1)
	s_and_not1_b32 vcc_lo, exec_lo, s5
	s_mov_b32 s5, 1
	s_cbranch_vccnz .LBB52_173
; %bb.163:                              ;   in Loop: Header=BB52_8 Depth=1
	v_cmp_gt_i64_e64 s5, s[38:39], s[10:11]
	s_mov_b32 s12, -1
                                        ; implicit-def: $sgpr13
                                        ; implicit-def: $sgpr23
	s_delay_alu instid0(VALU_DEP_1)
	s_and_b32 vcc_lo, exec_lo, s5
                                        ; implicit-def: $sgpr5
	s_cbranch_vccnz .LBB52_169
; %bb.164:                              ;   in Loop: Header=BB52_8 Depth=1
	ds_load_b64 v[2:3], v13 offset:5120
	s_waitcnt lgkmcnt(0)
	v_cmp_ne_u64_e32 vcc_lo, 0, v[2:3]
	s_cbranch_vccnz .LBB52_168
; %bb.165:                              ;   in Loop: Header=BB52_8 Depth=1
	s_and_saveexec_b32 s5, s0
	s_cbranch_execz .LBB52_167
; %bb.166:                              ;   in Loop: Header=BB52_8 Depth=1
	v_dual_mov_b32 v2, s10 :: v_dual_mov_b32 v3, s11
	ds_store_b64 v13, v[2:3] offset:5128
.LBB52_167:                             ;   in Loop: Header=BB52_8 Depth=1
	s_or_b32 exec_lo, exec_lo, s5
	s_waitcnt lgkmcnt(0)
	s_barrier
	buffer_gl0_inv
.LBB52_168:                             ;   in Loop: Header=BB52_8 Depth=1
	s_lshl_b32 s5, 1, s19
	s_and_b32 s12, s88, s20
	s_or_b32 s23, s87, s18
	s_or_b32 s13, s12, s5
	s_mov_b32 s12, 0
	s_mov_b32 s5, 8
.LBB52_169:                             ;   in Loop: Header=BB52_8 Depth=1
	s_and_not1_b32 vcc_lo, exec_lo, s12
	s_cbranch_vccnz .LBB52_171
; %bb.170:                              ;   in Loop: Header=BB52_8 Depth=1
	s_sub_u32 s38, s38, s10
	s_subb_u32 s39, s39, s11
	s_mov_b32 s12, -1
	s_mov_b32 s5, 0
	s_mov_b32 s13, s88
	;; [unrolled: 1-line block ×3, first 2 shown]
.LBB52_171:                             ;   in Loop: Header=BB52_8 Depth=1
	s_delay_alu instid0(SALU_CYCLE_1)
	s_mov_b32 s87, s23
	s_mov_b32 s88, s13
	s_and_not1_b32 vcc_lo, exec_lo, s12
	s_mov_b32 s10, -1
	s_cbranch_vccz .LBB52_174
.LBB52_172:                             ;   in Loop: Header=BB52_8 Depth=1
                                        ; implicit-def: $sgpr13
                                        ; implicit-def: $sgpr23
                                        ; implicit-def: $sgpr12
	s_branch .LBB52_271
.LBB52_173:                             ;   in Loop: Header=BB52_8 Depth=1
	s_mov_b64 s[38:39], 1
	s_and_not1_b32 vcc_lo, exec_lo, s12
	s_mov_b32 s10, -1
	s_cbranch_vccnz .LBB52_172
.LBB52_174:                             ;   in Loop: Header=BB52_8 Depth=1
	s_cmp_eq_u64 s[8:9], 1
	s_mov_b32 s24, -1
	s_cselect_b32 s5, -1, 0
	s_cmp_eq_u64 s[38:39], 1
	s_cselect_b32 s10, -1, 0
	s_delay_alu instid0(SALU_CYCLE_1) | instskip(NEXT) | instid1(SALU_CYCLE_1)
	s_and_b32 s56, s5, s10
	s_and_b32 vcc_lo, exec_lo, s56
	s_cbranch_vccz .LBB52_189
; %bb.175:                              ;   in Loop: Header=BB52_8 Depth=1
	ds_load_b64 v[2:3], v13 offset:5120
	s_waitcnt lgkmcnt(0)
	s_barrier
	buffer_gl0_inv
	v_readfirstlane_b32 s10, v2
	v_readfirstlane_b32 s11, v3
	s_and_saveexec_b32 s5, s3
	s_cbranch_execz .LBB52_177
; %bb.176:                              ;   in Loop: Header=BB52_8 Depth=1
	ds_store_b32 v33, v13
.LBB52_177:                             ;   in Loop: Header=BB52_8 Depth=1
	s_or_b32 exec_lo, exec_lo, s5
	s_delay_alu instid0(VALU_DEP_1)
	v_cmp_gt_i64_e64 s13, s[10:11], 0
	s_lshl_b32 s5, 2, s19
	s_and_b32 s12, s88, s20
	s_or_b32 s87, s87, s18
	s_or_b32 s88, s12, s5
	s_waitcnt lgkmcnt(0)
	s_and_b32 vcc_lo, exec_lo, s13
	s_barrier
	buffer_gl0_inv
	s_cbranch_vccnz .LBB52_192
; %bb.178:                              ;   in Loop: Header=BB52_8 Depth=1
	s_mov_b32 s24, s49
	s_delay_alu instid0(SALU_CYCLE_1)
	s_cmp_lg_u64 s[24:25], 0
	s_cbranch_scc0 .LBB52_237
; %bb.179:                              ;   in Loop: Header=BB52_8 Depth=1
	v_cvt_f32_u32_e32 v2, s27
	s_sub_u32 s13, 0, s27
	s_subb_u32 s23, 0, 0
	s_delay_alu instid0(VALU_DEP_1) | instskip(NEXT) | instid1(VALU_DEP_1)
	v_fmac_f32_e32 v2, 0x4f800000, v41
	v_rcp_f32_e32 v2, v2
	s_waitcnt_depctr 0xfff
	v_mul_f32_e32 v2, 0x5f7ffffc, v2
	s_delay_alu instid0(VALU_DEP_1) | instskip(NEXT) | instid1(VALU_DEP_1)
	v_mul_f32_e32 v3, 0x2f800000, v2
	v_trunc_f32_e32 v3, v3
	s_delay_alu instid0(VALU_DEP_1) | instskip(SKIP_1) | instid1(VALU_DEP_2)
	v_fmac_f32_e32 v2, 0xcf800000, v3
	v_cvt_u32_f32_e32 v3, v3
	v_cvt_u32_f32_e32 v2, v2
	s_delay_alu instid0(VALU_DEP_2) | instskip(NEXT) | instid1(VALU_DEP_2)
	v_readfirstlane_b32 s5, v3
	v_readfirstlane_b32 s12, v2
	s_delay_alu instid0(VALU_DEP_2) | instskip(NEXT) | instid1(VALU_DEP_1)
	s_mul_i32 s24, s13, s5
	s_mul_hi_u32 s57, s13, s12
	s_mul_i32 s48, s23, s12
	s_add_i32 s24, s57, s24
	s_mul_i32 s58, s13, s12
	s_add_i32 s24, s24, s48
	s_mul_hi_u32 s57, s12, s58
	s_mul_hi_u32 s59, s5, s58
	s_mul_i32 s48, s5, s58
	s_mul_hi_u32 s58, s12, s24
	s_mul_i32 s12, s12, s24
	s_mul_hi_u32 s60, s5, s24
	s_add_u32 s12, s57, s12
	s_addc_u32 s57, 0, s58
	s_add_u32 s12, s12, s48
	s_mul_i32 s24, s5, s24
	s_addc_u32 s12, s57, s59
	s_addc_u32 s48, s60, 0
	s_add_u32 s12, s12, s24
	s_addc_u32 s24, 0, s48
	v_add_co_u32 v2, s12, v2, s12
	s_delay_alu instid0(VALU_DEP_1) | instskip(SKIP_1) | instid1(VALU_DEP_1)
	s_cmp_lg_u32 s12, 0
	s_addc_u32 s5, s5, s24
	v_readfirstlane_b32 s12, v2
	s_mul_i32 s24, s13, s5
	s_delay_alu instid0(VALU_DEP_1)
	s_mul_hi_u32 s48, s13, s12
	s_mul_i32 s23, s23, s12
	s_add_i32 s24, s48, s24
	s_mul_i32 s13, s13, s12
	s_add_i32 s24, s24, s23
	s_mul_hi_u32 s48, s5, s13
	s_mul_i32 s57, s5, s13
	s_mul_hi_u32 s13, s12, s13
	s_mul_hi_u32 s58, s12, s24
	s_mul_i32 s12, s12, s24
	s_mul_hi_u32 s23, s5, s24
	s_add_u32 s12, s13, s12
	s_addc_u32 s13, 0, s58
	s_add_u32 s12, s12, s57
	s_mul_i32 s24, s5, s24
	s_addc_u32 s12, s13, s48
	s_addc_u32 s13, s23, 0
	s_add_u32 s12, s12, s24
	s_addc_u32 s13, 0, s13
	v_add_co_u32 v2, s12, v2, s12
	s_delay_alu instid0(VALU_DEP_1) | instskip(SKIP_2) | instid1(VALU_DEP_1)
	s_cmp_lg_u32 s12, 0
	s_addc_u32 s5, s5, s13
	s_ashr_i32 s12, s25, 31
	v_readfirstlane_b32 s23, v2
	s_add_u32 s58, s71, s12
	s_mov_b32 s13, s12
	s_addc_u32 s59, s25, s12
	s_delay_alu instid0(SALU_CYCLE_1) | instskip(NEXT) | instid1(SALU_CYCLE_1)
	s_xor_b64 s[58:59], s[58:59], s[12:13]
	s_mul_i32 s24, s58, s5
	s_mul_hi_u32 s48, s58, s23
	s_mul_hi_u32 s13, s58, s5
	;; [unrolled: 1-line block ×3, first 2 shown]
	s_mul_i32 s23, s59, s23
	s_add_u32 s24, s48, s24
	s_addc_u32 s13, 0, s13
	s_mul_hi_u32 s57, s59, s5
	s_add_u32 s23, s24, s23
	s_mul_i32 s5, s59, s5
	s_addc_u32 s13, s13, s60
	s_addc_u32 s23, s57, 0
	s_add_u32 s5, s13, s5
	s_addc_u32 s13, 0, s23
	s_mul_hi_u32 s23, s27, s5
	s_mul_i32 s5, s27, s5
	s_mul_i32 s13, s27, s13
	v_sub_co_u32 v2, s5, s58, s5
	s_add_i32 s23, s23, s13
	s_cmp_lg_u32 s5, 0
	s_delay_alu instid0(VALU_DEP_1) | instskip(SKIP_2) | instid1(VALU_DEP_1)
	v_sub_co_u32 v3, s5, v2, s27
	s_subb_u32 s13, s59, s23
	s_cmp_lg_u32 s5, 0
	v_cmp_le_u32_e32 vcc_lo, s27, v3
	v_sub_co_u32 v4, s5, v3, s27
	s_subb_u32 s23, s13, 0
	s_cmp_lg_u32 s5, 0
	v_cndmask_b32_e64 v5, 0, -1, vcc_lo
	s_subb_u32 s5, s23, 0
	s_cmp_eq_u32 s23, 0
	v_mov_b32_e32 v7, s5
	s_cselect_b32 vcc_lo, -1, 0
	s_cmp_eq_u32 s13, 0
	v_cndmask_b32_e32 v5, -1, v5, vcc_lo
	v_cmp_le_u32_e32 vcc_lo, s27, v2
	s_cselect_b32 s5, -1, 0
	v_cndmask_b32_e64 v6, 0, -1, vcc_lo
	s_delay_alu instid0(VALU_DEP_3) | instskip(NEXT) | instid1(VALU_DEP_2)
	v_cmp_ne_u32_e32 vcc_lo, 0, v5
	v_cndmask_b32_e64 v5, -1, v6, s5
	v_cndmask_b32_e32 v3, v3, v4, vcc_lo
	v_cndmask_b32_e32 v6, s23, v7, vcc_lo
	s_delay_alu instid0(VALU_DEP_3) | instskip(NEXT) | instid1(VALU_DEP_3)
	v_cmp_ne_u32_e32 vcc_lo, 0, v5
	v_cndmask_b32_e32 v2, v2, v3, vcc_lo
	s_delay_alu instid0(VALU_DEP_3) | instskip(NEXT) | instid1(VALU_DEP_2)
	v_cndmask_b32_e32 v4, s13, v6, vcc_lo
	v_xor_b32_e32 v2, s12, v2
	s_delay_alu instid0(VALU_DEP_2) | instskip(NEXT) | instid1(VALU_DEP_2)
	v_xor_b32_e32 v3, s12, v4
	v_sub_co_u32 v2, vcc_lo, v2, s12
	s_delay_alu instid0(VALU_DEP_2)
	v_subrev_co_ci_u32_e32 v3, vcc_lo, s12, v3, vcc_lo
	s_cbranch_execnz .LBB52_181
.LBB52_180:                             ;   in Loop: Header=BB52_8 Depth=1
	v_cvt_f32_u32_e32 v2, s27
	s_sub_i32 s5, 0, s27
	s_delay_alu instid0(VALU_DEP_1) | instskip(SKIP_2) | instid1(VALU_DEP_1)
	v_rcp_iflag_f32_e32 v2, v2
	s_waitcnt_depctr 0xfff
	v_mul_f32_e32 v2, 0x4f7ffffe, v2
	v_cvt_u32_f32_e32 v2, v2
	s_delay_alu instid0(VALU_DEP_1) | instskip(NEXT) | instid1(VALU_DEP_1)
	v_mul_lo_u32 v3, s5, v2
	v_mul_hi_u32 v3, v2, v3
	s_delay_alu instid0(VALU_DEP_1) | instskip(NEXT) | instid1(VALU_DEP_1)
	v_add_nc_u32_e32 v2, v2, v3
	v_mul_hi_u32 v2, s71, v2
	s_delay_alu instid0(VALU_DEP_1) | instskip(NEXT) | instid1(VALU_DEP_1)
	v_mul_lo_u32 v2, v2, s27
	v_sub_nc_u32_e32 v2, s71, v2
	s_delay_alu instid0(VALU_DEP_1) | instskip(SKIP_1) | instid1(VALU_DEP_2)
	v_subrev_nc_u32_e32 v3, s27, v2
	v_cmp_le_u32_e32 vcc_lo, s27, v2
	v_cndmask_b32_e32 v2, v2, v3, vcc_lo
	s_delay_alu instid0(VALU_DEP_1) | instskip(SKIP_1) | instid1(VALU_DEP_2)
	v_subrev_nc_u32_e32 v3, s27, v2
	v_cmp_le_u32_e32 vcc_lo, s27, v2
	v_cndmask_b32_e32 v12, v2, v3, vcc_lo
	s_delay_alu instid0(VALU_DEP_1)
	v_dual_mov_b32 v2, v12 :: v_dual_mov_b32 v3, v13
.LBB52_181:                             ;   in Loop: Header=BB52_8 Depth=1
	s_delay_alu instid0(VALU_DEP_1) | instskip(NEXT) | instid1(VALU_DEP_2)
	v_sub_co_u32 v2, vcc_lo, s71, v2
	v_sub_co_ci_u32_e32 v3, vcc_lo, s25, v3, vcc_lo
	s_mov_b32 s24, 0
	s_mov_b32 s12, exec_lo
                                        ; implicit-def: $vgpr25
	s_delay_alu instid0(VALU_DEP_1)
	v_cmpx_gt_i64_e64 v[2:3], v[0:1]
	s_cbranch_execz .LBB52_194
; %bb.182:                              ;   in Loop: Header=BB52_8 Depth=1
	v_dual_mov_b32 v4, v10 :: v_dual_mov_b32 v5, v11
	v_dual_mov_b32 v7, v1 :: v_dual_mov_b32 v6, v0
	s_mov_b32 s13, 0
                                        ; implicit-def: $sgpr23
	s_set_inst_prefetch_distance 0x1
	s_branch .LBB52_184
	.p2align	6
.LBB52_183:                             ;   in Loop: Header=BB52_184 Depth=2
	s_or_b32 exec_lo, exec_lo, s5
	s_waitcnt vmcnt(0) lgkmcnt(0)
	s_barrier
	buffer_gl0_inv
	ds_load_b64 v[24:25], v13 offset:3072
	v_add_co_u32 v6, vcc_lo, v6, s27
	v_add_co_ci_u32_e32 v7, vcc_lo, 0, v7, vcc_lo
	s_waitcnt lgkmcnt(0)
	s_barrier
	buffer_gl0_inv
	v_cmp_ge_i64_e32 vcc_lo, v[6:7], v[2:3]
	v_cmp_neq_f32_e64 s5, 0, v24
	s_delay_alu instid0(VALU_DEP_1)
	s_or_b32 s24, s5, vcc_lo
	v_add_co_u32 v4, vcc_lo, v4, s44
	s_and_b32 s24, exec_lo, s24
	v_add_co_ci_u32_e32 v5, vcc_lo, s45, v5, vcc_lo
	s_or_b32 s13, s24, s13
	s_and_not1_b32 s23, s23, exec_lo
	s_and_b32 s5, s5, exec_lo
	s_delay_alu instid0(SALU_CYCLE_1)
	s_or_b32 s23, s23, s5
	s_and_not1_b32 exec_lo, exec_lo, s13
	s_cbranch_execz .LBB52_193
.LBB52_184:                             ;   Parent Loop BB52_8 Depth=1
                                        ; =>  This Inner Loop Header: Depth=2
	s_delay_alu instid0(VALU_DEP_1)
	v_cmp_gt_i64_e32 vcc_lo, s[36:37], v[6:7]
	v_mov_b32_e32 v24, 0
	s_and_saveexec_b32 s5, vcc_lo
	s_cbranch_execz .LBB52_186
; %bb.185:                              ;   in Loop: Header=BB52_184 Depth=2
	global_load_b32 v24, v[4:5], off
.LBB52_186:                             ;   in Loop: Header=BB52_184 Depth=2
	s_or_b32 exec_lo, exec_lo, s5
	s_and_saveexec_b32 s5, vcc_lo
	s_cbranch_execz .LBB52_183
; %bb.187:                              ;   in Loop: Header=BB52_184 Depth=2
	s_waitcnt vmcnt(0)
	v_cmp_lt_i32_e32 vcc_lo, -1, v24
	v_cndmask_b32_e64 v8, -1, 0x80000000, vcc_lo
	v_cmp_o_f32_e32 vcc_lo, v24, v24
	s_delay_alu instid0(VALU_DEP_2) | instskip(NEXT) | instid1(VALU_DEP_1)
	v_xor_b32_e32 v8, v8, v24
	v_cndmask_b32_e32 v8, -1, v8, vcc_lo
	s_delay_alu instid0(VALU_DEP_1) | instskip(NEXT) | instid1(VALU_DEP_1)
	v_and_b32_e32 v8, s87, v8
	v_cmp_eq_u32_e32 vcc_lo, s88, v8
	s_and_b32 exec_lo, exec_lo, vcc_lo
	s_cbranch_execz .LBB52_183
; %bb.188:                              ;   in Loop: Header=BB52_184 Depth=2
	ds_store_b64 v13, v[23:24] offset:3072
	s_branch .LBB52_183
.LBB52_189:                             ;   in Loop: Header=BB52_8 Depth=1
                                        ; implicit-def: $sgpr12
                                        ; implicit-def: $sgpr23
                                        ; implicit-def: $sgpr13
	s_branch .LBB52_208
.LBB52_190:                             ;   in Loop: Header=BB52_8 Depth=1
                                        ; implicit-def: $vgpr2_vgpr3
	s_branch .LBB52_133
.LBB52_191:                             ;   in Loop: Header=BB52_8 Depth=1
                                        ; implicit-def: $vgpr2_vgpr3
	s_branch .LBB52_150
.LBB52_192:                             ;   in Loop: Header=BB52_8 Depth=1
	s_mov_b32 s12, -1
	s_mov_b32 s24, 0
                                        ; implicit-def: $sgpr13
                                        ; implicit-def: $vgpr25
	s_mov_b32 s23, s12
	s_cbranch_execnz .LBB52_195
	s_branch .LBB52_208
.LBB52_193:                             ;   in Loop: Header=BB52_8 Depth=1
	s_set_inst_prefetch_distance 0x2
	s_or_b32 exec_lo, exec_lo, s13
	s_delay_alu instid0(SALU_CYCLE_1)
	s_and_b32 s24, s23, exec_lo
.LBB52_194:                             ;   in Loop: Header=BB52_8 Depth=1
	s_or_b32 exec_lo, exec_lo, s12
	s_mov_b32 s13, -1
	s_mov_b32 s12, 0
	s_delay_alu instid0(SALU_CYCLE_1)
	s_mov_b32 s23, s12
	s_branch .LBB52_208
.LBB52_195:                             ;   in Loop: Header=BB52_8 Depth=1
	s_add_u32 s23, s69, s10
	s_addc_u32 s13, s70, s11
	s_mov_b32 s12, s49
	s_delay_alu instid0(SALU_CYCLE_1)
	s_cmp_lg_u64 s[12:13], 0
	s_cbranch_scc0 .LBB52_238
; %bb.196:                              ;   in Loop: Header=BB52_8 Depth=1
	v_cvt_f32_u32_e32 v2, s27
	s_sub_u32 s24, 0, s27
	s_subb_u32 s48, 0, 0
	s_delay_alu instid0(VALU_DEP_1) | instskip(NEXT) | instid1(VALU_DEP_1)
	v_fmac_f32_e32 v2, 0x4f800000, v41
	v_rcp_f32_e32 v2, v2
	s_waitcnt_depctr 0xfff
	v_mul_f32_e32 v2, 0x5f7ffffc, v2
	s_delay_alu instid0(VALU_DEP_1) | instskip(NEXT) | instid1(VALU_DEP_1)
	v_mul_f32_e32 v3, 0x2f800000, v2
	v_trunc_f32_e32 v3, v3
	s_delay_alu instid0(VALU_DEP_1) | instskip(SKIP_1) | instid1(VALU_DEP_2)
	v_fmac_f32_e32 v2, 0xcf800000, v3
	v_cvt_u32_f32_e32 v3, v3
	v_cvt_u32_f32_e32 v2, v2
	s_delay_alu instid0(VALU_DEP_2) | instskip(NEXT) | instid1(VALU_DEP_2)
	v_readfirstlane_b32 s5, v3
	v_readfirstlane_b32 s12, v2
	s_delay_alu instid0(VALU_DEP_2) | instskip(NEXT) | instid1(VALU_DEP_1)
	s_mul_i32 s57, s24, s5
	s_mul_hi_u32 s59, s24, s12
	s_mul_i32 s58, s48, s12
	s_add_i32 s57, s59, s57
	s_mul_i32 s60, s24, s12
	s_add_i32 s57, s57, s58
	s_mul_hi_u32 s59, s12, s60
	s_mul_hi_u32 s61, s5, s60
	s_mul_i32 s58, s5, s60
	s_mul_hi_u32 s60, s12, s57
	s_mul_i32 s12, s12, s57
	s_mul_hi_u32 s62, s5, s57
	s_add_u32 s12, s59, s12
	s_addc_u32 s59, 0, s60
	s_add_u32 s12, s12, s58
	s_mul_i32 s57, s5, s57
	s_addc_u32 s12, s59, s61
	s_addc_u32 s58, s62, 0
	s_add_u32 s12, s12, s57
	s_addc_u32 s57, 0, s58
	v_add_co_u32 v2, s12, v2, s12
	s_delay_alu instid0(VALU_DEP_1) | instskip(SKIP_1) | instid1(VALU_DEP_1)
	s_cmp_lg_u32 s12, 0
	s_addc_u32 s5, s5, s57
	v_readfirstlane_b32 s12, v2
	s_mul_i32 s57, s24, s5
	s_delay_alu instid0(VALU_DEP_1)
	s_mul_hi_u32 s58, s24, s12
	s_mul_i32 s48, s48, s12
	s_add_i32 s57, s58, s57
	s_mul_i32 s24, s24, s12
	s_add_i32 s57, s57, s48
	s_mul_hi_u32 s58, s5, s24
	s_mul_i32 s59, s5, s24
	s_mul_hi_u32 s24, s12, s24
	s_mul_hi_u32 s60, s12, s57
	s_mul_i32 s12, s12, s57
	s_mul_hi_u32 s48, s5, s57
	s_add_u32 s12, s24, s12
	s_addc_u32 s24, 0, s60
	s_add_u32 s12, s12, s59
	s_mul_i32 s57, s5, s57
	s_addc_u32 s12, s24, s58
	s_addc_u32 s24, s48, 0
	s_add_u32 s12, s12, s57
	s_addc_u32 s24, 0, s24
	v_add_co_u32 v2, s12, v2, s12
	s_delay_alu instid0(VALU_DEP_1) | instskip(SKIP_2) | instid1(VALU_DEP_1)
	s_cmp_lg_u32 s12, 0
	s_addc_u32 s5, s5, s24
	s_ashr_i32 s58, s13, 31
	v_readfirstlane_b32 s12, v2
	s_add_u32 s60, s23, s58
	s_mov_b32 s59, s58
	s_addc_u32 s61, s13, s58
	s_delay_alu instid0(SALU_CYCLE_1) | instskip(NEXT) | instid1(SALU_CYCLE_1)
	s_xor_b64 s[60:61], s[60:61], s[58:59]
	s_mul_i32 s48, s60, s5
	s_mul_hi_u32 s57, s60, s12
	s_mul_hi_u32 s24, s60, s5
	;; [unrolled: 1-line block ×3, first 2 shown]
	s_mul_i32 s12, s61, s12
	s_add_u32 s48, s57, s48
	s_addc_u32 s24, 0, s24
	s_mul_hi_u32 s59, s61, s5
	s_add_u32 s12, s48, s12
	s_mul_i32 s5, s61, s5
	s_addc_u32 s12, s24, s62
	s_addc_u32 s24, s59, 0
	s_add_u32 s5, s12, s5
	s_addc_u32 s12, 0, s24
	s_mul_hi_u32 s24, s27, s5
	s_mul_i32 s5, s27, s5
	s_mul_i32 s12, s27, s12
	v_sub_co_u32 v2, s5, s60, s5
	s_add_i32 s24, s24, s12
	s_cmp_lg_u32 s5, 0
	s_delay_alu instid0(VALU_DEP_1) | instskip(SKIP_2) | instid1(VALU_DEP_1)
	v_sub_co_u32 v3, s5, v2, s27
	s_subb_u32 s12, s61, s24
	s_cmp_lg_u32 s5, 0
	v_cmp_le_u32_e32 vcc_lo, s27, v3
	v_sub_co_u32 v4, s5, v3, s27
	s_subb_u32 s24, s12, 0
	s_cmp_lg_u32 s5, 0
	v_cndmask_b32_e64 v5, 0, -1, vcc_lo
	s_subb_u32 s5, s24, 0
	s_cmp_eq_u32 s24, 0
	v_mov_b32_e32 v7, s5
	s_cselect_b32 vcc_lo, -1, 0
	s_cmp_eq_u32 s12, 0
	v_cndmask_b32_e32 v5, -1, v5, vcc_lo
	v_cmp_le_u32_e32 vcc_lo, s27, v2
	s_cselect_b32 s5, -1, 0
	v_cndmask_b32_e64 v6, 0, -1, vcc_lo
	s_delay_alu instid0(VALU_DEP_3) | instskip(NEXT) | instid1(VALU_DEP_2)
	v_cmp_ne_u32_e32 vcc_lo, 0, v5
	v_cndmask_b32_e64 v5, -1, v6, s5
	v_cndmask_b32_e32 v3, v3, v4, vcc_lo
	v_cndmask_b32_e32 v6, s24, v7, vcc_lo
	s_delay_alu instid0(VALU_DEP_3) | instskip(NEXT) | instid1(VALU_DEP_3)
	v_cmp_ne_u32_e32 vcc_lo, 0, v5
	v_cndmask_b32_e32 v2, v2, v3, vcc_lo
	s_delay_alu instid0(VALU_DEP_3) | instskip(NEXT) | instid1(VALU_DEP_2)
	v_cndmask_b32_e32 v4, s12, v6, vcc_lo
	v_xor_b32_e32 v2, s58, v2
	s_delay_alu instid0(VALU_DEP_2) | instskip(NEXT) | instid1(VALU_DEP_2)
	v_xor_b32_e32 v3, s58, v4
	v_sub_co_u32 v2, vcc_lo, v2, s58
	s_delay_alu instid0(VALU_DEP_2)
	v_subrev_co_ci_u32_e32 v3, vcc_lo, s58, v3, vcc_lo
	s_cbranch_execnz .LBB52_198
.LBB52_197:                             ;   in Loop: Header=BB52_8 Depth=1
	v_cvt_f32_u32_e32 v2, s27
	s_sub_i32 s5, 0, s27
	s_delay_alu instid0(VALU_DEP_1) | instskip(SKIP_2) | instid1(VALU_DEP_1)
	v_rcp_iflag_f32_e32 v2, v2
	s_waitcnt_depctr 0xfff
	v_mul_f32_e32 v2, 0x4f7ffffe, v2
	v_cvt_u32_f32_e32 v2, v2
	s_delay_alu instid0(VALU_DEP_1) | instskip(NEXT) | instid1(VALU_DEP_1)
	v_mul_lo_u32 v3, s5, v2
	v_mul_hi_u32 v3, v2, v3
	s_delay_alu instid0(VALU_DEP_1) | instskip(NEXT) | instid1(VALU_DEP_1)
	v_add_nc_u32_e32 v2, v2, v3
	v_mul_hi_u32 v2, s23, v2
	s_delay_alu instid0(VALU_DEP_1) | instskip(NEXT) | instid1(VALU_DEP_1)
	v_mul_lo_u32 v2, v2, s27
	v_sub_nc_u32_e32 v2, s23, v2
	s_delay_alu instid0(VALU_DEP_1) | instskip(SKIP_1) | instid1(VALU_DEP_2)
	v_subrev_nc_u32_e32 v3, s27, v2
	v_cmp_le_u32_e32 vcc_lo, s27, v2
	v_cndmask_b32_e32 v2, v2, v3, vcc_lo
	s_delay_alu instid0(VALU_DEP_1) | instskip(SKIP_1) | instid1(VALU_DEP_2)
	v_subrev_nc_u32_e32 v3, s27, v2
	v_cmp_le_u32_e32 vcc_lo, s27, v2
	v_cndmask_b32_e32 v12, v2, v3, vcc_lo
	s_delay_alu instid0(VALU_DEP_1)
	v_dual_mov_b32 v2, v12 :: v_dual_mov_b32 v3, v13
.LBB52_198:                             ;   in Loop: Header=BB52_8 Depth=1
	s_delay_alu instid0(VALU_DEP_1) | instskip(NEXT) | instid1(VALU_DEP_2)
	v_sub_co_u32 v2, vcc_lo, s23, v2
	v_sub_co_ci_u32_e32 v3, vcc_lo, s13, v3, vcc_lo
	s_mov_b32 s24, 0
	s_mov_b32 s12, exec_lo
                                        ; implicit-def: $vgpr25
	s_delay_alu instid0(VALU_DEP_1)
	v_cmpx_gt_i64_e64 v[2:3], v[0:1]
	s_cbranch_execz .LBB52_207
; %bb.199:                              ;   in Loop: Header=BB52_8 Depth=1
	v_dual_mov_b32 v6, v14 :: v_dual_mov_b32 v5, v1
	v_mov_b32_e32 v4, v0
	s_mov_b32 s13, 0
                                        ; implicit-def: $sgpr23
	s_set_inst_prefetch_distance 0x1
	s_branch .LBB52_201
	.p2align	6
.LBB52_200:                             ;   in Loop: Header=BB52_201 Depth=2
	s_or_b32 exec_lo, exec_lo, s5
	s_waitcnt lgkmcnt(0)
	s_barrier
	buffer_gl0_inv
	ds_load_b64 v[24:25], v13 offset:3072
	v_add_co_u32 v4, vcc_lo, v4, s27
	v_add_co_ci_u32_e32 v5, vcc_lo, 0, v5, vcc_lo
	v_add_nc_u32_e32 v6, s77, v6
	s_waitcnt lgkmcnt(0)
	s_barrier
	s_delay_alu instid0(VALU_DEP_2) | instskip(SKIP_2) | instid1(VALU_DEP_1)
	v_cmp_ge_i64_e32 vcc_lo, v[4:5], v[2:3]
	buffer_gl0_inv
	v_cmp_neq_f32_e64 s5, 0, v24
	s_or_b32 s24, s5, vcc_lo
	s_delay_alu instid0(SALU_CYCLE_1) | instskip(NEXT) | instid1(SALU_CYCLE_1)
	s_and_b32 s24, exec_lo, s24
	s_or_b32 s13, s24, s13
	s_and_not1_b32 s23, s23, exec_lo
	s_and_b32 s5, s5, exec_lo
	s_delay_alu instid0(SALU_CYCLE_1)
	s_or_b32 s23, s23, s5
	s_and_not1_b32 exec_lo, exec_lo, s13
	s_cbranch_execz .LBB52_206
.LBB52_201:                             ;   Parent Loop BB52_8 Depth=1
                                        ; =>  This Inner Loop Header: Depth=2
	s_delay_alu instid0(VALU_DEP_1)
	v_cmp_gt_i64_e32 vcc_lo, s[10:11], v[4:5]
	v_mov_b32_e32 v24, 0
	s_and_saveexec_b32 s5, vcc_lo
	s_cbranch_execz .LBB52_203
; %bb.202:                              ;   in Loop: Header=BB52_201 Depth=2
	ds_load_b32 v24, v6
.LBB52_203:                             ;   in Loop: Header=BB52_201 Depth=2
	s_or_b32 exec_lo, exec_lo, s5
	s_and_saveexec_b32 s5, vcc_lo
	s_cbranch_execz .LBB52_200
; %bb.204:                              ;   in Loop: Header=BB52_201 Depth=2
	s_waitcnt lgkmcnt(0)
	v_cmp_lt_i32_e32 vcc_lo, -1, v24
	v_cndmask_b32_e64 v7, -1, 0x80000000, vcc_lo
	v_cmp_o_f32_e32 vcc_lo, v24, v24
	s_delay_alu instid0(VALU_DEP_2) | instskip(NEXT) | instid1(VALU_DEP_1)
	v_xor_b32_e32 v7, v7, v24
	v_cndmask_b32_e32 v7, -1, v7, vcc_lo
	s_delay_alu instid0(VALU_DEP_1) | instskip(NEXT) | instid1(VALU_DEP_1)
	v_and_b32_e32 v7, s87, v7
	v_cmp_eq_u32_e32 vcc_lo, s88, v7
	s_and_b32 exec_lo, exec_lo, vcc_lo
	s_cbranch_execz .LBB52_200
; %bb.205:                              ;   in Loop: Header=BB52_201 Depth=2
	ds_store_b64 v13, v[23:24] offset:3072
	s_branch .LBB52_200
.LBB52_206:                             ;   in Loop: Header=BB52_8 Depth=1
	s_set_inst_prefetch_distance 0x2
	s_or_b32 exec_lo, exec_lo, s13
	s_delay_alu instid0(SALU_CYCLE_1)
	s_and_b32 s24, s23, exec_lo
.LBB52_207:                             ;   in Loop: Header=BB52_8 Depth=1
	s_or_b32 exec_lo, exec_lo, s12
	s_mov_b32 s23, -1
	s_mov_b32 s12, 0
	s_mov_b32 s13, 0
.LBB52_208:                             ;   in Loop: Header=BB52_8 Depth=1
	s_mov_b32 s10, 0
                                        ; implicit-def: $sgpr5
	s_and_saveexec_b32 s48, s24
	s_cbranch_execz .LBB52_270
; %bb.209:                              ;   in Loop: Header=BB52_8 Depth=1
	s_xor_b32 s5, s56, -1
	s_delay_alu instid0(SALU_CYCLE_1)
	s_and_not1_b32 vcc_lo, exec_lo, s5
	s_mov_b32 s5, 1
	s_cbranch_vccnz .LBB52_220
; %bb.210:                              ;   in Loop: Header=BB52_8 Depth=1
	v_cmp_gt_i64_e64 s5, s[38:39], s[8:9]
	s_mov_b32 s10, -1
                                        ; implicit-def: $sgpr11
                                        ; implicit-def: $sgpr24
	s_delay_alu instid0(VALU_DEP_1)
	s_and_b32 vcc_lo, exec_lo, s5
                                        ; implicit-def: $sgpr5
	s_cbranch_vccnz .LBB52_216
; %bb.211:                              ;   in Loop: Header=BB52_8 Depth=1
	ds_load_b64 v[2:3], v13 offset:5120
	s_waitcnt lgkmcnt(0)
	v_cmp_ne_u64_e32 vcc_lo, 0, v[2:3]
	s_cbranch_vccnz .LBB52_215
; %bb.212:                              ;   in Loop: Header=BB52_8 Depth=1
	s_and_saveexec_b32 s5, s0
	s_cbranch_execz .LBB52_214
; %bb.213:                              ;   in Loop: Header=BB52_8 Depth=1
	v_dual_mov_b32 v2, s8 :: v_dual_mov_b32 v3, s9
	ds_store_b64 v13, v[2:3] offset:5128
.LBB52_214:                             ;   in Loop: Header=BB52_8 Depth=1
	s_or_b32 exec_lo, exec_lo, s5
	s_waitcnt lgkmcnt(0)
	s_barrier
	buffer_gl0_inv
.LBB52_215:                             ;   in Loop: Header=BB52_8 Depth=1
	s_lshl_b32 s5, 2, s19
	s_and_b32 s10, s88, s20
	s_or_b32 s24, s87, s18
	s_or_b32 s11, s10, s5
	s_mov_b32 s10, 0
	s_mov_b32 s5, 8
.LBB52_216:                             ;   in Loop: Header=BB52_8 Depth=1
	s_and_not1_b32 vcc_lo, exec_lo, s10
	s_cbranch_vccnz .LBB52_218
; %bb.217:                              ;   in Loop: Header=BB52_8 Depth=1
	s_sub_u32 s38, s38, s8
	s_subb_u32 s39, s39, s9
	s_mov_b32 s10, -1
	s_mov_b32 s5, 0
	s_mov_b32 s11, s88
	;; [unrolled: 1-line block ×3, first 2 shown]
.LBB52_218:                             ;   in Loop: Header=BB52_8 Depth=1
	s_delay_alu instid0(SALU_CYCLE_1)
	s_mov_b32 s87, s24
	s_mov_b32 s88, s11
	s_and_not1_b32 vcc_lo, exec_lo, s10
	s_mov_b32 s57, -1
	s_cbranch_vccz .LBB52_221
.LBB52_219:                             ;   in Loop: Header=BB52_8 Depth=1
                                        ; implicit-def: $sgpr10
                                        ; implicit-def: $sgpr20
                                        ; implicit-def: $sgpr11
	s_branch .LBB52_269
.LBB52_220:                             ;   in Loop: Header=BB52_8 Depth=1
	s_mov_b64 s[38:39], 1
	s_and_not1_b32 vcc_lo, exec_lo, s10
	s_mov_b32 s57, -1
	s_cbranch_vccnz .LBB52_219
.LBB52_221:                             ;   in Loop: Header=BB52_8 Depth=1
	s_cmp_eq_u64 s[6:7], 1
	s_mov_b32 s24, -1
	s_cselect_b32 s5, -1, 0
	s_cmp_eq_u64 s[38:39], 1
	s_cselect_b32 s8, -1, 0
	s_delay_alu instid0(SALU_CYCLE_1) | instskip(NEXT) | instid1(SALU_CYCLE_1)
	s_and_b32 s19, s5, s8
	s_and_b32 vcc_lo, exec_lo, s19
	s_cbranch_vccz .LBB52_236
; %bb.222:                              ;   in Loop: Header=BB52_8 Depth=1
	ds_load_b64 v[2:3], v13 offset:5120
	s_waitcnt lgkmcnt(0)
	s_barrier
	buffer_gl0_inv
	v_readfirstlane_b32 s8, v2
	v_readfirstlane_b32 s9, v3
	s_and_saveexec_b32 s5, s3
	s_cbranch_execz .LBB52_224
; %bb.223:                              ;   in Loop: Header=BB52_8 Depth=1
	ds_store_b32 v33, v13
.LBB52_224:                             ;   in Loop: Header=BB52_8 Depth=1
	s_or_b32 exec_lo, exec_lo, s5
	s_delay_alu instid0(VALU_DEP_1)
	v_cmp_gt_i64_e64 s5, s[8:9], 0
	s_or_b32 s88, s88, s18
	s_or_b32 s87, s87, s18
	s_waitcnt lgkmcnt(0)
	s_barrier
	buffer_gl0_inv
	s_and_b32 vcc_lo, exec_lo, s5
	s_cbranch_vccnz .LBB52_239
; %bb.225:                              ;   in Loop: Header=BB52_8 Depth=1
	s_mov_b32 s24, s49
	s_delay_alu instid0(SALU_CYCLE_1)
	s_cmp_lg_u64 s[24:25], 0
	s_cbranch_scc0 .LBB52_275
; %bb.226:                              ;   in Loop: Header=BB52_8 Depth=1
	v_cvt_f32_u32_e32 v2, s27
	s_sub_u32 s11, 0, s27
	s_subb_u32 s20, 0, 0
	s_delay_alu instid0(VALU_DEP_1) | instskip(NEXT) | instid1(VALU_DEP_1)
	v_fmac_f32_e32 v2, 0x4f800000, v41
	v_rcp_f32_e32 v2, v2
	s_waitcnt_depctr 0xfff
	v_mul_f32_e32 v2, 0x5f7ffffc, v2
	s_delay_alu instid0(VALU_DEP_1) | instskip(NEXT) | instid1(VALU_DEP_1)
	v_mul_f32_e32 v3, 0x2f800000, v2
	v_trunc_f32_e32 v3, v3
	s_delay_alu instid0(VALU_DEP_1) | instskip(SKIP_1) | instid1(VALU_DEP_2)
	v_fmac_f32_e32 v2, 0xcf800000, v3
	v_cvt_u32_f32_e32 v3, v3
	v_cvt_u32_f32_e32 v2, v2
	s_delay_alu instid0(VALU_DEP_2) | instskip(NEXT) | instid1(VALU_DEP_2)
	v_readfirstlane_b32 s5, v3
	v_readfirstlane_b32 s10, v2
	s_delay_alu instid0(VALU_DEP_2) | instskip(NEXT) | instid1(VALU_DEP_1)
	s_mul_i32 s24, s11, s5
	s_mul_hi_u32 s57, s11, s10
	s_mul_i32 s56, s20, s10
	s_add_i32 s24, s57, s24
	s_mul_i32 s58, s11, s10
	s_add_i32 s24, s24, s56
	s_mul_hi_u32 s57, s10, s58
	s_mul_hi_u32 s59, s5, s58
	s_mul_i32 s56, s5, s58
	s_mul_hi_u32 s58, s10, s24
	s_mul_i32 s10, s10, s24
	s_mul_hi_u32 s60, s5, s24
	s_add_u32 s10, s57, s10
	s_addc_u32 s57, 0, s58
	s_add_u32 s10, s10, s56
	s_mul_i32 s24, s5, s24
	s_addc_u32 s10, s57, s59
	s_addc_u32 s56, s60, 0
	s_add_u32 s10, s10, s24
	s_addc_u32 s24, 0, s56
	v_add_co_u32 v2, s10, v2, s10
	s_delay_alu instid0(VALU_DEP_1) | instskip(SKIP_1) | instid1(VALU_DEP_1)
	s_cmp_lg_u32 s10, 0
	s_addc_u32 s5, s5, s24
	v_readfirstlane_b32 s10, v2
	s_mul_i32 s24, s11, s5
	s_delay_alu instid0(VALU_DEP_1)
	s_mul_hi_u32 s56, s11, s10
	s_mul_i32 s20, s20, s10
	s_add_i32 s24, s56, s24
	s_mul_i32 s11, s11, s10
	s_add_i32 s24, s24, s20
	s_mul_hi_u32 s56, s5, s11
	s_mul_i32 s57, s5, s11
	s_mul_hi_u32 s11, s10, s11
	s_mul_hi_u32 s58, s10, s24
	s_mul_i32 s10, s10, s24
	s_mul_hi_u32 s20, s5, s24
	s_add_u32 s10, s11, s10
	s_addc_u32 s11, 0, s58
	s_add_u32 s10, s10, s57
	s_mul_i32 s24, s5, s24
	s_addc_u32 s10, s11, s56
	s_addc_u32 s11, s20, 0
	s_add_u32 s10, s10, s24
	s_addc_u32 s11, 0, s11
	v_add_co_u32 v2, s10, v2, s10
	s_delay_alu instid0(VALU_DEP_1) | instskip(SKIP_2) | instid1(VALU_DEP_1)
	s_cmp_lg_u32 s10, 0
	s_addc_u32 s5, s5, s11
	s_ashr_i32 s10, s25, 31
	v_readfirstlane_b32 s20, v2
	s_add_u32 s56, s71, s10
	s_mov_b32 s11, s10
	s_addc_u32 s57, s25, s10
	s_delay_alu instid0(SALU_CYCLE_1) | instskip(NEXT) | instid1(SALU_CYCLE_1)
	s_xor_b64 s[56:57], s[56:57], s[10:11]
	s_mul_i32 s24, s56, s5
	s_mul_hi_u32 s58, s56, s20
	s_mul_hi_u32 s11, s56, s5
	;; [unrolled: 1-line block ×3, first 2 shown]
	s_mul_i32 s20, s57, s20
	s_add_u32 s24, s58, s24
	s_addc_u32 s11, 0, s11
	s_mul_hi_u32 s59, s57, s5
	s_add_u32 s20, s24, s20
	s_mul_i32 s5, s57, s5
	s_addc_u32 s11, s11, s60
	s_addc_u32 s20, s59, 0
	s_add_u32 s5, s11, s5
	s_addc_u32 s11, 0, s20
	s_mul_hi_u32 s20, s27, s5
	s_mul_i32 s5, s27, s5
	s_mul_i32 s11, s27, s11
	v_sub_co_u32 v2, s5, s56, s5
	s_add_i32 s20, s20, s11
	s_cmp_lg_u32 s5, 0
	s_delay_alu instid0(VALU_DEP_1) | instskip(SKIP_2) | instid1(VALU_DEP_1)
	v_sub_co_u32 v3, s5, v2, s27
	s_subb_u32 s11, s57, s20
	s_cmp_lg_u32 s5, 0
	v_cmp_le_u32_e32 vcc_lo, s27, v3
	v_sub_co_u32 v4, s5, v3, s27
	s_subb_u32 s20, s11, 0
	s_cmp_lg_u32 s5, 0
	v_cndmask_b32_e64 v5, 0, -1, vcc_lo
	s_subb_u32 s5, s20, 0
	s_cmp_eq_u32 s20, 0
	v_mov_b32_e32 v7, s5
	s_cselect_b32 vcc_lo, -1, 0
	s_cmp_eq_u32 s11, 0
	v_cndmask_b32_e32 v5, -1, v5, vcc_lo
	v_cmp_le_u32_e32 vcc_lo, s27, v2
	s_cselect_b32 s5, -1, 0
	v_cndmask_b32_e64 v6, 0, -1, vcc_lo
	s_delay_alu instid0(VALU_DEP_3) | instskip(NEXT) | instid1(VALU_DEP_2)
	v_cmp_ne_u32_e32 vcc_lo, 0, v5
	v_cndmask_b32_e64 v5, -1, v6, s5
	v_cndmask_b32_e32 v3, v3, v4, vcc_lo
	v_cndmask_b32_e32 v6, s20, v7, vcc_lo
	s_delay_alu instid0(VALU_DEP_3) | instskip(NEXT) | instid1(VALU_DEP_3)
	v_cmp_ne_u32_e32 vcc_lo, 0, v5
	v_cndmask_b32_e32 v2, v2, v3, vcc_lo
	s_delay_alu instid0(VALU_DEP_3) | instskip(NEXT) | instid1(VALU_DEP_2)
	v_cndmask_b32_e32 v4, s11, v6, vcc_lo
	v_xor_b32_e32 v2, s10, v2
	s_delay_alu instid0(VALU_DEP_2) | instskip(NEXT) | instid1(VALU_DEP_2)
	v_xor_b32_e32 v3, s10, v4
	v_sub_co_u32 v2, vcc_lo, v2, s10
	s_delay_alu instid0(VALU_DEP_2)
	v_subrev_co_ci_u32_e32 v3, vcc_lo, s10, v3, vcc_lo
	s_cbranch_execnz .LBB52_228
.LBB52_227:                             ;   in Loop: Header=BB52_8 Depth=1
	v_cvt_f32_u32_e32 v2, s27
	s_sub_i32 s5, 0, s27
	s_delay_alu instid0(VALU_DEP_1) | instskip(SKIP_2) | instid1(VALU_DEP_1)
	v_rcp_iflag_f32_e32 v2, v2
	s_waitcnt_depctr 0xfff
	v_mul_f32_e32 v2, 0x4f7ffffe, v2
	v_cvt_u32_f32_e32 v2, v2
	s_delay_alu instid0(VALU_DEP_1) | instskip(NEXT) | instid1(VALU_DEP_1)
	v_mul_lo_u32 v3, s5, v2
	v_mul_hi_u32 v3, v2, v3
	s_delay_alu instid0(VALU_DEP_1) | instskip(NEXT) | instid1(VALU_DEP_1)
	v_add_nc_u32_e32 v2, v2, v3
	v_mul_hi_u32 v2, s71, v2
	s_delay_alu instid0(VALU_DEP_1) | instskip(NEXT) | instid1(VALU_DEP_1)
	v_mul_lo_u32 v2, v2, s27
	v_sub_nc_u32_e32 v2, s71, v2
	s_delay_alu instid0(VALU_DEP_1) | instskip(SKIP_1) | instid1(VALU_DEP_2)
	v_subrev_nc_u32_e32 v3, s27, v2
	v_cmp_le_u32_e32 vcc_lo, s27, v2
	v_cndmask_b32_e32 v2, v2, v3, vcc_lo
	s_delay_alu instid0(VALU_DEP_1) | instskip(SKIP_1) | instid1(VALU_DEP_2)
	v_subrev_nc_u32_e32 v3, s27, v2
	v_cmp_le_u32_e32 vcc_lo, s27, v2
	v_cndmask_b32_e32 v12, v2, v3, vcc_lo
	s_delay_alu instid0(VALU_DEP_1)
	v_dual_mov_b32 v2, v12 :: v_dual_mov_b32 v3, v13
.LBB52_228:                             ;   in Loop: Header=BB52_8 Depth=1
	s_delay_alu instid0(VALU_DEP_1) | instskip(NEXT) | instid1(VALU_DEP_2)
	v_sub_co_u32 v2, vcc_lo, s71, v2
	v_sub_co_ci_u32_e32 v3, vcc_lo, s25, v3, vcc_lo
	s_mov_b32 s24, 0
	s_mov_b32 s10, exec_lo
                                        ; implicit-def: $vgpr25
	s_delay_alu instid0(VALU_DEP_1)
	v_cmpx_gt_i64_e64 v[2:3], v[0:1]
	s_cbranch_execz .LBB52_241
; %bb.229:                              ;   in Loop: Header=BB52_8 Depth=1
	v_dual_mov_b32 v4, v10 :: v_dual_mov_b32 v5, v11
	v_dual_mov_b32 v7, v1 :: v_dual_mov_b32 v6, v0
	s_mov_b32 s11, 0
                                        ; implicit-def: $sgpr20
	s_set_inst_prefetch_distance 0x1
	s_branch .LBB52_231
	.p2align	6
.LBB52_230:                             ;   in Loop: Header=BB52_231 Depth=2
	s_or_b32 exec_lo, exec_lo, s5
	s_waitcnt vmcnt(0) lgkmcnt(0)
	s_barrier
	buffer_gl0_inv
	ds_load_b64 v[24:25], v13 offset:3072
	v_add_co_u32 v6, vcc_lo, v6, s27
	v_add_co_ci_u32_e32 v7, vcc_lo, 0, v7, vcc_lo
	s_waitcnt lgkmcnt(0)
	s_barrier
	buffer_gl0_inv
	v_cmp_ge_i64_e32 vcc_lo, v[6:7], v[2:3]
	v_cmp_neq_f32_e64 s5, 0, v24
	s_delay_alu instid0(VALU_DEP_1)
	s_or_b32 s24, s5, vcc_lo
	v_add_co_u32 v4, vcc_lo, v4, s44
	s_and_b32 s24, exec_lo, s24
	v_add_co_ci_u32_e32 v5, vcc_lo, s45, v5, vcc_lo
	s_or_b32 s11, s24, s11
	s_and_not1_b32 s20, s20, exec_lo
	s_and_b32 s5, s5, exec_lo
	s_delay_alu instid0(SALU_CYCLE_1)
	s_or_b32 s20, s20, s5
	s_and_not1_b32 exec_lo, exec_lo, s11
	s_cbranch_execz .LBB52_240
.LBB52_231:                             ;   Parent Loop BB52_8 Depth=1
                                        ; =>  This Inner Loop Header: Depth=2
	s_delay_alu instid0(VALU_DEP_1)
	v_cmp_gt_i64_e32 vcc_lo, s[36:37], v[6:7]
	v_mov_b32_e32 v24, 0
	s_and_saveexec_b32 s5, vcc_lo
	s_cbranch_execz .LBB52_233
; %bb.232:                              ;   in Loop: Header=BB52_231 Depth=2
	global_load_b32 v24, v[4:5], off
.LBB52_233:                             ;   in Loop: Header=BB52_231 Depth=2
	s_or_b32 exec_lo, exec_lo, s5
	s_and_saveexec_b32 s5, vcc_lo
	s_cbranch_execz .LBB52_230
; %bb.234:                              ;   in Loop: Header=BB52_231 Depth=2
	s_waitcnt vmcnt(0)
	v_cmp_lt_i32_e32 vcc_lo, -1, v24
	v_cndmask_b32_e64 v8, -1, 0x80000000, vcc_lo
	v_cmp_o_f32_e32 vcc_lo, v24, v24
	s_delay_alu instid0(VALU_DEP_2) | instskip(NEXT) | instid1(VALU_DEP_1)
	v_xor_b32_e32 v8, v8, v24
	v_cndmask_b32_e32 v8, -1, v8, vcc_lo
	s_delay_alu instid0(VALU_DEP_1) | instskip(NEXT) | instid1(VALU_DEP_1)
	v_and_b32_e32 v8, s87, v8
	v_cmp_eq_u32_e32 vcc_lo, s88, v8
	s_and_b32 exec_lo, exec_lo, vcc_lo
	s_cbranch_execz .LBB52_230
; %bb.235:                              ;   in Loop: Header=BB52_231 Depth=2
	ds_store_b64 v13, v[23:24] offset:3072
	s_branch .LBB52_230
.LBB52_236:                             ;   in Loop: Header=BB52_8 Depth=1
                                        ; implicit-def: $sgpr10
                                        ; implicit-def: $sgpr20
                                        ; implicit-def: $sgpr11
	s_branch .LBB52_255
.LBB52_237:                             ;   in Loop: Header=BB52_8 Depth=1
                                        ; implicit-def: $vgpr2_vgpr3
	s_branch .LBB52_180
.LBB52_238:                             ;   in Loop: Header=BB52_8 Depth=1
                                        ; implicit-def: $vgpr2_vgpr3
	s_branch .LBB52_197
.LBB52_239:                             ;   in Loop: Header=BB52_8 Depth=1
	s_mov_b32 s10, -1
	s_mov_b32 s24, 0
                                        ; implicit-def: $sgpr11
                                        ; implicit-def: $vgpr25
	s_mov_b32 s20, s10
	s_cbranch_execnz .LBB52_242
	s_branch .LBB52_255
.LBB52_240:                             ;   in Loop: Header=BB52_8 Depth=1
	s_set_inst_prefetch_distance 0x2
	s_or_b32 exec_lo, exec_lo, s11
	s_delay_alu instid0(SALU_CYCLE_1)
	s_and_b32 s24, s20, exec_lo
.LBB52_241:                             ;   in Loop: Header=BB52_8 Depth=1
	s_or_b32 exec_lo, exec_lo, s10
	s_mov_b32 s11, -1
	s_mov_b32 s10, 0
	s_delay_alu instid0(SALU_CYCLE_1)
	s_mov_b32 s20, s10
	s_branch .LBB52_255
.LBB52_242:                             ;   in Loop: Header=BB52_8 Depth=1
	s_add_u32 s20, s69, s8
	s_addc_u32 s11, s70, s9
	s_mov_b32 s10, s49
	s_delay_alu instid0(SALU_CYCLE_1)
	s_cmp_lg_u64 s[10:11], 0
	s_cbranch_scc0 .LBB52_276
; %bb.243:                              ;   in Loop: Header=BB52_8 Depth=1
	v_cvt_f32_u32_e32 v2, s27
	s_sub_u32 s24, 0, s27
	s_subb_u32 s56, 0, 0
	s_delay_alu instid0(VALU_DEP_1) | instskip(NEXT) | instid1(VALU_DEP_1)
	v_fmac_f32_e32 v2, 0x4f800000, v41
	v_rcp_f32_e32 v2, v2
	s_waitcnt_depctr 0xfff
	v_mul_f32_e32 v2, 0x5f7ffffc, v2
	s_delay_alu instid0(VALU_DEP_1) | instskip(NEXT) | instid1(VALU_DEP_1)
	v_mul_f32_e32 v3, 0x2f800000, v2
	v_trunc_f32_e32 v3, v3
	s_delay_alu instid0(VALU_DEP_1) | instskip(SKIP_1) | instid1(VALU_DEP_2)
	v_fmac_f32_e32 v2, 0xcf800000, v3
	v_cvt_u32_f32_e32 v3, v3
	v_cvt_u32_f32_e32 v2, v2
	s_delay_alu instid0(VALU_DEP_2) | instskip(NEXT) | instid1(VALU_DEP_2)
	v_readfirstlane_b32 s5, v3
	v_readfirstlane_b32 s10, v2
	s_delay_alu instid0(VALU_DEP_2) | instskip(NEXT) | instid1(VALU_DEP_1)
	s_mul_i32 s57, s24, s5
	s_mul_hi_u32 s59, s24, s10
	s_mul_i32 s58, s56, s10
	s_add_i32 s57, s59, s57
	s_mul_i32 s60, s24, s10
	s_add_i32 s57, s57, s58
	s_mul_hi_u32 s59, s10, s60
	s_mul_hi_u32 s61, s5, s60
	s_mul_i32 s58, s5, s60
	s_mul_hi_u32 s60, s10, s57
	s_mul_i32 s10, s10, s57
	s_mul_hi_u32 s62, s5, s57
	s_add_u32 s10, s59, s10
	s_addc_u32 s59, 0, s60
	s_add_u32 s10, s10, s58
	s_mul_i32 s57, s5, s57
	s_addc_u32 s10, s59, s61
	s_addc_u32 s58, s62, 0
	s_add_u32 s10, s10, s57
	s_addc_u32 s57, 0, s58
	v_add_co_u32 v2, s10, v2, s10
	s_delay_alu instid0(VALU_DEP_1) | instskip(SKIP_1) | instid1(VALU_DEP_1)
	s_cmp_lg_u32 s10, 0
	s_addc_u32 s5, s5, s57
	v_readfirstlane_b32 s10, v2
	s_mul_i32 s57, s24, s5
	s_delay_alu instid0(VALU_DEP_1)
	s_mul_hi_u32 s58, s24, s10
	s_mul_i32 s56, s56, s10
	s_add_i32 s57, s58, s57
	s_mul_i32 s24, s24, s10
	s_add_i32 s57, s57, s56
	s_mul_hi_u32 s58, s5, s24
	s_mul_i32 s59, s5, s24
	s_mul_hi_u32 s24, s10, s24
	s_mul_hi_u32 s60, s10, s57
	s_mul_i32 s10, s10, s57
	s_mul_hi_u32 s56, s5, s57
	s_add_u32 s10, s24, s10
	s_addc_u32 s24, 0, s60
	s_add_u32 s10, s10, s59
	s_mul_i32 s57, s5, s57
	s_addc_u32 s10, s24, s58
	s_addc_u32 s24, s56, 0
	s_add_u32 s10, s10, s57
	s_addc_u32 s24, 0, s24
	v_add_co_u32 v2, s10, v2, s10
	s_delay_alu instid0(VALU_DEP_1) | instskip(SKIP_2) | instid1(VALU_DEP_1)
	s_cmp_lg_u32 s10, 0
	s_addc_u32 s5, s5, s24
	s_ashr_i32 s56, s11, 31
	v_readfirstlane_b32 s10, v2
	s_add_u32 s58, s20, s56
	s_mov_b32 s57, s56
	s_addc_u32 s59, s11, s56
	s_delay_alu instid0(SALU_CYCLE_1) | instskip(NEXT) | instid1(SALU_CYCLE_1)
	s_xor_b64 s[58:59], s[58:59], s[56:57]
	s_mul_i32 s57, s58, s5
	s_mul_hi_u32 s60, s58, s10
	s_mul_hi_u32 s24, s58, s5
	;; [unrolled: 1-line block ×3, first 2 shown]
	s_mul_i32 s10, s59, s10
	s_add_u32 s57, s60, s57
	s_addc_u32 s24, 0, s24
	s_mul_hi_u32 s61, s59, s5
	s_add_u32 s10, s57, s10
	s_mul_i32 s5, s59, s5
	s_addc_u32 s10, s24, s62
	s_addc_u32 s24, s61, 0
	s_add_u32 s5, s10, s5
	s_addc_u32 s10, 0, s24
	s_mul_hi_u32 s24, s27, s5
	s_mul_i32 s5, s27, s5
	s_mul_i32 s10, s27, s10
	v_sub_co_u32 v2, s5, s58, s5
	s_add_i32 s24, s24, s10
	s_cmp_lg_u32 s5, 0
	s_delay_alu instid0(VALU_DEP_1) | instskip(SKIP_2) | instid1(VALU_DEP_1)
	v_sub_co_u32 v3, s5, v2, s27
	s_subb_u32 s10, s59, s24
	s_cmp_lg_u32 s5, 0
	v_cmp_le_u32_e32 vcc_lo, s27, v3
	v_sub_co_u32 v4, s5, v3, s27
	s_subb_u32 s24, s10, 0
	s_cmp_lg_u32 s5, 0
	v_cndmask_b32_e64 v5, 0, -1, vcc_lo
	s_subb_u32 s5, s24, 0
	s_cmp_eq_u32 s24, 0
	v_mov_b32_e32 v7, s5
	s_cselect_b32 vcc_lo, -1, 0
	s_cmp_eq_u32 s10, 0
	v_cndmask_b32_e32 v5, -1, v5, vcc_lo
	v_cmp_le_u32_e32 vcc_lo, s27, v2
	s_cselect_b32 s5, -1, 0
	v_cndmask_b32_e64 v6, 0, -1, vcc_lo
	s_delay_alu instid0(VALU_DEP_3) | instskip(NEXT) | instid1(VALU_DEP_2)
	v_cmp_ne_u32_e32 vcc_lo, 0, v5
	v_cndmask_b32_e64 v5, -1, v6, s5
	v_cndmask_b32_e32 v3, v3, v4, vcc_lo
	v_cndmask_b32_e32 v6, s24, v7, vcc_lo
	s_delay_alu instid0(VALU_DEP_3) | instskip(NEXT) | instid1(VALU_DEP_3)
	v_cmp_ne_u32_e32 vcc_lo, 0, v5
	v_cndmask_b32_e32 v2, v2, v3, vcc_lo
	s_delay_alu instid0(VALU_DEP_3) | instskip(NEXT) | instid1(VALU_DEP_2)
	v_cndmask_b32_e32 v4, s10, v6, vcc_lo
	v_xor_b32_e32 v2, s56, v2
	s_delay_alu instid0(VALU_DEP_2) | instskip(NEXT) | instid1(VALU_DEP_2)
	v_xor_b32_e32 v3, s56, v4
	v_sub_co_u32 v2, vcc_lo, v2, s56
	s_delay_alu instid0(VALU_DEP_2)
	v_subrev_co_ci_u32_e32 v3, vcc_lo, s56, v3, vcc_lo
	s_cbranch_execnz .LBB52_245
.LBB52_244:                             ;   in Loop: Header=BB52_8 Depth=1
	v_cvt_f32_u32_e32 v2, s27
	s_sub_i32 s5, 0, s27
	s_delay_alu instid0(VALU_DEP_1) | instskip(SKIP_2) | instid1(VALU_DEP_1)
	v_rcp_iflag_f32_e32 v2, v2
	s_waitcnt_depctr 0xfff
	v_mul_f32_e32 v2, 0x4f7ffffe, v2
	v_cvt_u32_f32_e32 v2, v2
	s_delay_alu instid0(VALU_DEP_1) | instskip(NEXT) | instid1(VALU_DEP_1)
	v_mul_lo_u32 v3, s5, v2
	v_mul_hi_u32 v3, v2, v3
	s_delay_alu instid0(VALU_DEP_1) | instskip(NEXT) | instid1(VALU_DEP_1)
	v_add_nc_u32_e32 v2, v2, v3
	v_mul_hi_u32 v2, s20, v2
	s_delay_alu instid0(VALU_DEP_1) | instskip(NEXT) | instid1(VALU_DEP_1)
	v_mul_lo_u32 v2, v2, s27
	v_sub_nc_u32_e32 v2, s20, v2
	s_delay_alu instid0(VALU_DEP_1) | instskip(SKIP_1) | instid1(VALU_DEP_2)
	v_subrev_nc_u32_e32 v3, s27, v2
	v_cmp_le_u32_e32 vcc_lo, s27, v2
	v_cndmask_b32_e32 v2, v2, v3, vcc_lo
	s_delay_alu instid0(VALU_DEP_1) | instskip(SKIP_1) | instid1(VALU_DEP_2)
	v_subrev_nc_u32_e32 v3, s27, v2
	v_cmp_le_u32_e32 vcc_lo, s27, v2
	v_cndmask_b32_e32 v12, v2, v3, vcc_lo
	s_delay_alu instid0(VALU_DEP_1)
	v_dual_mov_b32 v2, v12 :: v_dual_mov_b32 v3, v13
.LBB52_245:                             ;   in Loop: Header=BB52_8 Depth=1
	s_delay_alu instid0(VALU_DEP_1) | instskip(NEXT) | instid1(VALU_DEP_2)
	v_sub_co_u32 v2, vcc_lo, s20, v2
	v_sub_co_ci_u32_e32 v3, vcc_lo, s11, v3, vcc_lo
	s_mov_b32 s24, 0
	s_mov_b32 s10, exec_lo
                                        ; implicit-def: $vgpr25
	s_delay_alu instid0(VALU_DEP_1)
	v_cmpx_gt_i64_e64 v[2:3], v[0:1]
	s_cbranch_execz .LBB52_254
; %bb.246:                              ;   in Loop: Header=BB52_8 Depth=1
	v_dual_mov_b32 v6, v14 :: v_dual_mov_b32 v5, v1
	v_mov_b32_e32 v4, v0
	s_mov_b32 s11, 0
                                        ; implicit-def: $sgpr20
	s_set_inst_prefetch_distance 0x1
	s_branch .LBB52_248
	.p2align	6
.LBB52_247:                             ;   in Loop: Header=BB52_248 Depth=2
	s_or_b32 exec_lo, exec_lo, s5
	s_waitcnt lgkmcnt(0)
	s_barrier
	buffer_gl0_inv
	ds_load_b64 v[24:25], v13 offset:3072
	v_add_co_u32 v4, vcc_lo, v4, s27
	v_add_co_ci_u32_e32 v5, vcc_lo, 0, v5, vcc_lo
	v_add_nc_u32_e32 v6, s77, v6
	s_waitcnt lgkmcnt(0)
	s_barrier
	s_delay_alu instid0(VALU_DEP_2) | instskip(SKIP_2) | instid1(VALU_DEP_1)
	v_cmp_ge_i64_e32 vcc_lo, v[4:5], v[2:3]
	buffer_gl0_inv
	v_cmp_neq_f32_e64 s5, 0, v24
	s_or_b32 s24, s5, vcc_lo
	s_delay_alu instid0(SALU_CYCLE_1) | instskip(NEXT) | instid1(SALU_CYCLE_1)
	s_and_b32 s24, exec_lo, s24
	s_or_b32 s11, s24, s11
	s_and_not1_b32 s20, s20, exec_lo
	s_and_b32 s5, s5, exec_lo
	s_delay_alu instid0(SALU_CYCLE_1)
	s_or_b32 s20, s20, s5
	s_and_not1_b32 exec_lo, exec_lo, s11
	s_cbranch_execz .LBB52_253
.LBB52_248:                             ;   Parent Loop BB52_8 Depth=1
                                        ; =>  This Inner Loop Header: Depth=2
	s_delay_alu instid0(VALU_DEP_1)
	v_cmp_gt_i64_e32 vcc_lo, s[8:9], v[4:5]
	v_mov_b32_e32 v24, 0
	s_and_saveexec_b32 s5, vcc_lo
	s_cbranch_execz .LBB52_250
; %bb.249:                              ;   in Loop: Header=BB52_248 Depth=2
	ds_load_b32 v24, v6
.LBB52_250:                             ;   in Loop: Header=BB52_248 Depth=2
	s_or_b32 exec_lo, exec_lo, s5
	s_and_saveexec_b32 s5, vcc_lo
	s_cbranch_execz .LBB52_247
; %bb.251:                              ;   in Loop: Header=BB52_248 Depth=2
	s_waitcnt lgkmcnt(0)
	v_cmp_lt_i32_e32 vcc_lo, -1, v24
	v_cndmask_b32_e64 v7, -1, 0x80000000, vcc_lo
	v_cmp_o_f32_e32 vcc_lo, v24, v24
	s_delay_alu instid0(VALU_DEP_2) | instskip(NEXT) | instid1(VALU_DEP_1)
	v_xor_b32_e32 v7, v7, v24
	v_cndmask_b32_e32 v7, -1, v7, vcc_lo
	s_delay_alu instid0(VALU_DEP_1) | instskip(NEXT) | instid1(VALU_DEP_1)
	v_and_b32_e32 v7, s87, v7
	v_cmp_eq_u32_e32 vcc_lo, s88, v7
	s_and_b32 exec_lo, exec_lo, vcc_lo
	s_cbranch_execz .LBB52_247
; %bb.252:                              ;   in Loop: Header=BB52_248 Depth=2
	ds_store_b64 v13, v[23:24] offset:3072
	s_branch .LBB52_247
.LBB52_253:                             ;   in Loop: Header=BB52_8 Depth=1
	s_set_inst_prefetch_distance 0x2
	s_or_b32 exec_lo, exec_lo, s11
	s_delay_alu instid0(SALU_CYCLE_1)
	s_and_b32 s24, s20, exec_lo
.LBB52_254:                             ;   in Loop: Header=BB52_8 Depth=1
	s_or_b32 exec_lo, exec_lo, s10
	s_mov_b32 s20, -1
	s_mov_b32 s10, 0
	s_mov_b32 s11, 0
.LBB52_255:                             ;   in Loop: Header=BB52_8 Depth=1
	s_mov_b32 s57, 0
                                        ; implicit-def: $sgpr5
                                        ; implicit-def: $sgpr8_sgpr9
	s_and_saveexec_b32 s56, s24
	s_cbranch_execz .LBB52_268
; %bb.256:                              ;   in Loop: Header=BB52_8 Depth=1
	s_xor_b32 s5, s19, -1
	s_mov_b64 s[8:9], 1
	s_and_not1_b32 vcc_lo, exec_lo, s5
	s_mov_b32 s5, 1
	s_cbranch_vccnz .LBB52_267
; %bb.257:                              ;   in Loop: Header=BB52_8 Depth=1
	v_cmp_gt_i64_e64 s5, s[38:39], s[6:7]
	s_delay_alu instid0(VALU_DEP_1)
	s_and_b32 vcc_lo, exec_lo, s5
	s_cbranch_vccnz .LBB52_263
; %bb.258:                              ;   in Loop: Header=BB52_8 Depth=1
	ds_load_b64 v[2:3], v13 offset:5120
	s_waitcnt lgkmcnt(0)
	v_cmp_ne_u64_e32 vcc_lo, 0, v[2:3]
	s_cbranch_vccnz .LBB52_262
; %bb.259:                              ;   in Loop: Header=BB52_8 Depth=1
	s_and_saveexec_b32 s5, s0
	s_cbranch_execz .LBB52_261
; %bb.260:                              ;   in Loop: Header=BB52_8 Depth=1
	v_dual_mov_b32 v2, s6 :: v_dual_mov_b32 v3, s7
	ds_store_b64 v13, v[2:3] offset:5128
.LBB52_261:                             ;   in Loop: Header=BB52_8 Depth=1
	s_or_b32 exec_lo, exec_lo, s5
	s_waitcnt lgkmcnt(0)
	s_barrier
	buffer_gl0_inv
.LBB52_262:                             ;   in Loop: Header=BB52_8 Depth=1
	s_or_b32 s19, s88, s18
	s_or_b32 s18, s87, s18
	s_mov_b32 s8, 0
	s_mov_b32 s5, 8
	s_branch .LBB52_264
.LBB52_263:                             ;   in Loop: Header=BB52_8 Depth=1
	s_mov_b32 s8, -1
                                        ; implicit-def: $sgpr5
                                        ; implicit-def: $sgpr19
                                        ; implicit-def: $sgpr18
.LBB52_264:                             ;   in Loop: Header=BB52_8 Depth=1
	s_delay_alu instid0(SALU_CYCLE_1)
	s_and_not1_b32 vcc_lo, exec_lo, s8
	s_cbranch_vccnz .LBB52_266
; %bb.265:                              ;   in Loop: Header=BB52_8 Depth=1
	s_sub_u32 s38, s38, s6
	s_subb_u32 s39, s39, s7
	s_mov_b32 s5, 8
	s_mov_b32 s19, s88
	;; [unrolled: 1-line block ×3, first 2 shown]
.LBB52_266:                             ;   in Loop: Header=BB52_8 Depth=1
	s_mov_b64 s[8:9], s[38:39]
	s_mov_b32 s88, s19
	s_mov_b32 s87, s18
.LBB52_267:                             ;   in Loop: Header=BB52_8 Depth=1
	s_mov_b32 s57, exec_lo
.LBB52_268:                             ;   in Loop: Header=BB52_8 Depth=1
	s_or_b32 exec_lo, exec_lo, s56
	s_mov_b64 s[38:39], s[8:9]
.LBB52_269:                             ;   in Loop: Header=BB52_8 Depth=1
	s_and_not1_b32 s6, s12, exec_lo
	s_and_b32 s7, s10, exec_lo
	s_and_not1_b32 s8, s13, exec_lo
	s_or_b32 s12, s6, s7
	s_and_not1_b32 s6, s23, exec_lo
	s_and_b32 s7, s20, exec_lo
	s_and_b32 s9, s11, exec_lo
	s_or_b32 s23, s6, s7
	s_or_b32 s13, s8, s9
	s_and_b32 s10, s57, exec_lo
.LBB52_270:                             ;   in Loop: Header=BB52_8 Depth=1
	s_or_b32 exec_lo, exec_lo, s48
.LBB52_271:                             ;   in Loop: Header=BB52_8 Depth=1
	s_delay_alu instid0(SALU_CYCLE_1)
	s_and_not1_b32 s6, s15, exec_lo
	s_and_b32 s7, s12, exec_lo
	s_and_not1_b32 s8, s14, exec_lo
	s_or_b32 s15, s6, s7
	s_and_not1_b32 s6, s21, exec_lo
	s_and_b32 s7, s23, exec_lo
	s_and_b32 s9, s13, exec_lo
	s_or_b32 s21, s6, s7
	s_or_b32 s14, s8, s9
	s_and_b32 s12, s10, exec_lo
.LBB52_272:                             ;   in Loop: Header=BB52_8 Depth=1
	s_or_b32 exec_lo, exec_lo, s22
	s_and_saveexec_b32 s6, s12
	s_delay_alu instid0(SALU_CYCLE_1)
	s_xor_b32 s6, exec_lo, s6
	s_cbranch_execz .LBB52_6
.LBB52_273:                             ;   in Loop: Header=BB52_8 Depth=1
	s_and_b32 s5, s5, -9
	s_delay_alu instid0(SALU_CYCLE_1)
	s_cmp_eq_u32 s5, 0
	s_cbranch_scc1 .LBB52_4
; %bb.274:                              ;   in Loop: Header=BB52_8 Depth=1
	s_mov_b32 s5, -1
	s_mov_b32 s7, -1
                                        ; implicit-def: $sgpr87
                                        ; implicit-def: $sgpr81
                                        ; implicit-def: $sgpr83
	s_branch .LBB52_5
.LBB52_275:                             ;   in Loop: Header=BB52_8 Depth=1
                                        ; implicit-def: $vgpr2_vgpr3
	s_branch .LBB52_227
.LBB52_276:                             ;   in Loop: Header=BB52_8 Depth=1
                                        ; implicit-def: $vgpr2_vgpr3
	s_branch .LBB52_244
.LBB52_277:
	s_or_b32 exec_lo, exec_lo, s78
	s_xor_b32 s5, s82, -1
	s_xor_b32 s2, s79, -1
	;; [unrolled: 1-line block ×3, first 2 shown]
	s_mov_b32 s3, 0
	s_and_saveexec_b32 s6, s2
	s_delay_alu instid0(SALU_CYCLE_1)
	s_xor_b32 s2, exec_lo, s6
	s_cbranch_execz .LBB52_300
; %bb.278:
	s_and_saveexec_b32 s3, s5
	s_delay_alu instid0(SALU_CYCLE_1)
	s_xor_b32 s3, exec_lo, s3
	s_cbranch_execz .LBB52_298
; %bb.279:
	s_and_saveexec_b32 s5, s4
	s_delay_alu instid0(SALU_CYCLE_1)
	s_xor_b32 s4, exec_lo, s5
; %bb.280:
	v_cmp_lt_i32_e32 vcc_lo, -1, v2
	v_cndmask_b32_e64 v3, 0x80000000, -1, vcc_lo
	s_delay_alu instid0(VALU_DEP_1)
	v_xor_b32_e32 v25, v3, v2
; %bb.281:
	s_or_b32 exec_lo, exec_lo, s4
	s_and_saveexec_b32 s4, s0
	s_cbranch_execz .LBB52_283
; %bb.282:
	v_dual_mov_b32 v2, 0 :: v_dual_mov_b32 v3, s36
	ds_store_b32 v2, v3 offset:5140
.LBB52_283:
	s_or_b32 exec_lo, exec_lo, s4
	s_waitcnt lgkmcnt(0)
	s_barrier
	buffer_gl0_inv
	s_and_saveexec_b32 s4, s1
	s_cbranch_execz .LBB52_295
; %bb.284:
	v_mov_b32_e32 v2, 0
	v_cmp_u_f32_e32 vcc_lo, v25, v25
	s_mov_b32 s5, 0
                                        ; implicit-def: $sgpr7
                                        ; implicit-def: $sgpr8
                                        ; implicit-def: $sgpr9
	ds_load_b32 v4, v2 offset:5140
	s_xor_b32 s6, vcc_lo, -1
	s_waitcnt lgkmcnt(0)
	v_ashrrev_i32_e32 v5, 31, v4
	s_set_inst_prefetch_distance 0x1
	s_branch .LBB52_287
	.p2align	6
.LBB52_285:                             ;   in Loop: Header=BB52_287 Depth=1
	s_or_b32 exec_lo, exec_lo, s13
	s_delay_alu instid0(SALU_CYCLE_1)
	s_and_not1_b32 s1, s9, exec_lo
	s_and_b32 s9, s11, exec_lo
	s_and_not1_b32 s8, s8, exec_lo
	s_and_b32 s11, s12, exec_lo
	s_or_b32 s9, s1, s9
	s_or_b32 s8, s8, s11
.LBB52_286:                             ;   in Loop: Header=BB52_287 Depth=1
	s_or_b32 exec_lo, exec_lo, s10
	s_delay_alu instid0(SALU_CYCLE_1) | instskip(NEXT) | instid1(SALU_CYCLE_1)
	s_and_b32 s1, exec_lo, s8
	s_or_b32 s5, s1, s5
	s_and_not1_b32 s1, s7, exec_lo
	s_and_b32 s7, s9, exec_lo
	s_delay_alu instid0(SALU_CYCLE_1)
	s_or_b32 s7, s1, s7
	s_and_not1_b32 exec_lo, exec_lo, s5
	s_cbranch_execz .LBB52_290
.LBB52_287:                             ; =>This Inner Loop Header: Depth=1
	v_dual_mov_b32 v3, v1 :: v_dual_mov_b32 v2, v0
	s_or_b32 s9, s9, exec_lo
	s_or_b32 s8, s8, exec_lo
	s_mov_b32 s10, exec_lo
                                        ; implicit-def: $vgpr0_vgpr1
	s_delay_alu instid0(VALU_DEP_1)
	v_cmpx_lt_i64_e64 v[2:3], v[4:5]
	s_cbranch_execz .LBB52_286
; %bb.288:                              ;   in Loop: Header=BB52_287 Depth=1
	global_load_b32 v0, v[10:11], off
	s_mov_b32 s12, -1
	s_waitcnt vmcnt(0)
	v_cmp_o_f32_e32 vcc_lo, v0, v0
	v_cmp_neq_f32_e64 s1, v0, v25
                                        ; implicit-def: $vgpr0_vgpr1
	s_or_b32 s11, vcc_lo, s6
	s_delay_alu instid0(VALU_DEP_1) | instid1(SALU_CYCLE_1)
	s_and_b32 s1, s1, s11
	s_mov_b32 s11, 0
	s_and_saveexec_b32 s13, s1
	s_cbranch_execz .LBB52_285
; %bb.289:                              ;   in Loop: Header=BB52_287 Depth=1
	v_add_co_u32 v0, vcc_lo, v2, s27
	v_add_co_ci_u32_e32 v1, vcc_lo, 0, v3, vcc_lo
	v_add_co_u32 v10, s1, v10, s44
	s_mov_b32 s11, exec_lo
	s_delay_alu instid0(VALU_DEP_2)
	v_cmp_le_i64_e32 vcc_lo, s[36:37], v[0:1]
	v_add_co_ci_u32_e64 v11, s1, s45, v11, s1
	s_or_not1_b32 s12, vcc_lo, exec_lo
	s_branch .LBB52_285
.LBB52_290:
	s_set_inst_prefetch_distance 0x2
	s_or_b32 exec_lo, exec_lo, s5
	s_xor_b32 s1, s7, -1
	s_delay_alu instid0(SALU_CYCLE_1) | instskip(NEXT) | instid1(SALU_CYCLE_1)
	s_and_saveexec_b32 s5, s1
	s_xor_b32 s5, exec_lo, s5
	s_cbranch_execz .LBB52_295
; %bb.291:
	s_mov_b32 s5, exec_lo
	s_brev_b32 s1, -2
.LBB52_292:                             ; =>This Inner Loop Header: Depth=1
	s_ctz_i32_b32 s6, s5
	s_delay_alu instid0(SALU_CYCLE_1) | instskip(SKIP_1) | instid1(SALU_CYCLE_1)
	v_readlane_b32 s7, v2, s6
	s_lshl_b32 s6, 1, s6
	s_and_not1_b32 s5, s5, s6
	s_delay_alu instid0(VALU_DEP_1)
	s_min_i32 s1, s1, s7
	s_cmp_lg_u32 s5, 0
	s_cbranch_scc1 .LBB52_292
; %bb.293:
	v_mbcnt_lo_u32_b32 v0, exec_lo, 0
	s_mov_b32 s5, exec_lo
	s_delay_alu instid0(VALU_DEP_1)
	v_cmpx_eq_u32_e32 0, v0
	s_xor_b32 s5, exec_lo, s5
	s_cbranch_execz .LBB52_295
; %bb.294:
	v_dual_mov_b32 v0, 0 :: v_dual_mov_b32 v1, s1
	ds_min_i32 v0, v1 offset:5140
.LBB52_295:
	s_or_b32 exec_lo, exec_lo, s4
	s_waitcnt lgkmcnt(0)
	s_barrier
	buffer_gl0_inv
	s_and_saveexec_b32 s1, s0
	s_cbranch_execz .LBB52_297
; %bb.296:
	v_mov_b32_e32 v2, 0
	s_mul_i32 s0, s41, s26
	s_mul_hi_u32 s5, s40, s26
	s_mul_i32 s4, s40, s26
	s_add_i32 s5, s5, s0
	ds_load_b32 v0, v2 offset:5140
	s_mul_i32 s7, s35, s26
	s_mul_hi_u32 s8, s34, s26
	s_lshl_b64 s[4:5], s[4:5], 2
	s_mul_i32 s6, s34, s26
	s_add_i32 s7, s8, s7
	s_add_u32 s4, s30, s4
	s_addc_u32 s5, s31, s5
	s_lshl_b64 s[6:7], s[6:7], 3
	s_delay_alu instid0(SALU_CYCLE_1)
	s_add_u32 s6, s28, s6
	s_addc_u32 s7, s29, s7
	s_waitcnt lgkmcnt(0)
	v_ashrrev_i32_e32 v1, 31, v0
	s_clause 0x1
	global_store_b64 v2, v[0:1], s[6:7]
	global_store_b32 v2, v25, s[4:5]
.LBB52_297:
	s_or_b32 exec_lo, exec_lo, s1
.LBB52_298:
	s_or_saveexec_b32 s0, s3
	s_mov_b32 s1, 0
	s_xor_b32 exec_lo, exec_lo, s0
	s_cbranch_execnz .LBB52_306
.LBB52_299:
	s_or_b32 exec_lo, exec_lo, s0
	s_delay_alu instid0(SALU_CYCLE_1)
	s_and_b32 s3, s1, exec_lo
.LBB52_300:
	s_and_not1_saveexec_b32 s0, s2
	s_cbranch_execnz .LBB52_304
; %bb.301:
	s_or_b32 exec_lo, exec_lo, s0
	s_and_saveexec_b32 s0, s3
.LBB52_302:
	; divergent unreachable
.LBB52_303:
	s_nop 0
	s_sendmsg sendmsg(MSG_DEALLOC_VGPRS)
	s_endpgm
.LBB52_304:
	s_cbranch_execnz .LBB52_308
; %bb.305:
	s_or_b32 s3, s3, exec_lo
	s_or_b32 exec_lo, exec_lo, s0
	s_and_saveexec_b32 s0, s3
	s_cbranch_execnz .LBB52_302
	s_branch .LBB52_303
.LBB52_306:
	s_cbranch_execnz .LBB52_310
; %bb.307:
	s_mov_b32 s1, exec_lo
	s_branch .LBB52_299
.LBB52_308:
	s_trap 2
	s_sendmsg_rtn_b32 s0, sendmsg(MSG_RTN_GET_DOORBELL)
	s_mov_b32 ttmp2, m0
	s_waitcnt lgkmcnt(0)
	s_and_b32 s0, s0, 0x3ff
	s_delay_alu instid0(SALU_CYCLE_1) | instskip(NEXT) | instid1(SALU_CYCLE_1)
	s_bitset1_b32 s0, 10
	s_mov_b32 m0, s0
	s_sendmsg sendmsg(MSG_INTERRUPT)
	s_mov_b32 m0, ttmp2
.LBB52_309:                             ; =>This Inner Loop Header: Depth=1
	s_sethalt 5
	s_branch .LBB52_309
.LBB52_310:
	s_trap 2
	s_sendmsg_rtn_b32 s0, sendmsg(MSG_RTN_GET_DOORBELL)
	s_mov_b32 ttmp2, m0
	s_waitcnt lgkmcnt(0)
	s_and_b32 s0, s0, 0x3ff
	s_delay_alu instid0(SALU_CYCLE_1) | instskip(NEXT) | instid1(SALU_CYCLE_1)
	s_bitset1_b32 s0, 10
	s_mov_b32 m0, s0
	s_sendmsg sendmsg(MSG_INTERRUPT)
	s_mov_b32 m0, ttmp2
.LBB52_311:                             ; =>This Inner Loop Header: Depth=1
	s_sethalt 5
	s_branch .LBB52_311
	.section	.rodata,"a",@progbits
	.p2align	6, 0x0
	.amdhsa_kernel _ZN2at6native12_GLOBAL__N_114gatherKthValueIflLi1EEEvNS_4cuda6detail10TensorInfoIKT_T0_EES8_S8_S8_S8_NS5_IS6_S8_EENS5_IlS8_EE
		.amdhsa_group_segment_fixed_size 5144
		.amdhsa_private_segment_fixed_size 0
		.amdhsa_kernarg_size 1536
		.amdhsa_user_sgpr_count 13
		.amdhsa_user_sgpr_dispatch_ptr 0
		.amdhsa_user_sgpr_queue_ptr 0
		.amdhsa_user_sgpr_kernarg_segment_ptr 1
		.amdhsa_user_sgpr_dispatch_id 0
		.amdhsa_user_sgpr_private_segment_size 0
		.amdhsa_wavefront_size32 1
		.amdhsa_uses_dynamic_stack 0
		.amdhsa_enable_private_segment 0
		.amdhsa_system_sgpr_workgroup_id_x 1
		.amdhsa_system_sgpr_workgroup_id_y 1
		.amdhsa_system_sgpr_workgroup_id_z 1
		.amdhsa_system_sgpr_workgroup_info 0
		.amdhsa_system_vgpr_workitem_id 0
		.amdhsa_next_free_vgpr 46
		.amdhsa_next_free_sgpr 94
		.amdhsa_reserve_vcc 1
		.amdhsa_float_round_mode_32 0
		.amdhsa_float_round_mode_16_64 0
		.amdhsa_float_denorm_mode_32 3
		.amdhsa_float_denorm_mode_16_64 3
		.amdhsa_dx10_clamp 1
		.amdhsa_ieee_mode 1
		.amdhsa_fp16_overflow 0
		.amdhsa_workgroup_processor_mode 1
		.amdhsa_memory_ordered 1
		.amdhsa_forward_progress 0
		.amdhsa_shared_vgpr_count 0
		.amdhsa_exception_fp_ieee_invalid_op 0
		.amdhsa_exception_fp_denorm_src 0
		.amdhsa_exception_fp_ieee_div_zero 0
		.amdhsa_exception_fp_ieee_overflow 0
		.amdhsa_exception_fp_ieee_underflow 0
		.amdhsa_exception_fp_ieee_inexact 0
		.amdhsa_exception_int_div_zero 0
	.end_amdhsa_kernel
	.section	.text._ZN2at6native12_GLOBAL__N_114gatherKthValueIflLi1EEEvNS_4cuda6detail10TensorInfoIKT_T0_EES8_S8_S8_S8_NS5_IS6_S8_EENS5_IlS8_EE,"axG",@progbits,_ZN2at6native12_GLOBAL__N_114gatherKthValueIflLi1EEEvNS_4cuda6detail10TensorInfoIKT_T0_EES8_S8_S8_S8_NS5_IS6_S8_EENS5_IlS8_EE,comdat
.Lfunc_end52:
	.size	_ZN2at6native12_GLOBAL__N_114gatherKthValueIflLi1EEEvNS_4cuda6detail10TensorInfoIKT_T0_EES8_S8_S8_S8_NS5_IS6_S8_EENS5_IlS8_EE, .Lfunc_end52-_ZN2at6native12_GLOBAL__N_114gatherKthValueIflLi1EEEvNS_4cuda6detail10TensorInfoIKT_T0_EES8_S8_S8_S8_NS5_IS6_S8_EENS5_IlS8_EE
                                        ; -- End function
	.section	.AMDGPU.csdata,"",@progbits
; Kernel info:
; codeLenInByte = 17560
; NumSgprs: 96
; NumVgprs: 46
; ScratchSize: 0
; MemoryBound: 0
; FloatMode: 240
; IeeeMode: 1
; LDSByteSize: 5144 bytes/workgroup (compile time only)
; SGPRBlocks: 11
; VGPRBlocks: 5
; NumSGPRsForWavesPerEU: 96
; NumVGPRsForWavesPerEU: 46
; Occupancy: 16
; WaveLimiterHint : 1
; COMPUTE_PGM_RSRC2:SCRATCH_EN: 0
; COMPUTE_PGM_RSRC2:USER_SGPR: 13
; COMPUTE_PGM_RSRC2:TRAP_HANDLER: 0
; COMPUTE_PGM_RSRC2:TGID_X_EN: 1
; COMPUTE_PGM_RSRC2:TGID_Y_EN: 1
; COMPUTE_PGM_RSRC2:TGID_Z_EN: 1
; COMPUTE_PGM_RSRC2:TIDIG_COMP_CNT: 0
	.section	.text._ZN2at6native12_GLOBAL__N_114gatherKthValueIflLi2EEEvNS_4cuda6detail10TensorInfoIKT_T0_EES8_S8_S8_S8_NS5_IS6_S8_EENS5_IlS8_EE,"axG",@progbits,_ZN2at6native12_GLOBAL__N_114gatherKthValueIflLi2EEEvNS_4cuda6detail10TensorInfoIKT_T0_EES8_S8_S8_S8_NS5_IS6_S8_EENS5_IlS8_EE,comdat
	.globl	_ZN2at6native12_GLOBAL__N_114gatherKthValueIflLi2EEEvNS_4cuda6detail10TensorInfoIKT_T0_EES8_S8_S8_S8_NS5_IS6_S8_EENS5_IlS8_EE ; -- Begin function _ZN2at6native12_GLOBAL__N_114gatherKthValueIflLi2EEEvNS_4cuda6detail10TensorInfoIKT_T0_EES8_S8_S8_S8_NS5_IS6_S8_EENS5_IlS8_EE
	.p2align	8
	.type	_ZN2at6native12_GLOBAL__N_114gatherKthValueIflLi2EEEvNS_4cuda6detail10TensorInfoIKT_T0_EES8_S8_S8_S8_NS5_IS6_S8_EENS5_IlS8_EE,@function
_ZN2at6native12_GLOBAL__N_114gatherKthValueIflLi2EEEvNS_4cuda6detail10TensorInfoIKT_T0_EES8_S8_S8_S8_NS5_IS6_S8_EENS5_IlS8_EE: ; @_ZN2at6native12_GLOBAL__N_114gatherKthValueIflLi2EEEvNS_4cuda6detail10TensorInfoIKT_T0_EES8_S8_S8_S8_NS5_IS6_S8_EENS5_IlS8_EE
; %bb.0:
	s_clause 0x1
	s_load_b64 s[10:11], s[0:1], 0x500
	s_load_b256 s[36:43], s[0:1], 0x1a0
	s_add_u32 s8, s0, 0x500
	s_addc_u32 s9, s1, 0
	s_mov_b32 s27, 0
	s_waitcnt lgkmcnt(0)
	s_mul_i32 s2, s11, s15
	s_delay_alu instid0(SALU_CYCLE_1) | instskip(NEXT) | instid1(SALU_CYCLE_1)
	s_add_i32 s2, s2, s14
	s_mul_i32 s2, s2, s10
	s_delay_alu instid0(SALU_CYCLE_1) | instskip(NEXT) | instid1(SALU_CYCLE_1)
	s_add_i32 s26, s2, s13
	v_cmp_ge_i64_e64 s2, s[26:27], s[40:41]
	s_delay_alu instid0(VALU_DEP_1)
	s_and_b32 vcc_lo, exec_lo, s2
	s_cbranch_vccnz .LBB53_315
; %bb.1:
	s_clause 0x1
	s_load_b64 s[14:15], s[0:1], 0x10
	s_load_b64 s[34:35], s[0:1], 0x1d0
	s_mov_b32 s2, s27
	s_waitcnt lgkmcnt(0)
	s_mov_b32 s3, s15
	s_delay_alu instid0(SALU_CYCLE_1)
	s_cmp_lg_u64 s[2:3], 0
	s_cbranch_scc0 .LBB53_299
; %bb.2:
	s_ashr_i32 s2, s15, 31
	s_delay_alu instid0(SALU_CYCLE_1) | instskip(SKIP_2) | instid1(SALU_CYCLE_1)
	s_add_u32 s4, s14, s2
	s_mov_b32 s3, s2
	s_addc_u32 s5, s15, s2
	s_xor_b64 s[4:5], s[4:5], s[2:3]
	s_delay_alu instid0(SALU_CYCLE_1) | instskip(SKIP_3) | instid1(VALU_DEP_1)
	v_cvt_f32_u32_e32 v1, s4
	v_cvt_f32_u32_e32 v2, s5
	s_sub_u32 s11, 0, s4
	s_subb_u32 s12, 0, s5
	v_fmamk_f32 v1, v2, 0x4f800000, v1
	s_delay_alu instid0(VALU_DEP_1) | instskip(SKIP_2) | instid1(VALU_DEP_1)
	v_rcp_f32_e32 v1, v1
	s_waitcnt_depctr 0xfff
	v_mul_f32_e32 v1, 0x5f7ffffc, v1
	v_mul_f32_e32 v2, 0x2f800000, v1
	s_delay_alu instid0(VALU_DEP_1) | instskip(NEXT) | instid1(VALU_DEP_1)
	v_trunc_f32_e32 v2, v2
	v_fmamk_f32 v1, v2, 0xcf800000, v1
	v_cvt_u32_f32_e32 v2, v2
	s_delay_alu instid0(VALU_DEP_2) | instskip(NEXT) | instid1(VALU_DEP_2)
	v_cvt_u32_f32_e32 v1, v1
	v_readfirstlane_b32 s6, v2
	s_delay_alu instid0(VALU_DEP_2) | instskip(NEXT) | instid1(VALU_DEP_2)
	v_readfirstlane_b32 s7, v1
	s_mul_i32 s16, s11, s6
	s_delay_alu instid0(VALU_DEP_1)
	s_mul_hi_u32 s18, s11, s7
	s_mul_i32 s17, s12, s7
	s_add_i32 s16, s18, s16
	s_mul_i32 s19, s11, s7
	s_add_i32 s16, s16, s17
	s_mul_hi_u32 s18, s7, s19
	s_mul_hi_u32 s20, s6, s19
	s_mul_i32 s17, s6, s19
	s_mul_hi_u32 s19, s7, s16
	s_mul_i32 s7, s7, s16
	s_mul_hi_u32 s21, s6, s16
	s_add_u32 s7, s18, s7
	s_addc_u32 s18, 0, s19
	s_add_u32 s7, s7, s17
	s_mul_i32 s16, s6, s16
	s_addc_u32 s7, s18, s20
	s_addc_u32 s17, s21, 0
	s_add_u32 s7, s7, s16
	s_addc_u32 s16, 0, s17
	v_add_co_u32 v1, s7, v1, s7
	s_delay_alu instid0(VALU_DEP_1) | instskip(SKIP_1) | instid1(VALU_DEP_1)
	s_cmp_lg_u32 s7, 0
	s_addc_u32 s6, s6, s16
	v_readfirstlane_b32 s7, v1
	s_mul_i32 s16, s11, s6
	s_delay_alu instid0(VALU_DEP_1)
	s_mul_hi_u32 s17, s11, s7
	s_mul_i32 s12, s12, s7
	s_add_i32 s16, s17, s16
	s_mul_i32 s11, s11, s7
	s_add_i32 s16, s16, s12
	s_mul_hi_u32 s17, s6, s11
	s_mul_i32 s18, s6, s11
	s_mul_hi_u32 s11, s7, s11
	s_mul_hi_u32 s19, s7, s16
	s_mul_i32 s7, s7, s16
	s_mul_hi_u32 s12, s6, s16
	s_add_u32 s7, s11, s7
	s_addc_u32 s11, 0, s19
	s_add_u32 s7, s7, s18
	s_mul_i32 s16, s6, s16
	s_addc_u32 s7, s11, s17
	s_addc_u32 s11, s12, 0
	s_add_u32 s7, s7, s16
	s_addc_u32 s11, 0, s11
	v_add_co_u32 v1, s7, v1, s7
	s_delay_alu instid0(VALU_DEP_1) | instskip(SKIP_2) | instid1(VALU_DEP_1)
	s_cmp_lg_u32 s7, 0
	s_addc_u32 s11, s6, s11
	s_ashr_i32 s6, 0, 31
	v_readfirstlane_b32 s12, v1
	s_add_u32 s16, s26, s6
	s_mov_b32 s7, s6
	s_addc_u32 s17, 0, s6
	s_delay_alu instid0(SALU_CYCLE_1) | instskip(NEXT) | instid1(SALU_CYCLE_1)
	s_xor_b64 s[16:17], s[16:17], s[6:7]
	s_mul_i32 s19, s16, s11
	s_mul_hi_u32 s20, s16, s12
	s_mul_hi_u32 s18, s16, s11
	;; [unrolled: 1-line block ×3, first 2 shown]
	s_mul_i32 s12, s17, s12
	s_add_u32 s19, s20, s19
	s_addc_u32 s18, 0, s18
	s_mul_hi_u32 s21, s17, s11
	s_add_u32 s12, s19, s12
	s_mul_i32 s11, s17, s11
	s_addc_u32 s12, s18, s22
	s_addc_u32 s18, s21, 0
	s_add_u32 s11, s12, s11
	s_addc_u32 s12, 0, s18
	s_mul_i32 s21, s4, s11
	s_mul_hi_u32 s18, s4, s11
	s_mul_i32 s20, s4, s12
	v_sub_co_u32 v1, s16, s16, s21
	s_mul_i32 s19, s5, s11
	s_add_i32 s18, s18, s20
	s_delay_alu instid0(SALU_CYCLE_1) | instskip(NEXT) | instid1(VALU_DEP_1)
	s_add_i32 s18, s18, s19
	v_sub_co_u32 v2, s20, v1, s4
	s_sub_i32 s19, s17, s18
	s_cmp_lg_u32 s16, 0
	s_subb_u32 s19, s19, s5
	s_cmp_lg_u32 s20, 0
	v_readfirstlane_b32 s20, v2
	s_subb_u32 s19, s19, 0
	s_delay_alu instid0(SALU_CYCLE_1) | instskip(SKIP_1) | instid1(VALU_DEP_1)
	s_cmp_ge_u32 s19, s5
	s_cselect_b32 s21, -1, 0
	s_cmp_ge_u32 s20, s4
	s_cselect_b32 s20, -1, 0
	s_cmp_eq_u32 s19, s5
	s_cselect_b32 s19, s20, s21
	s_add_u32 s20, s11, 1
	s_addc_u32 s21, s12, 0
	s_add_u32 s22, s11, 2
	s_addc_u32 s23, s12, 0
	s_cmp_lg_u32 s19, 0
	s_cselect_b32 s19, s22, s20
	s_cselect_b32 s20, s23, s21
	s_cmp_lg_u32 s16, 0
	v_readfirstlane_b32 s16, v1
	s_subb_u32 s17, s17, s18
	s_delay_alu instid0(SALU_CYCLE_1) | instskip(SKIP_1) | instid1(VALU_DEP_1)
	s_cmp_ge_u32 s17, s5
	s_cselect_b32 s18, -1, 0
	s_cmp_ge_u32 s16, s4
	s_cselect_b32 s4, -1, 0
	s_cmp_eq_u32 s17, s5
	s_cselect_b32 s4, s4, s18
	s_delay_alu instid0(SALU_CYCLE_1) | instskip(SKIP_3) | instid1(SALU_CYCLE_1)
	s_cmp_lg_u32 s4, 0
	s_cselect_b32 s5, s20, s12
	s_cselect_b32 s4, s19, s11
	s_xor_b64 s[6:7], s[6:7], s[2:3]
	s_xor_b64 s[4:5], s[4:5], s[6:7]
	s_delay_alu instid0(SALU_CYCLE_1)
	s_sub_u32 s16, s4, s6
	s_subb_u32 s17, s5, s7
	s_cbranch_execnz .LBB53_4
.LBB53_3:
	v_cvt_f32_u32_e32 v1, s14
	s_sub_i32 s3, 0, s14
	s_mov_b32 s17, 0
	s_delay_alu instid0(VALU_DEP_1) | instskip(SKIP_2) | instid1(VALU_DEP_1)
	v_rcp_iflag_f32_e32 v1, v1
	s_waitcnt_depctr 0xfff
	v_mul_f32_e32 v1, 0x4f7ffffe, v1
	v_cvt_u32_f32_e32 v1, v1
	s_delay_alu instid0(VALU_DEP_1) | instskip(NEXT) | instid1(VALU_DEP_1)
	v_readfirstlane_b32 s2, v1
	s_mul_i32 s3, s3, s2
	s_delay_alu instid0(SALU_CYCLE_1) | instskip(NEXT) | instid1(SALU_CYCLE_1)
	s_mul_hi_u32 s3, s2, s3
	s_add_i32 s2, s2, s3
	s_delay_alu instid0(SALU_CYCLE_1) | instskip(NEXT) | instid1(SALU_CYCLE_1)
	s_mul_hi_u32 s2, s26, s2
	s_mul_i32 s3, s2, s14
	s_add_i32 s4, s2, 1
	s_sub_i32 s3, s26, s3
	s_delay_alu instid0(SALU_CYCLE_1)
	s_sub_i32 s5, s3, s14
	s_cmp_ge_u32 s3, s14
	s_cselect_b32 s2, s4, s2
	s_cselect_b32 s3, s5, s3
	s_add_i32 s4, s2, 1
	s_cmp_ge_u32 s3, s14
	s_cselect_b32 s16, s4, s2
.LBB53_4:
	s_load_b64 s[40:41], s[0:1], 0x370
	s_mov_b32 s2, 0
	s_mov_b32 s3, s35
	s_delay_alu instid0(SALU_CYCLE_1)
	s_cmp_lg_u64 s[2:3], 0
	s_cbranch_scc0 .LBB53_300
; %bb.5:
	s_ashr_i32 s4, s35, 31
	s_delay_alu instid0(SALU_CYCLE_1) | instskip(SKIP_2) | instid1(SALU_CYCLE_1)
	s_add_u32 s6, s34, s4
	s_mov_b32 s5, s4
	s_addc_u32 s7, s35, s4
	s_xor_b64 s[6:7], s[6:7], s[4:5]
	s_delay_alu instid0(SALU_CYCLE_1) | instskip(SKIP_3) | instid1(VALU_DEP_1)
	v_cvt_f32_u32_e32 v1, s6
	v_cvt_f32_u32_e32 v2, s7
	s_sub_u32 s12, 0, s6
	s_subb_u32 s18, 0, s7
	v_fmamk_f32 v1, v2, 0x4f800000, v1
	s_delay_alu instid0(VALU_DEP_1) | instskip(SKIP_2) | instid1(VALU_DEP_1)
	v_rcp_f32_e32 v1, v1
	s_waitcnt_depctr 0xfff
	v_mul_f32_e32 v1, 0x5f7ffffc, v1
	v_mul_f32_e32 v2, 0x2f800000, v1
	s_delay_alu instid0(VALU_DEP_1) | instskip(NEXT) | instid1(VALU_DEP_1)
	v_trunc_f32_e32 v2, v2
	v_fmamk_f32 v1, v2, 0xcf800000, v1
	v_cvt_u32_f32_e32 v2, v2
	s_delay_alu instid0(VALU_DEP_2) | instskip(NEXT) | instid1(VALU_DEP_2)
	v_cvt_u32_f32_e32 v1, v1
	v_readfirstlane_b32 s3, v2
	s_delay_alu instid0(VALU_DEP_2) | instskip(NEXT) | instid1(VALU_DEP_2)
	v_readfirstlane_b32 s11, v1
	s_mul_i32 s19, s12, s3
	s_delay_alu instid0(VALU_DEP_1)
	s_mul_hi_u32 s21, s12, s11
	s_mul_i32 s20, s18, s11
	s_add_i32 s19, s21, s19
	s_mul_i32 s22, s12, s11
	s_add_i32 s19, s19, s20
	s_mul_hi_u32 s21, s11, s22
	s_mul_hi_u32 s23, s3, s22
	s_mul_i32 s20, s3, s22
	s_mul_hi_u32 s22, s11, s19
	s_mul_i32 s11, s11, s19
	s_mul_hi_u32 s24, s3, s19
	s_add_u32 s11, s21, s11
	s_addc_u32 s21, 0, s22
	s_add_u32 s11, s11, s20
	s_mul_i32 s19, s3, s19
	s_addc_u32 s11, s21, s23
	s_addc_u32 s20, s24, 0
	s_add_u32 s11, s11, s19
	s_addc_u32 s19, 0, s20
	v_add_co_u32 v1, s11, v1, s11
	s_delay_alu instid0(VALU_DEP_1) | instskip(SKIP_1) | instid1(VALU_DEP_1)
	s_cmp_lg_u32 s11, 0
	s_addc_u32 s3, s3, s19
	v_readfirstlane_b32 s11, v1
	s_mul_i32 s19, s12, s3
	s_delay_alu instid0(VALU_DEP_1)
	s_mul_hi_u32 s20, s12, s11
	s_mul_i32 s18, s18, s11
	s_add_i32 s19, s20, s19
	s_mul_i32 s12, s12, s11
	s_add_i32 s19, s19, s18
	s_mul_hi_u32 s20, s3, s12
	s_mul_i32 s21, s3, s12
	s_mul_hi_u32 s12, s11, s12
	s_mul_hi_u32 s22, s11, s19
	s_mul_i32 s11, s11, s19
	s_mul_hi_u32 s18, s3, s19
	s_add_u32 s11, s12, s11
	s_addc_u32 s12, 0, s22
	s_add_u32 s11, s11, s21
	s_mul_i32 s19, s3, s19
	s_addc_u32 s11, s12, s20
	s_addc_u32 s12, s18, 0
	s_add_u32 s11, s11, s19
	s_addc_u32 s12, 0, s12
	v_add_co_u32 v1, s11, v1, s11
	s_delay_alu instid0(VALU_DEP_1) | instskip(SKIP_2) | instid1(VALU_DEP_1)
	s_cmp_lg_u32 s11, 0
	s_addc_u32 s3, s3, s12
	s_ashr_i32 s18, 0, 31
	v_readfirstlane_b32 s11, v1
	s_add_u32 s20, s26, s18
	s_mov_b32 s19, s18
	s_addc_u32 s21, 0, s18
	s_delay_alu instid0(SALU_CYCLE_1) | instskip(NEXT) | instid1(SALU_CYCLE_1)
	s_xor_b64 s[20:21], s[20:21], s[18:19]
	s_mul_i32 s22, s20, s3
	s_mul_hi_u32 s23, s20, s11
	s_mul_hi_u32 s12, s20, s3
	;; [unrolled: 1-line block ×3, first 2 shown]
	s_mul_i32 s11, s21, s11
	s_add_u32 s22, s23, s22
	s_addc_u32 s12, 0, s12
	s_mul_hi_u32 s24, s21, s3
	s_add_u32 s11, s22, s11
	s_mul_i32 s3, s21, s3
	s_addc_u32 s11, s12, s25
	s_addc_u32 s12, s24, 0
	s_add_u32 s3, s11, s3
	s_addc_u32 s11, 0, s12
	s_mul_i32 s24, s6, s3
	s_mul_hi_u32 s12, s6, s3
	s_mul_i32 s23, s6, s11
	v_sub_co_u32 v1, s20, s20, s24
	s_mul_i32 s22, s7, s3
	s_add_i32 s12, s12, s23
	s_delay_alu instid0(SALU_CYCLE_1) | instskip(NEXT) | instid1(VALU_DEP_1)
	s_add_i32 s12, s12, s22
	v_sub_co_u32 v2, s23, v1, s6
	s_sub_i32 s22, s21, s12
	s_cmp_lg_u32 s20, 0
	s_subb_u32 s22, s22, s7
	s_cmp_lg_u32 s23, 0
	v_readfirstlane_b32 s23, v2
	s_subb_u32 s22, s22, 0
	s_delay_alu instid0(SALU_CYCLE_1) | instskip(SKIP_1) | instid1(VALU_DEP_1)
	s_cmp_ge_u32 s22, s7
	s_cselect_b32 s24, -1, 0
	s_cmp_ge_u32 s23, s6
	s_cselect_b32 s23, -1, 0
	s_cmp_eq_u32 s22, s7
	s_cselect_b32 s22, s23, s24
	s_add_u32 s23, s3, 1
	s_addc_u32 s24, s11, 0
	s_add_u32 s25, s3, 2
	s_addc_u32 s27, s11, 0
	s_cmp_lg_u32 s22, 0
	s_cselect_b32 s22, s25, s23
	s_cselect_b32 s23, s27, s24
	s_cmp_lg_u32 s20, 0
	v_readfirstlane_b32 s20, v1
	s_subb_u32 s12, s21, s12
	s_delay_alu instid0(SALU_CYCLE_1) | instskip(SKIP_1) | instid1(VALU_DEP_1)
	s_cmp_ge_u32 s12, s7
	s_cselect_b32 s21, -1, 0
	s_cmp_ge_u32 s20, s6
	s_cselect_b32 s6, -1, 0
	s_cmp_eq_u32 s12, s7
	s_cselect_b32 s6, s6, s21
	s_delay_alu instid0(SALU_CYCLE_1) | instskip(SKIP_3) | instid1(SALU_CYCLE_1)
	s_cmp_lg_u32 s6, 0
	s_cselect_b32 s7, s23, s11
	s_cselect_b32 s6, s22, s3
	s_xor_b64 s[4:5], s[18:19], s[4:5]
	s_xor_b64 s[6:7], s[6:7], s[4:5]
	s_delay_alu instid0(SALU_CYCLE_1)
	s_sub_u32 s48, s6, s4
	s_subb_u32 s49, s7, s5
	s_and_not1_b32 vcc_lo, exec_lo, s2
	s_cbranch_vccnz .LBB53_7
.LBB53_6:
	v_cvt_f32_u32_e32 v1, s34
	s_sub_i32 s3, 0, s34
	s_mov_b32 s49, 0
	s_delay_alu instid0(VALU_DEP_1) | instskip(SKIP_2) | instid1(VALU_DEP_1)
	v_rcp_iflag_f32_e32 v1, v1
	s_waitcnt_depctr 0xfff
	v_mul_f32_e32 v1, 0x4f7ffffe, v1
	v_cvt_u32_f32_e32 v1, v1
	s_delay_alu instid0(VALU_DEP_1) | instskip(NEXT) | instid1(VALU_DEP_1)
	v_readfirstlane_b32 s2, v1
	s_mul_i32 s3, s3, s2
	s_delay_alu instid0(SALU_CYCLE_1) | instskip(NEXT) | instid1(SALU_CYCLE_1)
	s_mul_hi_u32 s3, s2, s3
	s_add_i32 s2, s2, s3
	s_delay_alu instid0(SALU_CYCLE_1) | instskip(NEXT) | instid1(SALU_CYCLE_1)
	s_mul_hi_u32 s2, s26, s2
	s_mul_i32 s3, s2, s34
	s_add_i32 s4, s2, 1
	s_sub_i32 s3, s26, s3
	s_delay_alu instid0(SALU_CYCLE_1)
	s_sub_i32 s5, s3, s34
	s_cmp_ge_u32 s3, s34
	s_cselect_b32 s2, s4, s2
	s_cselect_b32 s3, s5, s3
	s_add_i32 s4, s2, 1
	s_cmp_ge_u32 s3, s34
	s_cselect_b32 s48, s4, s2
.LBB53_7:
	s_mov_b32 s2, 0
	s_waitcnt lgkmcnt(0)
	s_mov_b32 s3, s41
	s_delay_alu instid0(SALU_CYCLE_1)
	s_cmp_lg_u64 s[2:3], 0
	s_cbranch_scc0 .LBB53_301
; %bb.8:
	s_ashr_i32 s4, s41, 31
	s_delay_alu instid0(SALU_CYCLE_1) | instskip(SKIP_2) | instid1(SALU_CYCLE_1)
	s_add_u32 s6, s40, s4
	s_mov_b32 s5, s4
	s_addc_u32 s7, s41, s4
	s_xor_b64 s[6:7], s[6:7], s[4:5]
	s_delay_alu instid0(SALU_CYCLE_1) | instskip(SKIP_3) | instid1(VALU_DEP_1)
	v_cvt_f32_u32_e32 v1, s6
	v_cvt_f32_u32_e32 v2, s7
	s_sub_u32 s12, 0, s6
	s_subb_u32 s18, 0, s7
	v_fmamk_f32 v1, v2, 0x4f800000, v1
	s_delay_alu instid0(VALU_DEP_1) | instskip(SKIP_2) | instid1(VALU_DEP_1)
	v_rcp_f32_e32 v1, v1
	s_waitcnt_depctr 0xfff
	v_mul_f32_e32 v1, 0x5f7ffffc, v1
	v_mul_f32_e32 v2, 0x2f800000, v1
	s_delay_alu instid0(VALU_DEP_1) | instskip(NEXT) | instid1(VALU_DEP_1)
	v_trunc_f32_e32 v2, v2
	v_fmamk_f32 v1, v2, 0xcf800000, v1
	v_cvt_u32_f32_e32 v2, v2
	s_delay_alu instid0(VALU_DEP_2) | instskip(NEXT) | instid1(VALU_DEP_2)
	v_cvt_u32_f32_e32 v1, v1
	v_readfirstlane_b32 s3, v2
	s_delay_alu instid0(VALU_DEP_2) | instskip(NEXT) | instid1(VALU_DEP_2)
	v_readfirstlane_b32 s11, v1
	s_mul_i32 s19, s12, s3
	s_delay_alu instid0(VALU_DEP_1)
	s_mul_hi_u32 s21, s12, s11
	s_mul_i32 s20, s18, s11
	s_add_i32 s19, s21, s19
	s_mul_i32 s22, s12, s11
	s_add_i32 s19, s19, s20
	s_mul_hi_u32 s21, s11, s22
	s_mul_hi_u32 s23, s3, s22
	s_mul_i32 s20, s3, s22
	s_mul_hi_u32 s22, s11, s19
	s_mul_i32 s11, s11, s19
	s_mul_hi_u32 s24, s3, s19
	s_add_u32 s11, s21, s11
	s_addc_u32 s21, 0, s22
	s_add_u32 s11, s11, s20
	s_mul_i32 s19, s3, s19
	s_addc_u32 s11, s21, s23
	s_addc_u32 s20, s24, 0
	s_add_u32 s11, s11, s19
	s_addc_u32 s19, 0, s20
	v_add_co_u32 v1, s11, v1, s11
	s_delay_alu instid0(VALU_DEP_1) | instskip(SKIP_1) | instid1(VALU_DEP_1)
	s_cmp_lg_u32 s11, 0
	s_addc_u32 s3, s3, s19
	v_readfirstlane_b32 s11, v1
	s_mul_i32 s19, s12, s3
	s_delay_alu instid0(VALU_DEP_1)
	s_mul_hi_u32 s20, s12, s11
	s_mul_i32 s18, s18, s11
	s_add_i32 s19, s20, s19
	s_mul_i32 s12, s12, s11
	s_add_i32 s19, s19, s18
	s_mul_hi_u32 s20, s3, s12
	s_mul_i32 s21, s3, s12
	s_mul_hi_u32 s12, s11, s12
	s_mul_hi_u32 s22, s11, s19
	s_mul_i32 s11, s11, s19
	s_mul_hi_u32 s18, s3, s19
	s_add_u32 s11, s12, s11
	s_addc_u32 s12, 0, s22
	s_add_u32 s11, s11, s21
	s_mul_i32 s19, s3, s19
	s_addc_u32 s11, s12, s20
	s_addc_u32 s12, s18, 0
	s_add_u32 s11, s11, s19
	s_addc_u32 s12, 0, s12
	v_add_co_u32 v1, s11, v1, s11
	s_delay_alu instid0(VALU_DEP_1) | instskip(SKIP_2) | instid1(VALU_DEP_1)
	s_cmp_lg_u32 s11, 0
	s_addc_u32 s3, s3, s12
	s_ashr_i32 s18, 0, 31
	v_readfirstlane_b32 s11, v1
	s_add_u32 s20, s26, s18
	s_mov_b32 s19, s18
	s_addc_u32 s21, 0, s18
	s_delay_alu instid0(SALU_CYCLE_1) | instskip(NEXT) | instid1(SALU_CYCLE_1)
	s_xor_b64 s[20:21], s[20:21], s[18:19]
	s_mul_i32 s22, s20, s3
	s_mul_hi_u32 s23, s20, s11
	s_mul_hi_u32 s12, s20, s3
	;; [unrolled: 1-line block ×3, first 2 shown]
	s_mul_i32 s11, s21, s11
	s_add_u32 s22, s23, s22
	s_addc_u32 s12, 0, s12
	s_mul_hi_u32 s24, s21, s3
	s_add_u32 s11, s22, s11
	s_mul_i32 s3, s21, s3
	s_addc_u32 s11, s12, s25
	s_addc_u32 s12, s24, 0
	s_add_u32 s3, s11, s3
	s_addc_u32 s11, 0, s12
	s_mul_i32 s24, s6, s3
	s_mul_hi_u32 s12, s6, s3
	s_mul_i32 s23, s6, s11
	v_sub_co_u32 v1, s20, s20, s24
	s_mul_i32 s22, s7, s3
	s_add_i32 s12, s12, s23
	s_delay_alu instid0(SALU_CYCLE_1) | instskip(NEXT) | instid1(VALU_DEP_1)
	s_add_i32 s12, s12, s22
	v_sub_co_u32 v2, s23, v1, s6
	s_sub_i32 s22, s21, s12
	s_cmp_lg_u32 s20, 0
	s_subb_u32 s22, s22, s7
	s_cmp_lg_u32 s23, 0
	v_readfirstlane_b32 s23, v2
	s_subb_u32 s22, s22, 0
	s_delay_alu instid0(SALU_CYCLE_1) | instskip(SKIP_1) | instid1(VALU_DEP_1)
	s_cmp_ge_u32 s22, s7
	s_cselect_b32 s24, -1, 0
	s_cmp_ge_u32 s23, s6
	s_cselect_b32 s23, -1, 0
	s_cmp_eq_u32 s22, s7
	s_cselect_b32 s22, s23, s24
	s_add_u32 s23, s3, 1
	s_addc_u32 s24, s11, 0
	s_add_u32 s25, s3, 2
	s_addc_u32 s27, s11, 0
	s_cmp_lg_u32 s22, 0
	s_cselect_b32 s22, s25, s23
	s_cselect_b32 s23, s27, s24
	s_cmp_lg_u32 s20, 0
	v_readfirstlane_b32 s20, v1
	s_subb_u32 s12, s21, s12
	s_delay_alu instid0(SALU_CYCLE_1) | instskip(SKIP_1) | instid1(VALU_DEP_1)
	s_cmp_ge_u32 s12, s7
	s_cselect_b32 s21, -1, 0
	s_cmp_ge_u32 s20, s6
	s_cselect_b32 s6, -1, 0
	s_cmp_eq_u32 s12, s7
	s_cselect_b32 s6, s6, s21
	s_delay_alu instid0(SALU_CYCLE_1) | instskip(SKIP_3) | instid1(SALU_CYCLE_1)
	s_cmp_lg_u32 s6, 0
	s_cselect_b32 s7, s23, s11
	s_cselect_b32 s6, s22, s3
	s_xor_b64 s[4:5], s[18:19], s[4:5]
	s_xor_b64 s[6:7], s[6:7], s[4:5]
	s_delay_alu instid0(SALU_CYCLE_1)
	s_sub_u32 s50, s6, s4
	s_subb_u32 s51, s7, s5
	s_load_b64 s[18:19], s[0:1], 0x0
	s_and_not1_b32 vcc_lo, exec_lo, s2
	s_cbranch_vccnz .LBB53_10
.LBB53_9:
	v_cvt_f32_u32_e32 v1, s40
	s_sub_i32 s3, 0, s40
	s_mov_b32 s51, 0
	s_delay_alu instid0(VALU_DEP_1) | instskip(SKIP_2) | instid1(VALU_DEP_1)
	v_rcp_iflag_f32_e32 v1, v1
	s_waitcnt_depctr 0xfff
	v_mul_f32_e32 v1, 0x4f7ffffe, v1
	v_cvt_u32_f32_e32 v1, v1
	s_delay_alu instid0(VALU_DEP_1) | instskip(NEXT) | instid1(VALU_DEP_1)
	v_readfirstlane_b32 s2, v1
	s_mul_i32 s3, s3, s2
	s_delay_alu instid0(SALU_CYCLE_1) | instskip(NEXT) | instid1(SALU_CYCLE_1)
	s_mul_hi_u32 s3, s2, s3
	s_add_i32 s2, s2, s3
	s_delay_alu instid0(SALU_CYCLE_1) | instskip(NEXT) | instid1(SALU_CYCLE_1)
	s_mul_hi_u32 s2, s26, s2
	s_mul_i32 s3, s2, s40
	s_add_i32 s4, s2, 1
	s_sub_i32 s3, s26, s3
	s_delay_alu instid0(SALU_CYCLE_1)
	s_sub_i32 s5, s3, s40
	s_cmp_ge_u32 s3, s40
	s_cselect_b32 s2, s4, s2
	s_cselect_b32 s3, s5, s3
	s_add_i32 s4, s2, 1
	s_cmp_ge_u32 s3, s40
	s_cselect_b32 s50, s4, s2
.LBB53_10:
	s_clause 0x2
	s_load_b64 s[52:53], s[0:1], 0x360
	s_load_b64 s[54:55], s[0:1], 0x1c0
	s_load_b128 s[4:7], s[0:1], 0xd0
	v_cmp_eq_u32_e64 s2, 0, v0
	s_mov_b32 s57, 0
	s_delay_alu instid0(VALU_DEP_1)
	s_and_saveexec_b32 s3, s2
	s_cbranch_execz .LBB53_12
; %bb.11:
	v_dual_mov_b32 v1, 0 :: v_dual_mov_b32 v4, s37
	s_delay_alu instid0(VALU_DEP_1)
	v_dual_mov_b32 v3, s36 :: v_dual_mov_b32 v2, v1
	ds_store_b32 v1, v1 offset:5136
	ds_store_b128 v1, v[1:4] offset:5120
.LBB53_12:
	s_or_b32 exec_lo, exec_lo, s3
	v_mad_u64_u32 v[2:3], null, v0, s42, 0
	s_mul_i32 s3, s16, s15
	s_mul_hi_u32 s11, s16, s14
	s_mul_i32 s12, s16, s14
	s_add_i32 s3, s11, s3
	s_mul_i32 s11, s17, s14
	v_lshlrev_b32_e32 v37, 4, v0
	s_add_i32 s3, s3, s11
	s_sub_u32 s11, s26, s12
	s_subb_u32 s3, 0, s3
	s_waitcnt lgkmcnt(0)
	s_mul_i32 s7, s11, s7
	s_mul_hi_u32 s12, s11, s6
	v_dual_mov_b32 v1, v3 :: v_dual_lshlrev_b32 v14, 2, v0
	v_or_b32_e32 v22, 4, v37
	s_add_i32 s7, s12, s7
	s_mul_i32 s3, s3, s6
	s_mul_i32 s5, s16, s5
	s_mul_hi_u32 s12, s16, s4
	s_add_i32 s7, s7, s3
	s_add_i32 s3, s12, s5
	s_mul_i32 s5, s17, s4
	v_mad_u64_u32 v[3:4], null, v0, s43, v[1:2]
	s_mul_i32 s6, s11, s6
	s_add_i32 s5, s3, s5
	s_mul_i32 s4, s16, s4
	v_mad_u64_u32 v[20:21], null, s42, v22, 0
	s_lshl_b64 s[4:5], s[4:5], 2
	s_lshl_b64 s[6:7], s[6:7], 2
	v_mbcnt_lo_u32_b32 v34, -1, 0
	v_lshrrev_b32_e32 v6, 3, v0
	s_clause 0x1
	s_load_b128 s[28:31], s[0:1], 0x430
	s_load_b128 s[44:47], s[0:1], 0x290
	s_add_u32 s0, s4, s6
	s_addc_u32 s1, s5, s7
	s_waitcnt lgkmcnt(0)
	s_barrier
	buffer_gl0_inv
	s_load_b32 s5, s[8:9], 0xc
	v_lshlrev_b64 v[4:5], 2, v[2:3]
	s_add_u32 s60, s18, s0
	v_cmp_gt_u32_e32 vcc_lo, 32, v0
	v_cmp_gt_i32_e64 s0, 4, v34
	v_dual_mov_b32 v13, 0 :: v_dual_and_b32 v36, 0x7c, v6
	v_mov_b32_e32 v6, v21
	v_or_b32_e32 v9, 12, v37
	v_or_b32_e32 v12, 8, v37
	s_addc_u32 s61, s19, s1
	s_and_b32 s33, vcc_lo, s0
	v_add_co_u32 v10, vcc_lo, s60, v4
	v_mad_u64_u32 v[16:17], null, s42, v9, 0
	v_mad_u64_u32 v[18:19], null, s42, v12, 0
	v_add_co_ci_u32_e32 v11, vcc_lo, s61, v5, vcc_lo
	v_lshlrev_b64 v[4:5], v34, -1
	v_add_nc_u32_e32 v35, 0xc00, v14
	s_waitcnt lgkmcnt(0)
	s_and_b32 s27, s5, 0xffff
	s_bfe_u32 s6, s5, 0xb0005
	s_delay_alu instid0(VALU_DEP_4)
	v_mov_b32_e32 v5, v19
	s_add_u32 s79, s27, -1
	v_not_b32_e32 v38, v4
	v_mov_b32_e32 v4, v17
	s_addc_u32 s80, 0, -1
	s_add_u32 s81, s79, s36
	s_addc_u32 s25, s80, s37
	s_cmp_lt_u32 s13, s10
	v_mad_u64_u32 v[7:8], null, s43, v9, v[4:5]
	s_cselect_b32 s7, 12, 18
	v_mad_u64_u32 v[8:9], null, s43, v12, v[5:6]
	s_add_u32 s62, s8, s7
	v_mov_b32_e32 v1, v13
	s_addc_u32 s63, s9, 0
	s_delay_alu instid0(VALU_DEP_3)
	v_mad_u64_u32 v[4:5], null, s43, v22, v[6:7]
	s_add_i32 s7, s6, -1
	s_bfe_u32 s82, s27, 0x30005
	s_cmp_gt_u32 s7, 6
	v_add_co_u32 v40, s7, s36, v0
	s_cselect_b32 s83, -1, 0
	s_and_b32 s84, s6, 0x7f8
	v_cmp_lt_i64_e64 s78, 0x300, s[36:37]
	v_cmp_gt_u64_e64 s4, s[36:37], v[0:1]
	v_cmp_gt_i64_e64 s0, s[36:37], v[0:1]
	s_cmp_lg_u32 s82, 0
	v_cmp_gt_u16_e64 s85, s5, 31
	v_lshlrev_b64 v[21:22], 4, v[2:3]
	s_mul_i32 s5, s43, s27
	s_mul_hi_u32 s6, s42, s27
	v_cmp_eq_u32_e64 s1, 0, v34
	v_cmp_gt_u32_e64 s3, 2, v0
	v_mov_b32_e32 v15, v13
	v_mov_b32_e32 v17, v7
	;; [unrolled: 1-line block ×4, first 2 shown]
	v_add_co_ci_u32_e64 v41, null, s37, 0, s7
	v_lshl_or_b32 v42, v34, 3, 0xc00
	v_mov_b32_e32 v23, 1.0
	v_cvt_f32_ubyte0_e32 v43, 0
	v_mov_b32_e32 v25, 0
	s_cselect_b32 s86, -1, 0
	s_add_i32 s7, s6, s5
	s_mul_i32 s6, s42, s27
	s_lshl_b64 s[64:65], s[42:43], 2
	s_lshl_b64 s[66:67], s[42:43], 4
	;; [unrolled: 1-line block ×3, first 2 shown]
	s_lshl_b32 s87, s27, 2
	s_mov_b32 s91, 30
	s_mov_b32 s88, 0
	s_mov_b32 s93, 0
	s_mov_b32 s98, 0
	s_mov_b32 s97, 0
                                        ; implicit-def: $sgpr89
                                        ; implicit-def: $sgpr92
                                        ; implicit-def: $sgpr90
                                        ; implicit-def: $sgpr95
                                        ; implicit-def: $sgpr96
                                        ; implicit-def: $sgpr94
	s_branch .LBB53_17
.LBB53_13:                              ;   in Loop: Header=BB53_17 Depth=1
	s_xor_b32 s93, s93, 1
	s_add_i32 s8, s91, -2
	s_cmp_eq_u32 s91, 0
	s_mov_b32 s5, 0
	s_cselect_b32 s7, -1, 0
	s_mov_b32 s91, s8
.LBB53_14:                              ;   in Loop: Header=BB53_17 Depth=1
	s_and_not1_b32 s8, s15, exec_lo
	s_and_b32 s5, s5, exec_lo
	s_and_not1_b32 s21, s21, exec_lo
	s_or_b32 s15, s8, s5
	s_and_not1_b32 s14, s14, exec_lo
	s_or_not1_b32 s17, s7, exec_lo
.LBB53_15:                              ;   in Loop: Header=BB53_17 Depth=1
	s_or_b32 exec_lo, exec_lo, s6
	s_delay_alu instid0(SALU_CYCLE_1)
	s_and_not1_b32 s5, s94, exec_lo
	s_and_b32 s6, s15, exec_lo
	s_and_not1_b32 s7, s95, exec_lo
	s_or_b32 s94, s5, s6
	s_and_not1_b32 s5, s96, exec_lo
	s_and_b32 s6, s21, exec_lo
	s_and_b32 s8, s14, exec_lo
	s_or_b32 s96, s5, s6
	s_or_b32 s95, s7, s8
	s_or_not1_b32 s21, s17, exec_lo
.LBB53_16:                              ;   in Loop: Header=BB53_17 Depth=1
	s_or_b32 exec_lo, exec_lo, s16
	s_delay_alu instid0(SALU_CYCLE_1)
	s_and_b32 s5, exec_lo, s21
	v_mov_b32_e32 v2, s98
	s_or_b32 s88, s5, s88
	s_and_not1_b32 s5, s90, exec_lo
	s_and_b32 s6, s94, exec_lo
	s_and_not1_b32 s7, s89, exec_lo
	s_or_b32 s90, s5, s6
	s_and_not1_b32 s5, s92, exec_lo
	s_and_b32 s6, s96, exec_lo
	s_and_b32 s8, s95, exec_lo
	s_or_b32 s92, s5, s6
	s_or_b32 s89, s7, s8
	s_and_not1_b32 exec_lo, exec_lo, s88
	s_cbranch_execz .LBB53_286
.LBB53_17:                              ; =>This Loop Header: Depth=1
                                        ;     Child Loop BB53_25 Depth 2
                                        ;     Child Loop BB53_44 Depth 2
	;; [unrolled: 1-line block ×16, first 2 shown]
	ds_load_b128 v[2:5], v13 offset:5120
	s_waitcnt lgkmcnt(0)
	v_readfirstlane_b32 s69, v3
	v_readfirstlane_b32 s68, v2
	s_delay_alu instid0(VALU_DEP_1) | instskip(NEXT) | instid1(VALU_DEP_1)
	v_cmp_gt_i64_e64 s5, s[68:69], 0
	s_and_b32 vcc_lo, exec_lo, s5
	s_cbranch_vccnz .LBB53_51
; %bb.18:                               ;   in Loop: Header=BB53_17 Depth=1
	s_and_b32 vcc_lo, exec_lo, s78
	s_cbranch_vccz .LBB53_33
; %bb.19:                               ;   in Loop: Header=BB53_17 Depth=1
	v_cmp_gt_i64_e32 vcc_lo, 0x301, v[4:5]
	s_mov_b32 s7, 0
	s_mov_b32 s5, 0
	s_cbranch_vccz .LBB53_38
; %bb.20:                               ;   in Loop: Header=BB53_17 Depth=1
	v_mov_b32_e32 v6, 0
	s_and_saveexec_b32 s5, s4
	s_cbranch_execz .LBB53_22
; %bb.21:                               ;   in Loop: Header=BB53_17 Depth=1
	global_load_b32 v6, v[10:11], off
.LBB53_22:                              ;   in Loop: Header=BB53_17 Depth=1
	s_or_b32 exec_lo, exec_lo, s5
	s_and_saveexec_b32 s8, s4
	s_cbranch_execz .LBB53_34
; %bb.23:                               ;   in Loop: Header=BB53_17 Depth=1
	global_load_u16 v7, v13, s[62:63]
	s_mov_b32 s11, 0
	s_waitcnt vmcnt(0)
	v_readfirstlane_b32 s5, v7
	v_and_b32_e32 v7, 0xffff, v7
	s_delay_alu instid0(VALU_DEP_2) | instskip(NEXT) | instid1(SALU_CYCLE_1)
	s_and_b32 s5, 0xffff, s5
	v_add_nc_u32_e32 v8, s5, v0
	s_mul_i32 s6, s65, s5
	s_mul_hi_u32 s9, s64, s5
	s_mul_i32 s10, s64, s5
	s_add_i32 s9, s9, s6
	v_mad_u64_u32 v[2:3], null, s64, v8, s[60:61]
	s_delay_alu instid0(VALU_DEP_1) | instskip(NEXT) | instid1(VALU_DEP_1)
	v_mad_u64_u32 v[4:5], null, s65, v8, v[3:4]
	v_mov_b32_e32 v3, v4
	v_dual_mov_b32 v5, v1 :: v_dual_mov_b32 v4, v0
	s_branch .LBB53_25
.LBB53_24:                              ;   in Loop: Header=BB53_25 Depth=2
	s_or_b32 exec_lo, exec_lo, s6
	v_add_co_u32 v2, vcc_lo, v2, s10
	v_add_co_ci_u32_e32 v3, vcc_lo, s9, v3, vcc_lo
	s_waitcnt vmcnt(0)
	v_mov_b32_e32 v6, v8
	s_and_not1_b32 exec_lo, exec_lo, s11
	s_cbranch_execz .LBB53_34
.LBB53_25:                              ;   Parent Loop BB53_17 Depth=1
                                        ; =>  This Inner Loop Header: Depth=2
	s_delay_alu instid0(VALU_DEP_1) | instskip(NEXT) | instid1(VALU_DEP_2)
	v_add_co_u32 v4, vcc_lo, v4, v7
	v_add_co_ci_u32_e32 v5, vcc_lo, 0, v5, vcc_lo
	s_waitcnt lgkmcnt(0)
	v_dual_mov_b32 v9, 0 :: v_dual_mov_b32 v8, 0
	s_mov_b32 s6, exec_lo
	s_delay_alu instid0(VALU_DEP_2)
	v_cmp_le_i64_e32 vcc_lo, s[36:37], v[4:5]
	v_cmpx_gt_i64_e64 s[36:37], v[4:5]
	s_cbranch_execz .LBB53_27
; %bb.26:                               ;   in Loop: Header=BB53_25 Depth=2
	global_load_b32 v8, v[2:3], off
.LBB53_27:                              ;   in Loop: Header=BB53_25 Depth=2
	s_or_b32 exec_lo, exec_lo, s6
	v_cmp_lt_i32_e64 s5, -1, v6
	s_delay_alu instid0(VALU_DEP_1) | instskip(SKIP_1) | instid1(VALU_DEP_2)
	v_cndmask_b32_e64 v12, -1, 0x80000000, s5
	v_cmp_o_f32_e64 s5, v6, v6
	v_xor_b32_e32 v12, v12, v6
	s_delay_alu instid0(VALU_DEP_1) | instskip(NEXT) | instid1(VALU_DEP_1)
	v_cndmask_b32_e64 v12, -1, v12, s5
	v_and_b32_e32 v12, s97, v12
	s_delay_alu instid0(VALU_DEP_1) | instskip(NEXT) | instid1(VALU_DEP_1)
	v_cmp_eq_u32_e64 s5, s98, v12
	s_cmp_lg_u32 s5, 0
	s_cselect_b32 s6, -1, 0
	s_delay_alu instid0(SALU_CYCLE_1) | instskip(NEXT) | instid1(SALU_CYCLE_1)
	s_and_b32 s6, s1, s6
	s_and_saveexec_b32 s12, s6
	s_cbranch_execz .LBB53_31
; %bb.28:                               ;   in Loop: Header=BB53_25 Depth=2
	s_mov_b32 s15, exec_lo
	s_bcnt1_i32_b32 s13, s5
	v_mbcnt_lo_u32_b32 v9, s15, 0
	s_mov_b32 s14, exec_lo
                                        ; implicit-def: $vgpr12
	s_delay_alu instid0(VALU_DEP_1)
	v_cmpx_eq_u32_e32 0, v9
	s_cbranch_execz .LBB53_30
; %bb.29:                               ;   in Loop: Header=BB53_25 Depth=2
	s_bcnt1_i32_b32 s6, s15
	s_delay_alu instid0(SALU_CYCLE_1) | instskip(NEXT) | instid1(SALU_CYCLE_1)
	s_mul_i32 s6, s13, s6
	v_mov_b32_e32 v12, s6
	ds_add_rtn_u32 v12, v13, v12 offset:5136
.LBB53_30:                              ;   in Loop: Header=BB53_25 Depth=2
	s_or_b32 exec_lo, exec_lo, s14
	s_waitcnt lgkmcnt(0)
	v_readfirstlane_b32 s6, v12
	s_delay_alu instid0(VALU_DEP_1)
	v_mad_u32_u24 v9, s13, v9, s6
.LBB53_31:                              ;   in Loop: Header=BB53_25 Depth=2
	s_or_b32 exec_lo, exec_lo, s12
	ds_bpermute_b32 v9, v13, v9
	s_and_b32 s6, exec_lo, vcc_lo
	s_delay_alu instid0(SALU_CYCLE_1)
	s_or_b32 s11, s6, s11
	s_and_saveexec_b32 s6, s5
	s_cbranch_execz .LBB53_24
; %bb.32:                               ;   in Loop: Header=BB53_25 Depth=2
	v_and_b32_e32 v12, s5, v38
	s_delay_alu instid0(VALU_DEP_1) | instskip(NEXT) | instid1(VALU_DEP_1)
	v_bcnt_u32_b32 v12, v12, 0
	v_lshlrev_b32_e32 v12, 2, v12
	s_waitcnt lgkmcnt(0)
	s_delay_alu instid0(VALU_DEP_1)
	v_lshl_add_u32 v9, v9, 2, v12
	ds_store_b32 v9, v6
	s_branch .LBB53_24
.LBB53_33:                              ;   in Loop: Header=BB53_17 Depth=1
	s_mov_b32 s7, -1
	s_mov_b32 s5, 0
	s_branch .LBB53_37
.LBB53_34:                              ;   in Loop: Header=BB53_17 Depth=1
	s_or_b32 exec_lo, exec_lo, s8
	s_waitcnt vmcnt(0) lgkmcnt(0)
	s_barrier
	buffer_gl0_inv
	s_and_saveexec_b32 s5, s2
	s_cbranch_execz .LBB53_36
; %bb.35:                               ;   in Loop: Header=BB53_17 Depth=1
	ds_load_b32 v2, v13 offset:5136
	s_waitcnt lgkmcnt(0)
	v_ashrrev_i32_e32 v3, 31, v2
	ds_store_b64 v13, v[2:3] offset:5120
.LBB53_36:                              ;   in Loop: Header=BB53_17 Depth=1
	s_or_b32 exec_lo, exec_lo, s5
	s_waitcnt lgkmcnt(0)
	s_mov_b32 s5, -1
	s_barrier
.LBB53_37:                              ;   in Loop: Header=BB53_17 Depth=1
                                        ; implicit-def: $sgpr68_sgpr69
.LBB53_38:                              ;   in Loop: Header=BB53_17 Depth=1
	s_and_b32 vcc_lo, exec_lo, s7
	s_cbranch_vccz .LBB53_49
; %bb.39:                               ;   in Loop: Header=BB53_17 Depth=1
	v_mov_b32_e32 v6, 0
	s_and_saveexec_b32 s5, s0
	s_cbranch_execz .LBB53_41
; %bb.40:                               ;   in Loop: Header=BB53_17 Depth=1
	global_load_b32 v6, v[10:11], off
.LBB53_41:                              ;   in Loop: Header=BB53_17 Depth=1
	s_or_b32 exec_lo, exec_lo, s5
	s_and_saveexec_b32 s6, s0
	s_cbranch_execz .LBB53_46
; %bb.42:                               ;   in Loop: Header=BB53_17 Depth=1
	global_load_u16 v8, v13, s[62:63]
	s_mov_b32 s10, 0
	s_waitcnt vmcnt(0)
	v_readfirstlane_b32 s5, v8
	v_and_b32_e32 v8, 0xffff, v8
	s_delay_alu instid0(VALU_DEP_2) | instskip(NEXT) | instid1(SALU_CYCLE_1)
	s_and_b32 s5, 0xffff, s5
	v_add_nc_u32_e32 v7, s5, v0
	s_mul_i32 s8, s65, s5
	s_mul_hi_u32 s9, s64, s5
	s_lshl_b32 s7, s5, 2
	s_add_i32 s8, s9, s8
	v_mad_u64_u32 v[2:3], null, s64, v7, s[60:61]
	s_mul_i32 s9, s64, s5
	s_delay_alu instid0(VALU_DEP_1) | instskip(SKIP_1) | instid1(VALU_DEP_2)
	v_mad_u64_u32 v[4:5], null, s65, v7, v[3:4]
	v_mov_b32_e32 v7, v14
	v_mov_b32_e32 v3, v4
	v_dual_mov_b32 v5, v1 :: v_dual_mov_b32 v4, v0
	s_branch .LBB53_44
	.p2align	6
.LBB53_43:                              ;   in Loop: Header=BB53_44 Depth=2
	s_or_b32 exec_lo, exec_lo, s11
	s_delay_alu instid0(SALU_CYCLE_1)
	s_and_b32 s5, exec_lo, vcc_lo
	v_add_co_u32 v2, vcc_lo, v2, s9
	ds_store_b32 v7, v6
	s_waitcnt vmcnt(0)
	v_dual_mov_b32 v6, v9 :: v_dual_add_nc_u32 v7, s7, v7
	v_add_co_ci_u32_e32 v3, vcc_lo, s8, v3, vcc_lo
	s_or_b32 s10, s5, s10
	s_delay_alu instid0(SALU_CYCLE_1)
	s_and_not1_b32 exec_lo, exec_lo, s10
	s_cbranch_execz .LBB53_46
.LBB53_44:                              ;   Parent Loop BB53_17 Depth=1
                                        ; =>  This Inner Loop Header: Depth=2
	s_delay_alu instid0(VALU_DEP_1) | instskip(NEXT) | instid1(VALU_DEP_2)
	v_add_co_u32 v4, vcc_lo, v4, v8
	v_add_co_ci_u32_e32 v5, vcc_lo, 0, v5, vcc_lo
	v_mov_b32_e32 v9, 0
	s_mov_b32 s11, exec_lo
	s_delay_alu instid0(VALU_DEP_2)
	v_cmp_le_i64_e32 vcc_lo, s[36:37], v[4:5]
	v_cmpx_gt_i64_e64 s[36:37], v[4:5]
	s_cbranch_execz .LBB53_43
; %bb.45:                               ;   in Loop: Header=BB53_44 Depth=2
	global_load_b32 v9, v[2:3], off
	s_branch .LBB53_43
.LBB53_46:                              ;   in Loop: Header=BB53_17 Depth=1
	s_or_b32 exec_lo, exec_lo, s6
	s_waitcnt vmcnt(0) lgkmcnt(0)
	s_barrier
	buffer_gl0_inv
	s_and_saveexec_b32 s5, s2
	s_cbranch_execz .LBB53_48
; %bb.47:                               ;   in Loop: Header=BB53_17 Depth=1
	v_dual_mov_b32 v2, s36 :: v_dual_mov_b32 v3, s37
	ds_store_b64 v13, v[2:3] offset:5120
.LBB53_48:                              ;   in Loop: Header=BB53_17 Depth=1
	s_or_b32 exec_lo, exec_lo, s5
	s_mov_b32 s5, -1
	s_waitcnt lgkmcnt(0)
	s_barrier
                                        ; implicit-def: $sgpr68_sgpr69
.LBB53_49:                              ;   in Loop: Header=BB53_17 Depth=1
	s_and_b32 vcc_lo, exec_lo, s5
	s_cbranch_vccz .LBB53_51
; %bb.50:                               ;   in Loop: Header=BB53_17 Depth=1
	buffer_gl0_inv
	ds_load_b64 v[2:3], v13 offset:5120
	s_waitcnt lgkmcnt(0)
	v_readfirstlane_b32 s68, v2
.LBB53_51:                              ;   in Loop: Header=BB53_17 Depth=1
	s_delay_alu instid0(VALU_DEP_1)
	s_cmp_lt_i32 s68, 1
	s_cbranch_scc0 .LBB53_66
; %bb.52:                               ;   in Loop: Header=BB53_17 Depth=1
	global_load_u16 v4, v13, s[62:63]
	s_mov_b32 s6, s57
	s_mov_b32 s7, s37
	s_waitcnt vmcnt(0)
	v_readfirstlane_b32 s5, v4
	s_delay_alu instid0(VALU_DEP_1) | instskip(NEXT) | instid1(SALU_CYCLE_1)
	s_and_b32 s5, 0xffff, s5
	s_lshl_b32 s56, s5, 2
	s_cmp_lg_u64 s[6:7], 0
	s_cbranch_scc0 .LBB53_86
; %bb.53:                               ;   in Loop: Header=BB53_17 Depth=1
	v_cvt_f32_u32_e32 v2, s56
	s_sub_u32 s7, 0, s56
	s_subb_u32 s8, 0, 0
	s_delay_alu instid0(VALU_DEP_1) | instskip(NEXT) | instid1(VALU_DEP_1)
	v_fmac_f32_e32 v2, 0x4f800000, v43
	v_rcp_f32_e32 v2, v2
	s_waitcnt_depctr 0xfff
	v_mul_f32_e32 v2, 0x5f7ffffc, v2
	s_delay_alu instid0(VALU_DEP_1) | instskip(NEXT) | instid1(VALU_DEP_1)
	v_mul_f32_e32 v3, 0x2f800000, v2
	v_trunc_f32_e32 v3, v3
	s_delay_alu instid0(VALU_DEP_1) | instskip(SKIP_1) | instid1(VALU_DEP_2)
	v_fmac_f32_e32 v2, 0xcf800000, v3
	v_cvt_u32_f32_e32 v3, v3
	v_cvt_u32_f32_e32 v2, v2
	s_delay_alu instid0(VALU_DEP_2) | instskip(NEXT) | instid1(VALU_DEP_2)
	v_readfirstlane_b32 s5, v3
	v_readfirstlane_b32 s6, v2
	s_delay_alu instid0(VALU_DEP_2) | instskip(NEXT) | instid1(VALU_DEP_1)
	s_mul_i32 s9, s7, s5
	s_mul_hi_u32 s11, s7, s6
	s_mul_i32 s10, s8, s6
	s_add_i32 s9, s11, s9
	s_mul_i32 s12, s7, s6
	s_add_i32 s9, s9, s10
	s_mul_hi_u32 s11, s6, s12
	s_mul_hi_u32 s13, s5, s12
	s_mul_i32 s10, s5, s12
	s_mul_hi_u32 s12, s6, s9
	s_mul_i32 s6, s6, s9
	s_mul_hi_u32 s14, s5, s9
	s_add_u32 s6, s11, s6
	s_addc_u32 s11, 0, s12
	s_add_u32 s6, s6, s10
	s_mul_i32 s9, s5, s9
	s_addc_u32 s6, s11, s13
	s_addc_u32 s10, s14, 0
	s_add_u32 s6, s6, s9
	s_addc_u32 s9, 0, s10
	v_add_co_u32 v2, s6, v2, s6
	s_delay_alu instid0(VALU_DEP_1) | instskip(SKIP_1) | instid1(VALU_DEP_1)
	s_cmp_lg_u32 s6, 0
	s_addc_u32 s5, s5, s9
	v_readfirstlane_b32 s6, v2
	s_mul_i32 s9, s7, s5
	s_delay_alu instid0(VALU_DEP_1)
	s_mul_hi_u32 s10, s7, s6
	s_mul_i32 s8, s8, s6
	s_add_i32 s9, s10, s9
	s_mul_i32 s7, s7, s6
	s_add_i32 s9, s9, s8
	s_mul_hi_u32 s10, s5, s7
	s_mul_i32 s11, s5, s7
	s_mul_hi_u32 s7, s6, s7
	s_mul_hi_u32 s12, s6, s9
	s_mul_i32 s6, s6, s9
	s_mul_hi_u32 s8, s5, s9
	s_add_u32 s6, s7, s6
	s_addc_u32 s7, 0, s12
	s_add_u32 s6, s6, s11
	s_mul_i32 s9, s5, s9
	s_addc_u32 s6, s7, s10
	s_addc_u32 s7, s8, 0
	s_add_u32 s6, s6, s9
	s_addc_u32 s7, 0, s7
	v_add_co_u32 v2, s6, v2, s6
	s_delay_alu instid0(VALU_DEP_1) | instskip(SKIP_2) | instid1(VALU_DEP_1)
	s_cmp_lg_u32 s6, 0
	s_addc_u32 s5, s5, s7
	s_ashr_i32 s6, s37, 31
	v_readfirstlane_b32 s10, v2
	s_add_u32 s8, s36, s6
	s_mov_b32 s7, s6
	s_addc_u32 s9, s37, s6
	s_delay_alu instid0(SALU_CYCLE_1) | instskip(NEXT) | instid1(SALU_CYCLE_1)
	s_xor_b64 s[8:9], s[8:9], s[6:7]
	s_mul_i32 s11, s8, s5
	s_mul_hi_u32 s12, s8, s10
	s_mul_hi_u32 s7, s8, s5
	;; [unrolled: 1-line block ×3, first 2 shown]
	s_mul_i32 s10, s9, s10
	s_add_u32 s11, s12, s11
	s_addc_u32 s7, 0, s7
	s_mul_hi_u32 s13, s9, s5
	s_add_u32 s10, s11, s10
	s_mul_i32 s5, s9, s5
	s_addc_u32 s7, s7, s14
	s_addc_u32 s10, s13, 0
	s_add_u32 s5, s7, s5
	s_addc_u32 s7, 0, s10
	s_mul_hi_u32 s10, s56, s5
	s_mul_i32 s5, s56, s5
	s_mul_i32 s7, s56, s7
	v_sub_co_u32 v2, s5, s8, s5
	s_add_i32 s10, s10, s7
	s_cmp_lg_u32 s5, 0
	s_delay_alu instid0(VALU_DEP_1) | instskip(SKIP_2) | instid1(VALU_DEP_1)
	v_sub_co_u32 v3, s5, v2, s56
	s_subb_u32 s7, s9, s10
	s_cmp_lg_u32 s5, 0
	v_cmp_le_u32_e32 vcc_lo, s56, v3
	v_sub_co_u32 v5, s5, v3, s56
	s_subb_u32 s8, s7, 0
	s_cmp_lg_u32 s5, 0
	v_cndmask_b32_e64 v6, 0, -1, vcc_lo
	s_subb_u32 s5, s8, 0
	s_cmp_eq_u32 s8, 0
	v_mov_b32_e32 v8, s5
	s_cselect_b32 vcc_lo, -1, 0
	s_cmp_eq_u32 s7, 0
	v_cndmask_b32_e32 v6, -1, v6, vcc_lo
	v_cmp_le_u32_e32 vcc_lo, s56, v2
	s_cselect_b32 s5, -1, 0
	v_cndmask_b32_e64 v7, 0, -1, vcc_lo
	s_delay_alu instid0(VALU_DEP_3) | instskip(NEXT) | instid1(VALU_DEP_2)
	v_cmp_ne_u32_e32 vcc_lo, 0, v6
	v_cndmask_b32_e64 v6, -1, v7, s5
	v_cndmask_b32_e32 v7, s8, v8, vcc_lo
	v_cndmask_b32_e32 v3, v3, v5, vcc_lo
	s_delay_alu instid0(VALU_DEP_3) | instskip(NEXT) | instid1(VALU_DEP_2)
	v_cmp_ne_u32_e32 vcc_lo, 0, v6
	v_cndmask_b32_e32 v2, v2, v3, vcc_lo
	s_delay_alu instid0(VALU_DEP_4) | instskip(NEXT) | instid1(VALU_DEP_2)
	v_cndmask_b32_e32 v5, s7, v7, vcc_lo
	v_xor_b32_e32 v2, s6, v2
	s_delay_alu instid0(VALU_DEP_2) | instskip(NEXT) | instid1(VALU_DEP_2)
	v_xor_b32_e32 v3, s6, v5
	v_sub_co_u32 v26, vcc_lo, v2, s6
	s_delay_alu instid0(VALU_DEP_2)
	v_subrev_co_ci_u32_e32 v27, vcc_lo, s6, v3, vcc_lo
	s_cbranch_execnz .LBB53_55
.LBB53_54:                              ;   in Loop: Header=BB53_17 Depth=1
	v_cvt_f32_u32_e32 v2, s56
	s_sub_i32 s5, 0, s56
	s_delay_alu instid0(VALU_DEP_1) | instskip(SKIP_2) | instid1(VALU_DEP_1)
	v_rcp_iflag_f32_e32 v2, v2
	s_waitcnt_depctr 0xfff
	v_mul_f32_e32 v2, 0x4f7ffffe, v2
	v_cvt_u32_f32_e32 v2, v2
	s_delay_alu instid0(VALU_DEP_1) | instskip(NEXT) | instid1(VALU_DEP_1)
	v_mul_lo_u32 v3, s5, v2
	v_mul_hi_u32 v3, v2, v3
	s_delay_alu instid0(VALU_DEP_1) | instskip(NEXT) | instid1(VALU_DEP_1)
	v_add_nc_u32_e32 v2, v2, v3
	v_mul_hi_u32 v2, s36, v2
	s_delay_alu instid0(VALU_DEP_1) | instskip(NEXT) | instid1(VALU_DEP_1)
	v_mul_lo_u32 v2, v2, s56
	v_sub_nc_u32_e32 v2, s36, v2
	s_delay_alu instid0(VALU_DEP_1) | instskip(SKIP_1) | instid1(VALU_DEP_2)
	v_subrev_nc_u32_e32 v3, s56, v2
	v_cmp_le_u32_e32 vcc_lo, s56, v2
	v_cndmask_b32_e32 v2, v2, v3, vcc_lo
	s_delay_alu instid0(VALU_DEP_1) | instskip(SKIP_1) | instid1(VALU_DEP_2)
	v_subrev_nc_u32_e32 v3, s56, v2
	v_cmp_le_u32_e32 vcc_lo, s56, v2
	v_cndmask_b32_e32 v12, v2, v3, vcc_lo
	s_delay_alu instid0(VALU_DEP_1)
	v_dual_mov_b32 v27, v13 :: v_dual_mov_b32 v26, v12
.LBB53_55:                              ;   in Loop: Header=BB53_17 Depth=1
	v_mov_b32_e32 v2, 0
	v_dual_mov_b32 v3, 0 :: v_dual_and_b32 v12, 0xffff, v4
	s_delay_alu instid0(VALU_DEP_3) | instskip(NEXT) | instid1(VALU_DEP_4)
	v_sub_co_u32 v28, vcc_lo, s36, v26
	v_sub_co_ci_u32_e32 v29, vcc_lo, s37, v27, vcc_lo
	s_delay_alu instid0(VALU_DEP_3)
	v_dual_mov_b32 v5, v3 :: v_dual_mov_b32 v4, v2
	v_dual_mov_b32 v7, v3 :: v_dual_mov_b32 v6, v2
	;; [unrolled: 1-line block ×3, first 2 shown]
	s_mov_b64 s[70:71], 0
	s_mov_b32 s69, exec_lo
	v_cmpx_gt_i64_e64 v[28:29], v[14:15]
	s_cbranch_execz .LBB53_59
; %bb.56:                               ;   in Loop: Header=BB53_17 Depth=1
	v_mul_lo_u32 v2, s67, v12
	v_mul_hi_u32 v3, s66, v12
	v_mul_lo_u32 v24, s66, v12
	v_dual_mov_b32 v30, s60 :: v_dual_mov_b32 v31, s61
	v_dual_mov_b32 v33, v15 :: v_dual_mov_b32 v32, v14
	s_and_b32 s99, s91, 0xfe
	s_mov_b32 s100, 0
	s_delay_alu instid0(VALU_DEP_4)
	v_add_nc_u32_e32 v44, v3, v2
	s_mov_b64 s[72:73], 0
	s_mov_b64 s[74:75], 0
	;; [unrolled: 1-line block ×3, first 2 shown]
.LBB53_57:                              ;   Parent Loop BB53_17 Depth=1
                                        ; =>  This Inner Loop Header: Depth=2
	v_add_co_u32 v2, vcc_lo, v30, v21
	v_add_co_ci_u32_e32 v3, vcc_lo, v31, v22, vcc_lo
	v_add_co_u32 v4, vcc_lo, v30, v20
	v_add_co_ci_u32_e32 v5, vcc_lo, v31, v39, vcc_lo
	;; [unrolled: 2-line block ×4, first 2 shown]
	s_clause 0x3
	global_load_b32 v2, v[2:3], off
	global_load_b32 v3, v[4:5], off
	;; [unrolled: 1-line block ×4, first 2 shown]
	v_add_co_u32 v32, vcc_lo, v32, s56
	v_add_co_ci_u32_e32 v33, vcc_lo, 0, v33, vcc_lo
	v_add_co_u32 v30, vcc_lo, v30, v24
	v_add_co_ci_u32_e32 v31, vcc_lo, v31, v44, vcc_lo
	s_delay_alu instid0(VALU_DEP_3)
	v_cmp_ge_i64_e32 vcc_lo, v[32:33], v[28:29]
	s_waitcnt vmcnt(3)
	v_cmp_lt_i32_e64 s5, -1, v2
	v_cmp_o_f32_e64 s8, v2, v2
	s_waitcnt vmcnt(1)
	v_cmp_o_f32_e64 s6, v4, v4
	s_waitcnt vmcnt(0)
	v_cmp_o_f32_e64 s7, v5, v5
	v_cndmask_b32_e64 v6, -1, 0x80000000, s5
	v_cmp_lt_i32_e64 s5, -1, v3
	s_delay_alu instid0(VALU_DEP_2) | instskip(NEXT) | instid1(VALU_DEP_2)
	v_xor_b32_e32 v6, v6, v2
	v_cndmask_b32_e64 v7, -1, 0x80000000, s5
	v_cmp_lt_i32_e64 s5, -1, v4
	s_delay_alu instid0(VALU_DEP_3) | instskip(NEXT) | instid1(VALU_DEP_3)
	v_cndmask_b32_e64 v2, -1, v6, s8
	v_xor_b32_e32 v7, v7, v3
	s_delay_alu instid0(VALU_DEP_3) | instskip(SKIP_1) | instid1(VALU_DEP_4)
	v_cndmask_b32_e64 v8, -1, 0x80000000, s5
	v_cmp_lt_i32_e64 s5, -1, v5
	v_and_b32_e32 v6, s97, v2
	v_bfe_u32 v2, v2, s99, 2
	s_delay_alu instid0(VALU_DEP_3) | instskip(SKIP_2) | instid1(VALU_DEP_4)
	v_cndmask_b32_e64 v9, -1, 0x80000000, s5
	v_cmp_o_f32_e64 s5, v3, v3
	v_xor_b32_e32 v3, v8, v4
	v_cmp_eq_u32_e64 s9, 0, v2
	v_cmp_eq_u32_e64 s13, 1, v2
	v_xor_b32_e32 v4, v9, v5
	v_cndmask_b32_e64 v5, -1, v7, s5
	v_cndmask_b32_e64 v3, -1, v3, s6
	v_cmp_eq_u32_e64 s5, s98, v6
	v_cmp_eq_u32_e64 s17, 2, v2
	v_cndmask_b32_e64 v4, -1, v4, s7
	v_and_b32_e32 v7, s97, v5
	v_bfe_u32 v5, v5, s99, 2
	v_and_b32_e32 v8, s97, v3
	v_bfe_u32 v3, v3, s99, 2
	;; [unrolled: 2-line block ×3, first 2 shown]
	v_cmp_eq_u32_e64 s6, s98, v7
	v_cmp_eq_u32_e64 s10, 0, v5
	;; [unrolled: 1-line block ×4, first 2 shown]
	s_and_b32 s9, s5, s9
	v_cmp_eq_u32_e64 s8, s98, v9
	v_cmp_eq_u32_e64 s12, 0, v4
	v_cmp_eq_u32_e64 s21, 3, v2
	v_cndmask_b32_e64 v2, 0, 1, s9
	s_and_b32 s9, s6, s10
	v_cmp_eq_u32_e64 s15, 1, v3
	v_cmp_eq_u32_e64 s19, 2, v3
	v_cmp_eq_u32_e64 s23, 3, v3
	v_cndmask_b32_e64 v3, 0, 1, s9
	;; [unrolled: 5-line block ×4, first 2 shown]
	v_cmp_ne_u32_e64 s9, 0, v2
	v_cmp_ne_u32_e64 s10, 0, v3
	;; [unrolled: 1-line block ×3, first 2 shown]
	s_delay_alu instid0(VALU_DEP_4) | instskip(NEXT) | instid1(VALU_DEP_4)
	v_cmp_ne_u32_e64 s12, 0, v5
	s_bcnt1_i32_b32 s9, s9
	s_delay_alu instid0(VALU_DEP_3) | instskip(NEXT) | instid1(VALU_DEP_2)
	s_bcnt1_i32_b32 s10, s10
	s_bcnt1_i32_b32 s11, s11
	s_add_i32 s9, s10, s9
	s_bcnt1_i32_b32 s12, s12
	s_add_i32 s9, s9, s11
	s_delay_alu instid0(SALU_CYCLE_1) | instskip(NEXT) | instid1(SALU_CYCLE_1)
	s_add_i32 s9, s9, s12
	s_add_u32 s76, s76, s9
	s_addc_u32 s77, s77, 0
	s_and_b32 s9, s5, s13
	s_delay_alu instid0(SALU_CYCLE_1) | instskip(SKIP_1) | instid1(SALU_CYCLE_1)
	v_cndmask_b32_e64 v2, 0, 1, s9
	s_and_b32 s9, s6, s14
	v_cndmask_b32_e64 v3, 0, 1, s9
	s_and_b32 s9, s7, s15
	s_delay_alu instid0(SALU_CYCLE_1) | instskip(SKIP_1) | instid1(VALU_DEP_2)
	v_cndmask_b32_e64 v4, 0, 1, s9
	s_and_b32 s9, s8, s16
	v_cmp_ne_u32_e64 s10, 0, v3
	v_cndmask_b32_e64 v5, 0, 1, s9
	v_cmp_ne_u32_e64 s9, 0, v2
	v_cmp_ne_u32_e64 s11, 0, v4
	s_delay_alu instid0(VALU_DEP_4) | instskip(NEXT) | instid1(VALU_DEP_3)
	s_bcnt1_i32_b32 s10, s10
	v_cmp_ne_u32_e64 s12, 0, v5
	s_delay_alu instid0(VALU_DEP_3) | instskip(NEXT) | instid1(VALU_DEP_2)
	s_bcnt1_i32_b32 s9, s9
	s_bcnt1_i32_b32 s11, s11
	s_add_i32 s9, s10, s9
	s_delay_alu instid0(VALU_DEP_1) | instskip(SKIP_1) | instid1(SALU_CYCLE_1)
	s_bcnt1_i32_b32 s12, s12
	s_add_i32 s9, s9, s11
	s_add_i32 s9, s9, s12
	s_delay_alu instid0(SALU_CYCLE_1) | instskip(SKIP_2) | instid1(SALU_CYCLE_1)
	s_add_u32 s74, s74, s9
	s_addc_u32 s75, s75, 0
	s_and_b32 s9, s5, s17
	v_cndmask_b32_e64 v2, 0, 1, s9
	s_and_b32 s9, s6, s18
	s_delay_alu instid0(SALU_CYCLE_1) | instskip(SKIP_1) | instid1(SALU_CYCLE_1)
	v_cndmask_b32_e64 v3, 0, 1, s9
	s_and_b32 s9, s7, s19
	v_cndmask_b32_e64 v4, 0, 1, s9
	s_and_b32 s9, s8, s20
	s_delay_alu instid0(VALU_DEP_2) | instskip(SKIP_3) | instid1(VALU_DEP_4)
	v_cmp_ne_u32_e64 s10, 0, v3
	v_cndmask_b32_e64 v5, 0, 1, s9
	v_cmp_ne_u32_e64 s9, 0, v2
	v_cmp_ne_u32_e64 s11, 0, v4
	s_bcnt1_i32_b32 s10, s10
	s_delay_alu instid0(VALU_DEP_3) | instskip(NEXT) | instid1(VALU_DEP_3)
	v_cmp_ne_u32_e64 s12, 0, v5
	s_bcnt1_i32_b32 s9, s9
	s_delay_alu instid0(VALU_DEP_2) | instskip(SKIP_1) | instid1(VALU_DEP_1)
	s_bcnt1_i32_b32 s11, s11
	s_add_i32 s9, s10, s9
	s_bcnt1_i32_b32 s12, s12
	s_add_i32 s9, s9, s11
	s_delay_alu instid0(SALU_CYCLE_1) | instskip(NEXT) | instid1(SALU_CYCLE_1)
	s_add_i32 s9, s9, s12
	s_add_u32 s72, s72, s9
	s_addc_u32 s73, s73, 0
	s_and_b32 s5, s5, s21
	v_dual_mov_b32 v6, s72 :: v_dual_mov_b32 v7, s73
	v_cndmask_b32_e64 v2, 0, 1, s5
	s_and_b32 s5, s6, s22
	s_delay_alu instid0(SALU_CYCLE_1) | instskip(SKIP_1) | instid1(SALU_CYCLE_1)
	v_cndmask_b32_e64 v3, 0, 1, s5
	s_and_b32 s5, s7, s23
	v_cndmask_b32_e64 v4, 0, 1, s5
	s_and_b32 s5, s8, s24
	s_delay_alu instid0(VALU_DEP_2)
	v_cmp_ne_u32_e64 s6, 0, v3
	v_cndmask_b32_e64 v5, 0, 1, s5
	v_cmp_ne_u32_e64 s5, 0, v2
	v_cmp_ne_u32_e64 s7, 0, v4
	v_mov_b32_e32 v2, s76
	s_bcnt1_i32_b32 s6, s6
	v_cmp_ne_u32_e64 s8, 0, v5
	s_bcnt1_i32_b32 s5, s5
	s_bcnt1_i32_b32 s7, s7
	s_add_i32 s5, s6, s5
	v_mov_b32_e32 v4, s74
	s_bcnt1_i32_b32 s6, s8
	s_add_i32 s5, s5, s7
	v_mov_b32_e32 v3, s77
	s_add_i32 s5, s5, s6
	v_mov_b32_e32 v5, s75
	s_add_u32 s70, s70, s5
	s_addc_u32 s71, s71, 0
	s_delay_alu instid0(SALU_CYCLE_1) | instskip(SKIP_1) | instid1(SALU_CYCLE_1)
	v_dual_mov_b32 v8, s70 :: v_dual_mov_b32 v9, s71
	s_or_b32 s100, vcc_lo, s100
	s_and_not1_b32 exec_lo, exec_lo, s100
	s_cbranch_execnz .LBB53_57
; %bb.58:                               ;   in Loop: Header=BB53_17 Depth=1
	s_or_b32 exec_lo, exec_lo, s100
.LBB53_59:                              ;   in Loop: Header=BB53_17 Depth=1
	s_delay_alu instid0(SALU_CYCLE_1) | instskip(SKIP_3) | instid1(VALU_DEP_2)
	s_or_b32 exec_lo, exec_lo, s69
	v_add_co_u32 v28, vcc_lo, v28, v0
	v_add_co_ci_u32_e32 v29, vcc_lo, 0, v29, vcc_lo
	v_mov_b32_e32 v32, 0
	v_cmp_gt_i64_e32 vcc_lo, s[36:37], v[28:29]
	s_and_saveexec_b32 s6, vcc_lo
	s_cbranch_execz .LBB53_61
; %bb.60:                               ;   in Loop: Header=BB53_17 Depth=1
	v_mul_lo_u32 v24, v29, s42
	v_mul_lo_u32 v32, v28, s43
	v_mad_u64_u32 v[30:31], null, v28, s42, 0
	s_delay_alu instid0(VALU_DEP_1) | instskip(NEXT) | instid1(VALU_DEP_1)
	v_add3_u32 v31, v31, v32, v24
	v_lshlrev_b64 v[30:31], 2, v[30:31]
	s_delay_alu instid0(VALU_DEP_1) | instskip(NEXT) | instid1(VALU_DEP_1)
	v_add_co_u32 v30, s5, s60, v30
	v_add_co_ci_u32_e64 v31, s5, s61, v31, s5
	global_load_b32 v32, v[30:31], off
.LBB53_61:                              ;   in Loop: Header=BB53_17 Depth=1
	s_or_b32 exec_lo, exec_lo, s6
	s_and_saveexec_b32 s9, vcc_lo
	s_cbranch_execz .LBB53_68
; %bb.62:                               ;   in Loop: Header=BB53_17 Depth=1
	v_add_co_u32 v24, vcc_lo, v40, v12
	v_add_co_ci_u32_e32 v30, vcc_lo, 0, v41, vcc_lo
	v_mul_lo_u32 v33, s65, v12
	s_delay_alu instid0(VALU_DEP_3) | instskip(NEXT) | instid1(VALU_DEP_3)
	v_sub_co_u32 v24, vcc_lo, v24, v26
	v_sub_co_ci_u32_e32 v26, vcc_lo, v30, v27, vcc_lo
	v_mul_hi_u32 v44, s64, v12
	s_delay_alu instid0(VALU_DEP_3) | instskip(SKIP_1) | instid1(VALU_DEP_3)
	v_mul_lo_u32 v31, s65, v24
	s_and_b32 s11, s91, 0xfe
	v_mul_lo_u32 v30, s64, v26
	v_mad_u64_u32 v[26:27], null, s64, v24, s[60:61]
	v_mul_lo_u32 v24, s64, v12
	s_mov_b32 s10, 0
	s_delay_alu instid0(VALU_DEP_2)
	v_add3_u32 v27, v31, v27, v30
	v_add_nc_u32_e32 v30, v44, v33
	s_branch .LBB53_64
.LBB53_63:                              ;   in Loop: Header=BB53_64 Depth=2
	s_or_b32 exec_lo, exec_lo, s6
	s_waitcnt vmcnt(0)
	v_cmp_lt_i32_e64 s5, -1, v32
	s_and_b32 s6, exec_lo, vcc_lo
	s_delay_alu instid0(SALU_CYCLE_1) | instskip(NEXT) | instid1(VALU_DEP_1)
	s_or_b32 s10, s6, s10
	v_cndmask_b32_e64 v33, -1, 0x80000000, s5
	v_cmp_o_f32_e64 s5, v32, v32
	s_delay_alu instid0(VALU_DEP_2) | instskip(NEXT) | instid1(VALU_DEP_1)
	v_xor_b32_e32 v33, v33, v32
	v_cndmask_b32_e64 v32, -1, v33, s5
	s_delay_alu instid0(VALU_DEP_1) | instskip(SKIP_1) | instid1(VALU_DEP_2)
	v_and_b32_e32 v33, s97, v32
	v_bfe_u32 v32, v32, s11, 2
	v_cmp_eq_u32_e32 vcc_lo, s98, v33
	s_delay_alu instid0(VALU_DEP_2) | instskip(SKIP_3) | instid1(VALU_DEP_4)
	v_cmp_eq_u32_e64 s5, 0, v32
	v_cmp_eq_u32_e64 s6, 1, v32
	;; [unrolled: 1-line block ×4, first 2 shown]
	s_and_b32 s5, vcc_lo, s5
	s_delay_alu instid0(SALU_CYCLE_1) | instskip(SKIP_1) | instid1(SALU_CYCLE_1)
	v_cndmask_b32_e64 v32, 0, 1, s5
	s_and_b32 s5, vcc_lo, s6
	v_cndmask_b32_e64 v33, 0, 1, s5
	s_and_b32 s5, vcc_lo, s7
	s_delay_alu instid0(SALU_CYCLE_1)
	v_cndmask_b32_e64 v44, 0, 1, s5
	s_and_b32 s5, vcc_lo, s8
	v_cmp_ne_u32_e32 vcc_lo, 0, v32
	v_mov_b32_e32 v32, v31
	v_cndmask_b32_e64 v45, 0, 1, s5
	v_cmp_ne_u32_e64 s5, 0, v33
	v_cmp_ne_u32_e64 s6, 0, v44
	s_bcnt1_i32_b32 s8, vcc_lo
	s_delay_alu instid0(SALU_CYCLE_1) | instskip(NEXT) | instid1(VALU_DEP_3)
	v_add_co_u32 v2, vcc_lo, v2, s8
	s_bcnt1_i32_b32 s5, s5
	v_cmp_ne_u32_e64 s7, 0, v45
	v_add_co_ci_u32_e32 v3, vcc_lo, 0, v3, vcc_lo
	v_add_co_u32 v4, vcc_lo, v4, s5
	s_bcnt1_i32_b32 s6, s6
	v_add_co_ci_u32_e32 v5, vcc_lo, 0, v5, vcc_lo
	v_add_co_u32 v6, vcc_lo, v6, s6
	s_bcnt1_i32_b32 s5, s7
	v_add_co_ci_u32_e32 v7, vcc_lo, 0, v7, vcc_lo
	v_add_co_u32 v8, vcc_lo, v8, s5
	v_add_co_ci_u32_e32 v9, vcc_lo, 0, v9, vcc_lo
	v_add_co_u32 v26, vcc_lo, v26, v24
	v_add_co_ci_u32_e32 v27, vcc_lo, v27, v30, vcc_lo
	s_and_not1_b32 exec_lo, exec_lo, s10
	s_cbranch_execz .LBB53_67
.LBB53_64:                              ;   Parent Loop BB53_17 Depth=1
                                        ; =>  This Inner Loop Header: Depth=2
	v_add_co_u32 v28, vcc_lo, v28, v12
	v_add_co_ci_u32_e32 v29, vcc_lo, 0, v29, vcc_lo
	v_mov_b32_e32 v31, 0
	s_mov_b32 s6, exec_lo
	s_delay_alu instid0(VALU_DEP_2)
	v_cmp_le_i64_e32 vcc_lo, s[36:37], v[28:29]
	v_cmpx_gt_i64_e64 s[36:37], v[28:29]
	s_cbranch_execz .LBB53_63
; %bb.65:                               ;   in Loop: Header=BB53_64 Depth=2
	global_load_b32 v31, v[26:27], off
	s_branch .LBB53_63
.LBB53_66:                              ;   in Loop: Header=BB53_17 Depth=1
                                        ; implicit-def: $vgpr8_vgpr9
                                        ; implicit-def: $vgpr4_vgpr5
	s_cbranch_execnz .LBB53_69
	s_branch .LBB53_78
.LBB53_67:                              ;   in Loop: Header=BB53_17 Depth=1
	s_or_b32 exec_lo, exec_lo, s10
.LBB53_68:                              ;   in Loop: Header=BB53_17 Depth=1
	s_delay_alu instid0(SALU_CYCLE_1)
	s_or_b32 exec_lo, exec_lo, s9
	s_branch .LBB53_78
.LBB53_69:                              ;   in Loop: Header=BB53_17 Depth=1
	global_load_u16 v8, v13, s[62:63]
	s_mov_b64 s[70:71], 0
	s_mov_b32 s99, exec_lo
	s_waitcnt vmcnt(0)
	v_readfirstlane_b32 s5, v8
	v_and_b32_e32 v24, 0xffff, v8
	s_delay_alu instid0(VALU_DEP_2) | instskip(NEXT) | instid1(SALU_CYCLE_1)
	s_and_b32 s5, 0xffff, s5
	s_lshl_b32 s69, s5, 2
	s_delay_alu instid0(SALU_CYCLE_1) | instskip(SKIP_1) | instid1(VALU_DEP_1)
	v_cvt_f32_u32_e32 v2, s69
	s_sub_i32 s6, 0, s69
	v_rcp_iflag_f32_e32 v2, v2
	s_waitcnt_depctr 0xfff
	v_mul_f32_e32 v2, 0x4f7ffffe, v2
	s_delay_alu instid0(VALU_DEP_1) | instskip(NEXT) | instid1(VALU_DEP_1)
	v_cvt_u32_f32_e32 v2, v2
	v_readfirstlane_b32 s5, v2
	v_mov_b32_e32 v2, 0
	v_mov_b32_e32 v3, 0
	s_delay_alu instid0(VALU_DEP_3) | instskip(NEXT) | instid1(VALU_DEP_1)
	s_mul_i32 s6, s6, s5
	v_dual_mov_b32 v5, v3 :: v_dual_mov_b32 v4, v2
	s_mul_hi_u32 s6, s5, s6
	v_dual_mov_b32 v7, v3 :: v_dual_mov_b32 v6, v2
	s_add_i32 s5, s5, s6
	v_dual_mov_b32 v9, v3 :: v_dual_mov_b32 v8, v2
	s_mul_hi_u32 s5, s68, s5
	s_delay_alu instid0(SALU_CYCLE_1) | instskip(NEXT) | instid1(SALU_CYCLE_1)
	s_mul_i32 s5, s5, s69
	s_sub_i32 s5, s68, s5
	s_delay_alu instid0(SALU_CYCLE_1) | instskip(SKIP_2) | instid1(SALU_CYCLE_1)
	s_sub_i32 s6, s5, s69
	s_cmp_ge_u32 s5, s69
	s_cselect_b32 s5, s6, s5
	s_sub_i32 s6, s5, s69
	s_cmp_ge_u32 s5, s69
	s_cselect_b32 s5, s6, s5
	s_delay_alu instid0(SALU_CYCLE_1) | instskip(NEXT) | instid1(SALU_CYCLE_1)
	s_sub_i32 s56, s68, s5
	v_cmpx_gt_u32_e64 s56, v14
	s_cbranch_execz .LBB53_73
; %bb.70:                               ;   in Loop: Header=BB53_17 Depth=1
	v_dual_mov_b32 v27, v15 :: v_dual_lshlrev_b32 v12, 4, v24
	v_mov_b32_e32 v28, v37
	v_mov_b32_e32 v26, v14
	s_and_b32 s100, s91, 0xfe
	s_mov_b32 s101, 0
	s_mov_b64 s[72:73], 0
	s_mov_b64 s[74:75], 0
	s_mov_b64 s[76:77], 0
.LBB53_71:                              ;   Parent Loop BB53_17 Depth=1
                                        ; =>  This Inner Loop Header: Depth=2
	ds_load_b128 v[2:5], v28
	v_add_co_u32 v26, vcc_lo, v26, s69
	v_add_co_ci_u32_e32 v27, vcc_lo, 0, v27, vcc_lo
	s_delay_alu instid0(VALU_DEP_1)
	v_cmp_le_u64_e32 vcc_lo, s[56:57], v[26:27]
	s_waitcnt lgkmcnt(0)
	v_cmp_lt_i32_e64 s5, -1, v2
	v_cmp_o_f32_e64 s8, v2, v2
	v_cmp_o_f32_e64 s6, v4, v4
	;; [unrolled: 1-line block ×3, first 2 shown]
	s_delay_alu instid0(VALU_DEP_4) | instskip(SKIP_1) | instid1(VALU_DEP_2)
	v_cndmask_b32_e64 v6, -1, 0x80000000, s5
	v_cmp_lt_i32_e64 s5, -1, v3
	v_xor_b32_e32 v6, v6, v2
	s_delay_alu instid0(VALU_DEP_2) | instskip(SKIP_1) | instid1(VALU_DEP_3)
	v_cndmask_b32_e64 v7, -1, 0x80000000, s5
	v_cmp_lt_i32_e64 s5, -1, v4
	v_cndmask_b32_e64 v2, -1, v6, s8
	s_delay_alu instid0(VALU_DEP_3) | instskip(NEXT) | instid1(VALU_DEP_3)
	v_xor_b32_e32 v7, v7, v3
	v_cndmask_b32_e64 v8, -1, 0x80000000, s5
	v_cmp_lt_i32_e64 s5, -1, v5
	s_delay_alu instid0(VALU_DEP_4) | instskip(SKIP_1) | instid1(VALU_DEP_3)
	v_and_b32_e32 v6, s97, v2
	v_bfe_u32 v2, v2, s100, 2
	v_cndmask_b32_e64 v9, -1, 0x80000000, s5
	v_cmp_o_f32_e64 s5, v3, v3
	v_xor_b32_e32 v3, v8, v4
	s_delay_alu instid0(VALU_DEP_4)
	v_cmp_eq_u32_e64 s9, 0, v2
	v_cmp_eq_u32_e64 s13, 1, v2
	v_xor_b32_e32 v4, v9, v5
	v_cndmask_b32_e64 v5, -1, v7, s5
	v_cndmask_b32_e64 v3, -1, v3, s6
	v_cmp_eq_u32_e64 s5, s98, v6
	v_cmp_eq_u32_e64 s17, 2, v2
	v_cndmask_b32_e64 v4, -1, v4, s7
	v_and_b32_e32 v7, s97, v5
	v_bfe_u32 v5, v5, s100, 2
	v_and_b32_e32 v8, s97, v3
	v_bfe_u32 v3, v3, s100, 2
	;; [unrolled: 2-line block ×3, first 2 shown]
	v_cmp_eq_u32_e64 s6, s98, v7
	v_cmp_eq_u32_e64 s10, 0, v5
	;; [unrolled: 1-line block ×4, first 2 shown]
	s_and_b32 s9, s5, s9
	v_cmp_eq_u32_e64 s8, s98, v9
	v_cmp_eq_u32_e64 s12, 0, v4
	v_cmp_eq_u32_e64 s21, 3, v2
	v_cndmask_b32_e64 v2, 0, 1, s9
	s_and_b32 s9, s6, s10
	v_cmp_eq_u32_e64 s15, 1, v3
	v_cmp_eq_u32_e64 s19, 2, v3
	v_cmp_eq_u32_e64 s23, 3, v3
	v_cndmask_b32_e64 v3, 0, 1, s9
	;; [unrolled: 5-line block ×4, first 2 shown]
	v_cmp_ne_u32_e64 s9, 0, v2
	v_cmp_ne_u32_e64 s10, 0, v3
	;; [unrolled: 1-line block ×3, first 2 shown]
	s_delay_alu instid0(VALU_DEP_4) | instskip(NEXT) | instid1(VALU_DEP_4)
	v_cmp_ne_u32_e64 s12, 0, v5
	s_bcnt1_i32_b32 s9, s9
	s_delay_alu instid0(VALU_DEP_3) | instskip(NEXT) | instid1(VALU_DEP_2)
	s_bcnt1_i32_b32 s10, s10
	s_bcnt1_i32_b32 s11, s11
	s_add_i32 s9, s10, s9
	s_bcnt1_i32_b32 s12, s12
	s_add_i32 s9, s9, s11
	s_delay_alu instid0(SALU_CYCLE_1) | instskip(NEXT) | instid1(SALU_CYCLE_1)
	s_add_i32 s9, s9, s12
	s_add_u32 s76, s76, s9
	s_addc_u32 s77, s77, 0
	s_and_b32 s9, s5, s13
	v_add_nc_u32_e32 v28, v28, v12
	v_cndmask_b32_e64 v2, 0, 1, s9
	s_and_b32 s9, s6, s14
	s_delay_alu instid0(SALU_CYCLE_1) | instskip(SKIP_1) | instid1(SALU_CYCLE_1)
	v_cndmask_b32_e64 v3, 0, 1, s9
	s_and_b32 s9, s7, s15
	v_cndmask_b32_e64 v4, 0, 1, s9
	s_and_b32 s9, s8, s16
	s_delay_alu instid0(VALU_DEP_2) | instskip(SKIP_3) | instid1(VALU_DEP_4)
	v_cmp_ne_u32_e64 s10, 0, v3
	v_cndmask_b32_e64 v5, 0, 1, s9
	v_cmp_ne_u32_e64 s9, 0, v2
	v_cmp_ne_u32_e64 s11, 0, v4
	s_bcnt1_i32_b32 s10, s10
	s_delay_alu instid0(VALU_DEP_3) | instskip(NEXT) | instid1(VALU_DEP_3)
	v_cmp_ne_u32_e64 s12, 0, v5
	s_bcnt1_i32_b32 s9, s9
	s_delay_alu instid0(VALU_DEP_2) | instskip(SKIP_1) | instid1(VALU_DEP_1)
	s_bcnt1_i32_b32 s11, s11
	s_add_i32 s9, s10, s9
	s_bcnt1_i32_b32 s12, s12
	s_add_i32 s9, s9, s11
	s_delay_alu instid0(SALU_CYCLE_1) | instskip(NEXT) | instid1(SALU_CYCLE_1)
	s_add_i32 s9, s9, s12
	s_add_u32 s74, s74, s9
	s_addc_u32 s75, s75, 0
	s_and_b32 s9, s5, s17
	s_delay_alu instid0(SALU_CYCLE_1) | instskip(SKIP_1) | instid1(SALU_CYCLE_1)
	v_cndmask_b32_e64 v2, 0, 1, s9
	s_and_b32 s9, s6, s18
	v_cndmask_b32_e64 v3, 0, 1, s9
	s_and_b32 s9, s7, s19
	s_delay_alu instid0(SALU_CYCLE_1) | instskip(SKIP_1) | instid1(VALU_DEP_2)
	v_cndmask_b32_e64 v4, 0, 1, s9
	s_and_b32 s9, s8, s20
	v_cmp_ne_u32_e64 s10, 0, v3
	v_cndmask_b32_e64 v5, 0, 1, s9
	v_cmp_ne_u32_e64 s9, 0, v2
	v_cmp_ne_u32_e64 s11, 0, v4
	s_delay_alu instid0(VALU_DEP_4) | instskip(NEXT) | instid1(VALU_DEP_3)
	s_bcnt1_i32_b32 s10, s10
	v_cmp_ne_u32_e64 s12, 0, v5
	s_delay_alu instid0(VALU_DEP_3) | instskip(NEXT) | instid1(VALU_DEP_2)
	s_bcnt1_i32_b32 s9, s9
	s_bcnt1_i32_b32 s11, s11
	s_add_i32 s9, s10, s9
	s_delay_alu instid0(VALU_DEP_1) | instskip(SKIP_1) | instid1(SALU_CYCLE_1)
	s_bcnt1_i32_b32 s12, s12
	s_add_i32 s9, s9, s11
	s_add_i32 s9, s9, s12
	s_delay_alu instid0(SALU_CYCLE_1) | instskip(SKIP_2) | instid1(SALU_CYCLE_1)
	s_add_u32 s72, s72, s9
	s_addc_u32 s73, s73, 0
	s_and_b32 s5, s5, s21
	v_cndmask_b32_e64 v2, 0, 1, s5
	s_and_b32 s5, s6, s22
	s_delay_alu instid0(SALU_CYCLE_1) | instskip(SKIP_1) | instid1(SALU_CYCLE_1)
	v_cndmask_b32_e64 v3, 0, 1, s5
	s_and_b32 s5, s7, s23
	v_cndmask_b32_e64 v4, 0, 1, s5
	s_and_b32 s5, s8, s24
	s_delay_alu instid0(VALU_DEP_2) | instskip(SKIP_4) | instid1(VALU_DEP_4)
	v_cmp_ne_u32_e64 s6, 0, v3
	v_cndmask_b32_e64 v5, 0, 1, s5
	v_cmp_ne_u32_e64 s5, 0, v2
	v_cmp_ne_u32_e64 s7, 0, v4
	v_dual_mov_b32 v2, s76 :: v_dual_mov_b32 v3, s77
	v_cmp_ne_u32_e64 s8, 0, v5
	s_delay_alu instid0(VALU_DEP_4)
	s_bcnt1_i32_b32 s5, s5
	s_bcnt1_i32_b32 s6, s6
	s_bcnt1_i32_b32 s7, s7
	s_add_i32 s5, s6, s5
	s_bcnt1_i32_b32 s6, s8
	s_add_i32 s5, s5, s7
	v_mov_b32_e32 v4, s74
	s_add_i32 s5, s5, s6
	v_mov_b32_e32 v5, s75
	s_add_u32 s70, s70, s5
	s_addc_u32 s71, s71, 0
	v_mov_b32_e32 v6, s72
	v_dual_mov_b32 v8, s70 :: v_dual_mov_b32 v9, s71
	v_mov_b32_e32 v7, s73
	s_or_b32 s101, vcc_lo, s101
	s_delay_alu instid0(SALU_CYCLE_1)
	s_and_not1_b32 exec_lo, exec_lo, s101
	s_cbranch_execnz .LBB53_71
; %bb.72:                               ;   in Loop: Header=BB53_17 Depth=1
	s_or_b32 exec_lo, exec_lo, s101
.LBB53_73:                              ;   in Loop: Header=BB53_17 Depth=1
	s_delay_alu instid0(SALU_CYCLE_1) | instskip(SKIP_2) | instid1(VALU_DEP_1)
	s_or_b32 exec_lo, exec_lo, s99
	v_add_nc_u32_e32 v12, s56, v0
	s_mov_b32 s12, exec_lo
	v_cmpx_gt_u32_e64 s68, v12
	s_cbranch_execz .LBB53_77
; %bb.74:                               ;   in Loop: Header=BB53_17 Depth=1
	v_dual_mov_b32 v27, v13 :: v_dual_lshlrev_b32 v28, 2, v12
	v_mov_b32_e32 v26, v12
	s_mov_b32 s11, 0
	s_and_b32 s10, s68, 0x7fffffff
	s_and_b32 s14, s91, 0xfe
	s_mov_b32 s13, s11
.LBB53_75:                              ;   Parent Loop BB53_17 Depth=1
                                        ; =>  This Inner Loop Header: Depth=2
	ds_load_b32 v12, v28
	v_add_co_u32 v26, vcc_lo, v26, v24
	v_add_co_ci_u32_e32 v27, vcc_lo, 0, v27, vcc_lo
	v_add_nc_u32_e32 v28, s69, v28
	s_delay_alu instid0(VALU_DEP_2) | instskip(SKIP_2) | instid1(VALU_DEP_1)
	v_cmp_le_u64_e32 vcc_lo, s[10:11], v[26:27]
	s_waitcnt lgkmcnt(0)
	v_cmp_lt_i32_e64 s5, -1, v12
	v_cndmask_b32_e64 v29, -1, 0x80000000, s5
	v_cmp_o_f32_e64 s5, v12, v12
	s_delay_alu instid0(VALU_DEP_2) | instskip(NEXT) | instid1(VALU_DEP_1)
	v_xor_b32_e32 v29, v29, v12
	v_cndmask_b32_e64 v12, -1, v29, s5
	s_delay_alu instid0(VALU_DEP_1) | instskip(SKIP_1) | instid1(VALU_DEP_2)
	v_and_b32_e32 v29, s97, v12
	v_bfe_u32 v12, v12, s14, 2
	v_cmp_eq_u32_e64 s5, s98, v29
	s_delay_alu instid0(VALU_DEP_2) | instskip(SKIP_3) | instid1(VALU_DEP_4)
	v_cmp_eq_u32_e64 s6, 0, v12
	v_cmp_eq_u32_e64 s7, 1, v12
	;; [unrolled: 1-line block ×4, first 2 shown]
	s_and_b32 s6, s5, s6
	s_delay_alu instid0(SALU_CYCLE_1) | instskip(SKIP_1) | instid1(SALU_CYCLE_1)
	v_cndmask_b32_e64 v12, 0, 1, s6
	s_and_b32 s6, s5, s7
	v_cndmask_b32_e64 v29, 0, 1, s6
	s_and_b32 s6, s5, s8
	s_and_b32 s5, s5, s9
	v_cndmask_b32_e64 v30, 0, 1, s6
	v_cndmask_b32_e64 v31, 0, 1, s5
	v_cmp_ne_u32_e64 s5, 0, v12
	v_cmp_ne_u32_e64 s6, 0, v29
	s_delay_alu instid0(VALU_DEP_4) | instskip(NEXT) | instid1(VALU_DEP_4)
	v_cmp_ne_u32_e64 s7, 0, v30
	v_cmp_ne_u32_e64 s8, 0, v31
	s_delay_alu instid0(VALU_DEP_4) | instskip(NEXT) | instid1(VALU_DEP_3)
	s_bcnt1_i32_b32 s5, s5
	s_bcnt1_i32_b32 s6, s6
	v_add_co_u32 v2, s5, v2, s5
	s_delay_alu instid0(VALU_DEP_1)
	v_add_co_ci_u32_e64 v3, s5, 0, v3, s5
	v_add_co_u32 v4, s5, v4, s6
	s_bcnt1_i32_b32 s7, s7
	v_add_co_ci_u32_e64 v5, s5, 0, v5, s5
	v_add_co_u32 v6, s5, v6, s7
	s_bcnt1_i32_b32 s8, s8
	v_add_co_ci_u32_e64 v7, s5, 0, v7, s5
	v_add_co_u32 v8, s5, v8, s8
	s_delay_alu instid0(VALU_DEP_1) | instskip(SKIP_1) | instid1(SALU_CYCLE_1)
	v_add_co_ci_u32_e64 v9, s5, 0, v9, s5
	s_or_b32 s13, vcc_lo, s13
	s_and_not1_b32 exec_lo, exec_lo, s13
	s_cbranch_execnz .LBB53_75
; %bb.76:                               ;   in Loop: Header=BB53_17 Depth=1
	s_or_b32 exec_lo, exec_lo, s13
.LBB53_77:                              ;   in Loop: Header=BB53_17 Depth=1
	s_delay_alu instid0(SALU_CYCLE_1)
	s_or_b32 exec_lo, exec_lo, s12
.LBB53_78:                              ;   in Loop: Header=BB53_17 Depth=1
	s_lshl_b32 s5, s93, 7
	s_and_saveexec_b32 s6, s1
	s_cbranch_execz .LBB53_80
; %bb.79:                               ;   in Loop: Header=BB53_17 Depth=1
	v_or_b32_e32 v12, s5, v36
	s_delay_alu instid0(VALU_DEP_1)
	v_lshlrev_b32_e32 v12, 3, v12
	ds_store_b128 v12, v[2:5] offset:3072
	ds_store_b128 v12, v[6:9] offset:3088
.LBB53_80:                              ;   in Loop: Header=BB53_17 Depth=1
	s_or_b32 exec_lo, exec_lo, s6
	s_waitcnt vmcnt(0) lgkmcnt(0)
	s_barrier
	buffer_gl0_inv
	s_and_saveexec_b32 s6, s33
	s_cbranch_execz .LBB53_91
; %bb.81:                               ;   in Loop: Header=BB53_17 Depth=1
	v_mov_b32_e32 v2, 0
	v_mov_b32_e32 v3, 0
	s_and_not1_b32 vcc_lo, exec_lo, s85
	s_cbranch_vccnz .LBB53_90
; %bb.82:                               ;   in Loop: Header=BB53_17 Depth=1
	v_mov_b32_e32 v2, 0
	v_mov_b32_e32 v3, 0
	s_and_not1_b32 vcc_lo, exec_lo, s83
	s_cbranch_vccnz .LBB53_87
; %bb.83:                               ;   in Loop: Header=BB53_17 Depth=1
	v_lshl_add_u32 v4, s93, 10, v42
	s_mov_b32 s7, 0
	s_set_inst_prefetch_distance 0x1
	.p2align	6
.LBB53_84:                              ;   Parent Loop BB53_17 Depth=1
                                        ; =>  This Inner Loop Header: Depth=2
	ds_load_2addr_b64 v[5:8], v4 offset1:4
	ds_load_2addr_b64 v[26:29], v4 offset0:8 offset1:12
	ds_load_2addr_b64 v[30:33], v4 offset0:16 offset1:20
	s_add_i32 s7, s7, 8
	s_delay_alu instid0(SALU_CYCLE_1) | instskip(SKIP_3) | instid1(VALU_DEP_2)
	s_cmp_eq_u32 s84, s7
	s_waitcnt lgkmcnt(2)
	v_add_co_u32 v2, vcc_lo, v5, v2
	v_add_co_ci_u32_e32 v3, vcc_lo, v6, v3, vcc_lo
	v_add_co_u32 v2, vcc_lo, v7, v2
	s_delay_alu instid0(VALU_DEP_2)
	v_add_co_ci_u32_e32 v3, vcc_lo, v8, v3, vcc_lo
	ds_load_2addr_b64 v[5:8], v4 offset0:24 offset1:28
	s_waitcnt lgkmcnt(2)
	v_add_co_u32 v2, vcc_lo, v26, v2
	v_add_co_ci_u32_e32 v3, vcc_lo, v27, v3, vcc_lo
	v_add_nc_u32_e32 v4, 0x100, v4
	s_delay_alu instid0(VALU_DEP_3) | instskip(NEXT) | instid1(VALU_DEP_3)
	v_add_co_u32 v2, vcc_lo, v28, v2
	v_add_co_ci_u32_e32 v3, vcc_lo, v29, v3, vcc_lo
	s_waitcnt lgkmcnt(1)
	s_delay_alu instid0(VALU_DEP_2) | instskip(NEXT) | instid1(VALU_DEP_2)
	v_add_co_u32 v2, vcc_lo, v30, v2
	v_add_co_ci_u32_e32 v3, vcc_lo, v31, v3, vcc_lo
	s_delay_alu instid0(VALU_DEP_2) | instskip(NEXT) | instid1(VALU_DEP_2)
	v_add_co_u32 v2, vcc_lo, v32, v2
	v_add_co_ci_u32_e32 v3, vcc_lo, v33, v3, vcc_lo
	s_waitcnt lgkmcnt(0)
	s_delay_alu instid0(VALU_DEP_2) | instskip(NEXT) | instid1(VALU_DEP_2)
	v_add_co_u32 v2, vcc_lo, v5, v2
	v_add_co_ci_u32_e32 v3, vcc_lo, v6, v3, vcc_lo
	s_delay_alu instid0(VALU_DEP_2) | instskip(NEXT) | instid1(VALU_DEP_2)
	v_add_co_u32 v2, vcc_lo, v7, v2
	v_add_co_ci_u32_e32 v3, vcc_lo, v8, v3, vcc_lo
	s_cbranch_scc0 .LBB53_84
; %bb.85:                               ;   in Loop: Header=BB53_17 Depth=1
	s_set_inst_prefetch_distance 0x2
	s_mov_b32 s7, s84
	s_and_not1_b32 vcc_lo, exec_lo, s86
	s_cbranch_vccz .LBB53_88
	s_branch .LBB53_90
.LBB53_86:                              ;   in Loop: Header=BB53_17 Depth=1
                                        ; implicit-def: $vgpr26_vgpr27
	s_branch .LBB53_54
.LBB53_87:                              ;   in Loop: Header=BB53_17 Depth=1
	s_mov_b32 s7, 0
	s_and_not1_b32 vcc_lo, exec_lo, s86
	s_cbranch_vccnz .LBB53_90
.LBB53_88:                              ;   in Loop: Header=BB53_17 Depth=1
	s_lshl_b32 s8, s93, 10
	s_lshl_b32 s7, s7, 5
	s_delay_alu instid0(SALU_CYCLE_1)
	v_add3_u32 v4, s8, s7, v42
	s_mov_b32 s7, s82
.LBB53_89:                              ;   Parent Loop BB53_17 Depth=1
                                        ; =>  This Inner Loop Header: Depth=2
	ds_load_b64 v[5:6], v4
	v_add_nc_u32_e32 v4, 32, v4
	s_add_i32 s7, s7, -1
	s_delay_alu instid0(SALU_CYCLE_1)
	s_cmp_lg_u32 s7, 0
	s_waitcnt lgkmcnt(0)
	v_add_co_u32 v2, vcc_lo, v5, v2
	v_add_co_ci_u32_e32 v3, vcc_lo, v6, v3, vcc_lo
	s_cbranch_scc1 .LBB53_89
.LBB53_90:                              ;   in Loop: Header=BB53_17 Depth=1
	v_add_lshl_u32 v4, s5, v34, 3
	ds_store_b64 v4, v[2:3] offset:3072
.LBB53_91:                              ;   in Loop: Header=BB53_17 Depth=1
	s_or_b32 exec_lo, exec_lo, s6
	s_lshl_b32 s5, s5, 3
	s_waitcnt lgkmcnt(0)
	v_mov_b32_e32 v6, s5
	s_barrier
	buffer_gl0_inv
	s_and_b32 s19, s91, 0xfe
	s_mov_b32 s21, -1
	ds_load_b128 v[2:5], v6 offset:3072
	ds_load_b128 v[6:9], v6 offset:3088
	s_lshl_b32 s18, 3, s19
	s_delay_alu instid0(SALU_CYCLE_1)
	s_not_b32 s20, s18
	s_waitcnt lgkmcnt(1)
	v_readfirstlane_b32 s13, v3
	v_readfirstlane_b32 s12, v2
	;; [unrolled: 1-line block ×4, first 2 shown]
	s_waitcnt lgkmcnt(0)
	v_readfirstlane_b32 s8, v6
	v_readfirstlane_b32 s9, v7
	s_cmp_eq_u64 s[12:13], 1
	v_readfirstlane_b32 s6, v8
	s_cselect_b32 s5, -1, 0
	s_cmp_eq_u64 s[38:39], 1
	s_cselect_b32 s7, -1, 0
	s_delay_alu instid0(SALU_CYCLE_1)
	s_and_b32 s22, s5, s7
	v_readfirstlane_b32 s7, v9
	s_and_b32 vcc_lo, exec_lo, s22
	s_cbranch_vccz .LBB53_106
; %bb.92:                               ;   in Loop: Header=BB53_17 Depth=1
	ds_load_b64 v[2:3], v13 offset:5120
	s_waitcnt lgkmcnt(0)
	s_barrier
	buffer_gl0_inv
	v_readfirstlane_b32 s14, v2
	v_readfirstlane_b32 s15, v3
	s_and_saveexec_b32 s5, s3
	s_cbranch_execz .LBB53_94
; %bb.93:                               ;   in Loop: Header=BB53_17 Depth=1
	ds_store_b32 v35, v13
.LBB53_94:                              ;   in Loop: Header=BB53_17 Depth=1
	s_or_b32 exec_lo, exec_lo, s5
	s_delay_alu instid0(VALU_DEP_1)
	v_cmp_lt_i64_e64 s5, s[14:15], 1
	s_and_b32 s98, s98, s20
	s_or_b32 s97, s97, s18
	s_waitcnt lgkmcnt(0)
	s_barrier
	buffer_gl0_inv
	s_and_b32 vcc_lo, exec_lo, s5
	s_cbranch_vccz .LBB53_107
; %bb.95:                               ;   in Loop: Header=BB53_17 Depth=1
	s_mov_b32 s24, s57
	s_delay_alu instid0(SALU_CYCLE_1)
	s_cmp_lg_u64 s[24:25], 0
	s_cbranch_scc0 .LBB53_152
; %bb.96:                               ;   in Loop: Header=BB53_17 Depth=1
	v_cvt_f32_u32_e32 v2, s27
	s_sub_u32 s17, 0, s27
	s_subb_u32 s23, 0, 0
	s_delay_alu instid0(VALU_DEP_1) | instskip(NEXT) | instid1(VALU_DEP_1)
	v_fmac_f32_e32 v2, 0x4f800000, v43
	v_rcp_f32_e32 v2, v2
	s_waitcnt_depctr 0xfff
	v_mul_f32_e32 v2, 0x5f7ffffc, v2
	s_delay_alu instid0(VALU_DEP_1) | instskip(NEXT) | instid1(VALU_DEP_1)
	v_mul_f32_e32 v3, 0x2f800000, v2
	v_trunc_f32_e32 v3, v3
	s_delay_alu instid0(VALU_DEP_1) | instskip(SKIP_1) | instid1(VALU_DEP_2)
	v_fmac_f32_e32 v2, 0xcf800000, v3
	v_cvt_u32_f32_e32 v3, v3
	v_cvt_u32_f32_e32 v2, v2
	s_delay_alu instid0(VALU_DEP_2) | instskip(NEXT) | instid1(VALU_DEP_2)
	v_readfirstlane_b32 s5, v3
	v_readfirstlane_b32 s16, v2
	s_delay_alu instid0(VALU_DEP_2) | instskip(NEXT) | instid1(VALU_DEP_1)
	s_mul_i32 s24, s17, s5
	s_mul_hi_u32 s68, s17, s16
	s_mul_i32 s56, s23, s16
	s_add_i32 s24, s68, s24
	s_mul_i32 s69, s17, s16
	s_add_i32 s24, s24, s56
	s_mul_hi_u32 s68, s16, s69
	s_mul_hi_u32 s70, s5, s69
	s_mul_i32 s56, s5, s69
	s_mul_hi_u32 s69, s16, s24
	s_mul_i32 s16, s16, s24
	s_mul_hi_u32 s71, s5, s24
	s_add_u32 s16, s68, s16
	s_addc_u32 s68, 0, s69
	s_add_u32 s16, s16, s56
	s_mul_i32 s24, s5, s24
	s_addc_u32 s16, s68, s70
	s_addc_u32 s56, s71, 0
	s_add_u32 s16, s16, s24
	s_addc_u32 s24, 0, s56
	v_add_co_u32 v2, s16, v2, s16
	s_delay_alu instid0(VALU_DEP_1) | instskip(SKIP_1) | instid1(VALU_DEP_1)
	s_cmp_lg_u32 s16, 0
	s_addc_u32 s5, s5, s24
	v_readfirstlane_b32 s16, v2
	s_mul_i32 s24, s17, s5
	s_delay_alu instid0(VALU_DEP_1)
	s_mul_hi_u32 s56, s17, s16
	s_mul_i32 s23, s23, s16
	s_add_i32 s24, s56, s24
	s_mul_i32 s17, s17, s16
	s_add_i32 s24, s24, s23
	s_mul_hi_u32 s56, s5, s17
	s_mul_i32 s68, s5, s17
	s_mul_hi_u32 s17, s16, s17
	s_mul_hi_u32 s69, s16, s24
	s_mul_i32 s16, s16, s24
	s_mul_hi_u32 s23, s5, s24
	s_add_u32 s16, s17, s16
	s_addc_u32 s17, 0, s69
	s_add_u32 s16, s16, s68
	s_mul_i32 s24, s5, s24
	s_addc_u32 s16, s17, s56
	s_addc_u32 s17, s23, 0
	s_add_u32 s16, s16, s24
	s_addc_u32 s17, 0, s17
	v_add_co_u32 v2, s16, v2, s16
	s_delay_alu instid0(VALU_DEP_1) | instskip(SKIP_2) | instid1(VALU_DEP_1)
	s_cmp_lg_u32 s16, 0
	s_addc_u32 s5, s5, s17
	s_ashr_i32 s16, s25, 31
	v_readfirstlane_b32 s23, v2
	s_add_u32 s68, s81, s16
	s_mov_b32 s17, s16
	s_addc_u32 s69, s25, s16
	s_delay_alu instid0(SALU_CYCLE_1) | instskip(NEXT) | instid1(SALU_CYCLE_1)
	s_xor_b64 s[68:69], s[68:69], s[16:17]
	s_mul_i32 s24, s68, s5
	s_mul_hi_u32 s56, s68, s23
	s_mul_hi_u32 s17, s68, s5
	;; [unrolled: 1-line block ×3, first 2 shown]
	s_mul_i32 s23, s69, s23
	s_add_u32 s24, s56, s24
	s_addc_u32 s17, 0, s17
	s_mul_hi_u32 s70, s69, s5
	s_add_u32 s23, s24, s23
	s_mul_i32 s5, s69, s5
	s_addc_u32 s17, s17, s71
	s_addc_u32 s23, s70, 0
	s_add_u32 s5, s17, s5
	s_addc_u32 s17, 0, s23
	s_mul_hi_u32 s23, s27, s5
	s_mul_i32 s5, s27, s5
	s_mul_i32 s17, s27, s17
	v_sub_co_u32 v2, s5, s68, s5
	s_add_i32 s23, s23, s17
	s_cmp_lg_u32 s5, 0
	s_delay_alu instid0(VALU_DEP_1) | instskip(SKIP_2) | instid1(VALU_DEP_1)
	v_sub_co_u32 v3, s5, v2, s27
	s_subb_u32 s17, s69, s23
	s_cmp_lg_u32 s5, 0
	v_cmp_le_u32_e32 vcc_lo, s27, v3
	v_sub_co_u32 v4, s5, v3, s27
	s_subb_u32 s23, s17, 0
	s_cmp_lg_u32 s5, 0
	v_cndmask_b32_e64 v5, 0, -1, vcc_lo
	s_subb_u32 s5, s23, 0
	s_cmp_eq_u32 s23, 0
	v_mov_b32_e32 v7, s5
	s_cselect_b32 vcc_lo, -1, 0
	s_cmp_eq_u32 s17, 0
	v_cndmask_b32_e32 v5, -1, v5, vcc_lo
	v_cmp_le_u32_e32 vcc_lo, s27, v2
	s_cselect_b32 s5, -1, 0
	v_cndmask_b32_e64 v6, 0, -1, vcc_lo
	s_delay_alu instid0(VALU_DEP_3) | instskip(NEXT) | instid1(VALU_DEP_2)
	v_cmp_ne_u32_e32 vcc_lo, 0, v5
	v_cndmask_b32_e64 v5, -1, v6, s5
	v_cndmask_b32_e32 v3, v3, v4, vcc_lo
	v_cndmask_b32_e32 v6, s23, v7, vcc_lo
	s_delay_alu instid0(VALU_DEP_3) | instskip(NEXT) | instid1(VALU_DEP_3)
	v_cmp_ne_u32_e32 vcc_lo, 0, v5
	v_cndmask_b32_e32 v2, v2, v3, vcc_lo
	s_delay_alu instid0(VALU_DEP_3) | instskip(NEXT) | instid1(VALU_DEP_2)
	v_cndmask_b32_e32 v4, s17, v6, vcc_lo
	v_xor_b32_e32 v2, s16, v2
	s_delay_alu instid0(VALU_DEP_2) | instskip(NEXT) | instid1(VALU_DEP_2)
	v_xor_b32_e32 v3, s16, v4
	v_sub_co_u32 v2, vcc_lo, v2, s16
	s_delay_alu instid0(VALU_DEP_2)
	v_subrev_co_ci_u32_e32 v3, vcc_lo, s16, v3, vcc_lo
	s_cbranch_execnz .LBB53_98
.LBB53_97:                              ;   in Loop: Header=BB53_17 Depth=1
	v_cvt_f32_u32_e32 v2, s27
	s_sub_i32 s5, 0, s27
	s_delay_alu instid0(VALU_DEP_1) | instskip(SKIP_2) | instid1(VALU_DEP_1)
	v_rcp_iflag_f32_e32 v2, v2
	s_waitcnt_depctr 0xfff
	v_mul_f32_e32 v2, 0x4f7ffffe, v2
	v_cvt_u32_f32_e32 v2, v2
	s_delay_alu instid0(VALU_DEP_1) | instskip(NEXT) | instid1(VALU_DEP_1)
	v_mul_lo_u32 v3, s5, v2
	v_mul_hi_u32 v3, v2, v3
	s_delay_alu instid0(VALU_DEP_1) | instskip(NEXT) | instid1(VALU_DEP_1)
	v_add_nc_u32_e32 v2, v2, v3
	v_mul_hi_u32 v2, s81, v2
	s_delay_alu instid0(VALU_DEP_1) | instskip(NEXT) | instid1(VALU_DEP_1)
	v_mul_lo_u32 v2, v2, s27
	v_sub_nc_u32_e32 v2, s81, v2
	s_delay_alu instid0(VALU_DEP_1) | instskip(SKIP_1) | instid1(VALU_DEP_2)
	v_subrev_nc_u32_e32 v3, s27, v2
	v_cmp_le_u32_e32 vcc_lo, s27, v2
	v_cndmask_b32_e32 v2, v2, v3, vcc_lo
	s_delay_alu instid0(VALU_DEP_1) | instskip(SKIP_1) | instid1(VALU_DEP_2)
	v_subrev_nc_u32_e32 v3, s27, v2
	v_cmp_le_u32_e32 vcc_lo, s27, v2
	v_cndmask_b32_e32 v12, v2, v3, vcc_lo
	s_delay_alu instid0(VALU_DEP_1)
	v_dual_mov_b32 v2, v12 :: v_dual_mov_b32 v3, v13
.LBB53_98:                              ;   in Loop: Header=BB53_17 Depth=1
	s_delay_alu instid0(VALU_DEP_1) | instskip(NEXT) | instid1(VALU_DEP_2)
	v_sub_co_u32 v2, vcc_lo, s81, v2
	v_sub_co_ci_u32_e32 v3, vcc_lo, s25, v3, vcc_lo
	s_mov_b32 s5, 0
	s_mov_b32 s16, exec_lo
                                        ; implicit-def: $vgpr25
	s_delay_alu instid0(VALU_DEP_1)
	v_cmpx_gt_i64_e64 v[2:3], v[0:1]
	s_cbranch_execz .LBB53_109
; %bb.99:                               ;   in Loop: Header=BB53_17 Depth=1
	v_dual_mov_b32 v4, v10 :: v_dual_mov_b32 v5, v11
	v_dual_mov_b32 v7, v1 :: v_dual_mov_b32 v6, v0
	s_mov_b32 s17, 0
                                        ; implicit-def: $sgpr23
	s_set_inst_prefetch_distance 0x1
	s_branch .LBB53_101
	.p2align	6
.LBB53_100:                             ;   in Loop: Header=BB53_101 Depth=2
	s_or_b32 exec_lo, exec_lo, s5
	s_waitcnt vmcnt(0) lgkmcnt(0)
	s_barrier
	buffer_gl0_inv
	ds_load_b64 v[24:25], v13 offset:3072
	v_add_co_u32 v6, vcc_lo, v6, s27
	v_add_co_ci_u32_e32 v7, vcc_lo, 0, v7, vcc_lo
	s_waitcnt lgkmcnt(0)
	s_barrier
	buffer_gl0_inv
	v_cmp_ge_i64_e32 vcc_lo, v[6:7], v[2:3]
	v_cmp_neq_f32_e64 s5, 0, v24
	s_delay_alu instid0(VALU_DEP_1)
	s_or_b32 s24, s5, vcc_lo
	v_add_co_u32 v4, vcc_lo, v4, s58
	s_and_b32 s24, exec_lo, s24
	v_add_co_ci_u32_e32 v5, vcc_lo, s59, v5, vcc_lo
	s_or_b32 s17, s24, s17
	s_and_not1_b32 s23, s23, exec_lo
	s_and_b32 s5, s5, exec_lo
	s_delay_alu instid0(SALU_CYCLE_1)
	s_or_b32 s23, s23, s5
	s_and_not1_b32 exec_lo, exec_lo, s17
	s_cbranch_execz .LBB53_108
.LBB53_101:                             ;   Parent Loop BB53_17 Depth=1
                                        ; =>  This Inner Loop Header: Depth=2
	s_delay_alu instid0(VALU_DEP_1)
	v_cmp_gt_i64_e32 vcc_lo, s[36:37], v[6:7]
	v_mov_b32_e32 v24, 0
	s_and_saveexec_b32 s5, vcc_lo
	s_cbranch_execz .LBB53_103
; %bb.102:                              ;   in Loop: Header=BB53_101 Depth=2
	global_load_b32 v24, v[4:5], off
.LBB53_103:                             ;   in Loop: Header=BB53_101 Depth=2
	s_or_b32 exec_lo, exec_lo, s5
	s_and_saveexec_b32 s5, vcc_lo
	s_cbranch_execz .LBB53_100
; %bb.104:                              ;   in Loop: Header=BB53_101 Depth=2
	s_waitcnt vmcnt(0)
	v_cmp_lt_i32_e32 vcc_lo, -1, v24
	v_cndmask_b32_e64 v8, -1, 0x80000000, vcc_lo
	v_cmp_o_f32_e32 vcc_lo, v24, v24
	s_delay_alu instid0(VALU_DEP_2) | instskip(NEXT) | instid1(VALU_DEP_1)
	v_xor_b32_e32 v8, v8, v24
	v_cndmask_b32_e32 v8, -1, v8, vcc_lo
	s_delay_alu instid0(VALU_DEP_1) | instskip(NEXT) | instid1(VALU_DEP_1)
	v_and_b32_e32 v8, s97, v8
	v_cmp_eq_u32_e32 vcc_lo, s98, v8
	s_and_b32 exec_lo, exec_lo, vcc_lo
	s_cbranch_execz .LBB53_100
; %bb.105:                              ;   in Loop: Header=BB53_101 Depth=2
	ds_store_b64 v13, v[23:24] offset:3072
	s_branch .LBB53_100
.LBB53_106:                             ;   in Loop: Header=BB53_17 Depth=1
	s_mov_b32 s5, -1
                                        ; implicit-def: $sgpr16
                                        ; implicit-def: $sgpr23
                                        ; implicit-def: $sgpr17
	s_branch .LBB53_123
.LBB53_107:                             ;   in Loop: Header=BB53_17 Depth=1
	s_mov_b32 s16, -1
	s_mov_b32 s5, 0
                                        ; implicit-def: $sgpr17
                                        ; implicit-def: $vgpr25
	s_mov_b32 s23, s16
	s_cbranch_execnz .LBB53_110
	s_branch .LBB53_123
.LBB53_108:                             ;   in Loop: Header=BB53_17 Depth=1
	s_set_inst_prefetch_distance 0x2
	s_or_b32 exec_lo, exec_lo, s17
	s_delay_alu instid0(SALU_CYCLE_1)
	s_and_b32 s5, s23, exec_lo
.LBB53_109:                             ;   in Loop: Header=BB53_17 Depth=1
	s_or_b32 exec_lo, exec_lo, s16
	s_mov_b32 s17, -1
	s_mov_b32 s16, 0
	s_delay_alu instid0(SALU_CYCLE_1)
	s_mov_b32 s23, s16
	s_branch .LBB53_123
.LBB53_110:                             ;   in Loop: Header=BB53_17 Depth=1
	s_add_u32 s23, s79, s14
	s_addc_u32 s17, s80, s15
	s_mov_b32 s16, s57
	s_delay_alu instid0(SALU_CYCLE_1)
	s_cmp_lg_u64 s[16:17], 0
	s_cbranch_scc0 .LBB53_153
; %bb.111:                              ;   in Loop: Header=BB53_17 Depth=1
	v_cvt_f32_u32_e32 v2, s27
	s_sub_u32 s24, 0, s27
	s_subb_u32 s56, 0, 0
	s_delay_alu instid0(VALU_DEP_1) | instskip(NEXT) | instid1(VALU_DEP_1)
	v_fmac_f32_e32 v2, 0x4f800000, v43
	v_rcp_f32_e32 v2, v2
	s_waitcnt_depctr 0xfff
	v_mul_f32_e32 v2, 0x5f7ffffc, v2
	s_delay_alu instid0(VALU_DEP_1) | instskip(NEXT) | instid1(VALU_DEP_1)
	v_mul_f32_e32 v3, 0x2f800000, v2
	v_trunc_f32_e32 v3, v3
	s_delay_alu instid0(VALU_DEP_1) | instskip(SKIP_1) | instid1(VALU_DEP_2)
	v_fmac_f32_e32 v2, 0xcf800000, v3
	v_cvt_u32_f32_e32 v3, v3
	v_cvt_u32_f32_e32 v2, v2
	s_delay_alu instid0(VALU_DEP_2) | instskip(NEXT) | instid1(VALU_DEP_2)
	v_readfirstlane_b32 s5, v3
	v_readfirstlane_b32 s16, v2
	s_delay_alu instid0(VALU_DEP_2) | instskip(NEXT) | instid1(VALU_DEP_1)
	s_mul_i32 s68, s24, s5
	s_mul_hi_u32 s70, s24, s16
	s_mul_i32 s69, s56, s16
	s_add_i32 s68, s70, s68
	s_mul_i32 s71, s24, s16
	s_add_i32 s68, s68, s69
	s_mul_hi_u32 s70, s16, s71
	s_mul_hi_u32 s72, s5, s71
	s_mul_i32 s69, s5, s71
	s_mul_hi_u32 s71, s16, s68
	s_mul_i32 s16, s16, s68
	s_mul_hi_u32 s73, s5, s68
	s_add_u32 s16, s70, s16
	s_addc_u32 s70, 0, s71
	s_add_u32 s16, s16, s69
	s_mul_i32 s68, s5, s68
	s_addc_u32 s16, s70, s72
	s_addc_u32 s69, s73, 0
	s_add_u32 s16, s16, s68
	s_addc_u32 s68, 0, s69
	v_add_co_u32 v2, s16, v2, s16
	s_delay_alu instid0(VALU_DEP_1) | instskip(SKIP_1) | instid1(VALU_DEP_1)
	s_cmp_lg_u32 s16, 0
	s_addc_u32 s5, s5, s68
	v_readfirstlane_b32 s16, v2
	s_mul_i32 s68, s24, s5
	s_delay_alu instid0(VALU_DEP_1)
	s_mul_hi_u32 s69, s24, s16
	s_mul_i32 s56, s56, s16
	s_add_i32 s68, s69, s68
	s_mul_i32 s24, s24, s16
	s_add_i32 s68, s68, s56
	s_mul_hi_u32 s69, s5, s24
	s_mul_i32 s70, s5, s24
	s_mul_hi_u32 s24, s16, s24
	s_mul_hi_u32 s71, s16, s68
	s_mul_i32 s16, s16, s68
	s_mul_hi_u32 s56, s5, s68
	s_add_u32 s16, s24, s16
	s_addc_u32 s24, 0, s71
	s_add_u32 s16, s16, s70
	s_mul_i32 s68, s5, s68
	s_addc_u32 s16, s24, s69
	s_addc_u32 s24, s56, 0
	s_add_u32 s16, s16, s68
	s_addc_u32 s24, 0, s24
	v_add_co_u32 v2, s16, v2, s16
	s_delay_alu instid0(VALU_DEP_1) | instskip(SKIP_2) | instid1(VALU_DEP_1)
	s_cmp_lg_u32 s16, 0
	s_addc_u32 s5, s5, s24
	s_ashr_i32 s68, s17, 31
	v_readfirstlane_b32 s16, v2
	s_add_u32 s70, s23, s68
	s_mov_b32 s69, s68
	s_addc_u32 s71, s17, s68
	s_delay_alu instid0(SALU_CYCLE_1) | instskip(NEXT) | instid1(SALU_CYCLE_1)
	s_xor_b64 s[70:71], s[70:71], s[68:69]
	s_mul_i32 s56, s70, s5
	s_mul_hi_u32 s69, s70, s16
	s_mul_hi_u32 s24, s70, s5
	;; [unrolled: 1-line block ×3, first 2 shown]
	s_mul_i32 s16, s71, s16
	s_add_u32 s56, s69, s56
	s_addc_u32 s24, 0, s24
	s_mul_hi_u32 s72, s71, s5
	s_add_u32 s16, s56, s16
	s_mul_i32 s5, s71, s5
	s_addc_u32 s16, s24, s73
	s_addc_u32 s24, s72, 0
	s_add_u32 s5, s16, s5
	s_addc_u32 s16, 0, s24
	s_mul_hi_u32 s24, s27, s5
	s_mul_i32 s5, s27, s5
	s_mul_i32 s16, s27, s16
	v_sub_co_u32 v2, s5, s70, s5
	s_add_i32 s24, s24, s16
	s_cmp_lg_u32 s5, 0
	s_delay_alu instid0(VALU_DEP_1) | instskip(SKIP_2) | instid1(VALU_DEP_1)
	v_sub_co_u32 v3, s5, v2, s27
	s_subb_u32 s16, s71, s24
	s_cmp_lg_u32 s5, 0
	v_cmp_le_u32_e32 vcc_lo, s27, v3
	v_sub_co_u32 v4, s5, v3, s27
	s_subb_u32 s24, s16, 0
	s_cmp_lg_u32 s5, 0
	v_cndmask_b32_e64 v5, 0, -1, vcc_lo
	s_subb_u32 s5, s24, 0
	s_cmp_eq_u32 s24, 0
	v_mov_b32_e32 v7, s5
	s_cselect_b32 vcc_lo, -1, 0
	s_cmp_eq_u32 s16, 0
	v_cndmask_b32_e32 v5, -1, v5, vcc_lo
	v_cmp_le_u32_e32 vcc_lo, s27, v2
	s_cselect_b32 s5, -1, 0
	v_cndmask_b32_e64 v6, 0, -1, vcc_lo
	s_delay_alu instid0(VALU_DEP_3) | instskip(NEXT) | instid1(VALU_DEP_2)
	v_cmp_ne_u32_e32 vcc_lo, 0, v5
	v_cndmask_b32_e64 v5, -1, v6, s5
	v_cndmask_b32_e32 v3, v3, v4, vcc_lo
	v_cndmask_b32_e32 v6, s24, v7, vcc_lo
	s_delay_alu instid0(VALU_DEP_3) | instskip(NEXT) | instid1(VALU_DEP_3)
	v_cmp_ne_u32_e32 vcc_lo, 0, v5
	v_cndmask_b32_e32 v2, v2, v3, vcc_lo
	s_delay_alu instid0(VALU_DEP_3) | instskip(NEXT) | instid1(VALU_DEP_2)
	v_cndmask_b32_e32 v4, s16, v6, vcc_lo
	v_xor_b32_e32 v2, s68, v2
	s_delay_alu instid0(VALU_DEP_2) | instskip(NEXT) | instid1(VALU_DEP_2)
	v_xor_b32_e32 v3, s68, v4
	v_sub_co_u32 v2, vcc_lo, v2, s68
	s_delay_alu instid0(VALU_DEP_2)
	v_subrev_co_ci_u32_e32 v3, vcc_lo, s68, v3, vcc_lo
	s_cbranch_execnz .LBB53_113
.LBB53_112:                             ;   in Loop: Header=BB53_17 Depth=1
	v_cvt_f32_u32_e32 v2, s27
	s_sub_i32 s5, 0, s27
	s_delay_alu instid0(VALU_DEP_1) | instskip(SKIP_2) | instid1(VALU_DEP_1)
	v_rcp_iflag_f32_e32 v2, v2
	s_waitcnt_depctr 0xfff
	v_mul_f32_e32 v2, 0x4f7ffffe, v2
	v_cvt_u32_f32_e32 v2, v2
	s_delay_alu instid0(VALU_DEP_1) | instskip(NEXT) | instid1(VALU_DEP_1)
	v_mul_lo_u32 v3, s5, v2
	v_mul_hi_u32 v3, v2, v3
	s_delay_alu instid0(VALU_DEP_1) | instskip(NEXT) | instid1(VALU_DEP_1)
	v_add_nc_u32_e32 v2, v2, v3
	v_mul_hi_u32 v2, s23, v2
	s_delay_alu instid0(VALU_DEP_1) | instskip(NEXT) | instid1(VALU_DEP_1)
	v_mul_lo_u32 v2, v2, s27
	v_sub_nc_u32_e32 v2, s23, v2
	s_delay_alu instid0(VALU_DEP_1) | instskip(SKIP_1) | instid1(VALU_DEP_2)
	v_subrev_nc_u32_e32 v3, s27, v2
	v_cmp_le_u32_e32 vcc_lo, s27, v2
	v_cndmask_b32_e32 v2, v2, v3, vcc_lo
	s_delay_alu instid0(VALU_DEP_1) | instskip(SKIP_1) | instid1(VALU_DEP_2)
	v_subrev_nc_u32_e32 v3, s27, v2
	v_cmp_le_u32_e32 vcc_lo, s27, v2
	v_cndmask_b32_e32 v12, v2, v3, vcc_lo
	s_delay_alu instid0(VALU_DEP_1)
	v_dual_mov_b32 v2, v12 :: v_dual_mov_b32 v3, v13
.LBB53_113:                             ;   in Loop: Header=BB53_17 Depth=1
	s_delay_alu instid0(VALU_DEP_1) | instskip(NEXT) | instid1(VALU_DEP_2)
	v_sub_co_u32 v2, vcc_lo, s23, v2
	v_sub_co_ci_u32_e32 v3, vcc_lo, s17, v3, vcc_lo
	s_mov_b32 s5, 0
	s_mov_b32 s16, exec_lo
                                        ; implicit-def: $vgpr25
	s_delay_alu instid0(VALU_DEP_1)
	v_cmpx_gt_i64_e64 v[2:3], v[0:1]
	s_cbranch_execz .LBB53_122
; %bb.114:                              ;   in Loop: Header=BB53_17 Depth=1
	v_dual_mov_b32 v6, v14 :: v_dual_mov_b32 v5, v1
	v_mov_b32_e32 v4, v0
	s_mov_b32 s17, 0
                                        ; implicit-def: $sgpr23
	s_set_inst_prefetch_distance 0x1
	s_branch .LBB53_116
	.p2align	6
.LBB53_115:                             ;   in Loop: Header=BB53_116 Depth=2
	s_or_b32 exec_lo, exec_lo, s5
	s_waitcnt lgkmcnt(0)
	s_barrier
	buffer_gl0_inv
	ds_load_b64 v[24:25], v13 offset:3072
	v_add_co_u32 v4, vcc_lo, v4, s27
	v_add_co_ci_u32_e32 v5, vcc_lo, 0, v5, vcc_lo
	v_add_nc_u32_e32 v6, s87, v6
	s_waitcnt lgkmcnt(0)
	s_barrier
	s_delay_alu instid0(VALU_DEP_2) | instskip(SKIP_2) | instid1(VALU_DEP_1)
	v_cmp_ge_i64_e32 vcc_lo, v[4:5], v[2:3]
	buffer_gl0_inv
	v_cmp_neq_f32_e64 s5, 0, v24
	s_or_b32 s24, s5, vcc_lo
	s_delay_alu instid0(SALU_CYCLE_1) | instskip(NEXT) | instid1(SALU_CYCLE_1)
	s_and_b32 s24, exec_lo, s24
	s_or_b32 s17, s24, s17
	s_and_not1_b32 s23, s23, exec_lo
	s_and_b32 s5, s5, exec_lo
	s_delay_alu instid0(SALU_CYCLE_1)
	s_or_b32 s23, s23, s5
	s_and_not1_b32 exec_lo, exec_lo, s17
	s_cbranch_execz .LBB53_121
.LBB53_116:                             ;   Parent Loop BB53_17 Depth=1
                                        ; =>  This Inner Loop Header: Depth=2
	s_delay_alu instid0(VALU_DEP_1)
	v_cmp_gt_i64_e32 vcc_lo, s[14:15], v[4:5]
	v_mov_b32_e32 v24, 0
	s_and_saveexec_b32 s5, vcc_lo
	s_cbranch_execz .LBB53_118
; %bb.117:                              ;   in Loop: Header=BB53_116 Depth=2
	ds_load_b32 v24, v6
.LBB53_118:                             ;   in Loop: Header=BB53_116 Depth=2
	s_or_b32 exec_lo, exec_lo, s5
	s_and_saveexec_b32 s5, vcc_lo
	s_cbranch_execz .LBB53_115
; %bb.119:                              ;   in Loop: Header=BB53_116 Depth=2
	s_waitcnt lgkmcnt(0)
	v_cmp_lt_i32_e32 vcc_lo, -1, v24
	v_cndmask_b32_e64 v7, -1, 0x80000000, vcc_lo
	v_cmp_o_f32_e32 vcc_lo, v24, v24
	s_delay_alu instid0(VALU_DEP_2) | instskip(NEXT) | instid1(VALU_DEP_1)
	v_xor_b32_e32 v7, v7, v24
	v_cndmask_b32_e32 v7, -1, v7, vcc_lo
	s_delay_alu instid0(VALU_DEP_1) | instskip(NEXT) | instid1(VALU_DEP_1)
	v_and_b32_e32 v7, s97, v7
	v_cmp_eq_u32_e32 vcc_lo, s98, v7
	s_and_b32 exec_lo, exec_lo, vcc_lo
	s_cbranch_execz .LBB53_115
; %bb.120:                              ;   in Loop: Header=BB53_116 Depth=2
	ds_store_b64 v13, v[23:24] offset:3072
	s_branch .LBB53_115
.LBB53_121:                             ;   in Loop: Header=BB53_17 Depth=1
	s_set_inst_prefetch_distance 0x2
	s_or_b32 exec_lo, exec_lo, s17
	s_delay_alu instid0(SALU_CYCLE_1)
	s_and_b32 s5, s23, exec_lo
.LBB53_122:                             ;   in Loop: Header=BB53_17 Depth=1
	s_or_b32 exec_lo, exec_lo, s16
	s_mov_b32 s23, -1
	s_mov_b32 s16, 0
	s_mov_b32 s17, 0
.LBB53_123:                             ;   in Loop: Header=BB53_17 Depth=1
	s_and_not1_b32 s14, s94, exec_lo
	s_and_b32 s15, s16, exec_lo
	s_and_not1_b32 s16, s95, exec_lo
	s_or_b32 s94, s14, s15
	s_and_not1_b32 s14, s96, exec_lo
	s_and_b32 s15, s23, exec_lo
	s_and_b32 s17, s17, exec_lo
	s_or_b32 s96, s14, s15
	s_or_b32 s95, s16, s17
	s_and_saveexec_b32 s16, s5
	s_cbranch_execz .LBB53_16
; %bb.124:                              ;   in Loop: Header=BB53_17 Depth=1
	s_xor_b32 s5, s22, -1
	s_delay_alu instid0(SALU_CYCLE_1)
	s_and_not1_b32 vcc_lo, exec_lo, s5
	s_mov_b32 s5, 1
	s_cbranch_vccnz .LBB53_135
; %bb.125:                              ;   in Loop: Header=BB53_17 Depth=1
	v_cmp_gt_i64_e64 s5, s[38:39], s[12:13]
	s_mov_b32 s14, -1
                                        ; implicit-def: $sgpr15
                                        ; implicit-def: $sgpr17
	s_delay_alu instid0(VALU_DEP_1)
	s_and_b32 vcc_lo, exec_lo, s5
                                        ; implicit-def: $sgpr5
	s_cbranch_vccnz .LBB53_131
; %bb.126:                              ;   in Loop: Header=BB53_17 Depth=1
	ds_load_b64 v[2:3], v13 offset:5120
	s_waitcnt lgkmcnt(0)
	v_cmp_ne_u64_e32 vcc_lo, 0, v[2:3]
	s_cbranch_vccnz .LBB53_130
; %bb.127:                              ;   in Loop: Header=BB53_17 Depth=1
	s_and_saveexec_b32 s5, s2
	s_cbranch_execz .LBB53_129
; %bb.128:                              ;   in Loop: Header=BB53_17 Depth=1
	v_dual_mov_b32 v2, s12 :: v_dual_mov_b32 v3, s13
	ds_store_b64 v13, v[2:3] offset:5128
.LBB53_129:                             ;   in Loop: Header=BB53_17 Depth=1
	s_or_b32 exec_lo, exec_lo, s5
	s_waitcnt lgkmcnt(0)
	s_barrier
	buffer_gl0_inv
.LBB53_130:                             ;   in Loop: Header=BB53_17 Depth=1
	s_and_b32 s15, s98, s20
	s_or_b32 s17, s97, s18
	s_mov_b32 s14, 0
	s_mov_b32 s5, 8
.LBB53_131:                             ;   in Loop: Header=BB53_17 Depth=1
	s_and_not1_b32 vcc_lo, exec_lo, s14
	s_cbranch_vccnz .LBB53_133
; %bb.132:                              ;   in Loop: Header=BB53_17 Depth=1
	s_sub_u32 s38, s38, s12
	s_subb_u32 s39, s39, s13
	s_mov_b32 s14, -1
	s_mov_b32 s5, 0
	s_mov_b32 s15, s98
	;; [unrolled: 1-line block ×3, first 2 shown]
.LBB53_133:                             ;   in Loop: Header=BB53_17 Depth=1
	s_delay_alu instid0(SALU_CYCLE_1)
	s_mov_b32 s97, s17
	s_mov_b32 s98, s15
	s_and_b32 vcc_lo, exec_lo, s14
	s_mov_b32 s17, -1
	s_cbranch_vccnz .LBB53_136
.LBB53_134:                             ;   in Loop: Header=BB53_17 Depth=1
	s_mov_b32 s12, -1
                                        ; implicit-def: $sgpr14
                                        ; implicit-def: $sgpr21
                                        ; implicit-def: $sgpr15
	s_delay_alu instid0(SALU_CYCLE_1) | instskip(NEXT) | instid1(SALU_CYCLE_1)
	s_and_saveexec_b32 s6, s12
	s_xor_b32 s6, exec_lo, s6
	s_cbranch_execz .LBB53_15
	s_branch .LBB53_282
.LBB53_135:                             ;   in Loop: Header=BB53_17 Depth=1
	s_mov_b64 s[38:39], 1
	s_mov_b32 s17, -1
	s_branch .LBB53_134
.LBB53_136:                             ;   in Loop: Header=BB53_17 Depth=1
	s_cmp_eq_u64 s[10:11], 1
	s_mov_b32 s24, -1
	s_cselect_b32 s5, -1, 0
	s_cmp_eq_u64 s[38:39], 1
	s_cselect_b32 s12, -1, 0
	s_delay_alu instid0(SALU_CYCLE_1) | instskip(NEXT) | instid1(SALU_CYCLE_1)
	s_and_b32 s23, s5, s12
	s_and_b32 vcc_lo, exec_lo, s23
	s_cbranch_vccz .LBB53_151
; %bb.137:                              ;   in Loop: Header=BB53_17 Depth=1
	ds_load_b64 v[2:3], v13 offset:5120
	s_waitcnt lgkmcnt(0)
	s_barrier
	buffer_gl0_inv
	v_readfirstlane_b32 s12, v2
	v_readfirstlane_b32 s13, v3
	s_and_saveexec_b32 s5, s3
	s_cbranch_execz .LBB53_139
; %bb.138:                              ;   in Loop: Header=BB53_17 Depth=1
	ds_store_b32 v35, v13
.LBB53_139:                             ;   in Loop: Header=BB53_17 Depth=1
	s_or_b32 exec_lo, exec_lo, s5
	s_delay_alu instid0(VALU_DEP_1)
	v_cmp_gt_i64_e64 s15, s[12:13], 0
	s_lshl_b32 s5, 1, s19
	s_and_b32 s14, s98, s20
	s_or_b32 s97, s97, s18
	s_or_b32 s98, s14, s5
	s_waitcnt lgkmcnt(0)
	s_and_b32 vcc_lo, exec_lo, s15
	s_barrier
	buffer_gl0_inv
	s_cbranch_vccnz .LBB53_154
; %bb.140:                              ;   in Loop: Header=BB53_17 Depth=1
	s_mov_b32 s24, s57
	s_delay_alu instid0(SALU_CYCLE_1)
	s_cmp_lg_u64 s[24:25], 0
	s_cbranch_scc0 .LBB53_199
; %bb.141:                              ;   in Loop: Header=BB53_17 Depth=1
	v_cvt_f32_u32_e32 v2, s27
	s_sub_u32 s15, 0, s27
	s_subb_u32 s21, 0, 0
	s_delay_alu instid0(VALU_DEP_1) | instskip(NEXT) | instid1(VALU_DEP_1)
	v_fmac_f32_e32 v2, 0x4f800000, v43
	v_rcp_f32_e32 v2, v2
	s_waitcnt_depctr 0xfff
	v_mul_f32_e32 v2, 0x5f7ffffc, v2
	s_delay_alu instid0(VALU_DEP_1) | instskip(NEXT) | instid1(VALU_DEP_1)
	v_mul_f32_e32 v3, 0x2f800000, v2
	v_trunc_f32_e32 v3, v3
	s_delay_alu instid0(VALU_DEP_1) | instskip(SKIP_1) | instid1(VALU_DEP_2)
	v_fmac_f32_e32 v2, 0xcf800000, v3
	v_cvt_u32_f32_e32 v3, v3
	v_cvt_u32_f32_e32 v2, v2
	s_delay_alu instid0(VALU_DEP_2) | instskip(NEXT) | instid1(VALU_DEP_2)
	v_readfirstlane_b32 s5, v3
	v_readfirstlane_b32 s14, v2
	s_delay_alu instid0(VALU_DEP_2) | instskip(NEXT) | instid1(VALU_DEP_1)
	s_mul_i32 s22, s15, s5
	s_mul_hi_u32 s56, s15, s14
	s_mul_i32 s24, s21, s14
	s_add_i32 s22, s56, s22
	s_mul_i32 s68, s15, s14
	s_add_i32 s22, s22, s24
	s_mul_hi_u32 s56, s14, s68
	s_mul_hi_u32 s69, s5, s68
	s_mul_i32 s24, s5, s68
	s_mul_hi_u32 s68, s14, s22
	s_mul_i32 s14, s14, s22
	s_mul_hi_u32 s70, s5, s22
	s_add_u32 s14, s56, s14
	s_addc_u32 s56, 0, s68
	s_add_u32 s14, s14, s24
	s_mul_i32 s22, s5, s22
	s_addc_u32 s14, s56, s69
	s_addc_u32 s24, s70, 0
	s_add_u32 s14, s14, s22
	s_addc_u32 s22, 0, s24
	v_add_co_u32 v2, s14, v2, s14
	s_delay_alu instid0(VALU_DEP_1) | instskip(SKIP_1) | instid1(VALU_DEP_1)
	s_cmp_lg_u32 s14, 0
	s_addc_u32 s5, s5, s22
	v_readfirstlane_b32 s14, v2
	s_mul_i32 s22, s15, s5
	s_delay_alu instid0(VALU_DEP_1)
	s_mul_hi_u32 s24, s15, s14
	s_mul_i32 s21, s21, s14
	s_add_i32 s22, s24, s22
	s_mul_i32 s15, s15, s14
	s_add_i32 s22, s22, s21
	s_mul_hi_u32 s24, s5, s15
	s_mul_i32 s56, s5, s15
	s_mul_hi_u32 s15, s14, s15
	s_mul_hi_u32 s68, s14, s22
	s_mul_i32 s14, s14, s22
	s_mul_hi_u32 s21, s5, s22
	s_add_u32 s14, s15, s14
	s_addc_u32 s15, 0, s68
	s_add_u32 s14, s14, s56
	s_mul_i32 s22, s5, s22
	s_addc_u32 s14, s15, s24
	s_addc_u32 s15, s21, 0
	s_add_u32 s14, s14, s22
	s_addc_u32 s15, 0, s15
	v_add_co_u32 v2, s14, v2, s14
	s_delay_alu instid0(VALU_DEP_1) | instskip(SKIP_2) | instid1(VALU_DEP_1)
	s_cmp_lg_u32 s14, 0
	s_addc_u32 s5, s5, s15
	s_ashr_i32 s14, s25, 31
	v_readfirstlane_b32 s21, v2
	s_add_u32 s68, s81, s14
	s_mov_b32 s15, s14
	s_addc_u32 s69, s25, s14
	s_delay_alu instid0(SALU_CYCLE_1) | instskip(NEXT) | instid1(SALU_CYCLE_1)
	s_xor_b64 s[68:69], s[68:69], s[14:15]
	s_mul_i32 s22, s68, s5
	s_mul_hi_u32 s24, s68, s21
	s_mul_hi_u32 s15, s68, s5
	s_mul_hi_u32 s70, s69, s21
	s_mul_i32 s21, s69, s21
	s_add_u32 s22, s24, s22
	s_addc_u32 s15, 0, s15
	s_mul_hi_u32 s56, s69, s5
	s_add_u32 s21, s22, s21
	s_mul_i32 s5, s69, s5
	s_addc_u32 s15, s15, s70
	s_addc_u32 s21, s56, 0
	s_add_u32 s5, s15, s5
	s_addc_u32 s15, 0, s21
	s_mul_hi_u32 s21, s27, s5
	s_mul_i32 s5, s27, s5
	s_mul_i32 s15, s27, s15
	v_sub_co_u32 v2, s5, s68, s5
	s_add_i32 s21, s21, s15
	s_cmp_lg_u32 s5, 0
	s_delay_alu instid0(VALU_DEP_1) | instskip(SKIP_2) | instid1(VALU_DEP_1)
	v_sub_co_u32 v3, s5, v2, s27
	s_subb_u32 s15, s69, s21
	s_cmp_lg_u32 s5, 0
	v_cmp_le_u32_e32 vcc_lo, s27, v3
	v_sub_co_u32 v4, s5, v3, s27
	s_subb_u32 s21, s15, 0
	s_cmp_lg_u32 s5, 0
	v_cndmask_b32_e64 v5, 0, -1, vcc_lo
	s_subb_u32 s5, s21, 0
	s_cmp_eq_u32 s21, 0
	v_mov_b32_e32 v7, s5
	s_cselect_b32 vcc_lo, -1, 0
	s_cmp_eq_u32 s15, 0
	v_cndmask_b32_e32 v5, -1, v5, vcc_lo
	v_cmp_le_u32_e32 vcc_lo, s27, v2
	s_cselect_b32 s5, -1, 0
	v_cndmask_b32_e64 v6, 0, -1, vcc_lo
	s_delay_alu instid0(VALU_DEP_3) | instskip(NEXT) | instid1(VALU_DEP_2)
	v_cmp_ne_u32_e32 vcc_lo, 0, v5
	v_cndmask_b32_e64 v5, -1, v6, s5
	v_cndmask_b32_e32 v3, v3, v4, vcc_lo
	v_cndmask_b32_e32 v6, s21, v7, vcc_lo
	s_delay_alu instid0(VALU_DEP_3) | instskip(NEXT) | instid1(VALU_DEP_3)
	v_cmp_ne_u32_e32 vcc_lo, 0, v5
	v_cndmask_b32_e32 v2, v2, v3, vcc_lo
	s_delay_alu instid0(VALU_DEP_3) | instskip(NEXT) | instid1(VALU_DEP_2)
	v_cndmask_b32_e32 v4, s15, v6, vcc_lo
	v_xor_b32_e32 v2, s14, v2
	s_delay_alu instid0(VALU_DEP_2) | instskip(NEXT) | instid1(VALU_DEP_2)
	v_xor_b32_e32 v3, s14, v4
	v_sub_co_u32 v2, vcc_lo, v2, s14
	s_delay_alu instid0(VALU_DEP_2)
	v_subrev_co_ci_u32_e32 v3, vcc_lo, s14, v3, vcc_lo
	s_cbranch_execnz .LBB53_143
.LBB53_142:                             ;   in Loop: Header=BB53_17 Depth=1
	v_cvt_f32_u32_e32 v2, s27
	s_sub_i32 s5, 0, s27
	s_delay_alu instid0(VALU_DEP_1) | instskip(SKIP_2) | instid1(VALU_DEP_1)
	v_rcp_iflag_f32_e32 v2, v2
	s_waitcnt_depctr 0xfff
	v_mul_f32_e32 v2, 0x4f7ffffe, v2
	v_cvt_u32_f32_e32 v2, v2
	s_delay_alu instid0(VALU_DEP_1) | instskip(NEXT) | instid1(VALU_DEP_1)
	v_mul_lo_u32 v3, s5, v2
	v_mul_hi_u32 v3, v2, v3
	s_delay_alu instid0(VALU_DEP_1) | instskip(NEXT) | instid1(VALU_DEP_1)
	v_add_nc_u32_e32 v2, v2, v3
	v_mul_hi_u32 v2, s81, v2
	s_delay_alu instid0(VALU_DEP_1) | instskip(NEXT) | instid1(VALU_DEP_1)
	v_mul_lo_u32 v2, v2, s27
	v_sub_nc_u32_e32 v2, s81, v2
	s_delay_alu instid0(VALU_DEP_1) | instskip(SKIP_1) | instid1(VALU_DEP_2)
	v_subrev_nc_u32_e32 v3, s27, v2
	v_cmp_le_u32_e32 vcc_lo, s27, v2
	v_cndmask_b32_e32 v2, v2, v3, vcc_lo
	s_delay_alu instid0(VALU_DEP_1) | instskip(SKIP_1) | instid1(VALU_DEP_2)
	v_subrev_nc_u32_e32 v3, s27, v2
	v_cmp_le_u32_e32 vcc_lo, s27, v2
	v_cndmask_b32_e32 v12, v2, v3, vcc_lo
	s_delay_alu instid0(VALU_DEP_1)
	v_dual_mov_b32 v2, v12 :: v_dual_mov_b32 v3, v13
.LBB53_143:                             ;   in Loop: Header=BB53_17 Depth=1
	s_delay_alu instid0(VALU_DEP_1) | instskip(NEXT) | instid1(VALU_DEP_2)
	v_sub_co_u32 v2, vcc_lo, s81, v2
	v_sub_co_ci_u32_e32 v3, vcc_lo, s25, v3, vcc_lo
	s_mov_b32 s24, 0
	s_mov_b32 s14, exec_lo
                                        ; implicit-def: $vgpr25
	s_delay_alu instid0(VALU_DEP_1)
	v_cmpx_gt_i64_e64 v[2:3], v[0:1]
	s_cbranch_execz .LBB53_156
; %bb.144:                              ;   in Loop: Header=BB53_17 Depth=1
	v_dual_mov_b32 v4, v10 :: v_dual_mov_b32 v5, v11
	v_dual_mov_b32 v7, v1 :: v_dual_mov_b32 v6, v0
	s_mov_b32 s15, 0
                                        ; implicit-def: $sgpr21
	s_set_inst_prefetch_distance 0x1
	s_branch .LBB53_146
	.p2align	6
.LBB53_145:                             ;   in Loop: Header=BB53_146 Depth=2
	s_or_b32 exec_lo, exec_lo, s5
	s_waitcnt vmcnt(0) lgkmcnt(0)
	s_barrier
	buffer_gl0_inv
	ds_load_b64 v[24:25], v13 offset:3072
	v_add_co_u32 v6, vcc_lo, v6, s27
	v_add_co_ci_u32_e32 v7, vcc_lo, 0, v7, vcc_lo
	s_waitcnt lgkmcnt(0)
	s_barrier
	buffer_gl0_inv
	v_cmp_ge_i64_e32 vcc_lo, v[6:7], v[2:3]
	v_cmp_neq_f32_e64 s5, 0, v24
	s_delay_alu instid0(VALU_DEP_1)
	s_or_b32 s22, s5, vcc_lo
	v_add_co_u32 v4, vcc_lo, v4, s58
	s_and_b32 s22, exec_lo, s22
	v_add_co_ci_u32_e32 v5, vcc_lo, s59, v5, vcc_lo
	s_or_b32 s15, s22, s15
	s_and_not1_b32 s21, s21, exec_lo
	s_and_b32 s5, s5, exec_lo
	s_delay_alu instid0(SALU_CYCLE_1)
	s_or_b32 s21, s21, s5
	s_and_not1_b32 exec_lo, exec_lo, s15
	s_cbranch_execz .LBB53_155
.LBB53_146:                             ;   Parent Loop BB53_17 Depth=1
                                        ; =>  This Inner Loop Header: Depth=2
	s_delay_alu instid0(VALU_DEP_1)
	v_cmp_gt_i64_e32 vcc_lo, s[36:37], v[6:7]
	v_mov_b32_e32 v24, 0
	s_and_saveexec_b32 s5, vcc_lo
	s_cbranch_execz .LBB53_148
; %bb.147:                              ;   in Loop: Header=BB53_146 Depth=2
	global_load_b32 v24, v[4:5], off
.LBB53_148:                             ;   in Loop: Header=BB53_146 Depth=2
	s_or_b32 exec_lo, exec_lo, s5
	s_and_saveexec_b32 s5, vcc_lo
	s_cbranch_execz .LBB53_145
; %bb.149:                              ;   in Loop: Header=BB53_146 Depth=2
	s_waitcnt vmcnt(0)
	v_cmp_lt_i32_e32 vcc_lo, -1, v24
	v_cndmask_b32_e64 v8, -1, 0x80000000, vcc_lo
	v_cmp_o_f32_e32 vcc_lo, v24, v24
	s_delay_alu instid0(VALU_DEP_2) | instskip(NEXT) | instid1(VALU_DEP_1)
	v_xor_b32_e32 v8, v8, v24
	v_cndmask_b32_e32 v8, -1, v8, vcc_lo
	s_delay_alu instid0(VALU_DEP_1) | instskip(NEXT) | instid1(VALU_DEP_1)
	v_and_b32_e32 v8, s97, v8
	v_cmp_eq_u32_e32 vcc_lo, s98, v8
	s_and_b32 exec_lo, exec_lo, vcc_lo
	s_cbranch_execz .LBB53_145
; %bb.150:                              ;   in Loop: Header=BB53_146 Depth=2
	ds_store_b64 v13, v[23:24] offset:3072
	s_branch .LBB53_145
.LBB53_151:                             ;   in Loop: Header=BB53_17 Depth=1
                                        ; implicit-def: $sgpr15
                                        ; implicit-def: $sgpr21
                                        ; implicit-def: $sgpr14
	s_branch .LBB53_170
.LBB53_152:                             ;   in Loop: Header=BB53_17 Depth=1
                                        ; implicit-def: $vgpr2_vgpr3
	s_branch .LBB53_97
.LBB53_153:                             ;   in Loop: Header=BB53_17 Depth=1
                                        ; implicit-def: $vgpr2_vgpr3
	s_branch .LBB53_112
.LBB53_154:                             ;   in Loop: Header=BB53_17 Depth=1
	s_mov_b32 s15, -1
	s_mov_b32 s24, 0
                                        ; implicit-def: $sgpr14
                                        ; implicit-def: $vgpr25
	s_mov_b32 s21, s15
	s_cbranch_execnz .LBB53_157
	s_branch .LBB53_170
.LBB53_155:                             ;   in Loop: Header=BB53_17 Depth=1
	s_set_inst_prefetch_distance 0x2
	s_or_b32 exec_lo, exec_lo, s15
	s_delay_alu instid0(SALU_CYCLE_1)
	s_and_b32 s24, s21, exec_lo
.LBB53_156:                             ;   in Loop: Header=BB53_17 Depth=1
	s_or_b32 exec_lo, exec_lo, s14
	s_mov_b32 s14, -1
	s_mov_b32 s15, 0
	s_delay_alu instid0(SALU_CYCLE_1)
	s_mov_b32 s21, s15
	s_branch .LBB53_170
.LBB53_157:                             ;   in Loop: Header=BB53_17 Depth=1
	s_add_u32 s21, s79, s12
	s_addc_u32 s15, s80, s13
	s_mov_b32 s14, s57
	s_delay_alu instid0(SALU_CYCLE_1)
	s_cmp_lg_u64 s[14:15], 0
	s_cbranch_scc0 .LBB53_200
; %bb.158:                              ;   in Loop: Header=BB53_17 Depth=1
	v_cvt_f32_u32_e32 v2, s27
	s_sub_u32 s22, 0, s27
	s_subb_u32 s24, 0, 0
	s_delay_alu instid0(VALU_DEP_1) | instskip(NEXT) | instid1(VALU_DEP_1)
	v_fmac_f32_e32 v2, 0x4f800000, v43
	v_rcp_f32_e32 v2, v2
	s_waitcnt_depctr 0xfff
	v_mul_f32_e32 v2, 0x5f7ffffc, v2
	s_delay_alu instid0(VALU_DEP_1) | instskip(NEXT) | instid1(VALU_DEP_1)
	v_mul_f32_e32 v3, 0x2f800000, v2
	v_trunc_f32_e32 v3, v3
	s_delay_alu instid0(VALU_DEP_1) | instskip(SKIP_1) | instid1(VALU_DEP_2)
	v_fmac_f32_e32 v2, 0xcf800000, v3
	v_cvt_u32_f32_e32 v3, v3
	v_cvt_u32_f32_e32 v2, v2
	s_delay_alu instid0(VALU_DEP_2) | instskip(NEXT) | instid1(VALU_DEP_2)
	v_readfirstlane_b32 s5, v3
	v_readfirstlane_b32 s14, v2
	s_delay_alu instid0(VALU_DEP_2) | instskip(NEXT) | instid1(VALU_DEP_1)
	s_mul_i32 s56, s22, s5
	s_mul_hi_u32 s69, s22, s14
	s_mul_i32 s68, s24, s14
	s_add_i32 s56, s69, s56
	s_mul_i32 s70, s22, s14
	s_add_i32 s56, s56, s68
	s_mul_hi_u32 s69, s14, s70
	s_mul_hi_u32 s71, s5, s70
	s_mul_i32 s68, s5, s70
	s_mul_hi_u32 s70, s14, s56
	s_mul_i32 s14, s14, s56
	s_mul_hi_u32 s72, s5, s56
	s_add_u32 s14, s69, s14
	s_addc_u32 s69, 0, s70
	s_add_u32 s14, s14, s68
	s_mul_i32 s56, s5, s56
	s_addc_u32 s14, s69, s71
	s_addc_u32 s68, s72, 0
	s_add_u32 s14, s14, s56
	s_addc_u32 s56, 0, s68
	v_add_co_u32 v2, s14, v2, s14
	s_delay_alu instid0(VALU_DEP_1) | instskip(SKIP_1) | instid1(VALU_DEP_1)
	s_cmp_lg_u32 s14, 0
	s_addc_u32 s5, s5, s56
	v_readfirstlane_b32 s14, v2
	s_mul_i32 s56, s22, s5
	s_delay_alu instid0(VALU_DEP_1)
	s_mul_hi_u32 s68, s22, s14
	s_mul_i32 s24, s24, s14
	s_add_i32 s56, s68, s56
	s_mul_i32 s22, s22, s14
	s_add_i32 s56, s56, s24
	s_mul_hi_u32 s68, s5, s22
	s_mul_i32 s69, s5, s22
	s_mul_hi_u32 s22, s14, s22
	s_mul_hi_u32 s70, s14, s56
	s_mul_i32 s14, s14, s56
	s_mul_hi_u32 s24, s5, s56
	s_add_u32 s14, s22, s14
	s_addc_u32 s22, 0, s70
	s_add_u32 s14, s14, s69
	s_mul_i32 s56, s5, s56
	s_addc_u32 s14, s22, s68
	s_addc_u32 s22, s24, 0
	s_add_u32 s14, s14, s56
	s_addc_u32 s22, 0, s22
	v_add_co_u32 v2, s14, v2, s14
	s_delay_alu instid0(VALU_DEP_1) | instskip(SKIP_2) | instid1(VALU_DEP_1)
	s_cmp_lg_u32 s14, 0
	s_addc_u32 s5, s5, s22
	s_ashr_i32 s68, s15, 31
	v_readfirstlane_b32 s14, v2
	s_add_u32 s70, s21, s68
	s_mov_b32 s69, s68
	s_addc_u32 s71, s15, s68
	s_delay_alu instid0(SALU_CYCLE_1) | instskip(NEXT) | instid1(SALU_CYCLE_1)
	s_xor_b64 s[70:71], s[70:71], s[68:69]
	s_mul_i32 s24, s70, s5
	s_mul_hi_u32 s56, s70, s14
	s_mul_hi_u32 s22, s70, s5
	s_mul_hi_u32 s72, s71, s14
	s_mul_i32 s14, s71, s14
	s_add_u32 s24, s56, s24
	s_addc_u32 s22, 0, s22
	s_mul_hi_u32 s69, s71, s5
	s_add_u32 s14, s24, s14
	s_mul_i32 s5, s71, s5
	s_addc_u32 s14, s22, s72
	s_addc_u32 s22, s69, 0
	s_add_u32 s5, s14, s5
	s_addc_u32 s14, 0, s22
	s_mul_hi_u32 s22, s27, s5
	s_mul_i32 s5, s27, s5
	s_mul_i32 s14, s27, s14
	v_sub_co_u32 v2, s5, s70, s5
	s_add_i32 s22, s22, s14
	s_cmp_lg_u32 s5, 0
	s_delay_alu instid0(VALU_DEP_1) | instskip(SKIP_2) | instid1(VALU_DEP_1)
	v_sub_co_u32 v3, s5, v2, s27
	s_subb_u32 s14, s71, s22
	s_cmp_lg_u32 s5, 0
	v_cmp_le_u32_e32 vcc_lo, s27, v3
	v_sub_co_u32 v4, s5, v3, s27
	s_subb_u32 s22, s14, 0
	s_cmp_lg_u32 s5, 0
	v_cndmask_b32_e64 v5, 0, -1, vcc_lo
	s_subb_u32 s5, s22, 0
	s_cmp_eq_u32 s22, 0
	v_mov_b32_e32 v7, s5
	s_cselect_b32 vcc_lo, -1, 0
	s_cmp_eq_u32 s14, 0
	v_cndmask_b32_e32 v5, -1, v5, vcc_lo
	v_cmp_le_u32_e32 vcc_lo, s27, v2
	s_cselect_b32 s5, -1, 0
	v_cndmask_b32_e64 v6, 0, -1, vcc_lo
	s_delay_alu instid0(VALU_DEP_3) | instskip(NEXT) | instid1(VALU_DEP_2)
	v_cmp_ne_u32_e32 vcc_lo, 0, v5
	v_cndmask_b32_e64 v5, -1, v6, s5
	v_cndmask_b32_e32 v3, v3, v4, vcc_lo
	v_cndmask_b32_e32 v6, s22, v7, vcc_lo
	s_delay_alu instid0(VALU_DEP_3) | instskip(NEXT) | instid1(VALU_DEP_3)
	v_cmp_ne_u32_e32 vcc_lo, 0, v5
	v_cndmask_b32_e32 v2, v2, v3, vcc_lo
	s_delay_alu instid0(VALU_DEP_3) | instskip(NEXT) | instid1(VALU_DEP_2)
	v_cndmask_b32_e32 v4, s14, v6, vcc_lo
	v_xor_b32_e32 v2, s68, v2
	s_delay_alu instid0(VALU_DEP_2) | instskip(NEXT) | instid1(VALU_DEP_2)
	v_xor_b32_e32 v3, s68, v4
	v_sub_co_u32 v2, vcc_lo, v2, s68
	s_delay_alu instid0(VALU_DEP_2)
	v_subrev_co_ci_u32_e32 v3, vcc_lo, s68, v3, vcc_lo
	s_cbranch_execnz .LBB53_160
.LBB53_159:                             ;   in Loop: Header=BB53_17 Depth=1
	v_cvt_f32_u32_e32 v2, s27
	s_sub_i32 s5, 0, s27
	s_delay_alu instid0(VALU_DEP_1) | instskip(SKIP_2) | instid1(VALU_DEP_1)
	v_rcp_iflag_f32_e32 v2, v2
	s_waitcnt_depctr 0xfff
	v_mul_f32_e32 v2, 0x4f7ffffe, v2
	v_cvt_u32_f32_e32 v2, v2
	s_delay_alu instid0(VALU_DEP_1) | instskip(NEXT) | instid1(VALU_DEP_1)
	v_mul_lo_u32 v3, s5, v2
	v_mul_hi_u32 v3, v2, v3
	s_delay_alu instid0(VALU_DEP_1) | instskip(NEXT) | instid1(VALU_DEP_1)
	v_add_nc_u32_e32 v2, v2, v3
	v_mul_hi_u32 v2, s21, v2
	s_delay_alu instid0(VALU_DEP_1) | instskip(NEXT) | instid1(VALU_DEP_1)
	v_mul_lo_u32 v2, v2, s27
	v_sub_nc_u32_e32 v2, s21, v2
	s_delay_alu instid0(VALU_DEP_1) | instskip(SKIP_1) | instid1(VALU_DEP_2)
	v_subrev_nc_u32_e32 v3, s27, v2
	v_cmp_le_u32_e32 vcc_lo, s27, v2
	v_cndmask_b32_e32 v2, v2, v3, vcc_lo
	s_delay_alu instid0(VALU_DEP_1) | instskip(SKIP_1) | instid1(VALU_DEP_2)
	v_subrev_nc_u32_e32 v3, s27, v2
	v_cmp_le_u32_e32 vcc_lo, s27, v2
	v_cndmask_b32_e32 v12, v2, v3, vcc_lo
	s_delay_alu instid0(VALU_DEP_1)
	v_dual_mov_b32 v2, v12 :: v_dual_mov_b32 v3, v13
.LBB53_160:                             ;   in Loop: Header=BB53_17 Depth=1
	s_delay_alu instid0(VALU_DEP_1) | instskip(NEXT) | instid1(VALU_DEP_2)
	v_sub_co_u32 v2, vcc_lo, s21, v2
	v_sub_co_ci_u32_e32 v3, vcc_lo, s15, v3, vcc_lo
	s_mov_b32 s24, 0
	s_mov_b32 s14, exec_lo
                                        ; implicit-def: $vgpr25
	s_delay_alu instid0(VALU_DEP_1)
	v_cmpx_gt_i64_e64 v[2:3], v[0:1]
	s_cbranch_execz .LBB53_169
; %bb.161:                              ;   in Loop: Header=BB53_17 Depth=1
	v_dual_mov_b32 v6, v14 :: v_dual_mov_b32 v5, v1
	v_mov_b32_e32 v4, v0
	s_mov_b32 s15, 0
                                        ; implicit-def: $sgpr21
	s_set_inst_prefetch_distance 0x1
	s_branch .LBB53_163
	.p2align	6
.LBB53_162:                             ;   in Loop: Header=BB53_163 Depth=2
	s_or_b32 exec_lo, exec_lo, s5
	s_waitcnt lgkmcnt(0)
	s_barrier
	buffer_gl0_inv
	ds_load_b64 v[24:25], v13 offset:3072
	v_add_co_u32 v4, vcc_lo, v4, s27
	v_add_co_ci_u32_e32 v5, vcc_lo, 0, v5, vcc_lo
	v_add_nc_u32_e32 v6, s87, v6
	s_waitcnt lgkmcnt(0)
	s_barrier
	s_delay_alu instid0(VALU_DEP_2) | instskip(SKIP_2) | instid1(VALU_DEP_1)
	v_cmp_ge_i64_e32 vcc_lo, v[4:5], v[2:3]
	buffer_gl0_inv
	v_cmp_neq_f32_e64 s5, 0, v24
	s_or_b32 s22, s5, vcc_lo
	s_delay_alu instid0(SALU_CYCLE_1) | instskip(NEXT) | instid1(SALU_CYCLE_1)
	s_and_b32 s22, exec_lo, s22
	s_or_b32 s15, s22, s15
	s_and_not1_b32 s21, s21, exec_lo
	s_and_b32 s5, s5, exec_lo
	s_delay_alu instid0(SALU_CYCLE_1)
	s_or_b32 s21, s21, s5
	s_and_not1_b32 exec_lo, exec_lo, s15
	s_cbranch_execz .LBB53_168
.LBB53_163:                             ;   Parent Loop BB53_17 Depth=1
                                        ; =>  This Inner Loop Header: Depth=2
	s_delay_alu instid0(VALU_DEP_1)
	v_cmp_gt_i64_e32 vcc_lo, s[12:13], v[4:5]
	v_mov_b32_e32 v24, 0
	s_and_saveexec_b32 s5, vcc_lo
	s_cbranch_execz .LBB53_165
; %bb.164:                              ;   in Loop: Header=BB53_163 Depth=2
	ds_load_b32 v24, v6
.LBB53_165:                             ;   in Loop: Header=BB53_163 Depth=2
	s_or_b32 exec_lo, exec_lo, s5
	s_and_saveexec_b32 s5, vcc_lo
	s_cbranch_execz .LBB53_162
; %bb.166:                              ;   in Loop: Header=BB53_163 Depth=2
	s_waitcnt lgkmcnt(0)
	v_cmp_lt_i32_e32 vcc_lo, -1, v24
	v_cndmask_b32_e64 v7, -1, 0x80000000, vcc_lo
	v_cmp_o_f32_e32 vcc_lo, v24, v24
	s_delay_alu instid0(VALU_DEP_2) | instskip(NEXT) | instid1(VALU_DEP_1)
	v_xor_b32_e32 v7, v7, v24
	v_cndmask_b32_e32 v7, -1, v7, vcc_lo
	s_delay_alu instid0(VALU_DEP_1) | instskip(NEXT) | instid1(VALU_DEP_1)
	v_and_b32_e32 v7, s97, v7
	v_cmp_eq_u32_e32 vcc_lo, s98, v7
	s_and_b32 exec_lo, exec_lo, vcc_lo
	s_cbranch_execz .LBB53_162
; %bb.167:                              ;   in Loop: Header=BB53_163 Depth=2
	ds_store_b64 v13, v[23:24] offset:3072
	s_branch .LBB53_162
.LBB53_168:                             ;   in Loop: Header=BB53_17 Depth=1
	s_set_inst_prefetch_distance 0x2
	s_or_b32 exec_lo, exec_lo, s15
	s_delay_alu instid0(SALU_CYCLE_1)
	s_and_b32 s24, s21, exec_lo
.LBB53_169:                             ;   in Loop: Header=BB53_17 Depth=1
	s_or_b32 exec_lo, exec_lo, s14
	s_mov_b32 s21, -1
	s_mov_b32 s15, 0
	s_mov_b32 s14, 0
.LBB53_170:                             ;   in Loop: Header=BB53_17 Depth=1
	s_mov_b32 s12, 0
                                        ; implicit-def: $sgpr5
	s_and_saveexec_b32 s22, s24
	s_cbranch_execz .LBB53_281
; %bb.171:                              ;   in Loop: Header=BB53_17 Depth=1
	s_xor_b32 s5, s23, -1
	s_delay_alu instid0(SALU_CYCLE_1)
	s_and_not1_b32 vcc_lo, exec_lo, s5
	s_mov_b32 s5, 1
	s_cbranch_vccnz .LBB53_182
; %bb.172:                              ;   in Loop: Header=BB53_17 Depth=1
	v_cmp_gt_i64_e64 s5, s[38:39], s[10:11]
	s_mov_b32 s12, -1
                                        ; implicit-def: $sgpr13
                                        ; implicit-def: $sgpr23
	s_delay_alu instid0(VALU_DEP_1)
	s_and_b32 vcc_lo, exec_lo, s5
                                        ; implicit-def: $sgpr5
	s_cbranch_vccnz .LBB53_178
; %bb.173:                              ;   in Loop: Header=BB53_17 Depth=1
	ds_load_b64 v[2:3], v13 offset:5120
	s_waitcnt lgkmcnt(0)
	v_cmp_ne_u64_e32 vcc_lo, 0, v[2:3]
	s_cbranch_vccnz .LBB53_177
; %bb.174:                              ;   in Loop: Header=BB53_17 Depth=1
	s_and_saveexec_b32 s5, s2
	s_cbranch_execz .LBB53_176
; %bb.175:                              ;   in Loop: Header=BB53_17 Depth=1
	v_dual_mov_b32 v2, s10 :: v_dual_mov_b32 v3, s11
	ds_store_b64 v13, v[2:3] offset:5128
.LBB53_176:                             ;   in Loop: Header=BB53_17 Depth=1
	s_or_b32 exec_lo, exec_lo, s5
	s_waitcnt lgkmcnt(0)
	s_barrier
	buffer_gl0_inv
.LBB53_177:                             ;   in Loop: Header=BB53_17 Depth=1
	s_lshl_b32 s5, 1, s19
	s_and_b32 s12, s98, s20
	s_or_b32 s23, s97, s18
	s_or_b32 s13, s12, s5
	s_mov_b32 s12, 0
	s_mov_b32 s5, 8
.LBB53_178:                             ;   in Loop: Header=BB53_17 Depth=1
	s_and_not1_b32 vcc_lo, exec_lo, s12
	s_cbranch_vccnz .LBB53_180
; %bb.179:                              ;   in Loop: Header=BB53_17 Depth=1
	s_sub_u32 s38, s38, s10
	s_subb_u32 s39, s39, s11
	s_mov_b32 s12, -1
	s_mov_b32 s5, 0
	s_mov_b32 s13, s98
	;; [unrolled: 1-line block ×3, first 2 shown]
.LBB53_180:                             ;   in Loop: Header=BB53_17 Depth=1
	s_delay_alu instid0(SALU_CYCLE_1)
	s_mov_b32 s97, s23
	s_mov_b32 s98, s13
	s_and_not1_b32 vcc_lo, exec_lo, s12
	s_mov_b32 s10, -1
	s_cbranch_vccz .LBB53_183
.LBB53_181:                             ;   in Loop: Header=BB53_17 Depth=1
                                        ; implicit-def: $sgpr13
                                        ; implicit-def: $sgpr23
                                        ; implicit-def: $sgpr12
	s_branch .LBB53_280
.LBB53_182:                             ;   in Loop: Header=BB53_17 Depth=1
	s_mov_b64 s[38:39], 1
	s_and_not1_b32 vcc_lo, exec_lo, s12
	s_mov_b32 s10, -1
	s_cbranch_vccnz .LBB53_181
.LBB53_183:                             ;   in Loop: Header=BB53_17 Depth=1
	s_cmp_eq_u64 s[8:9], 1
	s_mov_b32 s24, -1
	s_cselect_b32 s5, -1, 0
	s_cmp_eq_u64 s[38:39], 1
	s_cselect_b32 s10, -1, 0
	s_delay_alu instid0(SALU_CYCLE_1) | instskip(NEXT) | instid1(SALU_CYCLE_1)
	s_and_b32 s68, s5, s10
	s_and_b32 vcc_lo, exec_lo, s68
	s_cbranch_vccz .LBB53_198
; %bb.184:                              ;   in Loop: Header=BB53_17 Depth=1
	ds_load_b64 v[2:3], v13 offset:5120
	s_waitcnt lgkmcnt(0)
	s_barrier
	buffer_gl0_inv
	v_readfirstlane_b32 s10, v2
	v_readfirstlane_b32 s11, v3
	s_and_saveexec_b32 s5, s3
	s_cbranch_execz .LBB53_186
; %bb.185:                              ;   in Loop: Header=BB53_17 Depth=1
	ds_store_b32 v35, v13
.LBB53_186:                             ;   in Loop: Header=BB53_17 Depth=1
	s_or_b32 exec_lo, exec_lo, s5
	s_delay_alu instid0(VALU_DEP_1)
	v_cmp_gt_i64_e64 s13, s[10:11], 0
	s_lshl_b32 s5, 2, s19
	s_and_b32 s12, s98, s20
	s_or_b32 s97, s97, s18
	s_or_b32 s98, s12, s5
	s_waitcnt lgkmcnt(0)
	s_and_b32 vcc_lo, exec_lo, s13
	s_barrier
	buffer_gl0_inv
	s_cbranch_vccnz .LBB53_201
; %bb.187:                              ;   in Loop: Header=BB53_17 Depth=1
	s_mov_b32 s24, s57
	s_delay_alu instid0(SALU_CYCLE_1)
	s_cmp_lg_u64 s[24:25], 0
	s_cbranch_scc0 .LBB53_246
; %bb.188:                              ;   in Loop: Header=BB53_17 Depth=1
	v_cvt_f32_u32_e32 v2, s27
	s_sub_u32 s13, 0, s27
	s_subb_u32 s23, 0, 0
	s_delay_alu instid0(VALU_DEP_1) | instskip(NEXT) | instid1(VALU_DEP_1)
	v_fmac_f32_e32 v2, 0x4f800000, v43
	v_rcp_f32_e32 v2, v2
	s_waitcnt_depctr 0xfff
	v_mul_f32_e32 v2, 0x5f7ffffc, v2
	s_delay_alu instid0(VALU_DEP_1) | instskip(NEXT) | instid1(VALU_DEP_1)
	v_mul_f32_e32 v3, 0x2f800000, v2
	v_trunc_f32_e32 v3, v3
	s_delay_alu instid0(VALU_DEP_1) | instskip(SKIP_1) | instid1(VALU_DEP_2)
	v_fmac_f32_e32 v2, 0xcf800000, v3
	v_cvt_u32_f32_e32 v3, v3
	v_cvt_u32_f32_e32 v2, v2
	s_delay_alu instid0(VALU_DEP_2) | instskip(NEXT) | instid1(VALU_DEP_2)
	v_readfirstlane_b32 s5, v3
	v_readfirstlane_b32 s12, v2
	s_delay_alu instid0(VALU_DEP_2) | instskip(NEXT) | instid1(VALU_DEP_1)
	s_mul_i32 s24, s13, s5
	s_mul_hi_u32 s69, s13, s12
	s_mul_i32 s56, s23, s12
	s_add_i32 s24, s69, s24
	s_mul_i32 s70, s13, s12
	s_add_i32 s24, s24, s56
	s_mul_hi_u32 s69, s12, s70
	s_mul_hi_u32 s71, s5, s70
	s_mul_i32 s56, s5, s70
	s_mul_hi_u32 s70, s12, s24
	s_mul_i32 s12, s12, s24
	s_mul_hi_u32 s72, s5, s24
	s_add_u32 s12, s69, s12
	s_addc_u32 s69, 0, s70
	s_add_u32 s12, s12, s56
	s_mul_i32 s24, s5, s24
	s_addc_u32 s12, s69, s71
	s_addc_u32 s56, s72, 0
	s_add_u32 s12, s12, s24
	s_addc_u32 s24, 0, s56
	v_add_co_u32 v2, s12, v2, s12
	s_delay_alu instid0(VALU_DEP_1) | instskip(SKIP_1) | instid1(VALU_DEP_1)
	s_cmp_lg_u32 s12, 0
	s_addc_u32 s5, s5, s24
	v_readfirstlane_b32 s12, v2
	s_mul_i32 s24, s13, s5
	s_delay_alu instid0(VALU_DEP_1)
	s_mul_hi_u32 s56, s13, s12
	s_mul_i32 s23, s23, s12
	s_add_i32 s24, s56, s24
	s_mul_i32 s13, s13, s12
	s_add_i32 s24, s24, s23
	s_mul_hi_u32 s56, s5, s13
	s_mul_i32 s69, s5, s13
	s_mul_hi_u32 s13, s12, s13
	s_mul_hi_u32 s70, s12, s24
	s_mul_i32 s12, s12, s24
	s_mul_hi_u32 s23, s5, s24
	s_add_u32 s12, s13, s12
	s_addc_u32 s13, 0, s70
	s_add_u32 s12, s12, s69
	s_mul_i32 s24, s5, s24
	s_addc_u32 s12, s13, s56
	s_addc_u32 s13, s23, 0
	s_add_u32 s12, s12, s24
	s_addc_u32 s13, 0, s13
	v_add_co_u32 v2, s12, v2, s12
	s_delay_alu instid0(VALU_DEP_1) | instskip(SKIP_2) | instid1(VALU_DEP_1)
	s_cmp_lg_u32 s12, 0
	s_addc_u32 s5, s5, s13
	s_ashr_i32 s12, s25, 31
	v_readfirstlane_b32 s23, v2
	s_add_u32 s70, s81, s12
	s_mov_b32 s13, s12
	s_addc_u32 s71, s25, s12
	s_delay_alu instid0(SALU_CYCLE_1) | instskip(NEXT) | instid1(SALU_CYCLE_1)
	s_xor_b64 s[70:71], s[70:71], s[12:13]
	s_mul_i32 s24, s70, s5
	s_mul_hi_u32 s56, s70, s23
	s_mul_hi_u32 s13, s70, s5
	;; [unrolled: 1-line block ×3, first 2 shown]
	s_mul_i32 s23, s71, s23
	s_add_u32 s24, s56, s24
	s_addc_u32 s13, 0, s13
	s_mul_hi_u32 s69, s71, s5
	s_add_u32 s23, s24, s23
	s_mul_i32 s5, s71, s5
	s_addc_u32 s13, s13, s72
	s_addc_u32 s23, s69, 0
	s_add_u32 s5, s13, s5
	s_addc_u32 s13, 0, s23
	s_mul_hi_u32 s23, s27, s5
	s_mul_i32 s5, s27, s5
	s_mul_i32 s13, s27, s13
	v_sub_co_u32 v2, s5, s70, s5
	s_add_i32 s23, s23, s13
	s_cmp_lg_u32 s5, 0
	s_delay_alu instid0(VALU_DEP_1) | instskip(SKIP_2) | instid1(VALU_DEP_1)
	v_sub_co_u32 v3, s5, v2, s27
	s_subb_u32 s13, s71, s23
	s_cmp_lg_u32 s5, 0
	v_cmp_le_u32_e32 vcc_lo, s27, v3
	v_sub_co_u32 v4, s5, v3, s27
	s_subb_u32 s23, s13, 0
	s_cmp_lg_u32 s5, 0
	v_cndmask_b32_e64 v5, 0, -1, vcc_lo
	s_subb_u32 s5, s23, 0
	s_cmp_eq_u32 s23, 0
	v_mov_b32_e32 v7, s5
	s_cselect_b32 vcc_lo, -1, 0
	s_cmp_eq_u32 s13, 0
	v_cndmask_b32_e32 v5, -1, v5, vcc_lo
	v_cmp_le_u32_e32 vcc_lo, s27, v2
	s_cselect_b32 s5, -1, 0
	v_cndmask_b32_e64 v6, 0, -1, vcc_lo
	s_delay_alu instid0(VALU_DEP_3) | instskip(NEXT) | instid1(VALU_DEP_2)
	v_cmp_ne_u32_e32 vcc_lo, 0, v5
	v_cndmask_b32_e64 v5, -1, v6, s5
	v_cndmask_b32_e32 v3, v3, v4, vcc_lo
	v_cndmask_b32_e32 v6, s23, v7, vcc_lo
	s_delay_alu instid0(VALU_DEP_3) | instskip(NEXT) | instid1(VALU_DEP_3)
	v_cmp_ne_u32_e32 vcc_lo, 0, v5
	v_cndmask_b32_e32 v2, v2, v3, vcc_lo
	s_delay_alu instid0(VALU_DEP_3) | instskip(NEXT) | instid1(VALU_DEP_2)
	v_cndmask_b32_e32 v4, s13, v6, vcc_lo
	v_xor_b32_e32 v2, s12, v2
	s_delay_alu instid0(VALU_DEP_2) | instskip(NEXT) | instid1(VALU_DEP_2)
	v_xor_b32_e32 v3, s12, v4
	v_sub_co_u32 v2, vcc_lo, v2, s12
	s_delay_alu instid0(VALU_DEP_2)
	v_subrev_co_ci_u32_e32 v3, vcc_lo, s12, v3, vcc_lo
	s_cbranch_execnz .LBB53_190
.LBB53_189:                             ;   in Loop: Header=BB53_17 Depth=1
	v_cvt_f32_u32_e32 v2, s27
	s_sub_i32 s5, 0, s27
	s_delay_alu instid0(VALU_DEP_1) | instskip(SKIP_2) | instid1(VALU_DEP_1)
	v_rcp_iflag_f32_e32 v2, v2
	s_waitcnt_depctr 0xfff
	v_mul_f32_e32 v2, 0x4f7ffffe, v2
	v_cvt_u32_f32_e32 v2, v2
	s_delay_alu instid0(VALU_DEP_1) | instskip(NEXT) | instid1(VALU_DEP_1)
	v_mul_lo_u32 v3, s5, v2
	v_mul_hi_u32 v3, v2, v3
	s_delay_alu instid0(VALU_DEP_1) | instskip(NEXT) | instid1(VALU_DEP_1)
	v_add_nc_u32_e32 v2, v2, v3
	v_mul_hi_u32 v2, s81, v2
	s_delay_alu instid0(VALU_DEP_1) | instskip(NEXT) | instid1(VALU_DEP_1)
	v_mul_lo_u32 v2, v2, s27
	v_sub_nc_u32_e32 v2, s81, v2
	s_delay_alu instid0(VALU_DEP_1) | instskip(SKIP_1) | instid1(VALU_DEP_2)
	v_subrev_nc_u32_e32 v3, s27, v2
	v_cmp_le_u32_e32 vcc_lo, s27, v2
	v_cndmask_b32_e32 v2, v2, v3, vcc_lo
	s_delay_alu instid0(VALU_DEP_1) | instskip(SKIP_1) | instid1(VALU_DEP_2)
	v_subrev_nc_u32_e32 v3, s27, v2
	v_cmp_le_u32_e32 vcc_lo, s27, v2
	v_cndmask_b32_e32 v12, v2, v3, vcc_lo
	s_delay_alu instid0(VALU_DEP_1)
	v_dual_mov_b32 v2, v12 :: v_dual_mov_b32 v3, v13
.LBB53_190:                             ;   in Loop: Header=BB53_17 Depth=1
	s_delay_alu instid0(VALU_DEP_1) | instskip(NEXT) | instid1(VALU_DEP_2)
	v_sub_co_u32 v2, vcc_lo, s81, v2
	v_sub_co_ci_u32_e32 v3, vcc_lo, s25, v3, vcc_lo
	s_mov_b32 s24, 0
	s_mov_b32 s12, exec_lo
                                        ; implicit-def: $vgpr25
	s_delay_alu instid0(VALU_DEP_1)
	v_cmpx_gt_i64_e64 v[2:3], v[0:1]
	s_cbranch_execz .LBB53_203
; %bb.191:                              ;   in Loop: Header=BB53_17 Depth=1
	v_dual_mov_b32 v4, v10 :: v_dual_mov_b32 v5, v11
	v_dual_mov_b32 v7, v1 :: v_dual_mov_b32 v6, v0
	s_mov_b32 s13, 0
                                        ; implicit-def: $sgpr23
	s_set_inst_prefetch_distance 0x1
	s_branch .LBB53_193
	.p2align	6
.LBB53_192:                             ;   in Loop: Header=BB53_193 Depth=2
	s_or_b32 exec_lo, exec_lo, s5
	s_waitcnt vmcnt(0) lgkmcnt(0)
	s_barrier
	buffer_gl0_inv
	ds_load_b64 v[24:25], v13 offset:3072
	v_add_co_u32 v6, vcc_lo, v6, s27
	v_add_co_ci_u32_e32 v7, vcc_lo, 0, v7, vcc_lo
	s_waitcnt lgkmcnt(0)
	s_barrier
	buffer_gl0_inv
	v_cmp_ge_i64_e32 vcc_lo, v[6:7], v[2:3]
	v_cmp_neq_f32_e64 s5, 0, v24
	s_delay_alu instid0(VALU_DEP_1)
	s_or_b32 s24, s5, vcc_lo
	v_add_co_u32 v4, vcc_lo, v4, s58
	s_and_b32 s24, exec_lo, s24
	v_add_co_ci_u32_e32 v5, vcc_lo, s59, v5, vcc_lo
	s_or_b32 s13, s24, s13
	s_and_not1_b32 s23, s23, exec_lo
	s_and_b32 s5, s5, exec_lo
	s_delay_alu instid0(SALU_CYCLE_1)
	s_or_b32 s23, s23, s5
	s_and_not1_b32 exec_lo, exec_lo, s13
	s_cbranch_execz .LBB53_202
.LBB53_193:                             ;   Parent Loop BB53_17 Depth=1
                                        ; =>  This Inner Loop Header: Depth=2
	s_delay_alu instid0(VALU_DEP_1)
	v_cmp_gt_i64_e32 vcc_lo, s[36:37], v[6:7]
	v_mov_b32_e32 v24, 0
	s_and_saveexec_b32 s5, vcc_lo
	s_cbranch_execz .LBB53_195
; %bb.194:                              ;   in Loop: Header=BB53_193 Depth=2
	global_load_b32 v24, v[4:5], off
.LBB53_195:                             ;   in Loop: Header=BB53_193 Depth=2
	s_or_b32 exec_lo, exec_lo, s5
	s_and_saveexec_b32 s5, vcc_lo
	s_cbranch_execz .LBB53_192
; %bb.196:                              ;   in Loop: Header=BB53_193 Depth=2
	s_waitcnt vmcnt(0)
	v_cmp_lt_i32_e32 vcc_lo, -1, v24
	v_cndmask_b32_e64 v8, -1, 0x80000000, vcc_lo
	v_cmp_o_f32_e32 vcc_lo, v24, v24
	s_delay_alu instid0(VALU_DEP_2) | instskip(NEXT) | instid1(VALU_DEP_1)
	v_xor_b32_e32 v8, v8, v24
	v_cndmask_b32_e32 v8, -1, v8, vcc_lo
	s_delay_alu instid0(VALU_DEP_1) | instskip(NEXT) | instid1(VALU_DEP_1)
	v_and_b32_e32 v8, s97, v8
	v_cmp_eq_u32_e32 vcc_lo, s98, v8
	s_and_b32 exec_lo, exec_lo, vcc_lo
	s_cbranch_execz .LBB53_192
; %bb.197:                              ;   in Loop: Header=BB53_193 Depth=2
	ds_store_b64 v13, v[23:24] offset:3072
	s_branch .LBB53_192
.LBB53_198:                             ;   in Loop: Header=BB53_17 Depth=1
                                        ; implicit-def: $sgpr12
                                        ; implicit-def: $sgpr23
                                        ; implicit-def: $sgpr13
	s_branch .LBB53_217
.LBB53_199:                             ;   in Loop: Header=BB53_17 Depth=1
                                        ; implicit-def: $vgpr2_vgpr3
	s_branch .LBB53_142
.LBB53_200:                             ;   in Loop: Header=BB53_17 Depth=1
                                        ; implicit-def: $vgpr2_vgpr3
	s_branch .LBB53_159
.LBB53_201:                             ;   in Loop: Header=BB53_17 Depth=1
	s_mov_b32 s12, -1
	s_mov_b32 s24, 0
                                        ; implicit-def: $sgpr13
                                        ; implicit-def: $vgpr25
	s_mov_b32 s23, s12
	s_cbranch_execnz .LBB53_204
	s_branch .LBB53_217
.LBB53_202:                             ;   in Loop: Header=BB53_17 Depth=1
	s_set_inst_prefetch_distance 0x2
	s_or_b32 exec_lo, exec_lo, s13
	s_delay_alu instid0(SALU_CYCLE_1)
	s_and_b32 s24, s23, exec_lo
.LBB53_203:                             ;   in Loop: Header=BB53_17 Depth=1
	s_or_b32 exec_lo, exec_lo, s12
	s_mov_b32 s13, -1
	s_mov_b32 s12, 0
	s_delay_alu instid0(SALU_CYCLE_1)
	s_mov_b32 s23, s12
	s_branch .LBB53_217
.LBB53_204:                             ;   in Loop: Header=BB53_17 Depth=1
	s_add_u32 s23, s79, s10
	s_addc_u32 s13, s80, s11
	s_mov_b32 s12, s57
	s_delay_alu instid0(SALU_CYCLE_1)
	s_cmp_lg_u64 s[12:13], 0
	s_cbranch_scc0 .LBB53_247
; %bb.205:                              ;   in Loop: Header=BB53_17 Depth=1
	v_cvt_f32_u32_e32 v2, s27
	s_sub_u32 s24, 0, s27
	s_subb_u32 s56, 0, 0
	s_delay_alu instid0(VALU_DEP_1) | instskip(NEXT) | instid1(VALU_DEP_1)
	v_fmac_f32_e32 v2, 0x4f800000, v43
	v_rcp_f32_e32 v2, v2
	s_waitcnt_depctr 0xfff
	v_mul_f32_e32 v2, 0x5f7ffffc, v2
	s_delay_alu instid0(VALU_DEP_1) | instskip(NEXT) | instid1(VALU_DEP_1)
	v_mul_f32_e32 v3, 0x2f800000, v2
	v_trunc_f32_e32 v3, v3
	s_delay_alu instid0(VALU_DEP_1) | instskip(SKIP_1) | instid1(VALU_DEP_2)
	v_fmac_f32_e32 v2, 0xcf800000, v3
	v_cvt_u32_f32_e32 v3, v3
	v_cvt_u32_f32_e32 v2, v2
	s_delay_alu instid0(VALU_DEP_2) | instskip(NEXT) | instid1(VALU_DEP_2)
	v_readfirstlane_b32 s5, v3
	v_readfirstlane_b32 s12, v2
	s_delay_alu instid0(VALU_DEP_2) | instskip(NEXT) | instid1(VALU_DEP_1)
	s_mul_i32 s69, s24, s5
	s_mul_hi_u32 s71, s24, s12
	s_mul_i32 s70, s56, s12
	s_add_i32 s69, s71, s69
	s_mul_i32 s72, s24, s12
	s_add_i32 s69, s69, s70
	s_mul_hi_u32 s71, s12, s72
	s_mul_hi_u32 s73, s5, s72
	s_mul_i32 s70, s5, s72
	s_mul_hi_u32 s72, s12, s69
	s_mul_i32 s12, s12, s69
	s_mul_hi_u32 s74, s5, s69
	s_add_u32 s12, s71, s12
	s_addc_u32 s71, 0, s72
	s_add_u32 s12, s12, s70
	s_mul_i32 s69, s5, s69
	s_addc_u32 s12, s71, s73
	s_addc_u32 s70, s74, 0
	s_add_u32 s12, s12, s69
	s_addc_u32 s69, 0, s70
	v_add_co_u32 v2, s12, v2, s12
	s_delay_alu instid0(VALU_DEP_1) | instskip(SKIP_1) | instid1(VALU_DEP_1)
	s_cmp_lg_u32 s12, 0
	s_addc_u32 s5, s5, s69
	v_readfirstlane_b32 s12, v2
	s_mul_i32 s69, s24, s5
	s_delay_alu instid0(VALU_DEP_1)
	s_mul_hi_u32 s70, s24, s12
	s_mul_i32 s56, s56, s12
	s_add_i32 s69, s70, s69
	s_mul_i32 s24, s24, s12
	s_add_i32 s69, s69, s56
	s_mul_hi_u32 s70, s5, s24
	s_mul_i32 s71, s5, s24
	s_mul_hi_u32 s24, s12, s24
	s_mul_hi_u32 s72, s12, s69
	s_mul_i32 s12, s12, s69
	s_mul_hi_u32 s56, s5, s69
	s_add_u32 s12, s24, s12
	s_addc_u32 s24, 0, s72
	s_add_u32 s12, s12, s71
	s_mul_i32 s69, s5, s69
	s_addc_u32 s12, s24, s70
	s_addc_u32 s24, s56, 0
	s_add_u32 s12, s12, s69
	s_addc_u32 s24, 0, s24
	v_add_co_u32 v2, s12, v2, s12
	s_delay_alu instid0(VALU_DEP_1) | instskip(SKIP_2) | instid1(VALU_DEP_1)
	s_cmp_lg_u32 s12, 0
	s_addc_u32 s5, s5, s24
	s_ashr_i32 s70, s13, 31
	v_readfirstlane_b32 s12, v2
	s_add_u32 s72, s23, s70
	s_mov_b32 s71, s70
	s_addc_u32 s73, s13, s70
	s_delay_alu instid0(SALU_CYCLE_1) | instskip(NEXT) | instid1(SALU_CYCLE_1)
	s_xor_b64 s[72:73], s[72:73], s[70:71]
	s_mul_i32 s56, s72, s5
	s_mul_hi_u32 s69, s72, s12
	s_mul_hi_u32 s24, s72, s5
	;; [unrolled: 1-line block ×3, first 2 shown]
	s_mul_i32 s12, s73, s12
	s_add_u32 s56, s69, s56
	s_addc_u32 s24, 0, s24
	s_mul_hi_u32 s71, s73, s5
	s_add_u32 s12, s56, s12
	s_mul_i32 s5, s73, s5
	s_addc_u32 s12, s24, s74
	s_addc_u32 s24, s71, 0
	s_add_u32 s5, s12, s5
	s_addc_u32 s12, 0, s24
	s_mul_hi_u32 s24, s27, s5
	s_mul_i32 s5, s27, s5
	s_mul_i32 s12, s27, s12
	v_sub_co_u32 v2, s5, s72, s5
	s_add_i32 s24, s24, s12
	s_cmp_lg_u32 s5, 0
	s_delay_alu instid0(VALU_DEP_1) | instskip(SKIP_2) | instid1(VALU_DEP_1)
	v_sub_co_u32 v3, s5, v2, s27
	s_subb_u32 s12, s73, s24
	s_cmp_lg_u32 s5, 0
	v_cmp_le_u32_e32 vcc_lo, s27, v3
	v_sub_co_u32 v4, s5, v3, s27
	s_subb_u32 s24, s12, 0
	s_cmp_lg_u32 s5, 0
	v_cndmask_b32_e64 v5, 0, -1, vcc_lo
	s_subb_u32 s5, s24, 0
	s_cmp_eq_u32 s24, 0
	v_mov_b32_e32 v7, s5
	s_cselect_b32 vcc_lo, -1, 0
	s_cmp_eq_u32 s12, 0
	v_cndmask_b32_e32 v5, -1, v5, vcc_lo
	v_cmp_le_u32_e32 vcc_lo, s27, v2
	s_cselect_b32 s5, -1, 0
	v_cndmask_b32_e64 v6, 0, -1, vcc_lo
	s_delay_alu instid0(VALU_DEP_3) | instskip(NEXT) | instid1(VALU_DEP_2)
	v_cmp_ne_u32_e32 vcc_lo, 0, v5
	v_cndmask_b32_e64 v5, -1, v6, s5
	v_cndmask_b32_e32 v3, v3, v4, vcc_lo
	v_cndmask_b32_e32 v6, s24, v7, vcc_lo
	s_delay_alu instid0(VALU_DEP_3) | instskip(NEXT) | instid1(VALU_DEP_3)
	v_cmp_ne_u32_e32 vcc_lo, 0, v5
	v_cndmask_b32_e32 v2, v2, v3, vcc_lo
	s_delay_alu instid0(VALU_DEP_3) | instskip(NEXT) | instid1(VALU_DEP_2)
	v_cndmask_b32_e32 v4, s12, v6, vcc_lo
	v_xor_b32_e32 v2, s70, v2
	s_delay_alu instid0(VALU_DEP_2) | instskip(NEXT) | instid1(VALU_DEP_2)
	v_xor_b32_e32 v3, s70, v4
	v_sub_co_u32 v2, vcc_lo, v2, s70
	s_delay_alu instid0(VALU_DEP_2)
	v_subrev_co_ci_u32_e32 v3, vcc_lo, s70, v3, vcc_lo
	s_cbranch_execnz .LBB53_207
.LBB53_206:                             ;   in Loop: Header=BB53_17 Depth=1
	v_cvt_f32_u32_e32 v2, s27
	s_sub_i32 s5, 0, s27
	s_delay_alu instid0(VALU_DEP_1) | instskip(SKIP_2) | instid1(VALU_DEP_1)
	v_rcp_iflag_f32_e32 v2, v2
	s_waitcnt_depctr 0xfff
	v_mul_f32_e32 v2, 0x4f7ffffe, v2
	v_cvt_u32_f32_e32 v2, v2
	s_delay_alu instid0(VALU_DEP_1) | instskip(NEXT) | instid1(VALU_DEP_1)
	v_mul_lo_u32 v3, s5, v2
	v_mul_hi_u32 v3, v2, v3
	s_delay_alu instid0(VALU_DEP_1) | instskip(NEXT) | instid1(VALU_DEP_1)
	v_add_nc_u32_e32 v2, v2, v3
	v_mul_hi_u32 v2, s23, v2
	s_delay_alu instid0(VALU_DEP_1) | instskip(NEXT) | instid1(VALU_DEP_1)
	v_mul_lo_u32 v2, v2, s27
	v_sub_nc_u32_e32 v2, s23, v2
	s_delay_alu instid0(VALU_DEP_1) | instskip(SKIP_1) | instid1(VALU_DEP_2)
	v_subrev_nc_u32_e32 v3, s27, v2
	v_cmp_le_u32_e32 vcc_lo, s27, v2
	v_cndmask_b32_e32 v2, v2, v3, vcc_lo
	s_delay_alu instid0(VALU_DEP_1) | instskip(SKIP_1) | instid1(VALU_DEP_2)
	v_subrev_nc_u32_e32 v3, s27, v2
	v_cmp_le_u32_e32 vcc_lo, s27, v2
	v_cndmask_b32_e32 v12, v2, v3, vcc_lo
	s_delay_alu instid0(VALU_DEP_1)
	v_dual_mov_b32 v2, v12 :: v_dual_mov_b32 v3, v13
.LBB53_207:                             ;   in Loop: Header=BB53_17 Depth=1
	s_delay_alu instid0(VALU_DEP_1) | instskip(NEXT) | instid1(VALU_DEP_2)
	v_sub_co_u32 v2, vcc_lo, s23, v2
	v_sub_co_ci_u32_e32 v3, vcc_lo, s13, v3, vcc_lo
	s_mov_b32 s24, 0
	s_mov_b32 s12, exec_lo
                                        ; implicit-def: $vgpr25
	s_delay_alu instid0(VALU_DEP_1)
	v_cmpx_gt_i64_e64 v[2:3], v[0:1]
	s_cbranch_execz .LBB53_216
; %bb.208:                              ;   in Loop: Header=BB53_17 Depth=1
	v_dual_mov_b32 v6, v14 :: v_dual_mov_b32 v5, v1
	v_mov_b32_e32 v4, v0
	s_mov_b32 s13, 0
                                        ; implicit-def: $sgpr23
	s_set_inst_prefetch_distance 0x1
	s_branch .LBB53_210
	.p2align	6
.LBB53_209:                             ;   in Loop: Header=BB53_210 Depth=2
	s_or_b32 exec_lo, exec_lo, s5
	s_waitcnt lgkmcnt(0)
	s_barrier
	buffer_gl0_inv
	ds_load_b64 v[24:25], v13 offset:3072
	v_add_co_u32 v4, vcc_lo, v4, s27
	v_add_co_ci_u32_e32 v5, vcc_lo, 0, v5, vcc_lo
	v_add_nc_u32_e32 v6, s87, v6
	s_waitcnt lgkmcnt(0)
	s_barrier
	s_delay_alu instid0(VALU_DEP_2) | instskip(SKIP_2) | instid1(VALU_DEP_1)
	v_cmp_ge_i64_e32 vcc_lo, v[4:5], v[2:3]
	buffer_gl0_inv
	v_cmp_neq_f32_e64 s5, 0, v24
	s_or_b32 s24, s5, vcc_lo
	s_delay_alu instid0(SALU_CYCLE_1) | instskip(NEXT) | instid1(SALU_CYCLE_1)
	s_and_b32 s24, exec_lo, s24
	s_or_b32 s13, s24, s13
	s_and_not1_b32 s23, s23, exec_lo
	s_and_b32 s5, s5, exec_lo
	s_delay_alu instid0(SALU_CYCLE_1)
	s_or_b32 s23, s23, s5
	s_and_not1_b32 exec_lo, exec_lo, s13
	s_cbranch_execz .LBB53_215
.LBB53_210:                             ;   Parent Loop BB53_17 Depth=1
                                        ; =>  This Inner Loop Header: Depth=2
	s_delay_alu instid0(VALU_DEP_1)
	v_cmp_gt_i64_e32 vcc_lo, s[10:11], v[4:5]
	v_mov_b32_e32 v24, 0
	s_and_saveexec_b32 s5, vcc_lo
	s_cbranch_execz .LBB53_212
; %bb.211:                              ;   in Loop: Header=BB53_210 Depth=2
	ds_load_b32 v24, v6
.LBB53_212:                             ;   in Loop: Header=BB53_210 Depth=2
	s_or_b32 exec_lo, exec_lo, s5
	s_and_saveexec_b32 s5, vcc_lo
	s_cbranch_execz .LBB53_209
; %bb.213:                              ;   in Loop: Header=BB53_210 Depth=2
	s_waitcnt lgkmcnt(0)
	v_cmp_lt_i32_e32 vcc_lo, -1, v24
	v_cndmask_b32_e64 v7, -1, 0x80000000, vcc_lo
	v_cmp_o_f32_e32 vcc_lo, v24, v24
	s_delay_alu instid0(VALU_DEP_2) | instskip(NEXT) | instid1(VALU_DEP_1)
	v_xor_b32_e32 v7, v7, v24
	v_cndmask_b32_e32 v7, -1, v7, vcc_lo
	s_delay_alu instid0(VALU_DEP_1) | instskip(NEXT) | instid1(VALU_DEP_1)
	v_and_b32_e32 v7, s97, v7
	v_cmp_eq_u32_e32 vcc_lo, s98, v7
	s_and_b32 exec_lo, exec_lo, vcc_lo
	s_cbranch_execz .LBB53_209
; %bb.214:                              ;   in Loop: Header=BB53_210 Depth=2
	ds_store_b64 v13, v[23:24] offset:3072
	s_branch .LBB53_209
.LBB53_215:                             ;   in Loop: Header=BB53_17 Depth=1
	s_set_inst_prefetch_distance 0x2
	s_or_b32 exec_lo, exec_lo, s13
	s_delay_alu instid0(SALU_CYCLE_1)
	s_and_b32 s24, s23, exec_lo
.LBB53_216:                             ;   in Loop: Header=BB53_17 Depth=1
	s_or_b32 exec_lo, exec_lo, s12
	s_mov_b32 s23, -1
	s_mov_b32 s12, 0
	s_mov_b32 s13, 0
.LBB53_217:                             ;   in Loop: Header=BB53_17 Depth=1
	s_mov_b32 s10, 0
                                        ; implicit-def: $sgpr5
	s_and_saveexec_b32 s56, s24
	s_cbranch_execz .LBB53_279
; %bb.218:                              ;   in Loop: Header=BB53_17 Depth=1
	s_xor_b32 s5, s68, -1
	s_delay_alu instid0(SALU_CYCLE_1)
	s_and_not1_b32 vcc_lo, exec_lo, s5
	s_mov_b32 s5, 1
	s_cbranch_vccnz .LBB53_229
; %bb.219:                              ;   in Loop: Header=BB53_17 Depth=1
	v_cmp_gt_i64_e64 s5, s[38:39], s[8:9]
	s_mov_b32 s10, -1
                                        ; implicit-def: $sgpr11
                                        ; implicit-def: $sgpr24
	s_delay_alu instid0(VALU_DEP_1)
	s_and_b32 vcc_lo, exec_lo, s5
                                        ; implicit-def: $sgpr5
	s_cbranch_vccnz .LBB53_225
; %bb.220:                              ;   in Loop: Header=BB53_17 Depth=1
	ds_load_b64 v[2:3], v13 offset:5120
	s_waitcnt lgkmcnt(0)
	v_cmp_ne_u64_e32 vcc_lo, 0, v[2:3]
	s_cbranch_vccnz .LBB53_224
; %bb.221:                              ;   in Loop: Header=BB53_17 Depth=1
	s_and_saveexec_b32 s5, s2
	s_cbranch_execz .LBB53_223
; %bb.222:                              ;   in Loop: Header=BB53_17 Depth=1
	v_dual_mov_b32 v2, s8 :: v_dual_mov_b32 v3, s9
	ds_store_b64 v13, v[2:3] offset:5128
.LBB53_223:                             ;   in Loop: Header=BB53_17 Depth=1
	s_or_b32 exec_lo, exec_lo, s5
	s_waitcnt lgkmcnt(0)
	s_barrier
	buffer_gl0_inv
.LBB53_224:                             ;   in Loop: Header=BB53_17 Depth=1
	s_lshl_b32 s5, 2, s19
	s_and_b32 s10, s98, s20
	s_or_b32 s24, s97, s18
	s_or_b32 s11, s10, s5
	s_mov_b32 s10, 0
	s_mov_b32 s5, 8
.LBB53_225:                             ;   in Loop: Header=BB53_17 Depth=1
	s_and_not1_b32 vcc_lo, exec_lo, s10
	s_cbranch_vccnz .LBB53_227
; %bb.226:                              ;   in Loop: Header=BB53_17 Depth=1
	s_sub_u32 s38, s38, s8
	s_subb_u32 s39, s39, s9
	s_mov_b32 s10, -1
	s_mov_b32 s5, 0
	s_mov_b32 s11, s98
	;; [unrolled: 1-line block ×3, first 2 shown]
.LBB53_227:                             ;   in Loop: Header=BB53_17 Depth=1
	s_delay_alu instid0(SALU_CYCLE_1)
	s_mov_b32 s97, s24
	s_mov_b32 s98, s11
	s_and_not1_b32 vcc_lo, exec_lo, s10
	s_mov_b32 s69, -1
	s_cbranch_vccz .LBB53_230
.LBB53_228:                             ;   in Loop: Header=BB53_17 Depth=1
                                        ; implicit-def: $sgpr10
                                        ; implicit-def: $sgpr20
                                        ; implicit-def: $sgpr11
	s_branch .LBB53_278
.LBB53_229:                             ;   in Loop: Header=BB53_17 Depth=1
	s_mov_b64 s[38:39], 1
	s_and_not1_b32 vcc_lo, exec_lo, s10
	s_mov_b32 s69, -1
	s_cbranch_vccnz .LBB53_228
.LBB53_230:                             ;   in Loop: Header=BB53_17 Depth=1
	s_cmp_eq_u64 s[6:7], 1
	s_mov_b32 s24, -1
	s_cselect_b32 s5, -1, 0
	s_cmp_eq_u64 s[38:39], 1
	s_cselect_b32 s8, -1, 0
	s_delay_alu instid0(SALU_CYCLE_1) | instskip(NEXT) | instid1(SALU_CYCLE_1)
	s_and_b32 s19, s5, s8
	s_and_b32 vcc_lo, exec_lo, s19
	s_cbranch_vccz .LBB53_245
; %bb.231:                              ;   in Loop: Header=BB53_17 Depth=1
	ds_load_b64 v[2:3], v13 offset:5120
	s_waitcnt lgkmcnt(0)
	s_barrier
	buffer_gl0_inv
	v_readfirstlane_b32 s8, v2
	v_readfirstlane_b32 s9, v3
	s_and_saveexec_b32 s5, s3
	s_cbranch_execz .LBB53_233
; %bb.232:                              ;   in Loop: Header=BB53_17 Depth=1
	ds_store_b32 v35, v13
.LBB53_233:                             ;   in Loop: Header=BB53_17 Depth=1
	s_or_b32 exec_lo, exec_lo, s5
	s_delay_alu instid0(VALU_DEP_1)
	v_cmp_gt_i64_e64 s5, s[8:9], 0
	s_or_b32 s98, s98, s18
	s_or_b32 s97, s97, s18
	s_waitcnt lgkmcnt(0)
	s_barrier
	buffer_gl0_inv
	s_and_b32 vcc_lo, exec_lo, s5
	s_cbranch_vccnz .LBB53_248
; %bb.234:                              ;   in Loop: Header=BB53_17 Depth=1
	s_mov_b32 s24, s57
	s_delay_alu instid0(SALU_CYCLE_1)
	s_cmp_lg_u64 s[24:25], 0
	s_cbranch_scc0 .LBB53_284
; %bb.235:                              ;   in Loop: Header=BB53_17 Depth=1
	v_cvt_f32_u32_e32 v2, s27
	s_sub_u32 s11, 0, s27
	s_subb_u32 s20, 0, 0
	s_delay_alu instid0(VALU_DEP_1) | instskip(NEXT) | instid1(VALU_DEP_1)
	v_fmac_f32_e32 v2, 0x4f800000, v43
	v_rcp_f32_e32 v2, v2
	s_waitcnt_depctr 0xfff
	v_mul_f32_e32 v2, 0x5f7ffffc, v2
	s_delay_alu instid0(VALU_DEP_1) | instskip(NEXT) | instid1(VALU_DEP_1)
	v_mul_f32_e32 v3, 0x2f800000, v2
	v_trunc_f32_e32 v3, v3
	s_delay_alu instid0(VALU_DEP_1) | instskip(SKIP_1) | instid1(VALU_DEP_2)
	v_fmac_f32_e32 v2, 0xcf800000, v3
	v_cvt_u32_f32_e32 v3, v3
	v_cvt_u32_f32_e32 v2, v2
	s_delay_alu instid0(VALU_DEP_2) | instskip(NEXT) | instid1(VALU_DEP_2)
	v_readfirstlane_b32 s5, v3
	v_readfirstlane_b32 s10, v2
	s_delay_alu instid0(VALU_DEP_2) | instskip(NEXT) | instid1(VALU_DEP_1)
	s_mul_i32 s24, s11, s5
	s_mul_hi_u32 s69, s11, s10
	s_mul_i32 s68, s20, s10
	s_add_i32 s24, s69, s24
	s_mul_i32 s70, s11, s10
	s_add_i32 s24, s24, s68
	s_mul_hi_u32 s69, s10, s70
	s_mul_hi_u32 s71, s5, s70
	s_mul_i32 s68, s5, s70
	s_mul_hi_u32 s70, s10, s24
	s_mul_i32 s10, s10, s24
	s_mul_hi_u32 s72, s5, s24
	s_add_u32 s10, s69, s10
	s_addc_u32 s69, 0, s70
	s_add_u32 s10, s10, s68
	s_mul_i32 s24, s5, s24
	s_addc_u32 s10, s69, s71
	s_addc_u32 s68, s72, 0
	s_add_u32 s10, s10, s24
	s_addc_u32 s24, 0, s68
	v_add_co_u32 v2, s10, v2, s10
	s_delay_alu instid0(VALU_DEP_1) | instskip(SKIP_1) | instid1(VALU_DEP_1)
	s_cmp_lg_u32 s10, 0
	s_addc_u32 s5, s5, s24
	v_readfirstlane_b32 s10, v2
	s_mul_i32 s24, s11, s5
	s_delay_alu instid0(VALU_DEP_1)
	s_mul_hi_u32 s68, s11, s10
	s_mul_i32 s20, s20, s10
	s_add_i32 s24, s68, s24
	s_mul_i32 s11, s11, s10
	s_add_i32 s24, s24, s20
	s_mul_hi_u32 s68, s5, s11
	s_mul_i32 s69, s5, s11
	s_mul_hi_u32 s11, s10, s11
	s_mul_hi_u32 s70, s10, s24
	s_mul_i32 s10, s10, s24
	s_mul_hi_u32 s20, s5, s24
	s_add_u32 s10, s11, s10
	s_addc_u32 s11, 0, s70
	s_add_u32 s10, s10, s69
	s_mul_i32 s24, s5, s24
	s_addc_u32 s10, s11, s68
	s_addc_u32 s11, s20, 0
	s_add_u32 s10, s10, s24
	s_addc_u32 s11, 0, s11
	v_add_co_u32 v2, s10, v2, s10
	s_delay_alu instid0(VALU_DEP_1) | instskip(SKIP_2) | instid1(VALU_DEP_1)
	s_cmp_lg_u32 s10, 0
	s_addc_u32 s5, s5, s11
	s_ashr_i32 s10, s25, 31
	v_readfirstlane_b32 s20, v2
	s_add_u32 s68, s81, s10
	s_mov_b32 s11, s10
	s_addc_u32 s69, s25, s10
	s_delay_alu instid0(SALU_CYCLE_1) | instskip(NEXT) | instid1(SALU_CYCLE_1)
	s_xor_b64 s[68:69], s[68:69], s[10:11]
	s_mul_i32 s24, s68, s5
	s_mul_hi_u32 s70, s68, s20
	s_mul_hi_u32 s11, s68, s5
	s_mul_hi_u32 s72, s69, s20
	s_mul_i32 s20, s69, s20
	s_add_u32 s24, s70, s24
	s_addc_u32 s11, 0, s11
	s_mul_hi_u32 s71, s69, s5
	s_add_u32 s20, s24, s20
	s_mul_i32 s5, s69, s5
	s_addc_u32 s11, s11, s72
	s_addc_u32 s20, s71, 0
	s_add_u32 s5, s11, s5
	s_addc_u32 s11, 0, s20
	s_mul_hi_u32 s20, s27, s5
	s_mul_i32 s5, s27, s5
	s_mul_i32 s11, s27, s11
	v_sub_co_u32 v2, s5, s68, s5
	s_add_i32 s20, s20, s11
	s_cmp_lg_u32 s5, 0
	s_delay_alu instid0(VALU_DEP_1) | instskip(SKIP_2) | instid1(VALU_DEP_1)
	v_sub_co_u32 v3, s5, v2, s27
	s_subb_u32 s11, s69, s20
	s_cmp_lg_u32 s5, 0
	v_cmp_le_u32_e32 vcc_lo, s27, v3
	v_sub_co_u32 v4, s5, v3, s27
	s_subb_u32 s20, s11, 0
	s_cmp_lg_u32 s5, 0
	v_cndmask_b32_e64 v5, 0, -1, vcc_lo
	s_subb_u32 s5, s20, 0
	s_cmp_eq_u32 s20, 0
	v_mov_b32_e32 v7, s5
	s_cselect_b32 vcc_lo, -1, 0
	s_cmp_eq_u32 s11, 0
	v_cndmask_b32_e32 v5, -1, v5, vcc_lo
	v_cmp_le_u32_e32 vcc_lo, s27, v2
	s_cselect_b32 s5, -1, 0
	v_cndmask_b32_e64 v6, 0, -1, vcc_lo
	s_delay_alu instid0(VALU_DEP_3) | instskip(NEXT) | instid1(VALU_DEP_2)
	v_cmp_ne_u32_e32 vcc_lo, 0, v5
	v_cndmask_b32_e64 v5, -1, v6, s5
	v_cndmask_b32_e32 v3, v3, v4, vcc_lo
	v_cndmask_b32_e32 v6, s20, v7, vcc_lo
	s_delay_alu instid0(VALU_DEP_3) | instskip(NEXT) | instid1(VALU_DEP_3)
	v_cmp_ne_u32_e32 vcc_lo, 0, v5
	v_cndmask_b32_e32 v2, v2, v3, vcc_lo
	s_delay_alu instid0(VALU_DEP_3) | instskip(NEXT) | instid1(VALU_DEP_2)
	v_cndmask_b32_e32 v4, s11, v6, vcc_lo
	v_xor_b32_e32 v2, s10, v2
	s_delay_alu instid0(VALU_DEP_2) | instskip(NEXT) | instid1(VALU_DEP_2)
	v_xor_b32_e32 v3, s10, v4
	v_sub_co_u32 v2, vcc_lo, v2, s10
	s_delay_alu instid0(VALU_DEP_2)
	v_subrev_co_ci_u32_e32 v3, vcc_lo, s10, v3, vcc_lo
	s_cbranch_execnz .LBB53_237
.LBB53_236:                             ;   in Loop: Header=BB53_17 Depth=1
	v_cvt_f32_u32_e32 v2, s27
	s_sub_i32 s5, 0, s27
	s_delay_alu instid0(VALU_DEP_1) | instskip(SKIP_2) | instid1(VALU_DEP_1)
	v_rcp_iflag_f32_e32 v2, v2
	s_waitcnt_depctr 0xfff
	v_mul_f32_e32 v2, 0x4f7ffffe, v2
	v_cvt_u32_f32_e32 v2, v2
	s_delay_alu instid0(VALU_DEP_1) | instskip(NEXT) | instid1(VALU_DEP_1)
	v_mul_lo_u32 v3, s5, v2
	v_mul_hi_u32 v3, v2, v3
	s_delay_alu instid0(VALU_DEP_1) | instskip(NEXT) | instid1(VALU_DEP_1)
	v_add_nc_u32_e32 v2, v2, v3
	v_mul_hi_u32 v2, s81, v2
	s_delay_alu instid0(VALU_DEP_1) | instskip(NEXT) | instid1(VALU_DEP_1)
	v_mul_lo_u32 v2, v2, s27
	v_sub_nc_u32_e32 v2, s81, v2
	s_delay_alu instid0(VALU_DEP_1) | instskip(SKIP_1) | instid1(VALU_DEP_2)
	v_subrev_nc_u32_e32 v3, s27, v2
	v_cmp_le_u32_e32 vcc_lo, s27, v2
	v_cndmask_b32_e32 v2, v2, v3, vcc_lo
	s_delay_alu instid0(VALU_DEP_1) | instskip(SKIP_1) | instid1(VALU_DEP_2)
	v_subrev_nc_u32_e32 v3, s27, v2
	v_cmp_le_u32_e32 vcc_lo, s27, v2
	v_cndmask_b32_e32 v12, v2, v3, vcc_lo
	s_delay_alu instid0(VALU_DEP_1)
	v_dual_mov_b32 v2, v12 :: v_dual_mov_b32 v3, v13
.LBB53_237:                             ;   in Loop: Header=BB53_17 Depth=1
	s_delay_alu instid0(VALU_DEP_1) | instskip(NEXT) | instid1(VALU_DEP_2)
	v_sub_co_u32 v2, vcc_lo, s81, v2
	v_sub_co_ci_u32_e32 v3, vcc_lo, s25, v3, vcc_lo
	s_mov_b32 s24, 0
	s_mov_b32 s10, exec_lo
                                        ; implicit-def: $vgpr25
	s_delay_alu instid0(VALU_DEP_1)
	v_cmpx_gt_i64_e64 v[2:3], v[0:1]
	s_cbranch_execz .LBB53_250
; %bb.238:                              ;   in Loop: Header=BB53_17 Depth=1
	v_dual_mov_b32 v4, v10 :: v_dual_mov_b32 v5, v11
	v_dual_mov_b32 v7, v1 :: v_dual_mov_b32 v6, v0
	s_mov_b32 s11, 0
                                        ; implicit-def: $sgpr20
	s_set_inst_prefetch_distance 0x1
	s_branch .LBB53_240
	.p2align	6
.LBB53_239:                             ;   in Loop: Header=BB53_240 Depth=2
	s_or_b32 exec_lo, exec_lo, s5
	s_waitcnt vmcnt(0) lgkmcnt(0)
	s_barrier
	buffer_gl0_inv
	ds_load_b64 v[24:25], v13 offset:3072
	v_add_co_u32 v6, vcc_lo, v6, s27
	v_add_co_ci_u32_e32 v7, vcc_lo, 0, v7, vcc_lo
	s_waitcnt lgkmcnt(0)
	s_barrier
	buffer_gl0_inv
	v_cmp_ge_i64_e32 vcc_lo, v[6:7], v[2:3]
	v_cmp_neq_f32_e64 s5, 0, v24
	s_delay_alu instid0(VALU_DEP_1)
	s_or_b32 s24, s5, vcc_lo
	v_add_co_u32 v4, vcc_lo, v4, s58
	s_and_b32 s24, exec_lo, s24
	v_add_co_ci_u32_e32 v5, vcc_lo, s59, v5, vcc_lo
	s_or_b32 s11, s24, s11
	s_and_not1_b32 s20, s20, exec_lo
	s_and_b32 s5, s5, exec_lo
	s_delay_alu instid0(SALU_CYCLE_1)
	s_or_b32 s20, s20, s5
	s_and_not1_b32 exec_lo, exec_lo, s11
	s_cbranch_execz .LBB53_249
.LBB53_240:                             ;   Parent Loop BB53_17 Depth=1
                                        ; =>  This Inner Loop Header: Depth=2
	s_delay_alu instid0(VALU_DEP_1)
	v_cmp_gt_i64_e32 vcc_lo, s[36:37], v[6:7]
	v_mov_b32_e32 v24, 0
	s_and_saveexec_b32 s5, vcc_lo
	s_cbranch_execz .LBB53_242
; %bb.241:                              ;   in Loop: Header=BB53_240 Depth=2
	global_load_b32 v24, v[4:5], off
.LBB53_242:                             ;   in Loop: Header=BB53_240 Depth=2
	s_or_b32 exec_lo, exec_lo, s5
	s_and_saveexec_b32 s5, vcc_lo
	s_cbranch_execz .LBB53_239
; %bb.243:                              ;   in Loop: Header=BB53_240 Depth=2
	s_waitcnt vmcnt(0)
	v_cmp_lt_i32_e32 vcc_lo, -1, v24
	v_cndmask_b32_e64 v8, -1, 0x80000000, vcc_lo
	v_cmp_o_f32_e32 vcc_lo, v24, v24
	s_delay_alu instid0(VALU_DEP_2) | instskip(NEXT) | instid1(VALU_DEP_1)
	v_xor_b32_e32 v8, v8, v24
	v_cndmask_b32_e32 v8, -1, v8, vcc_lo
	s_delay_alu instid0(VALU_DEP_1) | instskip(NEXT) | instid1(VALU_DEP_1)
	v_and_b32_e32 v8, s97, v8
	v_cmp_eq_u32_e32 vcc_lo, s98, v8
	s_and_b32 exec_lo, exec_lo, vcc_lo
	s_cbranch_execz .LBB53_239
; %bb.244:                              ;   in Loop: Header=BB53_240 Depth=2
	ds_store_b64 v13, v[23:24] offset:3072
	s_branch .LBB53_239
.LBB53_245:                             ;   in Loop: Header=BB53_17 Depth=1
                                        ; implicit-def: $sgpr10
                                        ; implicit-def: $sgpr20
                                        ; implicit-def: $sgpr11
	s_branch .LBB53_264
.LBB53_246:                             ;   in Loop: Header=BB53_17 Depth=1
                                        ; implicit-def: $vgpr2_vgpr3
	s_branch .LBB53_189
.LBB53_247:                             ;   in Loop: Header=BB53_17 Depth=1
                                        ; implicit-def: $vgpr2_vgpr3
	s_branch .LBB53_206
.LBB53_248:                             ;   in Loop: Header=BB53_17 Depth=1
	s_mov_b32 s10, -1
	s_mov_b32 s24, 0
                                        ; implicit-def: $sgpr11
                                        ; implicit-def: $vgpr25
	s_mov_b32 s20, s10
	s_cbranch_execnz .LBB53_251
	s_branch .LBB53_264
.LBB53_249:                             ;   in Loop: Header=BB53_17 Depth=1
	s_set_inst_prefetch_distance 0x2
	s_or_b32 exec_lo, exec_lo, s11
	s_delay_alu instid0(SALU_CYCLE_1)
	s_and_b32 s24, s20, exec_lo
.LBB53_250:                             ;   in Loop: Header=BB53_17 Depth=1
	s_or_b32 exec_lo, exec_lo, s10
	s_mov_b32 s11, -1
	s_mov_b32 s10, 0
	s_delay_alu instid0(SALU_CYCLE_1)
	s_mov_b32 s20, s10
	s_branch .LBB53_264
.LBB53_251:                             ;   in Loop: Header=BB53_17 Depth=1
	s_add_u32 s20, s79, s8
	s_addc_u32 s11, s80, s9
	s_mov_b32 s10, s57
	s_delay_alu instid0(SALU_CYCLE_1)
	s_cmp_lg_u64 s[10:11], 0
	s_cbranch_scc0 .LBB53_285
; %bb.252:                              ;   in Loop: Header=BB53_17 Depth=1
	v_cvt_f32_u32_e32 v2, s27
	s_sub_u32 s24, 0, s27
	s_subb_u32 s68, 0, 0
	s_delay_alu instid0(VALU_DEP_1) | instskip(NEXT) | instid1(VALU_DEP_1)
	v_fmac_f32_e32 v2, 0x4f800000, v43
	v_rcp_f32_e32 v2, v2
	s_waitcnt_depctr 0xfff
	v_mul_f32_e32 v2, 0x5f7ffffc, v2
	s_delay_alu instid0(VALU_DEP_1) | instskip(NEXT) | instid1(VALU_DEP_1)
	v_mul_f32_e32 v3, 0x2f800000, v2
	v_trunc_f32_e32 v3, v3
	s_delay_alu instid0(VALU_DEP_1) | instskip(SKIP_1) | instid1(VALU_DEP_2)
	v_fmac_f32_e32 v2, 0xcf800000, v3
	v_cvt_u32_f32_e32 v3, v3
	v_cvt_u32_f32_e32 v2, v2
	s_delay_alu instid0(VALU_DEP_2) | instskip(NEXT) | instid1(VALU_DEP_2)
	v_readfirstlane_b32 s5, v3
	v_readfirstlane_b32 s10, v2
	s_delay_alu instid0(VALU_DEP_2) | instskip(NEXT) | instid1(VALU_DEP_1)
	s_mul_i32 s69, s24, s5
	s_mul_hi_u32 s71, s24, s10
	s_mul_i32 s70, s68, s10
	s_add_i32 s69, s71, s69
	s_mul_i32 s72, s24, s10
	s_add_i32 s69, s69, s70
	s_mul_hi_u32 s71, s10, s72
	s_mul_hi_u32 s73, s5, s72
	s_mul_i32 s70, s5, s72
	s_mul_hi_u32 s72, s10, s69
	s_mul_i32 s10, s10, s69
	s_mul_hi_u32 s74, s5, s69
	s_add_u32 s10, s71, s10
	s_addc_u32 s71, 0, s72
	s_add_u32 s10, s10, s70
	s_mul_i32 s69, s5, s69
	s_addc_u32 s10, s71, s73
	s_addc_u32 s70, s74, 0
	s_add_u32 s10, s10, s69
	s_addc_u32 s69, 0, s70
	v_add_co_u32 v2, s10, v2, s10
	s_delay_alu instid0(VALU_DEP_1) | instskip(SKIP_1) | instid1(VALU_DEP_1)
	s_cmp_lg_u32 s10, 0
	s_addc_u32 s5, s5, s69
	v_readfirstlane_b32 s10, v2
	s_mul_i32 s69, s24, s5
	s_delay_alu instid0(VALU_DEP_1)
	s_mul_hi_u32 s70, s24, s10
	s_mul_i32 s68, s68, s10
	s_add_i32 s69, s70, s69
	s_mul_i32 s24, s24, s10
	s_add_i32 s69, s69, s68
	s_mul_hi_u32 s70, s5, s24
	s_mul_i32 s71, s5, s24
	s_mul_hi_u32 s24, s10, s24
	s_mul_hi_u32 s72, s10, s69
	s_mul_i32 s10, s10, s69
	s_mul_hi_u32 s68, s5, s69
	s_add_u32 s10, s24, s10
	s_addc_u32 s24, 0, s72
	s_add_u32 s10, s10, s71
	s_mul_i32 s69, s5, s69
	s_addc_u32 s10, s24, s70
	s_addc_u32 s24, s68, 0
	s_add_u32 s10, s10, s69
	s_addc_u32 s24, 0, s24
	v_add_co_u32 v2, s10, v2, s10
	s_delay_alu instid0(VALU_DEP_1) | instskip(SKIP_2) | instid1(VALU_DEP_1)
	s_cmp_lg_u32 s10, 0
	s_addc_u32 s5, s5, s24
	s_ashr_i32 s68, s11, 31
	v_readfirstlane_b32 s10, v2
	s_add_u32 s70, s20, s68
	s_mov_b32 s69, s68
	s_addc_u32 s71, s11, s68
	s_delay_alu instid0(SALU_CYCLE_1) | instskip(NEXT) | instid1(SALU_CYCLE_1)
	s_xor_b64 s[70:71], s[70:71], s[68:69]
	s_mul_i32 s69, s70, s5
	s_mul_hi_u32 s72, s70, s10
	s_mul_hi_u32 s24, s70, s5
	;; [unrolled: 1-line block ×3, first 2 shown]
	s_mul_i32 s10, s71, s10
	s_add_u32 s69, s72, s69
	s_addc_u32 s24, 0, s24
	s_mul_hi_u32 s73, s71, s5
	s_add_u32 s10, s69, s10
	s_mul_i32 s5, s71, s5
	s_addc_u32 s10, s24, s74
	s_addc_u32 s24, s73, 0
	s_add_u32 s5, s10, s5
	s_addc_u32 s10, 0, s24
	s_mul_hi_u32 s24, s27, s5
	s_mul_i32 s5, s27, s5
	s_mul_i32 s10, s27, s10
	v_sub_co_u32 v2, s5, s70, s5
	s_add_i32 s24, s24, s10
	s_cmp_lg_u32 s5, 0
	s_delay_alu instid0(VALU_DEP_1) | instskip(SKIP_2) | instid1(VALU_DEP_1)
	v_sub_co_u32 v3, s5, v2, s27
	s_subb_u32 s10, s71, s24
	s_cmp_lg_u32 s5, 0
	v_cmp_le_u32_e32 vcc_lo, s27, v3
	v_sub_co_u32 v4, s5, v3, s27
	s_subb_u32 s24, s10, 0
	s_cmp_lg_u32 s5, 0
	v_cndmask_b32_e64 v5, 0, -1, vcc_lo
	s_subb_u32 s5, s24, 0
	s_cmp_eq_u32 s24, 0
	v_mov_b32_e32 v7, s5
	s_cselect_b32 vcc_lo, -1, 0
	s_cmp_eq_u32 s10, 0
	v_cndmask_b32_e32 v5, -1, v5, vcc_lo
	v_cmp_le_u32_e32 vcc_lo, s27, v2
	s_cselect_b32 s5, -1, 0
	v_cndmask_b32_e64 v6, 0, -1, vcc_lo
	s_delay_alu instid0(VALU_DEP_3) | instskip(NEXT) | instid1(VALU_DEP_2)
	v_cmp_ne_u32_e32 vcc_lo, 0, v5
	v_cndmask_b32_e64 v5, -1, v6, s5
	v_cndmask_b32_e32 v3, v3, v4, vcc_lo
	v_cndmask_b32_e32 v6, s24, v7, vcc_lo
	s_delay_alu instid0(VALU_DEP_3) | instskip(NEXT) | instid1(VALU_DEP_3)
	v_cmp_ne_u32_e32 vcc_lo, 0, v5
	v_cndmask_b32_e32 v2, v2, v3, vcc_lo
	s_delay_alu instid0(VALU_DEP_3) | instskip(NEXT) | instid1(VALU_DEP_2)
	v_cndmask_b32_e32 v4, s10, v6, vcc_lo
	v_xor_b32_e32 v2, s68, v2
	s_delay_alu instid0(VALU_DEP_2) | instskip(NEXT) | instid1(VALU_DEP_2)
	v_xor_b32_e32 v3, s68, v4
	v_sub_co_u32 v2, vcc_lo, v2, s68
	s_delay_alu instid0(VALU_DEP_2)
	v_subrev_co_ci_u32_e32 v3, vcc_lo, s68, v3, vcc_lo
	s_cbranch_execnz .LBB53_254
.LBB53_253:                             ;   in Loop: Header=BB53_17 Depth=1
	v_cvt_f32_u32_e32 v2, s27
	s_sub_i32 s5, 0, s27
	s_delay_alu instid0(VALU_DEP_1) | instskip(SKIP_2) | instid1(VALU_DEP_1)
	v_rcp_iflag_f32_e32 v2, v2
	s_waitcnt_depctr 0xfff
	v_mul_f32_e32 v2, 0x4f7ffffe, v2
	v_cvt_u32_f32_e32 v2, v2
	s_delay_alu instid0(VALU_DEP_1) | instskip(NEXT) | instid1(VALU_DEP_1)
	v_mul_lo_u32 v3, s5, v2
	v_mul_hi_u32 v3, v2, v3
	s_delay_alu instid0(VALU_DEP_1) | instskip(NEXT) | instid1(VALU_DEP_1)
	v_add_nc_u32_e32 v2, v2, v3
	v_mul_hi_u32 v2, s20, v2
	s_delay_alu instid0(VALU_DEP_1) | instskip(NEXT) | instid1(VALU_DEP_1)
	v_mul_lo_u32 v2, v2, s27
	v_sub_nc_u32_e32 v2, s20, v2
	s_delay_alu instid0(VALU_DEP_1) | instskip(SKIP_1) | instid1(VALU_DEP_2)
	v_subrev_nc_u32_e32 v3, s27, v2
	v_cmp_le_u32_e32 vcc_lo, s27, v2
	v_cndmask_b32_e32 v2, v2, v3, vcc_lo
	s_delay_alu instid0(VALU_DEP_1) | instskip(SKIP_1) | instid1(VALU_DEP_2)
	v_subrev_nc_u32_e32 v3, s27, v2
	v_cmp_le_u32_e32 vcc_lo, s27, v2
	v_cndmask_b32_e32 v12, v2, v3, vcc_lo
	s_delay_alu instid0(VALU_DEP_1)
	v_dual_mov_b32 v2, v12 :: v_dual_mov_b32 v3, v13
.LBB53_254:                             ;   in Loop: Header=BB53_17 Depth=1
	s_delay_alu instid0(VALU_DEP_1) | instskip(NEXT) | instid1(VALU_DEP_2)
	v_sub_co_u32 v2, vcc_lo, s20, v2
	v_sub_co_ci_u32_e32 v3, vcc_lo, s11, v3, vcc_lo
	s_mov_b32 s24, 0
	s_mov_b32 s10, exec_lo
                                        ; implicit-def: $vgpr25
	s_delay_alu instid0(VALU_DEP_1)
	v_cmpx_gt_i64_e64 v[2:3], v[0:1]
	s_cbranch_execz .LBB53_263
; %bb.255:                              ;   in Loop: Header=BB53_17 Depth=1
	v_dual_mov_b32 v6, v14 :: v_dual_mov_b32 v5, v1
	v_mov_b32_e32 v4, v0
	s_mov_b32 s11, 0
                                        ; implicit-def: $sgpr20
	s_set_inst_prefetch_distance 0x1
	s_branch .LBB53_257
	.p2align	6
.LBB53_256:                             ;   in Loop: Header=BB53_257 Depth=2
	s_or_b32 exec_lo, exec_lo, s5
	s_waitcnt lgkmcnt(0)
	s_barrier
	buffer_gl0_inv
	ds_load_b64 v[24:25], v13 offset:3072
	v_add_co_u32 v4, vcc_lo, v4, s27
	v_add_co_ci_u32_e32 v5, vcc_lo, 0, v5, vcc_lo
	v_add_nc_u32_e32 v6, s87, v6
	s_waitcnt lgkmcnt(0)
	s_barrier
	s_delay_alu instid0(VALU_DEP_2) | instskip(SKIP_2) | instid1(VALU_DEP_1)
	v_cmp_ge_i64_e32 vcc_lo, v[4:5], v[2:3]
	buffer_gl0_inv
	v_cmp_neq_f32_e64 s5, 0, v24
	s_or_b32 s24, s5, vcc_lo
	s_delay_alu instid0(SALU_CYCLE_1) | instskip(NEXT) | instid1(SALU_CYCLE_1)
	s_and_b32 s24, exec_lo, s24
	s_or_b32 s11, s24, s11
	s_and_not1_b32 s20, s20, exec_lo
	s_and_b32 s5, s5, exec_lo
	s_delay_alu instid0(SALU_CYCLE_1)
	s_or_b32 s20, s20, s5
	s_and_not1_b32 exec_lo, exec_lo, s11
	s_cbranch_execz .LBB53_262
.LBB53_257:                             ;   Parent Loop BB53_17 Depth=1
                                        ; =>  This Inner Loop Header: Depth=2
	s_delay_alu instid0(VALU_DEP_1)
	v_cmp_gt_i64_e32 vcc_lo, s[8:9], v[4:5]
	v_mov_b32_e32 v24, 0
	s_and_saveexec_b32 s5, vcc_lo
	s_cbranch_execz .LBB53_259
; %bb.258:                              ;   in Loop: Header=BB53_257 Depth=2
	ds_load_b32 v24, v6
.LBB53_259:                             ;   in Loop: Header=BB53_257 Depth=2
	s_or_b32 exec_lo, exec_lo, s5
	s_and_saveexec_b32 s5, vcc_lo
	s_cbranch_execz .LBB53_256
; %bb.260:                              ;   in Loop: Header=BB53_257 Depth=2
	s_waitcnt lgkmcnt(0)
	v_cmp_lt_i32_e32 vcc_lo, -1, v24
	v_cndmask_b32_e64 v7, -1, 0x80000000, vcc_lo
	v_cmp_o_f32_e32 vcc_lo, v24, v24
	s_delay_alu instid0(VALU_DEP_2) | instskip(NEXT) | instid1(VALU_DEP_1)
	v_xor_b32_e32 v7, v7, v24
	v_cndmask_b32_e32 v7, -1, v7, vcc_lo
	s_delay_alu instid0(VALU_DEP_1) | instskip(NEXT) | instid1(VALU_DEP_1)
	v_and_b32_e32 v7, s97, v7
	v_cmp_eq_u32_e32 vcc_lo, s98, v7
	s_and_b32 exec_lo, exec_lo, vcc_lo
	s_cbranch_execz .LBB53_256
; %bb.261:                              ;   in Loop: Header=BB53_257 Depth=2
	ds_store_b64 v13, v[23:24] offset:3072
	s_branch .LBB53_256
.LBB53_262:                             ;   in Loop: Header=BB53_17 Depth=1
	s_set_inst_prefetch_distance 0x2
	s_or_b32 exec_lo, exec_lo, s11
	s_delay_alu instid0(SALU_CYCLE_1)
	s_and_b32 s24, s20, exec_lo
.LBB53_263:                             ;   in Loop: Header=BB53_17 Depth=1
	s_or_b32 exec_lo, exec_lo, s10
	s_mov_b32 s20, -1
	s_mov_b32 s10, 0
	s_mov_b32 s11, 0
.LBB53_264:                             ;   in Loop: Header=BB53_17 Depth=1
	s_mov_b32 s69, 0
                                        ; implicit-def: $sgpr5
                                        ; implicit-def: $sgpr8_sgpr9
	s_and_saveexec_b32 s68, s24
	s_cbranch_execz .LBB53_277
; %bb.265:                              ;   in Loop: Header=BB53_17 Depth=1
	s_xor_b32 s5, s19, -1
	s_mov_b64 s[8:9], 1
	s_and_not1_b32 vcc_lo, exec_lo, s5
	s_mov_b32 s5, 1
	s_cbranch_vccnz .LBB53_276
; %bb.266:                              ;   in Loop: Header=BB53_17 Depth=1
	v_cmp_gt_i64_e64 s5, s[38:39], s[6:7]
	s_delay_alu instid0(VALU_DEP_1)
	s_and_b32 vcc_lo, exec_lo, s5
	s_cbranch_vccnz .LBB53_272
; %bb.267:                              ;   in Loop: Header=BB53_17 Depth=1
	ds_load_b64 v[2:3], v13 offset:5120
	s_waitcnt lgkmcnt(0)
	v_cmp_ne_u64_e32 vcc_lo, 0, v[2:3]
	s_cbranch_vccnz .LBB53_271
; %bb.268:                              ;   in Loop: Header=BB53_17 Depth=1
	s_and_saveexec_b32 s5, s2
	s_cbranch_execz .LBB53_270
; %bb.269:                              ;   in Loop: Header=BB53_17 Depth=1
	v_dual_mov_b32 v2, s6 :: v_dual_mov_b32 v3, s7
	ds_store_b64 v13, v[2:3] offset:5128
.LBB53_270:                             ;   in Loop: Header=BB53_17 Depth=1
	s_or_b32 exec_lo, exec_lo, s5
	s_waitcnt lgkmcnt(0)
	s_barrier
	buffer_gl0_inv
.LBB53_271:                             ;   in Loop: Header=BB53_17 Depth=1
	s_or_b32 s19, s98, s18
	s_or_b32 s18, s97, s18
	s_mov_b32 s8, 0
	s_mov_b32 s5, 8
	s_branch .LBB53_273
.LBB53_272:                             ;   in Loop: Header=BB53_17 Depth=1
	s_mov_b32 s8, -1
                                        ; implicit-def: $sgpr5
                                        ; implicit-def: $sgpr19
                                        ; implicit-def: $sgpr18
.LBB53_273:                             ;   in Loop: Header=BB53_17 Depth=1
	s_delay_alu instid0(SALU_CYCLE_1)
	s_and_not1_b32 vcc_lo, exec_lo, s8
	s_cbranch_vccnz .LBB53_275
; %bb.274:                              ;   in Loop: Header=BB53_17 Depth=1
	s_sub_u32 s38, s38, s6
	s_subb_u32 s39, s39, s7
	s_mov_b32 s5, 8
	s_mov_b32 s19, s98
	s_mov_b32 s18, s97
.LBB53_275:                             ;   in Loop: Header=BB53_17 Depth=1
	s_mov_b64 s[8:9], s[38:39]
	s_mov_b32 s98, s19
	s_mov_b32 s97, s18
.LBB53_276:                             ;   in Loop: Header=BB53_17 Depth=1
	s_mov_b32 s69, exec_lo
.LBB53_277:                             ;   in Loop: Header=BB53_17 Depth=1
	s_or_b32 exec_lo, exec_lo, s68
	s_mov_b64 s[38:39], s[8:9]
.LBB53_278:                             ;   in Loop: Header=BB53_17 Depth=1
	s_and_not1_b32 s6, s12, exec_lo
	s_and_b32 s7, s10, exec_lo
	s_and_not1_b32 s8, s13, exec_lo
	s_or_b32 s12, s6, s7
	s_and_not1_b32 s6, s23, exec_lo
	s_and_b32 s7, s20, exec_lo
	s_and_b32 s9, s11, exec_lo
	s_or_b32 s23, s6, s7
	s_or_b32 s13, s8, s9
	s_and_b32 s10, s69, exec_lo
.LBB53_279:                             ;   in Loop: Header=BB53_17 Depth=1
	s_or_b32 exec_lo, exec_lo, s56
.LBB53_280:                             ;   in Loop: Header=BB53_17 Depth=1
	s_delay_alu instid0(SALU_CYCLE_1)
	s_and_not1_b32 s6, s15, exec_lo
	s_and_b32 s7, s12, exec_lo
	s_and_not1_b32 s8, s14, exec_lo
	s_or_b32 s15, s6, s7
	s_and_not1_b32 s6, s21, exec_lo
	s_and_b32 s7, s23, exec_lo
	s_and_b32 s9, s13, exec_lo
	s_or_b32 s21, s6, s7
	s_or_b32 s14, s8, s9
	s_and_b32 s12, s10, exec_lo
.LBB53_281:                             ;   in Loop: Header=BB53_17 Depth=1
	s_or_b32 exec_lo, exec_lo, s22
	s_and_saveexec_b32 s6, s12
	s_delay_alu instid0(SALU_CYCLE_1)
	s_xor_b32 s6, exec_lo, s6
	s_cbranch_execz .LBB53_15
.LBB53_282:                             ;   in Loop: Header=BB53_17 Depth=1
	s_and_b32 s5, s5, -9
	s_delay_alu instid0(SALU_CYCLE_1)
	s_cmp_eq_u32 s5, 0
	s_cbranch_scc1 .LBB53_13
; %bb.283:                              ;   in Loop: Header=BB53_17 Depth=1
	s_mov_b32 s5, -1
	s_mov_b32 s7, -1
                                        ; implicit-def: $sgpr97
                                        ; implicit-def: $sgpr91
                                        ; implicit-def: $sgpr93
	s_branch .LBB53_14
.LBB53_284:                             ;   in Loop: Header=BB53_17 Depth=1
                                        ; implicit-def: $vgpr2_vgpr3
	s_branch .LBB53_236
.LBB53_285:                             ;   in Loop: Header=BB53_17 Depth=1
                                        ; implicit-def: $vgpr2_vgpr3
	s_branch .LBB53_253
.LBB53_286:
	s_or_b32 exec_lo, exec_lo, s88
	s_xor_b32 s5, s92, -1
	s_xor_b32 s1, s89, -1
	;; [unrolled: 1-line block ×3, first 2 shown]
	s_mov_b32 s3, 0
	s_and_saveexec_b32 s6, s1
	s_delay_alu instid0(SALU_CYCLE_1)
	s_xor_b32 s1, exec_lo, s6
	s_cbranch_execz .LBB53_312
; %bb.287:
	s_and_saveexec_b32 s3, s5
	s_delay_alu instid0(SALU_CYCLE_1)
	s_xor_b32 s3, exec_lo, s3
	s_cbranch_execz .LBB53_310
; %bb.288:
	s_and_saveexec_b32 s5, s4
	s_delay_alu instid0(SALU_CYCLE_1)
	s_xor_b32 s4, exec_lo, s5
; %bb.289:
	v_cmp_lt_i32_e32 vcc_lo, -1, v2
	v_cndmask_b32_e64 v3, 0x80000000, -1, vcc_lo
	s_delay_alu instid0(VALU_DEP_1)
	v_xor_b32_e32 v25, v3, v2
; %bb.290:
	s_or_b32 exec_lo, exec_lo, s4
	s_and_saveexec_b32 s4, s2
	s_cbranch_execz .LBB53_292
; %bb.291:
	v_dual_mov_b32 v2, 0 :: v_dual_mov_b32 v3, s36
	ds_store_b32 v2, v3 offset:5140
.LBB53_292:
	s_or_b32 exec_lo, exec_lo, s4
	s_waitcnt lgkmcnt(0)
	s_barrier
	buffer_gl0_inv
	s_and_saveexec_b32 s4, s0
	s_cbranch_execz .LBB53_307
; %bb.293:
	v_mov_b32_e32 v2, 0
	v_cmp_u_f32_e32 vcc_lo, v25, v25
	s_mov_b32 s5, 0
                                        ; implicit-def: $sgpr7
                                        ; implicit-def: $sgpr8
                                        ; implicit-def: $sgpr9
	ds_load_b32 v4, v2 offset:5140
	s_xor_b32 s6, vcc_lo, -1
	s_waitcnt lgkmcnt(0)
	v_ashrrev_i32_e32 v5, 31, v4
	s_set_inst_prefetch_distance 0x1
	s_branch .LBB53_296
	.p2align	6
.LBB53_294:                             ;   in Loop: Header=BB53_296 Depth=1
	s_or_b32 exec_lo, exec_lo, s13
	s_delay_alu instid0(SALU_CYCLE_1)
	s_and_not1_b32 s0, s9, exec_lo
	s_and_b32 s9, s11, exec_lo
	s_and_not1_b32 s8, s8, exec_lo
	s_and_b32 s11, s12, exec_lo
	s_or_b32 s9, s0, s9
	s_or_b32 s8, s8, s11
.LBB53_295:                             ;   in Loop: Header=BB53_296 Depth=1
	s_or_b32 exec_lo, exec_lo, s10
	s_delay_alu instid0(SALU_CYCLE_1) | instskip(NEXT) | instid1(SALU_CYCLE_1)
	s_and_b32 s0, exec_lo, s8
	s_or_b32 s5, s0, s5
	s_and_not1_b32 s0, s7, exec_lo
	s_and_b32 s7, s9, exec_lo
	s_delay_alu instid0(SALU_CYCLE_1)
	s_or_b32 s7, s0, s7
	s_and_not1_b32 exec_lo, exec_lo, s5
	s_cbranch_execz .LBB53_302
.LBB53_296:                             ; =>This Inner Loop Header: Depth=1
	v_dual_mov_b32 v3, v1 :: v_dual_mov_b32 v2, v0
	s_or_b32 s9, s9, exec_lo
	s_or_b32 s8, s8, exec_lo
	s_mov_b32 s10, exec_lo
                                        ; implicit-def: $vgpr0_vgpr1
	s_delay_alu instid0(VALU_DEP_1)
	v_cmpx_lt_i64_e64 v[2:3], v[4:5]
	s_cbranch_execz .LBB53_295
; %bb.297:                              ;   in Loop: Header=BB53_296 Depth=1
	global_load_b32 v0, v[10:11], off
	s_mov_b32 s12, -1
	s_waitcnt vmcnt(0)
	v_cmp_o_f32_e32 vcc_lo, v0, v0
	v_cmp_neq_f32_e64 s0, v0, v25
                                        ; implicit-def: $vgpr0_vgpr1
	s_or_b32 s11, vcc_lo, s6
	s_delay_alu instid0(VALU_DEP_1) | instid1(SALU_CYCLE_1)
	s_and_b32 s0, s0, s11
	s_mov_b32 s11, 0
	s_and_saveexec_b32 s13, s0
	s_cbranch_execz .LBB53_294
; %bb.298:                              ;   in Loop: Header=BB53_296 Depth=1
	v_add_co_u32 v0, vcc_lo, v2, s27
	v_add_co_ci_u32_e32 v1, vcc_lo, 0, v3, vcc_lo
	v_add_co_u32 v10, s0, v10, s58
	s_mov_b32 s11, exec_lo
	s_delay_alu instid0(VALU_DEP_2)
	v_cmp_le_i64_e32 vcc_lo, s[36:37], v[0:1]
	v_add_co_ci_u32_e64 v11, s0, s59, v11, s0
	s_or_not1_b32 s12, vcc_lo, exec_lo
	s_branch .LBB53_294
.LBB53_299:
                                        ; implicit-def: $sgpr16_sgpr17
	s_branch .LBB53_3
.LBB53_300:
                                        ; implicit-def: $sgpr48_sgpr49
	s_branch .LBB53_6
.LBB53_301:
                                        ; implicit-def: $sgpr50_sgpr51
	s_load_b64 s[18:19], s[0:1], 0x0
	s_branch .LBB53_9
.LBB53_302:
	s_set_inst_prefetch_distance 0x2
	s_or_b32 exec_lo, exec_lo, s5
	s_xor_b32 s0, s7, -1
	s_delay_alu instid0(SALU_CYCLE_1) | instskip(NEXT) | instid1(SALU_CYCLE_1)
	s_and_saveexec_b32 s5, s0
	s_xor_b32 s5, exec_lo, s5
	s_cbranch_execz .LBB53_307
; %bb.303:
	s_mov_b32 s5, exec_lo
	s_brev_b32 s0, -2
.LBB53_304:                             ; =>This Inner Loop Header: Depth=1
	s_ctz_i32_b32 s6, s5
	s_delay_alu instid0(SALU_CYCLE_1) | instskip(SKIP_1) | instid1(SALU_CYCLE_1)
	v_readlane_b32 s7, v2, s6
	s_lshl_b32 s6, 1, s6
	s_and_not1_b32 s5, s5, s6
	s_delay_alu instid0(VALU_DEP_1)
	s_min_i32 s0, s0, s7
	s_cmp_lg_u32 s5, 0
	s_cbranch_scc1 .LBB53_304
; %bb.305:
	v_mbcnt_lo_u32_b32 v0, exec_lo, 0
	s_mov_b32 s5, exec_lo
	s_delay_alu instid0(VALU_DEP_1)
	v_cmpx_eq_u32_e32 0, v0
	s_xor_b32 s5, exec_lo, s5
	s_cbranch_execz .LBB53_307
; %bb.306:
	v_dual_mov_b32 v0, 0 :: v_dual_mov_b32 v1, s0
	ds_min_i32 v0, v1 offset:5140
.LBB53_307:
	s_or_b32 exec_lo, exec_lo, s4
	s_waitcnt lgkmcnt(0)
	s_barrier
	buffer_gl0_inv
	s_and_saveexec_b32 s0, s2
	s_cbranch_execz .LBB53_309
; %bb.308:
	s_mul_i32 s2, s48, s35
	s_mul_hi_u32 s4, s48, s34
	s_mul_i32 s5, s48, s34
	s_add_i32 s2, s4, s2
	s_mul_i32 s4, s49, s34
	s_mul_hi_u32 s7, s48, s44
	s_add_i32 s2, s2, s4
	s_sub_u32 s4, s26, s5
	s_subb_u32 s2, 0, s2
	s_mul_i32 s5, s4, s47
	s_mul_hi_u32 s6, s4, s46
	s_mul_i32 s2, s2, s46
	s_add_i32 s5, s6, s5
	s_mul_i32 s6, s48, s45
	v_mov_b32_e32 v2, 0
	s_add_i32 s5, s5, s2
	s_add_i32 s2, s7, s6
	s_mul_i32 s6, s49, s44
	s_mul_hi_u32 s8, s50, s40
	s_add_i32 s7, s2, s6
	s_mul_i32 s2, s50, s41
	ds_load_b32 v0, v2 offset:5140
	s_add_i32 s2, s8, s2
	s_mul_i32 s8, s51, s40
	s_mul_i32 s9, s50, s40
	s_add_i32 s2, s2, s8
	s_sub_u32 s8, s26, s9
	s_subb_u32 s2, 0, s2
	s_mul_i32 s9, s8, s31
	s_mul_hi_u32 s10, s8, s30
	s_mul_i32 s2, s2, s30
	s_add_i32 s9, s10, s9
	s_mul_i32 s10, s50, s29
	s_mul_hi_u32 s11, s50, s28
	s_mul_i32 s6, s48, s44
	s_add_i32 s9, s9, s2
	s_add_i32 s2, s11, s10
	s_mul_i32 s10, s51, s28
	s_lshl_b64 s[6:7], s[6:7], 2
	s_mul_i32 s4, s4, s46
	s_add_i32 s11, s2, s10
	s_add_u32 s2, s54, s6
	s_addc_u32 s6, s55, s7
	s_lshl_b64 s[4:5], s[4:5], 2
	s_mul_i32 s10, s50, s28
	s_add_u32 s4, s2, s4
	s_addc_u32 s5, s6, s5
	s_lshl_b64 s[6:7], s[10:11], 3
	s_mul_i32 s8, s8, s30
	s_add_u32 s2, s52, s6
	s_addc_u32 s10, s53, s7
	s_lshl_b64 s[6:7], s[8:9], 3
	s_waitcnt lgkmcnt(0)
	v_ashrrev_i32_e32 v1, 31, v0
	s_add_u32 s6, s2, s6
	s_addc_u32 s7, s10, s7
	s_clause 0x1
	global_store_b64 v2, v[0:1], s[6:7]
	global_store_b32 v2, v25, s[4:5]
.LBB53_309:
	s_or_b32 exec_lo, exec_lo, s0
.LBB53_310:
	s_or_saveexec_b32 s0, s3
	s_mov_b32 s2, 0
	s_xor_b32 exec_lo, exec_lo, s0
	s_cbranch_execnz .LBB53_318
.LBB53_311:
	s_or_b32 exec_lo, exec_lo, s0
	s_delay_alu instid0(SALU_CYCLE_1)
	s_and_b32 s3, s2, exec_lo
.LBB53_312:
	s_and_not1_saveexec_b32 s0, s1
	s_cbranch_execnz .LBB53_316
; %bb.313:
	s_or_b32 exec_lo, exec_lo, s0
	s_and_saveexec_b32 s0, s3
.LBB53_314:
	; divergent unreachable
.LBB53_315:
	s_nop 0
	s_sendmsg sendmsg(MSG_DEALLOC_VGPRS)
	s_endpgm
.LBB53_316:
	s_cbranch_execnz .LBB53_320
; %bb.317:
	s_or_b32 s3, s3, exec_lo
	s_or_b32 exec_lo, exec_lo, s0
	s_and_saveexec_b32 s0, s3
	s_cbranch_execnz .LBB53_314
	s_branch .LBB53_315
.LBB53_318:
	s_cbranch_execnz .LBB53_322
; %bb.319:
	s_mov_b32 s2, exec_lo
	s_branch .LBB53_311
.LBB53_320:
	s_trap 2
	s_sendmsg_rtn_b32 s0, sendmsg(MSG_RTN_GET_DOORBELL)
	s_mov_b32 ttmp2, m0
	s_waitcnt lgkmcnt(0)
	s_and_b32 s0, s0, 0x3ff
	s_delay_alu instid0(SALU_CYCLE_1) | instskip(NEXT) | instid1(SALU_CYCLE_1)
	s_bitset1_b32 s0, 10
	s_mov_b32 m0, s0
	s_sendmsg sendmsg(MSG_INTERRUPT)
	s_mov_b32 m0, ttmp2
.LBB53_321:                             ; =>This Inner Loop Header: Depth=1
	s_sethalt 5
	s_branch .LBB53_321
.LBB53_322:
	s_trap 2
	s_sendmsg_rtn_b32 s0, sendmsg(MSG_RTN_GET_DOORBELL)
	s_mov_b32 ttmp2, m0
	s_waitcnt lgkmcnt(0)
	s_and_b32 s0, s0, 0x3ff
	s_delay_alu instid0(SALU_CYCLE_1) | instskip(NEXT) | instid1(SALU_CYCLE_1)
	s_bitset1_b32 s0, 10
	s_mov_b32 m0, s0
	s_sendmsg sendmsg(MSG_INTERRUPT)
	s_mov_b32 m0, ttmp2
.LBB53_323:                             ; =>This Inner Loop Header: Depth=1
	s_sethalt 5
	s_branch .LBB53_323
	.section	.rodata,"a",@progbits
	.p2align	6, 0x0
	.amdhsa_kernel _ZN2at6native12_GLOBAL__N_114gatherKthValueIflLi2EEEvNS_4cuda6detail10TensorInfoIKT_T0_EES8_S8_S8_S8_NS5_IS6_S8_EENS5_IlS8_EE
		.amdhsa_group_segment_fixed_size 5144
		.amdhsa_private_segment_fixed_size 0
		.amdhsa_kernarg_size 1536
		.amdhsa_user_sgpr_count 13
		.amdhsa_user_sgpr_dispatch_ptr 0
		.amdhsa_user_sgpr_queue_ptr 0
		.amdhsa_user_sgpr_kernarg_segment_ptr 1
		.amdhsa_user_sgpr_dispatch_id 0
		.amdhsa_user_sgpr_private_segment_size 0
		.amdhsa_wavefront_size32 1
		.amdhsa_uses_dynamic_stack 0
		.amdhsa_enable_private_segment 0
		.amdhsa_system_sgpr_workgroup_id_x 1
		.amdhsa_system_sgpr_workgroup_id_y 1
		.amdhsa_system_sgpr_workgroup_id_z 1
		.amdhsa_system_sgpr_workgroup_info 0
		.amdhsa_system_vgpr_workitem_id 0
		.amdhsa_next_free_vgpr 46
		.amdhsa_next_free_sgpr 102
		.amdhsa_reserve_vcc 1
		.amdhsa_float_round_mode_32 0
		.amdhsa_float_round_mode_16_64 0
		.amdhsa_float_denorm_mode_32 3
		.amdhsa_float_denorm_mode_16_64 3
		.amdhsa_dx10_clamp 1
		.amdhsa_ieee_mode 1
		.amdhsa_fp16_overflow 0
		.amdhsa_workgroup_processor_mode 1
		.amdhsa_memory_ordered 1
		.amdhsa_forward_progress 0
		.amdhsa_shared_vgpr_count 0
		.amdhsa_exception_fp_ieee_invalid_op 0
		.amdhsa_exception_fp_denorm_src 0
		.amdhsa_exception_fp_ieee_div_zero 0
		.amdhsa_exception_fp_ieee_overflow 0
		.amdhsa_exception_fp_ieee_underflow 0
		.amdhsa_exception_fp_ieee_inexact 0
		.amdhsa_exception_int_div_zero 0
	.end_amdhsa_kernel
	.section	.text._ZN2at6native12_GLOBAL__N_114gatherKthValueIflLi2EEEvNS_4cuda6detail10TensorInfoIKT_T0_EES8_S8_S8_S8_NS5_IS6_S8_EENS5_IlS8_EE,"axG",@progbits,_ZN2at6native12_GLOBAL__N_114gatherKthValueIflLi2EEEvNS_4cuda6detail10TensorInfoIKT_T0_EES8_S8_S8_S8_NS5_IS6_S8_EENS5_IlS8_EE,comdat
.Lfunc_end53:
	.size	_ZN2at6native12_GLOBAL__N_114gatherKthValueIflLi2EEEvNS_4cuda6detail10TensorInfoIKT_T0_EES8_S8_S8_S8_NS5_IS6_S8_EENS5_IlS8_EE, .Lfunc_end53-_ZN2at6native12_GLOBAL__N_114gatherKthValueIflLi2EEEvNS_4cuda6detail10TensorInfoIKT_T0_EES8_S8_S8_S8_NS5_IS6_S8_EENS5_IlS8_EE
                                        ; -- End function
	.section	.AMDGPU.csdata,"",@progbits
; Kernel info:
; codeLenInByte = 20152
; NumSgprs: 104
; NumVgprs: 46
; ScratchSize: 0
; MemoryBound: 0
; FloatMode: 240
; IeeeMode: 1
; LDSByteSize: 5144 bytes/workgroup (compile time only)
; SGPRBlocks: 12
; VGPRBlocks: 5
; NumSGPRsForWavesPerEU: 104
; NumVGPRsForWavesPerEU: 46
; Occupancy: 16
; WaveLimiterHint : 1
; COMPUTE_PGM_RSRC2:SCRATCH_EN: 0
; COMPUTE_PGM_RSRC2:USER_SGPR: 13
; COMPUTE_PGM_RSRC2:TRAP_HANDLER: 0
; COMPUTE_PGM_RSRC2:TGID_X_EN: 1
; COMPUTE_PGM_RSRC2:TGID_Y_EN: 1
; COMPUTE_PGM_RSRC2:TGID_Z_EN: 1
; COMPUTE_PGM_RSRC2:TIDIG_COMP_CNT: 0
	.section	.text._ZN2at6native12_GLOBAL__N_114gatherKthValueIflLi3EEEvNS_4cuda6detail10TensorInfoIKT_T0_EES8_S8_S8_S8_NS5_IS6_S8_EENS5_IlS8_EE,"axG",@progbits,_ZN2at6native12_GLOBAL__N_114gatherKthValueIflLi3EEEvNS_4cuda6detail10TensorInfoIKT_T0_EES8_S8_S8_S8_NS5_IS6_S8_EENS5_IlS8_EE,comdat
	.globl	_ZN2at6native12_GLOBAL__N_114gatherKthValueIflLi3EEEvNS_4cuda6detail10TensorInfoIKT_T0_EES8_S8_S8_S8_NS5_IS6_S8_EENS5_IlS8_EE ; -- Begin function _ZN2at6native12_GLOBAL__N_114gatherKthValueIflLi3EEEvNS_4cuda6detail10TensorInfoIKT_T0_EES8_S8_S8_S8_NS5_IS6_S8_EENS5_IlS8_EE
	.p2align	8
	.type	_ZN2at6native12_GLOBAL__N_114gatherKthValueIflLi3EEEvNS_4cuda6detail10TensorInfoIKT_T0_EES8_S8_S8_S8_NS5_IS6_S8_EENS5_IlS8_EE,@function
_ZN2at6native12_GLOBAL__N_114gatherKthValueIflLi3EEEvNS_4cuda6detail10TensorInfoIKT_T0_EES8_S8_S8_S8_NS5_IS6_S8_EENS5_IlS8_EE: ; @_ZN2at6native12_GLOBAL__N_114gatherKthValueIflLi3EEEvNS_4cuda6detail10TensorInfoIKT_T0_EES8_S8_S8_S8_NS5_IS6_S8_EENS5_IlS8_EE
; %bb.0:
	s_clause 0x1
	s_load_b64 s[18:19], s[0:1], 0x500
	s_load_b256 s[36:43], s[0:1], 0x1a0
	s_add_u32 s16, s0, 0x500
	s_addc_u32 s17, s1, 0
	s_mov_b32 s27, 0
	s_waitcnt lgkmcnt(0)
	s_mul_i32 s2, s19, s15
	s_delay_alu instid0(SALU_CYCLE_1) | instskip(NEXT) | instid1(SALU_CYCLE_1)
	s_add_i32 s2, s2, s14
	s_mul_i32 s2, s2, s18
	s_delay_alu instid0(SALU_CYCLE_1) | instskip(NEXT) | instid1(SALU_CYCLE_1)
	s_add_i32 s26, s2, s13
	v_cmp_ge_i64_e64 s2, s[26:27], s[40:41]
	s_delay_alu instid0(VALU_DEP_1)
	s_and_b32 vcc_lo, exec_lo, s2
	s_cbranch_vccnz .LBB54_328
; %bb.1:
	s_load_b128 s[4:7], s[0:1], 0x10
	s_mov_b32 s2, s27
	s_waitcnt lgkmcnt(0)
	s_mov_b32 s3, s7
	s_delay_alu instid0(SALU_CYCLE_1)
	s_cmp_lg_u64 s[2:3], 0
	s_cbranch_scc0 .LBB54_18
; %bb.2:
	s_ashr_i32 s2, s7, 31
	s_delay_alu instid0(SALU_CYCLE_1) | instskip(SKIP_2) | instid1(SALU_CYCLE_1)
	s_add_u32 s8, s6, s2
	s_mov_b32 s3, s2
	s_addc_u32 s9, s7, s2
	s_xor_b64 s[8:9], s[8:9], s[2:3]
	s_delay_alu instid0(SALU_CYCLE_1) | instskip(SKIP_3) | instid1(VALU_DEP_1)
	v_cvt_f32_u32_e32 v1, s8
	v_cvt_f32_u32_e32 v2, s9
	s_sub_u32 s12, 0, s8
	s_subb_u32 s14, 0, s9
	v_fmamk_f32 v1, v2, 0x4f800000, v1
	s_delay_alu instid0(VALU_DEP_1) | instskip(SKIP_2) | instid1(VALU_DEP_1)
	v_rcp_f32_e32 v1, v1
	s_waitcnt_depctr 0xfff
	v_mul_f32_e32 v1, 0x5f7ffffc, v1
	v_mul_f32_e32 v2, 0x2f800000, v1
	s_delay_alu instid0(VALU_DEP_1) | instskip(NEXT) | instid1(VALU_DEP_1)
	v_trunc_f32_e32 v2, v2
	v_fmamk_f32 v1, v2, 0xcf800000, v1
	v_cvt_u32_f32_e32 v2, v2
	s_delay_alu instid0(VALU_DEP_2) | instskip(NEXT) | instid1(VALU_DEP_2)
	v_cvt_u32_f32_e32 v1, v1
	v_readfirstlane_b32 s10, v2
	s_delay_alu instid0(VALU_DEP_2) | instskip(NEXT) | instid1(VALU_DEP_2)
	v_readfirstlane_b32 s11, v1
	s_mul_i32 s15, s12, s10
	s_delay_alu instid0(VALU_DEP_1)
	s_mul_hi_u32 s20, s12, s11
	s_mul_i32 s19, s14, s11
	s_add_i32 s15, s20, s15
	s_mul_i32 s21, s12, s11
	s_add_i32 s15, s15, s19
	s_mul_hi_u32 s20, s11, s21
	s_mul_hi_u32 s22, s10, s21
	s_mul_i32 s19, s10, s21
	s_mul_hi_u32 s21, s11, s15
	s_mul_i32 s11, s11, s15
	s_mul_hi_u32 s23, s10, s15
	s_add_u32 s11, s20, s11
	s_addc_u32 s20, 0, s21
	s_add_u32 s11, s11, s19
	s_mul_i32 s15, s10, s15
	s_addc_u32 s11, s20, s22
	s_addc_u32 s19, s23, 0
	s_add_u32 s11, s11, s15
	s_addc_u32 s15, 0, s19
	v_add_co_u32 v1, s11, v1, s11
	s_delay_alu instid0(VALU_DEP_1) | instskip(SKIP_1) | instid1(VALU_DEP_1)
	s_cmp_lg_u32 s11, 0
	s_addc_u32 s10, s10, s15
	v_readfirstlane_b32 s11, v1
	s_mul_i32 s15, s12, s10
	s_delay_alu instid0(VALU_DEP_1)
	s_mul_hi_u32 s19, s12, s11
	s_mul_i32 s14, s14, s11
	s_add_i32 s15, s19, s15
	s_mul_i32 s12, s12, s11
	s_add_i32 s15, s15, s14
	s_mul_hi_u32 s19, s10, s12
	s_mul_i32 s20, s10, s12
	s_mul_hi_u32 s12, s11, s12
	s_mul_hi_u32 s21, s11, s15
	s_mul_i32 s11, s11, s15
	s_mul_hi_u32 s14, s10, s15
	s_add_u32 s11, s12, s11
	s_addc_u32 s12, 0, s21
	s_add_u32 s11, s11, s20
	s_mul_i32 s15, s10, s15
	s_addc_u32 s11, s12, s19
	s_addc_u32 s12, s14, 0
	s_add_u32 s11, s11, s15
	s_addc_u32 s12, 0, s12
	v_add_co_u32 v1, s11, v1, s11
	s_delay_alu instid0(VALU_DEP_1) | instskip(SKIP_2) | instid1(VALU_DEP_1)
	s_cmp_lg_u32 s11, 0
	s_addc_u32 s12, s10, s12
	s_ashr_i32 s10, 0, 31
	v_readfirstlane_b32 s19, v1
	s_add_u32 s14, s26, s10
	s_mov_b32 s11, s10
	s_addc_u32 s15, 0, s10
	s_delay_alu instid0(SALU_CYCLE_1) | instskip(NEXT) | instid1(SALU_CYCLE_1)
	s_xor_b64 s[14:15], s[14:15], s[10:11]
	s_mul_i32 s21, s14, s12
	s_mul_hi_u32 s22, s14, s19
	s_mul_hi_u32 s20, s14, s12
	;; [unrolled: 1-line block ×3, first 2 shown]
	s_mul_i32 s19, s15, s19
	s_add_u32 s21, s22, s21
	s_addc_u32 s20, 0, s20
	s_mul_hi_u32 s23, s15, s12
	s_add_u32 s19, s21, s19
	s_mul_i32 s12, s15, s12
	s_addc_u32 s19, s20, s24
	s_addc_u32 s20, s23, 0
	s_add_u32 s12, s19, s12
	s_addc_u32 s19, 0, s20
	s_mul_i32 s23, s8, s12
	s_mul_hi_u32 s20, s8, s12
	s_mul_i32 s22, s8, s19
	v_sub_co_u32 v1, s14, s14, s23
	s_mul_i32 s21, s9, s12
	s_add_i32 s20, s20, s22
	s_delay_alu instid0(SALU_CYCLE_1) | instskip(NEXT) | instid1(VALU_DEP_1)
	s_add_i32 s20, s20, s21
	v_sub_co_u32 v2, s22, v1, s8
	s_sub_i32 s21, s15, s20
	s_cmp_lg_u32 s14, 0
	s_subb_u32 s21, s21, s9
	s_cmp_lg_u32 s22, 0
	v_readfirstlane_b32 s22, v2
	s_subb_u32 s21, s21, 0
	s_delay_alu instid0(SALU_CYCLE_1) | instskip(SKIP_1) | instid1(VALU_DEP_1)
	s_cmp_ge_u32 s21, s9
	s_cselect_b32 s23, -1, 0
	s_cmp_ge_u32 s22, s8
	s_cselect_b32 s22, -1, 0
	s_cmp_eq_u32 s21, s9
	s_cselect_b32 s21, s22, s23
	s_add_u32 s22, s12, 1
	s_addc_u32 s23, s19, 0
	s_add_u32 s24, s12, 2
	s_addc_u32 s25, s19, 0
	s_cmp_lg_u32 s21, 0
	s_cselect_b32 s21, s24, s22
	s_cselect_b32 s22, s25, s23
	s_cmp_lg_u32 s14, 0
	v_readfirstlane_b32 s14, v1
	s_subb_u32 s15, s15, s20
	s_delay_alu instid0(SALU_CYCLE_1) | instskip(SKIP_1) | instid1(VALU_DEP_1)
	s_cmp_ge_u32 s15, s9
	s_cselect_b32 s20, -1, 0
	s_cmp_ge_u32 s14, s8
	s_cselect_b32 s8, -1, 0
	s_cmp_eq_u32 s15, s9
	s_cselect_b32 s8, s8, s20
	s_delay_alu instid0(SALU_CYCLE_1) | instskip(SKIP_3) | instid1(SALU_CYCLE_1)
	s_cmp_lg_u32 s8, 0
	s_cselect_b32 s9, s22, s19
	s_cselect_b32 s8, s21, s12
	s_xor_b64 s[2:3], s[10:11], s[2:3]
	s_xor_b64 s[10:11], s[8:9], s[2:3]
	s_delay_alu instid0(SALU_CYCLE_1)
	s_sub_u32 s2, s10, s2
	s_subb_u32 s3, s11, s3
	s_cbranch_execnz .LBB54_4
.LBB54_3:
	v_cvt_f32_u32_e32 v1, s6
	s_sub_i32 s3, 0, s6
	s_delay_alu instid0(VALU_DEP_1) | instskip(SKIP_2) | instid1(VALU_DEP_1)
	v_rcp_iflag_f32_e32 v1, v1
	s_waitcnt_depctr 0xfff
	v_mul_f32_e32 v1, 0x4f7ffffe, v1
	v_cvt_u32_f32_e32 v1, v1
	s_delay_alu instid0(VALU_DEP_1) | instskip(NEXT) | instid1(VALU_DEP_1)
	v_readfirstlane_b32 s2, v1
	s_mul_i32 s3, s3, s2
	s_delay_alu instid0(SALU_CYCLE_1) | instskip(NEXT) | instid1(SALU_CYCLE_1)
	s_mul_hi_u32 s3, s2, s3
	s_add_i32 s2, s2, s3
	s_delay_alu instid0(SALU_CYCLE_1) | instskip(NEXT) | instid1(SALU_CYCLE_1)
	s_mul_hi_u32 s2, s26, s2
	s_mul_i32 s3, s2, s6
	s_add_i32 s8, s2, 1
	s_sub_i32 s3, s26, s3
	s_delay_alu instid0(SALU_CYCLE_1)
	s_sub_i32 s9, s3, s6
	s_cmp_ge_u32 s3, s6
	s_cselect_b32 s2, s8, s2
	s_cselect_b32 s3, s9, s3
	s_add_i32 s8, s2, 1
	s_cmp_ge_u32 s3, s6
	s_mov_b32 s3, 0
	s_cselect_b32 s2, s8, s2
.LBB54_4:
	s_delay_alu instid0(SALU_CYCLE_1) | instskip(SKIP_1) | instid1(SALU_CYCLE_1)
	s_or_b64 s[8:9], s[2:3], s[4:5]
	s_mov_b32 s8, 0
	s_cmp_lg_u64 s[8:9], 0
	s_cbranch_scc0 .LBB54_19
; %bb.5:
	s_ashr_i32 s10, s5, 31
	s_delay_alu instid0(SALU_CYCLE_1) | instskip(SKIP_2) | instid1(SALU_CYCLE_1)
	s_add_u32 s14, s4, s10
	s_mov_b32 s11, s10
	s_addc_u32 s15, s5, s10
	s_xor_b64 s[14:15], s[14:15], s[10:11]
	s_delay_alu instid0(SALU_CYCLE_1) | instskip(SKIP_3) | instid1(VALU_DEP_1)
	v_cvt_f32_u32_e32 v1, s14
	v_cvt_f32_u32_e32 v2, s15
	s_sub_u32 s19, 0, s14
	s_subb_u32 s20, 0, s15
	v_fmamk_f32 v1, v2, 0x4f800000, v1
	s_delay_alu instid0(VALU_DEP_1) | instskip(SKIP_2) | instid1(VALU_DEP_1)
	v_rcp_f32_e32 v1, v1
	s_waitcnt_depctr 0xfff
	v_mul_f32_e32 v1, 0x5f7ffffc, v1
	v_mul_f32_e32 v2, 0x2f800000, v1
	s_delay_alu instid0(VALU_DEP_1) | instskip(NEXT) | instid1(VALU_DEP_1)
	v_trunc_f32_e32 v2, v2
	v_fmamk_f32 v1, v2, 0xcf800000, v1
	v_cvt_u32_f32_e32 v2, v2
	s_delay_alu instid0(VALU_DEP_2) | instskip(NEXT) | instid1(VALU_DEP_2)
	v_cvt_u32_f32_e32 v1, v1
	v_readfirstlane_b32 s9, v2
	s_delay_alu instid0(VALU_DEP_2) | instskip(NEXT) | instid1(VALU_DEP_2)
	v_readfirstlane_b32 s12, v1
	s_mul_i32 s21, s19, s9
	s_delay_alu instid0(VALU_DEP_1)
	s_mul_hi_u32 s23, s19, s12
	s_mul_i32 s22, s20, s12
	s_add_i32 s21, s23, s21
	s_mul_i32 s24, s19, s12
	s_add_i32 s21, s21, s22
	s_mul_hi_u32 s23, s12, s24
	s_mul_hi_u32 s25, s9, s24
	s_mul_i32 s22, s9, s24
	s_mul_hi_u32 s24, s12, s21
	s_mul_i32 s12, s12, s21
	s_mul_hi_u32 s27, s9, s21
	s_add_u32 s12, s23, s12
	s_addc_u32 s23, 0, s24
	s_add_u32 s12, s12, s22
	s_mul_i32 s21, s9, s21
	s_addc_u32 s12, s23, s25
	s_addc_u32 s22, s27, 0
	s_add_u32 s12, s12, s21
	s_addc_u32 s21, 0, s22
	v_add_co_u32 v1, s12, v1, s12
	s_delay_alu instid0(VALU_DEP_1) | instskip(SKIP_1) | instid1(VALU_DEP_1)
	s_cmp_lg_u32 s12, 0
	s_addc_u32 s9, s9, s21
	v_readfirstlane_b32 s12, v1
	s_mul_i32 s21, s19, s9
	s_delay_alu instid0(VALU_DEP_1)
	s_mul_hi_u32 s22, s19, s12
	s_mul_i32 s20, s20, s12
	s_add_i32 s21, s22, s21
	s_mul_i32 s19, s19, s12
	s_add_i32 s21, s21, s20
	s_mul_hi_u32 s22, s9, s19
	s_mul_i32 s23, s9, s19
	s_mul_hi_u32 s19, s12, s19
	s_mul_hi_u32 s24, s12, s21
	s_mul_i32 s12, s12, s21
	s_mul_hi_u32 s20, s9, s21
	s_add_u32 s12, s19, s12
	s_addc_u32 s19, 0, s24
	s_add_u32 s12, s12, s23
	s_mul_i32 s21, s9, s21
	s_addc_u32 s12, s19, s22
	s_addc_u32 s19, s20, 0
	s_add_u32 s12, s12, s21
	s_addc_u32 s19, 0, s19
	v_add_co_u32 v1, s12, v1, s12
	s_delay_alu instid0(VALU_DEP_1) | instskip(SKIP_2) | instid1(VALU_DEP_1)
	s_cmp_lg_u32 s12, 0
	s_addc_u32 s9, s9, s19
	s_ashr_i32 s20, s3, 31
	v_readfirstlane_b32 s12, v1
	s_add_u32 s22, s2, s20
	s_mov_b32 s21, s20
	s_addc_u32 s23, s3, s20
	s_delay_alu instid0(SALU_CYCLE_1) | instskip(NEXT) | instid1(SALU_CYCLE_1)
	s_xor_b64 s[22:23], s[22:23], s[20:21]
	s_mul_i32 s24, s22, s9
	s_mul_hi_u32 s25, s22, s12
	s_mul_hi_u32 s19, s22, s9
	;; [unrolled: 1-line block ×3, first 2 shown]
	s_mul_i32 s12, s23, s12
	s_add_u32 s24, s25, s24
	s_addc_u32 s19, 0, s19
	s_mul_hi_u32 s27, s23, s9
	s_add_u32 s12, s24, s12
	s_mul_i32 s9, s23, s9
	s_addc_u32 s12, s19, s28
	s_addc_u32 s19, s27, 0
	s_add_u32 s9, s12, s9
	s_addc_u32 s12, 0, s19
	s_mul_i32 s27, s14, s9
	s_mul_hi_u32 s19, s14, s9
	s_mul_i32 s25, s14, s12
	v_sub_co_u32 v1, s22, s22, s27
	s_mul_i32 s24, s15, s9
	s_add_i32 s19, s19, s25
	s_delay_alu instid0(SALU_CYCLE_1) | instskip(NEXT) | instid1(VALU_DEP_1)
	s_add_i32 s19, s19, s24
	v_sub_co_u32 v2, s25, v1, s14
	s_sub_i32 s24, s23, s19
	s_cmp_lg_u32 s22, 0
	s_subb_u32 s24, s24, s15
	s_cmp_lg_u32 s25, 0
	v_readfirstlane_b32 s25, v2
	s_subb_u32 s24, s24, 0
	s_delay_alu instid0(SALU_CYCLE_1) | instskip(SKIP_1) | instid1(VALU_DEP_1)
	s_cmp_ge_u32 s24, s15
	s_cselect_b32 s27, -1, 0
	s_cmp_ge_u32 s25, s14
	s_cselect_b32 s25, -1, 0
	s_cmp_eq_u32 s24, s15
	s_cselect_b32 s24, s25, s27
	s_add_u32 s25, s9, 1
	s_addc_u32 s27, s12, 0
	s_add_u32 s28, s9, 2
	s_addc_u32 s29, s12, 0
	s_cmp_lg_u32 s24, 0
	s_cselect_b32 s24, s28, s25
	s_cselect_b32 s25, s29, s27
	s_cmp_lg_u32 s22, 0
	v_readfirstlane_b32 s22, v1
	s_subb_u32 s19, s23, s19
	s_delay_alu instid0(SALU_CYCLE_1) | instskip(SKIP_1) | instid1(VALU_DEP_1)
	s_cmp_ge_u32 s19, s15
	s_cselect_b32 s23, -1, 0
	s_cmp_ge_u32 s22, s14
	s_cselect_b32 s14, -1, 0
	s_cmp_eq_u32 s19, s15
	s_cselect_b32 s14, s14, s23
	s_delay_alu instid0(SALU_CYCLE_1) | instskip(SKIP_3) | instid1(SALU_CYCLE_1)
	s_cmp_lg_u32 s14, 0
	s_cselect_b32 s15, s25, s12
	s_cselect_b32 s14, s24, s9
	s_xor_b64 s[10:11], s[20:21], s[10:11]
	s_xor_b64 s[14:15], s[14:15], s[10:11]
	s_delay_alu instid0(SALU_CYCLE_1)
	s_sub_u32 s14, s14, s10
	s_subb_u32 s15, s15, s11
	s_load_b128 s[28:31], s[0:1], 0x1d0
	s_and_not1_b32 vcc_lo, exec_lo, s8
	s_cbranch_vccnz .LBB54_7
.LBB54_6:
	v_cvt_f32_u32_e32 v1, s4
	s_sub_i32 s9, 0, s4
	s_mov_b32 s15, 0
	s_delay_alu instid0(VALU_DEP_1) | instskip(SKIP_2) | instid1(VALU_DEP_1)
	v_rcp_iflag_f32_e32 v1, v1
	s_waitcnt_depctr 0xfff
	v_mul_f32_e32 v1, 0x4f7ffffe, v1
	v_cvt_u32_f32_e32 v1, v1
	s_delay_alu instid0(VALU_DEP_1) | instskip(NEXT) | instid1(VALU_DEP_1)
	v_readfirstlane_b32 s8, v1
	s_mul_i32 s9, s9, s8
	s_delay_alu instid0(SALU_CYCLE_1) | instskip(NEXT) | instid1(SALU_CYCLE_1)
	s_mul_hi_u32 s9, s8, s9
	s_add_i32 s8, s8, s9
	s_delay_alu instid0(SALU_CYCLE_1) | instskip(NEXT) | instid1(SALU_CYCLE_1)
	s_mul_hi_u32 s8, s2, s8
	s_mul_i32 s9, s8, s4
	s_add_i32 s10, s8, 1
	s_sub_i32 s9, s2, s9
	s_delay_alu instid0(SALU_CYCLE_1)
	s_sub_i32 s11, s9, s4
	s_cmp_ge_u32 s9, s4
	s_cselect_b32 s8, s10, s8
	s_cselect_b32 s9, s11, s9
	s_add_i32 s10, s8, 1
	s_cmp_ge_u32 s9, s4
	s_cselect_b32 s14, s10, s8
.LBB54_7:
	s_mov_b32 s8, 0
	s_waitcnt lgkmcnt(0)
	s_mov_b32 s9, s31
	s_delay_alu instid0(SALU_CYCLE_1)
	s_cmp_lg_u64 s[8:9], 0
	s_cbranch_scc0 .LBB54_20
; %bb.8:
	s_ashr_i32 s10, s31, 31
	s_delay_alu instid0(SALU_CYCLE_1) | instskip(SKIP_2) | instid1(SALU_CYCLE_1)
	s_add_u32 s20, s30, s10
	s_mov_b32 s11, s10
	s_addc_u32 s21, s31, s10
	s_xor_b64 s[20:21], s[20:21], s[10:11]
	s_delay_alu instid0(SALU_CYCLE_1) | instskip(SKIP_3) | instid1(VALU_DEP_1)
	v_cvt_f32_u32_e32 v1, s20
	v_cvt_f32_u32_e32 v2, s21
	s_sub_u32 s19, 0, s20
	s_subb_u32 s22, 0, s21
	v_fmamk_f32 v1, v2, 0x4f800000, v1
	s_delay_alu instid0(VALU_DEP_1) | instskip(SKIP_2) | instid1(VALU_DEP_1)
	v_rcp_f32_e32 v1, v1
	s_waitcnt_depctr 0xfff
	v_mul_f32_e32 v1, 0x5f7ffffc, v1
	v_mul_f32_e32 v2, 0x2f800000, v1
	s_delay_alu instid0(VALU_DEP_1) | instskip(NEXT) | instid1(VALU_DEP_1)
	v_trunc_f32_e32 v2, v2
	v_fmamk_f32 v1, v2, 0xcf800000, v1
	v_cvt_u32_f32_e32 v2, v2
	s_delay_alu instid0(VALU_DEP_2) | instskip(NEXT) | instid1(VALU_DEP_2)
	v_cvt_u32_f32_e32 v1, v1
	v_readfirstlane_b32 s9, v2
	s_delay_alu instid0(VALU_DEP_2) | instskip(NEXT) | instid1(VALU_DEP_2)
	v_readfirstlane_b32 s12, v1
	s_mul_i32 s23, s19, s9
	s_delay_alu instid0(VALU_DEP_1)
	s_mul_hi_u32 s25, s19, s12
	s_mul_i32 s24, s22, s12
	s_add_i32 s23, s25, s23
	s_mul_i32 s27, s19, s12
	s_add_i32 s23, s23, s24
	s_mul_hi_u32 s25, s12, s27
	s_mul_hi_u32 s33, s9, s27
	s_mul_i32 s24, s9, s27
	s_mul_hi_u32 s27, s12, s23
	s_mul_i32 s12, s12, s23
	s_mul_hi_u32 s34, s9, s23
	s_add_u32 s12, s25, s12
	s_addc_u32 s25, 0, s27
	s_add_u32 s12, s12, s24
	s_mul_i32 s23, s9, s23
	s_addc_u32 s12, s25, s33
	s_addc_u32 s24, s34, 0
	s_add_u32 s12, s12, s23
	s_addc_u32 s23, 0, s24
	v_add_co_u32 v1, s12, v1, s12
	s_delay_alu instid0(VALU_DEP_1) | instskip(SKIP_1) | instid1(VALU_DEP_1)
	s_cmp_lg_u32 s12, 0
	s_addc_u32 s9, s9, s23
	v_readfirstlane_b32 s12, v1
	s_mul_i32 s23, s19, s9
	s_delay_alu instid0(VALU_DEP_1)
	s_mul_hi_u32 s24, s19, s12
	s_mul_i32 s22, s22, s12
	s_add_i32 s23, s24, s23
	s_mul_i32 s19, s19, s12
	s_add_i32 s23, s23, s22
	s_mul_hi_u32 s24, s9, s19
	s_mul_i32 s25, s9, s19
	s_mul_hi_u32 s19, s12, s19
	s_mul_hi_u32 s27, s12, s23
	s_mul_i32 s12, s12, s23
	s_mul_hi_u32 s22, s9, s23
	s_add_u32 s12, s19, s12
	s_addc_u32 s19, 0, s27
	s_add_u32 s12, s12, s25
	s_mul_i32 s23, s9, s23
	s_addc_u32 s12, s19, s24
	s_addc_u32 s19, s22, 0
	s_add_u32 s12, s12, s23
	s_addc_u32 s19, 0, s19
	v_add_co_u32 v1, s12, v1, s12
	s_delay_alu instid0(VALU_DEP_1) | instskip(SKIP_2) | instid1(VALU_DEP_1)
	s_cmp_lg_u32 s12, 0
	s_addc_u32 s9, s9, s19
	s_ashr_i32 s22, 0, 31
	v_readfirstlane_b32 s12, v1
	s_add_u32 s24, s26, s22
	s_mov_b32 s23, s22
	s_addc_u32 s25, 0, s22
	s_delay_alu instid0(SALU_CYCLE_1) | instskip(NEXT) | instid1(SALU_CYCLE_1)
	s_xor_b64 s[24:25], s[24:25], s[22:23]
	s_mul_i32 s27, s24, s9
	s_mul_hi_u32 s33, s24, s12
	s_mul_hi_u32 s19, s24, s9
	;; [unrolled: 1-line block ×3, first 2 shown]
	s_mul_i32 s12, s25, s12
	s_add_u32 s27, s33, s27
	s_addc_u32 s19, 0, s19
	s_mul_hi_u32 s34, s25, s9
	s_add_u32 s12, s27, s12
	s_mul_i32 s9, s25, s9
	s_addc_u32 s12, s19, s35
	s_addc_u32 s19, s34, 0
	s_add_u32 s9, s12, s9
	s_addc_u32 s12, 0, s19
	s_mul_i32 s34, s20, s9
	s_mul_hi_u32 s19, s20, s9
	s_mul_i32 s33, s20, s12
	v_sub_co_u32 v1, s24, s24, s34
	s_mul_i32 s27, s21, s9
	s_add_i32 s19, s19, s33
	s_delay_alu instid0(SALU_CYCLE_1) | instskip(NEXT) | instid1(VALU_DEP_1)
	s_add_i32 s19, s19, s27
	v_sub_co_u32 v2, s33, v1, s20
	s_sub_i32 s27, s25, s19
	s_cmp_lg_u32 s24, 0
	s_subb_u32 s27, s27, s21
	s_cmp_lg_u32 s33, 0
	v_readfirstlane_b32 s33, v2
	s_subb_u32 s27, s27, 0
	s_delay_alu instid0(SALU_CYCLE_1) | instskip(SKIP_1) | instid1(VALU_DEP_1)
	s_cmp_ge_u32 s27, s21
	s_cselect_b32 s34, -1, 0
	s_cmp_ge_u32 s33, s20
	s_cselect_b32 s33, -1, 0
	s_cmp_eq_u32 s27, s21
	s_cselect_b32 s27, s33, s34
	s_add_u32 s33, s9, 1
	s_addc_u32 s34, s12, 0
	s_add_u32 s35, s9, 2
	s_addc_u32 s40, s12, 0
	s_cmp_lg_u32 s27, 0
	s_cselect_b32 s27, s35, s33
	s_cselect_b32 s33, s40, s34
	s_cmp_lg_u32 s24, 0
	v_readfirstlane_b32 s24, v1
	s_subb_u32 s19, s25, s19
	s_delay_alu instid0(SALU_CYCLE_1) | instskip(SKIP_1) | instid1(VALU_DEP_1)
	s_cmp_ge_u32 s19, s21
	s_cselect_b32 s25, -1, 0
	s_cmp_ge_u32 s24, s20
	s_cselect_b32 s20, -1, 0
	s_cmp_eq_u32 s19, s21
	s_cselect_b32 s19, s20, s25
	s_delay_alu instid0(SALU_CYCLE_1) | instskip(SKIP_3) | instid1(SALU_CYCLE_1)
	s_cmp_lg_u32 s19, 0
	s_cselect_b32 s21, s33, s12
	s_cselect_b32 s20, s27, s9
	s_xor_b64 s[10:11], s[22:23], s[10:11]
	s_xor_b64 s[20:21], s[20:21], s[10:11]
	s_delay_alu instid0(SALU_CYCLE_1)
	s_sub_u32 s34, s20, s10
	s_subb_u32 s35, s21, s11
	s_and_not1_b32 vcc_lo, exec_lo, s8
	s_cbranch_vccnz .LBB54_10
.LBB54_9:
	v_cvt_f32_u32_e32 v1, s30
	s_sub_i32 s9, 0, s30
	s_mov_b32 s35, 0
	s_delay_alu instid0(VALU_DEP_1) | instskip(SKIP_2) | instid1(VALU_DEP_1)
	v_rcp_iflag_f32_e32 v1, v1
	s_waitcnt_depctr 0xfff
	v_mul_f32_e32 v1, 0x4f7ffffe, v1
	v_cvt_u32_f32_e32 v1, v1
	s_delay_alu instid0(VALU_DEP_1) | instskip(NEXT) | instid1(VALU_DEP_1)
	v_readfirstlane_b32 s8, v1
	s_mul_i32 s9, s9, s8
	s_delay_alu instid0(SALU_CYCLE_1) | instskip(NEXT) | instid1(SALU_CYCLE_1)
	s_mul_hi_u32 s9, s8, s9
	s_add_i32 s8, s8, s9
	s_delay_alu instid0(SALU_CYCLE_1) | instskip(NEXT) | instid1(SALU_CYCLE_1)
	s_mul_hi_u32 s8, s26, s8
	s_mul_i32 s9, s8, s30
	s_add_i32 s10, s8, 1
	s_sub_i32 s9, s26, s9
	s_delay_alu instid0(SALU_CYCLE_1)
	s_sub_i32 s11, s9, s30
	s_cmp_ge_u32 s9, s30
	s_cselect_b32 s8, s10, s8
	s_cselect_b32 s9, s11, s9
	s_add_i32 s10, s8, 1
	s_cmp_ge_u32 s9, s30
	s_cselect_b32 s34, s10, s8
.LBB54_10:
	s_delay_alu instid0(SALU_CYCLE_1) | instskip(SKIP_1) | instid1(SALU_CYCLE_1)
	s_or_b64 s[8:9], s[34:35], s[28:29]
	s_mov_b32 s8, 0
	s_cmp_lg_u64 s[8:9], 0
	s_cbranch_scc0 .LBB54_21
; %bb.11:
	s_ashr_i32 s10, s29, 31
	s_delay_alu instid0(SALU_CYCLE_1) | instskip(SKIP_2) | instid1(SALU_CYCLE_1)
	s_add_u32 s20, s28, s10
	s_mov_b32 s11, s10
	s_addc_u32 s21, s29, s10
	s_xor_b64 s[20:21], s[20:21], s[10:11]
	s_delay_alu instid0(SALU_CYCLE_1) | instskip(SKIP_3) | instid1(VALU_DEP_1)
	v_cvt_f32_u32_e32 v1, s20
	v_cvt_f32_u32_e32 v2, s21
	s_sub_u32 s19, 0, s20
	s_subb_u32 s22, 0, s21
	v_fmamk_f32 v1, v2, 0x4f800000, v1
	s_delay_alu instid0(VALU_DEP_1) | instskip(SKIP_2) | instid1(VALU_DEP_1)
	v_rcp_f32_e32 v1, v1
	s_waitcnt_depctr 0xfff
	v_mul_f32_e32 v1, 0x5f7ffffc, v1
	v_mul_f32_e32 v2, 0x2f800000, v1
	s_delay_alu instid0(VALU_DEP_1) | instskip(NEXT) | instid1(VALU_DEP_1)
	v_trunc_f32_e32 v2, v2
	v_fmamk_f32 v1, v2, 0xcf800000, v1
	v_cvt_u32_f32_e32 v2, v2
	s_delay_alu instid0(VALU_DEP_2) | instskip(NEXT) | instid1(VALU_DEP_2)
	v_cvt_u32_f32_e32 v1, v1
	v_readfirstlane_b32 s9, v2
	s_delay_alu instid0(VALU_DEP_2) | instskip(NEXT) | instid1(VALU_DEP_2)
	v_readfirstlane_b32 s12, v1
	s_mul_i32 s23, s19, s9
	s_delay_alu instid0(VALU_DEP_1)
	s_mul_hi_u32 s25, s19, s12
	s_mul_i32 s24, s22, s12
	s_add_i32 s23, s25, s23
	s_mul_i32 s27, s19, s12
	s_add_i32 s23, s23, s24
	s_mul_hi_u32 s25, s12, s27
	s_mul_hi_u32 s33, s9, s27
	s_mul_i32 s24, s9, s27
	s_mul_hi_u32 s27, s12, s23
	s_mul_i32 s12, s12, s23
	s_mul_hi_u32 s40, s9, s23
	s_add_u32 s12, s25, s12
	s_addc_u32 s25, 0, s27
	s_add_u32 s12, s12, s24
	s_mul_i32 s23, s9, s23
	s_addc_u32 s12, s25, s33
	s_addc_u32 s24, s40, 0
	s_add_u32 s12, s12, s23
	s_addc_u32 s23, 0, s24
	v_add_co_u32 v1, s12, v1, s12
	s_delay_alu instid0(VALU_DEP_1) | instskip(SKIP_1) | instid1(VALU_DEP_1)
	s_cmp_lg_u32 s12, 0
	s_addc_u32 s9, s9, s23
	v_readfirstlane_b32 s12, v1
	s_mul_i32 s23, s19, s9
	s_delay_alu instid0(VALU_DEP_1)
	s_mul_hi_u32 s24, s19, s12
	s_mul_i32 s22, s22, s12
	s_add_i32 s23, s24, s23
	s_mul_i32 s19, s19, s12
	s_add_i32 s23, s23, s22
	s_mul_hi_u32 s24, s9, s19
	s_mul_i32 s25, s9, s19
	s_mul_hi_u32 s19, s12, s19
	s_mul_hi_u32 s27, s12, s23
	s_mul_i32 s12, s12, s23
	s_mul_hi_u32 s22, s9, s23
	s_add_u32 s12, s19, s12
	s_addc_u32 s19, 0, s27
	s_add_u32 s12, s12, s25
	s_mul_i32 s23, s9, s23
	s_addc_u32 s12, s19, s24
	s_addc_u32 s19, s22, 0
	s_add_u32 s12, s12, s23
	s_addc_u32 s19, 0, s19
	v_add_co_u32 v1, s12, v1, s12
	s_delay_alu instid0(VALU_DEP_1) | instskip(SKIP_2) | instid1(VALU_DEP_1)
	s_cmp_lg_u32 s12, 0
	s_addc_u32 s9, s9, s19
	s_ashr_i32 s22, s35, 31
	v_readfirstlane_b32 s12, v1
	s_add_u32 s24, s34, s22
	s_mov_b32 s23, s22
	s_addc_u32 s25, s35, s22
	s_delay_alu instid0(SALU_CYCLE_1) | instskip(NEXT) | instid1(SALU_CYCLE_1)
	s_xor_b64 s[24:25], s[24:25], s[22:23]
	s_mul_i32 s27, s24, s9
	s_mul_hi_u32 s33, s24, s12
	s_mul_hi_u32 s19, s24, s9
	;; [unrolled: 1-line block ×3, first 2 shown]
	s_mul_i32 s12, s25, s12
	s_add_u32 s27, s33, s27
	s_addc_u32 s19, 0, s19
	s_mul_hi_u32 s40, s25, s9
	s_add_u32 s12, s27, s12
	s_mul_i32 s9, s25, s9
	s_addc_u32 s12, s19, s41
	s_addc_u32 s19, s40, 0
	s_add_u32 s9, s12, s9
	s_addc_u32 s12, 0, s19
	s_mul_i32 s40, s20, s9
	s_mul_hi_u32 s19, s20, s9
	s_mul_i32 s33, s20, s12
	v_sub_co_u32 v1, s24, s24, s40
	s_mul_i32 s27, s21, s9
	s_add_i32 s19, s19, s33
	s_delay_alu instid0(SALU_CYCLE_1) | instskip(NEXT) | instid1(VALU_DEP_1)
	s_add_i32 s19, s19, s27
	v_sub_co_u32 v2, s33, v1, s20
	s_sub_i32 s27, s25, s19
	s_cmp_lg_u32 s24, 0
	s_subb_u32 s27, s27, s21
	s_cmp_lg_u32 s33, 0
	v_readfirstlane_b32 s33, v2
	s_subb_u32 s27, s27, 0
	s_delay_alu instid0(SALU_CYCLE_1) | instskip(SKIP_1) | instid1(VALU_DEP_1)
	s_cmp_ge_u32 s27, s21
	s_cselect_b32 s40, -1, 0
	s_cmp_ge_u32 s33, s20
	s_cselect_b32 s33, -1, 0
	s_cmp_eq_u32 s27, s21
	s_cselect_b32 s27, s33, s40
	s_add_u32 s33, s9, 1
	s_addc_u32 s40, s12, 0
	s_add_u32 s41, s9, 2
	s_addc_u32 s44, s12, 0
	s_cmp_lg_u32 s27, 0
	s_cselect_b32 s27, s41, s33
	s_cselect_b32 s33, s44, s40
	s_cmp_lg_u32 s24, 0
	v_readfirstlane_b32 s24, v1
	s_subb_u32 s19, s25, s19
	s_delay_alu instid0(SALU_CYCLE_1) | instskip(SKIP_1) | instid1(VALU_DEP_1)
	s_cmp_ge_u32 s19, s21
	s_cselect_b32 s25, -1, 0
	s_cmp_ge_u32 s24, s20
	s_cselect_b32 s20, -1, 0
	s_cmp_eq_u32 s19, s21
	s_cselect_b32 s19, s20, s25
	s_delay_alu instid0(SALU_CYCLE_1) | instskip(SKIP_3) | instid1(SALU_CYCLE_1)
	s_cmp_lg_u32 s19, 0
	s_cselect_b32 s21, s33, s12
	s_cselect_b32 s20, s27, s9
	s_xor_b64 s[10:11], s[22:23], s[10:11]
	s_xor_b64 s[20:21], s[20:21], s[10:11]
	s_delay_alu instid0(SALU_CYCLE_1)
	s_sub_u32 s40, s20, s10
	s_subb_u32 s41, s21, s11
	s_load_b128 s[44:47], s[0:1], 0x370
	s_and_not1_b32 vcc_lo, exec_lo, s8
	s_cbranch_vccnz .LBB54_13
.LBB54_12:
	v_cvt_f32_u32_e32 v1, s28
	s_sub_i32 s9, 0, s28
	s_mov_b32 s41, 0
	s_delay_alu instid0(VALU_DEP_1) | instskip(SKIP_2) | instid1(VALU_DEP_1)
	v_rcp_iflag_f32_e32 v1, v1
	s_waitcnt_depctr 0xfff
	v_mul_f32_e32 v1, 0x4f7ffffe, v1
	v_cvt_u32_f32_e32 v1, v1
	s_delay_alu instid0(VALU_DEP_1) | instskip(NEXT) | instid1(VALU_DEP_1)
	v_readfirstlane_b32 s8, v1
	s_mul_i32 s9, s9, s8
	s_delay_alu instid0(SALU_CYCLE_1) | instskip(NEXT) | instid1(SALU_CYCLE_1)
	s_mul_hi_u32 s9, s8, s9
	s_add_i32 s8, s8, s9
	s_delay_alu instid0(SALU_CYCLE_1) | instskip(NEXT) | instid1(SALU_CYCLE_1)
	s_mul_hi_u32 s8, s34, s8
	s_mul_i32 s9, s8, s28
	s_add_i32 s10, s8, 1
	s_sub_i32 s9, s34, s9
	s_delay_alu instid0(SALU_CYCLE_1)
	s_sub_i32 s11, s9, s28
	s_cmp_ge_u32 s9, s28
	s_cselect_b32 s8, s10, s8
	s_cselect_b32 s9, s11, s9
	s_add_i32 s10, s8, 1
	s_cmp_ge_u32 s9, s28
	s_cselect_b32 s40, s10, s8
.LBB54_13:
	s_mov_b32 s8, 0
	s_waitcnt lgkmcnt(0)
	s_mov_b32 s9, s47
	s_delay_alu instid0(SALU_CYCLE_1)
	s_cmp_lg_u64 s[8:9], 0
	s_cbranch_scc0 .LBB54_22
; %bb.14:
	s_ashr_i32 s10, s47, 31
	s_delay_alu instid0(SALU_CYCLE_1) | instskip(SKIP_2) | instid1(SALU_CYCLE_1)
	s_add_u32 s20, s46, s10
	s_mov_b32 s11, s10
	s_addc_u32 s21, s47, s10
	s_xor_b64 s[20:21], s[20:21], s[10:11]
	s_delay_alu instid0(SALU_CYCLE_1) | instskip(SKIP_3) | instid1(VALU_DEP_1)
	v_cvt_f32_u32_e32 v1, s20
	v_cvt_f32_u32_e32 v2, s21
	s_sub_u32 s19, 0, s20
	s_subb_u32 s22, 0, s21
	v_fmamk_f32 v1, v2, 0x4f800000, v1
	s_delay_alu instid0(VALU_DEP_1) | instskip(SKIP_2) | instid1(VALU_DEP_1)
	v_rcp_f32_e32 v1, v1
	s_waitcnt_depctr 0xfff
	v_mul_f32_e32 v1, 0x5f7ffffc, v1
	v_mul_f32_e32 v2, 0x2f800000, v1
	s_delay_alu instid0(VALU_DEP_1) | instskip(NEXT) | instid1(VALU_DEP_1)
	v_trunc_f32_e32 v2, v2
	v_fmamk_f32 v1, v2, 0xcf800000, v1
	v_cvt_u32_f32_e32 v2, v2
	s_delay_alu instid0(VALU_DEP_2) | instskip(NEXT) | instid1(VALU_DEP_2)
	v_cvt_u32_f32_e32 v1, v1
	v_readfirstlane_b32 s9, v2
	s_delay_alu instid0(VALU_DEP_2) | instskip(NEXT) | instid1(VALU_DEP_2)
	v_readfirstlane_b32 s12, v1
	s_mul_i32 s23, s19, s9
	s_delay_alu instid0(VALU_DEP_1)
	s_mul_hi_u32 s25, s19, s12
	s_mul_i32 s24, s22, s12
	s_add_i32 s23, s25, s23
	s_mul_i32 s27, s19, s12
	s_add_i32 s23, s23, s24
	s_mul_hi_u32 s25, s12, s27
	s_mul_hi_u32 s33, s9, s27
	s_mul_i32 s24, s9, s27
	s_mul_hi_u32 s27, s12, s23
	s_mul_i32 s12, s12, s23
	s_mul_hi_u32 s48, s9, s23
	s_add_u32 s12, s25, s12
	s_addc_u32 s25, 0, s27
	s_add_u32 s12, s12, s24
	s_mul_i32 s23, s9, s23
	s_addc_u32 s12, s25, s33
	s_addc_u32 s24, s48, 0
	s_add_u32 s12, s12, s23
	s_addc_u32 s23, 0, s24
	v_add_co_u32 v1, s12, v1, s12
	s_delay_alu instid0(VALU_DEP_1) | instskip(SKIP_1) | instid1(VALU_DEP_1)
	s_cmp_lg_u32 s12, 0
	s_addc_u32 s9, s9, s23
	v_readfirstlane_b32 s12, v1
	s_mul_i32 s23, s19, s9
	s_delay_alu instid0(VALU_DEP_1)
	s_mul_hi_u32 s24, s19, s12
	s_mul_i32 s22, s22, s12
	s_add_i32 s23, s24, s23
	s_mul_i32 s19, s19, s12
	s_add_i32 s23, s23, s22
	s_mul_hi_u32 s24, s9, s19
	s_mul_i32 s25, s9, s19
	s_mul_hi_u32 s19, s12, s19
	s_mul_hi_u32 s27, s12, s23
	s_mul_i32 s12, s12, s23
	s_mul_hi_u32 s22, s9, s23
	s_add_u32 s12, s19, s12
	s_addc_u32 s19, 0, s27
	s_add_u32 s12, s12, s25
	s_mul_i32 s23, s9, s23
	s_addc_u32 s12, s19, s24
	s_addc_u32 s19, s22, 0
	s_add_u32 s12, s12, s23
	s_addc_u32 s19, 0, s19
	v_add_co_u32 v1, s12, v1, s12
	s_delay_alu instid0(VALU_DEP_1) | instskip(SKIP_2) | instid1(VALU_DEP_1)
	s_cmp_lg_u32 s12, 0
	s_addc_u32 s9, s9, s19
	s_ashr_i32 s22, 0, 31
	v_readfirstlane_b32 s12, v1
	s_add_u32 s24, s26, s22
	s_mov_b32 s23, s22
	s_addc_u32 s25, 0, s22
	s_delay_alu instid0(SALU_CYCLE_1) | instskip(NEXT) | instid1(SALU_CYCLE_1)
	s_xor_b64 s[24:25], s[24:25], s[22:23]
	s_mul_i32 s27, s24, s9
	s_mul_hi_u32 s33, s24, s12
	s_mul_hi_u32 s19, s24, s9
	;; [unrolled: 1-line block ×3, first 2 shown]
	s_mul_i32 s12, s25, s12
	s_add_u32 s27, s33, s27
	s_addc_u32 s19, 0, s19
	s_mul_hi_u32 s48, s25, s9
	s_add_u32 s12, s27, s12
	s_mul_i32 s9, s25, s9
	s_addc_u32 s12, s19, s49
	s_addc_u32 s19, s48, 0
	s_add_u32 s9, s12, s9
	s_addc_u32 s12, 0, s19
	s_mul_i32 s48, s20, s9
	s_mul_hi_u32 s19, s20, s9
	s_mul_i32 s33, s20, s12
	v_sub_co_u32 v1, s24, s24, s48
	s_mul_i32 s27, s21, s9
	s_add_i32 s19, s19, s33
	s_delay_alu instid0(SALU_CYCLE_1) | instskip(NEXT) | instid1(VALU_DEP_1)
	s_add_i32 s19, s19, s27
	v_sub_co_u32 v2, s33, v1, s20
	s_sub_i32 s27, s25, s19
	s_cmp_lg_u32 s24, 0
	s_subb_u32 s27, s27, s21
	s_cmp_lg_u32 s33, 0
	v_readfirstlane_b32 s33, v2
	s_subb_u32 s27, s27, 0
	s_delay_alu instid0(SALU_CYCLE_1) | instskip(SKIP_1) | instid1(VALU_DEP_1)
	s_cmp_ge_u32 s27, s21
	s_cselect_b32 s48, -1, 0
	s_cmp_ge_u32 s33, s20
	s_cselect_b32 s33, -1, 0
	s_cmp_eq_u32 s27, s21
	s_cselect_b32 s27, s33, s48
	s_add_u32 s33, s9, 1
	s_addc_u32 s48, s12, 0
	s_add_u32 s49, s9, 2
	s_addc_u32 s50, s12, 0
	s_cmp_lg_u32 s27, 0
	s_cselect_b32 s27, s49, s33
	s_cselect_b32 s33, s50, s48
	s_cmp_lg_u32 s24, 0
	v_readfirstlane_b32 s24, v1
	s_subb_u32 s19, s25, s19
	s_delay_alu instid0(SALU_CYCLE_1) | instskip(SKIP_1) | instid1(VALU_DEP_1)
	s_cmp_ge_u32 s19, s21
	s_cselect_b32 s25, -1, 0
	s_cmp_ge_u32 s24, s20
	s_cselect_b32 s20, -1, 0
	s_cmp_eq_u32 s19, s21
	s_cselect_b32 s19, s20, s25
	s_delay_alu instid0(SALU_CYCLE_1) | instskip(SKIP_3) | instid1(SALU_CYCLE_1)
	s_cmp_lg_u32 s19, 0
	s_cselect_b32 s21, s33, s12
	s_cselect_b32 s20, s27, s9
	s_xor_b64 s[10:11], s[22:23], s[10:11]
	s_xor_b64 s[20:21], s[20:21], s[10:11]
	s_delay_alu instid0(SALU_CYCLE_1)
	s_sub_u32 s56, s20, s10
	s_subb_u32 s57, s21, s11
	s_and_not1_b32 vcc_lo, exec_lo, s8
	s_cbranch_vccnz .LBB54_16
.LBB54_15:
	v_cvt_f32_u32_e32 v1, s46
	s_sub_i32 s9, 0, s46
	s_mov_b32 s57, 0
	s_delay_alu instid0(VALU_DEP_1) | instskip(SKIP_2) | instid1(VALU_DEP_1)
	v_rcp_iflag_f32_e32 v1, v1
	s_waitcnt_depctr 0xfff
	v_mul_f32_e32 v1, 0x4f7ffffe, v1
	v_cvt_u32_f32_e32 v1, v1
	s_delay_alu instid0(VALU_DEP_1) | instskip(NEXT) | instid1(VALU_DEP_1)
	v_readfirstlane_b32 s8, v1
	s_mul_i32 s9, s9, s8
	s_delay_alu instid0(SALU_CYCLE_1) | instskip(NEXT) | instid1(SALU_CYCLE_1)
	s_mul_hi_u32 s9, s8, s9
	s_add_i32 s8, s8, s9
	s_delay_alu instid0(SALU_CYCLE_1) | instskip(NEXT) | instid1(SALU_CYCLE_1)
	s_mul_hi_u32 s8, s26, s8
	s_mul_i32 s9, s8, s46
	s_add_i32 s10, s8, 1
	s_sub_i32 s9, s26, s9
	s_delay_alu instid0(SALU_CYCLE_1)
	s_sub_i32 s11, s9, s46
	s_cmp_ge_u32 s9, s46
	s_cselect_b32 s8, s10, s8
	s_cselect_b32 s9, s11, s9
	s_add_i32 s10, s8, 1
	s_cmp_ge_u32 s9, s46
	s_cselect_b32 s56, s10, s8
.LBB54_16:
	s_clause 0x1
	s_load_b64 s[20:21], s[0:1], 0xe0
	s_load_b128 s[8:11], s[0:1], 0xd0
	s_or_b64 s[24:25], s[56:57], s[44:45]
	s_mov_b32 s24, 0
	s_delay_alu instid0(SALU_CYCLE_1)
	s_cmp_lg_u64 s[24:25], 0
	s_cbranch_scc0 .LBB54_23
; %bb.17:
	s_ashr_i32 s22, s45, 31
	s_delay_alu instid0(SALU_CYCLE_1) | instskip(SKIP_2) | instid1(SALU_CYCLE_1)
	s_add_u32 s48, s44, s22
	s_mov_b32 s23, s22
	s_addc_u32 s49, s45, s22
	s_xor_b64 s[48:49], s[48:49], s[22:23]
	s_delay_alu instid0(SALU_CYCLE_1) | instskip(SKIP_3) | instid1(VALU_DEP_1)
	v_cvt_f32_u32_e32 v1, s48
	v_cvt_f32_u32_e32 v2, s49
	s_sub_u32 s25, 0, s48
	s_subb_u32 s27, 0, s49
	v_fmamk_f32 v1, v2, 0x4f800000, v1
	s_delay_alu instid0(VALU_DEP_1) | instskip(SKIP_2) | instid1(VALU_DEP_1)
	v_rcp_f32_e32 v1, v1
	s_waitcnt_depctr 0xfff
	v_mul_f32_e32 v1, 0x5f7ffffc, v1
	v_mul_f32_e32 v2, 0x2f800000, v1
	s_delay_alu instid0(VALU_DEP_1) | instskip(NEXT) | instid1(VALU_DEP_1)
	v_trunc_f32_e32 v2, v2
	v_fmamk_f32 v1, v2, 0xcf800000, v1
	v_cvt_u32_f32_e32 v2, v2
	s_delay_alu instid0(VALU_DEP_2) | instskip(NEXT) | instid1(VALU_DEP_2)
	v_cvt_u32_f32_e32 v1, v1
	v_readfirstlane_b32 s12, v2
	s_delay_alu instid0(VALU_DEP_2) | instskip(NEXT) | instid1(VALU_DEP_2)
	v_readfirstlane_b32 s19, v1
	s_mul_i32 s33, s25, s12
	s_delay_alu instid0(VALU_DEP_1)
	s_mul_hi_u32 s51, s25, s19
	s_mul_i32 s50, s27, s19
	s_add_i32 s33, s51, s33
	s_mul_i32 s52, s25, s19
	s_add_i32 s33, s33, s50
	s_mul_hi_u32 s51, s19, s52
	s_mul_hi_u32 s53, s12, s52
	s_mul_i32 s50, s12, s52
	s_mul_hi_u32 s52, s19, s33
	s_mul_i32 s19, s19, s33
	s_mul_hi_u32 s54, s12, s33
	s_add_u32 s19, s51, s19
	s_addc_u32 s51, 0, s52
	s_add_u32 s19, s19, s50
	s_mul_i32 s33, s12, s33
	s_addc_u32 s19, s51, s53
	s_addc_u32 s50, s54, 0
	s_add_u32 s19, s19, s33
	s_addc_u32 s33, 0, s50
	v_add_co_u32 v1, s19, v1, s19
	s_delay_alu instid0(VALU_DEP_1) | instskip(SKIP_1) | instid1(VALU_DEP_1)
	s_cmp_lg_u32 s19, 0
	s_addc_u32 s12, s12, s33
	v_readfirstlane_b32 s19, v1
	s_mul_i32 s33, s25, s12
	s_delay_alu instid0(VALU_DEP_1)
	s_mul_hi_u32 s50, s25, s19
	s_mul_i32 s27, s27, s19
	s_add_i32 s33, s50, s33
	s_mul_i32 s25, s25, s19
	s_add_i32 s33, s33, s27
	s_mul_hi_u32 s50, s12, s25
	s_mul_i32 s51, s12, s25
	s_mul_hi_u32 s25, s19, s25
	s_mul_hi_u32 s52, s19, s33
	s_mul_i32 s19, s19, s33
	s_mul_hi_u32 s27, s12, s33
	s_add_u32 s19, s25, s19
	s_addc_u32 s25, 0, s52
	s_add_u32 s19, s19, s51
	s_mul_i32 s33, s12, s33
	s_addc_u32 s19, s25, s50
	s_addc_u32 s25, s27, 0
	s_add_u32 s19, s19, s33
	s_addc_u32 s25, 0, s25
	v_add_co_u32 v1, s19, v1, s19
	s_delay_alu instid0(VALU_DEP_1) | instskip(SKIP_2) | instid1(VALU_DEP_1)
	s_cmp_lg_u32 s19, 0
	s_addc_u32 s12, s12, s25
	s_ashr_i32 s50, s57, 31
	v_readfirstlane_b32 s19, v1
	s_add_u32 s52, s56, s50
	s_mov_b32 s51, s50
	s_addc_u32 s53, s57, s50
	s_delay_alu instid0(SALU_CYCLE_1) | instskip(NEXT) | instid1(SALU_CYCLE_1)
	s_xor_b64 s[52:53], s[52:53], s[50:51]
	s_mul_i32 s27, s52, s12
	s_mul_hi_u32 s33, s52, s19
	s_mul_hi_u32 s25, s52, s12
	;; [unrolled: 1-line block ×3, first 2 shown]
	s_mul_i32 s19, s53, s19
	s_add_u32 s27, s33, s27
	s_addc_u32 s25, 0, s25
	s_mul_hi_u32 s54, s53, s12
	s_add_u32 s19, s27, s19
	s_mul_i32 s12, s53, s12
	s_addc_u32 s19, s25, s55
	s_addc_u32 s25, s54, 0
	s_add_u32 s12, s19, s12
	s_addc_u32 s19, 0, s25
	s_mul_hi_u32 s25, s48, s12
	s_mul_i32 s33, s48, s19
	s_mul_i32 s54, s48, s12
	s_add_i32 s25, s25, s33
	v_sub_co_u32 v1, s33, s52, s54
	s_mul_i32 s27, s49, s12
	s_delay_alu instid0(SALU_CYCLE_1) | instskip(NEXT) | instid1(VALU_DEP_1)
	s_add_i32 s25, s25, s27
	v_sub_co_u32 v2, s52, v1, s48
	s_sub_i32 s27, s53, s25
	s_cmp_lg_u32 s33, 0
	s_subb_u32 s27, s27, s49
	s_cmp_lg_u32 s52, 0
	v_readfirstlane_b32 s52, v2
	s_subb_u32 s27, s27, 0
	s_delay_alu instid0(SALU_CYCLE_1) | instskip(SKIP_1) | instid1(VALU_DEP_1)
	s_cmp_ge_u32 s27, s49
	s_cselect_b32 s54, -1, 0
	s_cmp_ge_u32 s52, s48
	s_cselect_b32 s52, -1, 0
	s_cmp_eq_u32 s27, s49
	s_cselect_b32 s27, s52, s54
	s_add_u32 s52, s12, 1
	s_addc_u32 s54, s19, 0
	s_add_u32 s55, s12, 2
	s_addc_u32 s58, s19, 0
	s_cmp_lg_u32 s27, 0
	s_cselect_b32 s27, s55, s52
	s_cselect_b32 s52, s58, s54
	s_cmp_lg_u32 s33, 0
	v_readfirstlane_b32 s33, v1
	s_subb_u32 s25, s53, s25
	s_delay_alu instid0(SALU_CYCLE_1) | instskip(SKIP_1) | instid1(VALU_DEP_1)
	s_cmp_ge_u32 s25, s49
	s_cselect_b32 s53, -1, 0
	s_cmp_ge_u32 s33, s48
	s_cselect_b32 s33, -1, 0
	s_cmp_eq_u32 s25, s49
	s_cselect_b32 s25, s33, s53
	s_delay_alu instid0(SALU_CYCLE_1) | instskip(SKIP_3) | instid1(SALU_CYCLE_1)
	s_cmp_lg_u32 s25, 0
	s_cselect_b32 s49, s52, s19
	s_cselect_b32 s48, s27, s12
	s_xor_b64 s[22:23], s[50:51], s[22:23]
	s_xor_b64 s[48:49], s[48:49], s[22:23]
	s_delay_alu instid0(SALU_CYCLE_1)
	s_sub_u32 s62, s48, s22
	s_subb_u32 s63, s49, s23
	s_branch .LBB54_24
.LBB54_18:
                                        ; implicit-def: $sgpr2_sgpr3
	s_branch .LBB54_3
.LBB54_19:
                                        ; implicit-def: $sgpr14_sgpr15
	s_load_b128 s[28:31], s[0:1], 0x1d0
	s_branch .LBB54_6
.LBB54_20:
                                        ; implicit-def: $sgpr34_sgpr35
	s_branch .LBB54_9
.LBB54_21:
                                        ; implicit-def: $sgpr40_sgpr41
	s_load_b128 s[44:47], s[0:1], 0x370
	s_branch .LBB54_12
.LBB54_22:
                                        ; implicit-def: $sgpr56_sgpr57
	s_branch .LBB54_15
.LBB54_23:
	s_mov_b32 s24, -1
                                        ; implicit-def: $sgpr62_sgpr63
.LBB54_24:
	s_clause 0x1
	s_load_b64 s[22:23], s[0:1], 0x440
	s_load_b128 s[48:51], s[0:1], 0x430
                                        ; implicit-def: $vgpr48 : SGPR spill to VGPR lane
	s_and_not1_b32 vcc_lo, exec_lo, s24
	s_waitcnt lgkmcnt(0)
	v_writelane_b32 v48, s22, 0
	v_writelane_b32 v48, s23, 1
	s_load_b64 s[22:23], s[0:1], 0x2a0
	v_writelane_b32 v48, s48, 2
	v_writelane_b32 v48, s49, 3
	;; [unrolled: 1-line block ×4, first 2 shown]
	s_waitcnt lgkmcnt(0)
	v_writelane_b32 v48, s22, 6
	v_writelane_b32 v48, s23, 7
	s_clause 0x1
	s_load_b128 s[52:55], s[0:1], 0x290
	s_load_b64 s[22:23], s[0:1], 0x0
	s_cbranch_vccnz .LBB54_26
; %bb.25:
	v_cvt_f32_u32_e32 v1, s44
	s_sub_i32 s19, 0, s44
	s_mov_b32 s63, 0
	s_delay_alu instid0(VALU_DEP_1) | instskip(SKIP_2) | instid1(VALU_DEP_1)
	v_rcp_iflag_f32_e32 v1, v1
	s_waitcnt_depctr 0xfff
	v_mul_f32_e32 v1, 0x4f7ffffe, v1
	v_cvt_u32_f32_e32 v1, v1
	s_delay_alu instid0(VALU_DEP_1) | instskip(NEXT) | instid1(VALU_DEP_1)
	v_readfirstlane_b32 s12, v1
	s_mul_i32 s19, s19, s12
	s_delay_alu instid0(SALU_CYCLE_1) | instskip(NEXT) | instid1(SALU_CYCLE_1)
	s_mul_hi_u32 s19, s12, s19
	s_add_i32 s12, s12, s19
	s_delay_alu instid0(SALU_CYCLE_1) | instskip(NEXT) | instid1(SALU_CYCLE_1)
	s_mul_hi_u32 s12, s56, s12
	s_mul_i32 s19, s12, s44
	s_add_i32 s24, s12, 1
	s_sub_i32 s19, s56, s19
	s_delay_alu instid0(SALU_CYCLE_1)
	s_sub_i32 s25, s19, s44
	s_cmp_ge_u32 s19, s44
	s_cselect_b32 s12, s24, s12
	s_cselect_b32 s19, s25, s19
	s_add_i32 s24, s12, 1
	s_cmp_ge_u32 s19, s44
	s_cselect_b32 s62, s24, s12
.LBB54_26:
	s_clause 0x1
	s_load_b64 s[24:25], s[0:1], 0x360
	s_load_b64 s[0:1], s[0:1], 0x1c0
	s_mov_b32 s69, 0
	s_waitcnt lgkmcnt(0)
	v_writelane_b32 v48, s24, 8
	v_writelane_b32 v48, s25, 9
	;; [unrolled: 1-line block ×4, first 2 shown]
	v_cmp_eq_u32_e64 s0, 0, v0
	s_delay_alu instid0(VALU_DEP_1)
	s_and_saveexec_b32 s1, s0
	s_cbranch_execz .LBB54_28
; %bb.27:
	v_dual_mov_b32 v1, 0 :: v_dual_mov_b32 v4, s37
	s_delay_alu instid0(VALU_DEP_1)
	v_dual_mov_b32 v3, s36 :: v_dual_mov_b32 v2, v1
	ds_store_b32 v1, v1 offset:5136
	ds_store_b128 v1, v[1:4] offset:5120
.LBB54_28:
	s_or_b32 exec_lo, exec_lo, s1
	s_mul_i32 s1, s14, s5
	s_mul_hi_u32 s5, s14, s4
	s_mul_i32 s9, s14, s9
	s_add_i32 s1, s5, s1
	s_mul_i32 s5, s15, s4
	s_mul_i32 s4, s14, s4
	s_add_i32 s1, s1, s5
	s_sub_u32 s4, s2, s4
	s_subb_u32 s1, s3, s1
	s_mul_i32 s5, s4, s11
	s_mul_hi_u32 s11, s4, s10
	s_mul_i32 s1, s1, s10
	s_add_i32 s5, s11, s5
	s_mul_hi_u32 s11, s14, s8
	s_add_i32 s5, s5, s1
	s_add_i32 s1, s11, s9
	s_mul_i32 s9, s15, s8
	s_mul_i32 s11, s2, s7
	s_mul_hi_u32 s12, s2, s6
	s_add_i32 s7, s1, s9
	s_add_i32 s1, s12, s11
	s_mul_i32 s3, s3, s6
	s_mul_i32 s2, s2, s6
	s_add_i32 s1, s1, s3
	s_sub_u32 s2, s26, s2
	s_subb_u32 s1, 0, s1
	s_mul_i32 s3, s2, s21
	s_mul_hi_u32 s6, s2, s20
	s_mul_i32 s1, s1, s20
	s_add_i32 s3, s6, s3
	s_mul_i32 s6, s14, s8
	s_mul_i32 s4, s4, s10
	s_lshl_b64 s[6:7], s[6:7], 2
	s_add_i32 s3, s3, s1
	s_add_u32 s1, s22, s6
	s_addc_u32 s10, s23, s7
	s_lshl_b64 s[8:9], s[4:5], 2
	s_waitcnt lgkmcnt(0)
	s_barrier
	buffer_gl0_inv
	s_load_b32 s5, s[16:17], 0xc
	v_lshlrev_b32_e32 v39, 4, v0
	v_mbcnt_lo_u32_b32 v36, -1, 0
	v_mad_u64_u32 v[2:3], null, v0, s42, 0
	s_mul_i32 s2, s2, s20
	s_delay_alu instid0(VALU_DEP_3)
	v_or_b32_e32 v11, 12, v39
	v_or_b32_e32 v12, 8, v39
	s_add_u32 s1, s1, s8
	s_addc_u32 s4, s10, s9
	s_lshl_b64 s[10:11], s[2:3], 2
	v_lshrrev_b32_e32 v6, 3, v0
	s_add_u32 s72, s1, s10
	v_cmp_gt_u32_e32 vcc_lo, 32, v0
	v_cmp_gt_i32_e64 s1, 4, v36
	v_mad_u64_u32 v[18:19], null, s42, v11, 0
	v_mad_u64_u32 v[20:21], null, s42, v12, 0
	v_or_b32_e32 v24, 4, v39
	v_dual_mov_b32 v13, 0 :: v_dual_and_b32 v38, 0x7c, v6
	v_lshlrev_b64 v[6:7], v36, -1
	v_dual_mov_b32 v1, v3 :: v_dual_lshlrev_b32 v14, 2, v0
	s_addc_u32 s73, s4, s11
	s_waitcnt lgkmcnt(0)
	s_and_b32 s27, s5, 0xffff
	s_and_b32 s33, vcc_lo, s1
	s_bfe_u32 s12, s5, 0xb0005
	s_add_u32 s93, s27, -1
	s_addc_u32 s94, 0, -1
	v_mad_u64_u32 v[22:23], null, s42, v24, 0
	s_add_u32 s95, s93, s36
	v_mad_u64_u32 v[3:4], null, v0, s43, v[1:2]
	v_mov_b32_e32 v1, v13
	s_addc_u32 s25, s94, s37
	v_not_b32_e32 v40, v6
	v_dual_mov_b32 v6, v19 :: v_dual_mov_b32 v7, v21
	s_cmp_lt_u32 s13, s18
	v_dual_mov_b32 v8, v23 :: v_dual_add_nc_u32 v37, 0xc00, v14
	s_cselect_b32 s13, 12, 18
	s_delay_alu instid0(VALU_DEP_2)
	v_mad_u64_u32 v[9:10], null, s43, v11, v[6:7]
	s_add_u32 s74, s16, s13
	s_addc_u32 s75, s17, 0
	s_add_i32 s13, s12, -1
	s_bfe_u32 s96, s27, 0x30005
	s_cmp_gt_u32 s13, 6
	v_lshlrev_b64 v[4:5], 2, v[2:3]
	s_cselect_b32 s97, -1, 0
	s_and_b32 s98, s12, 0x7f8
	s_cmp_lg_u32 s96, 0
	v_mad_u64_u32 v[10:11], null, s43, v12, v[7:8]
	v_cmp_gt_u16_e64 s99, s5, 31
	s_cselect_b32 s100, -1, 0
	s_add_u32 s5, s6, s10
	v_mad_u64_u32 v[6:7], null, s43, v24, v[8:9]
	s_addc_u32 s6, s7, s11
	s_add_u32 s5, s5, s8
	v_add_co_u32 v16, vcc_lo, s72, v4
	s_addc_u32 s6, s6, s9
	s_add_u32 s76, s22, s5
	v_add_co_ci_u32_e32 v17, vcc_lo, s73, v5, vcc_lo
	v_add_co_u32 v42, s5, s36, v0
	s_addc_u32 s77, s23, s6
	v_mov_b32_e32 v21, v10
	v_add_co_u32 v10, vcc_lo, s76, v4
	v_cmp_lt_i64_e64 s92, 0x300, s[36:37]
	v_cmp_gt_u64_e64 s4, s[36:37], v[0:1]
	v_cmp_gt_i64_e64 s1, s[36:37], v[0:1]
	v_lshlrev_b64 v[23:24], 4, v[2:3]
	v_add_co_ci_u32_e64 v43, null, s37, 0, s5
	s_mul_i32 s5, s43, s27
	s_mul_hi_u32 s6, s42, s27
	v_cmp_eq_u32_e64 s2, 0, v36
	v_cmp_gt_u32_e64 s3, 2, v0
	v_mov_b32_e32 v15, v13
	v_mov_b32_e32 v19, v9
	;; [unrolled: 1-line block ×3, first 2 shown]
	v_lshl_or_b32 v44, v36, 3, 0xc00
	v_add_co_ci_u32_e32 v11, vcc_lo, s77, v5, vcc_lo
	v_mov_b32_e32 v25, 1.0
	v_cvt_f32_ubyte0_e32 v45, 0
	v_mov_b32_e32 v27, 0
	s_add_i32 s7, s6, s5
	s_mul_i32 s6, s42, s27
	s_lshl_b64 s[78:79], s[42:43], 2
	s_lshl_b64 s[80:81], s[42:43], 4
	;; [unrolled: 1-line block ×3, first 2 shown]
	s_lshl_b32 s101, s27, 2
	s_mov_b32 vcc_hi, 30
	s_mov_b32 s102, 0
	s_mov_b32 s65, 0
	;; [unrolled: 1-line block ×4, first 2 shown]
                                        ; implicit-def: $sgpr103
                                        ; implicit-def: $sgpr64
                                        ; implicit-def: $sgpr104
                                        ; implicit-def: $sgpr67
                                        ; implicit-def: $sgpr58
                                        ; implicit-def: $sgpr66
	s_branch .LBB54_33
.LBB54_29:                              ;   in Loop: Header=BB54_33 Depth=1
	s_xor_b32 s65, s65, 1
	s_add_i32 s8, vcc_hi, -2
	s_cmp_eq_u32 vcc_hi, 0
	s_mov_b32 s5, 0
	s_cselect_b32 s7, -1, 0
	s_mov_b32 vcc_hi, s8
.LBB54_30:                              ;   in Loop: Header=BB54_33 Depth=1
	s_and_not1_b32 s8, s15, exec_lo
	s_and_b32 s5, s5, exec_lo
	s_and_not1_b32 s21, s21, exec_lo
	s_or_b32 s15, s8, s5
	s_and_not1_b32 s14, s14, exec_lo
	s_or_not1_b32 s17, s7, exec_lo
.LBB54_31:                              ;   in Loop: Header=BB54_33 Depth=1
	s_or_b32 exec_lo, exec_lo, s6
	s_delay_alu instid0(SALU_CYCLE_1)
	s_and_not1_b32 s5, s66, exec_lo
	s_and_b32 s6, s15, exec_lo
	s_and_not1_b32 s7, s67, exec_lo
	s_or_b32 s66, s5, s6
	s_and_not1_b32 s5, s58, exec_lo
	s_and_b32 s6, s21, exec_lo
	s_and_b32 s8, s14, exec_lo
	s_or_b32 s58, s5, s6
	s_or_b32 s67, s7, s8
	s_or_not1_b32 s21, s17, exec_lo
.LBB54_32:                              ;   in Loop: Header=BB54_33 Depth=1
	s_or_b32 exec_lo, exec_lo, s16
	s_delay_alu instid0(SALU_CYCLE_1)
	s_and_b32 s5, exec_lo, s21
	v_mov_b32_e32 v2, s60
	s_or_b32 s102, s5, s102
	s_and_not1_b32 s5, s104, exec_lo
	s_and_b32 s6, s66, exec_lo
	s_and_not1_b32 s7, s103, exec_lo
	s_or_b32 s104, s5, s6
	s_and_not1_b32 s5, s64, exec_lo
	s_and_b32 s6, s58, exec_lo
	s_and_b32 s8, s67, exec_lo
	s_or_b32 s64, s5, s6
	s_or_b32 s103, s7, s8
	s_and_not1_b32 exec_lo, exec_lo, s102
	s_cbranch_execz .LBB54_302
.LBB54_33:                              ; =>This Loop Header: Depth=1
                                        ;     Child Loop BB54_41 Depth 2
                                        ;     Child Loop BB54_60 Depth 2
	;; [unrolled: 1-line block ×16, first 2 shown]
	ds_load_b128 v[2:5], v13 offset:5120
	s_waitcnt lgkmcnt(0)
	v_readfirstlane_b32 s83, v3
	v_readfirstlane_b32 s82, v2
	s_delay_alu instid0(VALU_DEP_1) | instskip(NEXT) | instid1(VALU_DEP_1)
	v_cmp_gt_i64_e64 s5, s[82:83], 0
	s_and_b32 vcc_lo, exec_lo, s5
	s_cbranch_vccnz .LBB54_67
; %bb.34:                               ;   in Loop: Header=BB54_33 Depth=1
	s_and_b32 vcc_lo, exec_lo, s92
	s_cbranch_vccz .LBB54_49
; %bb.35:                               ;   in Loop: Header=BB54_33 Depth=1
	v_cmp_gt_i64_e32 vcc_lo, 0x301, v[4:5]
	s_mov_b32 s7, 0
	s_mov_b32 s5, 0
	s_cbranch_vccz .LBB54_54
; %bb.36:                               ;   in Loop: Header=BB54_33 Depth=1
	v_mov_b32_e32 v6, 0
	s_and_saveexec_b32 s5, s4
	s_cbranch_execz .LBB54_38
; %bb.37:                               ;   in Loop: Header=BB54_33 Depth=1
	global_load_b32 v6, v[16:17], off
.LBB54_38:                              ;   in Loop: Header=BB54_33 Depth=1
	s_or_b32 exec_lo, exec_lo, s5
	s_and_saveexec_b32 s8, s4
	s_cbranch_execz .LBB54_50
; %bb.39:                               ;   in Loop: Header=BB54_33 Depth=1
	global_load_u16 v7, v13, s[74:75]
	s_mov_b32 s11, 0
	s_waitcnt vmcnt(0)
	v_readfirstlane_b32 s5, v7
	v_and_b32_e32 v7, 0xffff, v7
	s_delay_alu instid0(VALU_DEP_2) | instskip(NEXT) | instid1(SALU_CYCLE_1)
	s_and_b32 s5, 0xffff, s5
	v_add_nc_u32_e32 v8, s5, v0
	s_mul_i32 s6, s79, s5
	s_mul_hi_u32 s9, s78, s5
	s_mul_i32 s10, s78, s5
	s_add_i32 s9, s9, s6
	v_mad_u64_u32 v[2:3], null, s78, v8, s[76:77]
	s_delay_alu instid0(VALU_DEP_1) | instskip(NEXT) | instid1(VALU_DEP_1)
	v_mad_u64_u32 v[4:5], null, s79, v8, v[3:4]
	v_mov_b32_e32 v3, v4
	v_dual_mov_b32 v5, v1 :: v_dual_mov_b32 v4, v0
	s_branch .LBB54_41
.LBB54_40:                              ;   in Loop: Header=BB54_41 Depth=2
	s_or_b32 exec_lo, exec_lo, s6
	v_add_co_u32 v2, vcc_lo, v2, s10
	v_add_co_ci_u32_e32 v3, vcc_lo, s9, v3, vcc_lo
	s_waitcnt vmcnt(0)
	v_mov_b32_e32 v6, v8
	s_and_not1_b32 exec_lo, exec_lo, s11
	s_cbranch_execz .LBB54_50
.LBB54_41:                              ;   Parent Loop BB54_33 Depth=1
                                        ; =>  This Inner Loop Header: Depth=2
	s_delay_alu instid0(VALU_DEP_1) | instskip(NEXT) | instid1(VALU_DEP_2)
	v_add_co_u32 v4, vcc_lo, v4, v7
	v_add_co_ci_u32_e32 v5, vcc_lo, 0, v5, vcc_lo
	s_waitcnt lgkmcnt(0)
	v_dual_mov_b32 v9, 0 :: v_dual_mov_b32 v8, 0
	s_mov_b32 s6, exec_lo
	s_delay_alu instid0(VALU_DEP_2)
	v_cmp_le_i64_e32 vcc_lo, s[36:37], v[4:5]
	v_cmpx_gt_i64_e64 s[36:37], v[4:5]
	s_cbranch_execz .LBB54_43
; %bb.42:                               ;   in Loop: Header=BB54_41 Depth=2
	global_load_b32 v8, v[2:3], off
.LBB54_43:                              ;   in Loop: Header=BB54_41 Depth=2
	s_or_b32 exec_lo, exec_lo, s6
	v_cmp_lt_i32_e64 s5, -1, v6
	s_delay_alu instid0(VALU_DEP_1) | instskip(SKIP_1) | instid1(VALU_DEP_2)
	v_cndmask_b32_e64 v12, -1, 0x80000000, s5
	v_cmp_o_f32_e64 s5, v6, v6
	v_xor_b32_e32 v12, v12, v6
	s_delay_alu instid0(VALU_DEP_1) | instskip(NEXT) | instid1(VALU_DEP_1)
	v_cndmask_b32_e64 v12, -1, v12, s5
	v_and_b32_e32 v12, s59, v12
	s_delay_alu instid0(VALU_DEP_1) | instskip(NEXT) | instid1(VALU_DEP_1)
	v_cmp_eq_u32_e64 s5, s60, v12
	s_cmp_lg_u32 s5, 0
	s_cselect_b32 s6, -1, 0
	s_delay_alu instid0(SALU_CYCLE_1) | instskip(NEXT) | instid1(SALU_CYCLE_1)
	s_and_b32 s6, s2, s6
	s_and_saveexec_b32 s12, s6
	s_cbranch_execz .LBB54_47
; %bb.44:                               ;   in Loop: Header=BB54_41 Depth=2
	s_mov_b32 s15, exec_lo
	s_bcnt1_i32_b32 s13, s5
	v_mbcnt_lo_u32_b32 v9, s15, 0
	s_mov_b32 s14, exec_lo
                                        ; implicit-def: $vgpr12
	s_delay_alu instid0(VALU_DEP_1)
	v_cmpx_eq_u32_e32 0, v9
	s_cbranch_execz .LBB54_46
; %bb.45:                               ;   in Loop: Header=BB54_41 Depth=2
	s_bcnt1_i32_b32 s6, s15
	s_delay_alu instid0(SALU_CYCLE_1) | instskip(NEXT) | instid1(SALU_CYCLE_1)
	s_mul_i32 s6, s13, s6
	v_mov_b32_e32 v12, s6
	ds_add_rtn_u32 v12, v13, v12 offset:5136
.LBB54_46:                              ;   in Loop: Header=BB54_41 Depth=2
	s_or_b32 exec_lo, exec_lo, s14
	s_waitcnt lgkmcnt(0)
	v_readfirstlane_b32 s6, v12
	s_delay_alu instid0(VALU_DEP_1)
	v_mad_u32_u24 v9, s13, v9, s6
.LBB54_47:                              ;   in Loop: Header=BB54_41 Depth=2
	s_or_b32 exec_lo, exec_lo, s12
	ds_bpermute_b32 v9, v13, v9
	s_and_b32 s6, exec_lo, vcc_lo
	s_delay_alu instid0(SALU_CYCLE_1)
	s_or_b32 s11, s6, s11
	s_and_saveexec_b32 s6, s5
	s_cbranch_execz .LBB54_40
; %bb.48:                               ;   in Loop: Header=BB54_41 Depth=2
	v_and_b32_e32 v12, s5, v40
	s_delay_alu instid0(VALU_DEP_1) | instskip(NEXT) | instid1(VALU_DEP_1)
	v_bcnt_u32_b32 v12, v12, 0
	v_lshlrev_b32_e32 v12, 2, v12
	s_waitcnt lgkmcnt(0)
	s_delay_alu instid0(VALU_DEP_1)
	v_lshl_add_u32 v9, v9, 2, v12
	ds_store_b32 v9, v6
	s_branch .LBB54_40
.LBB54_49:                              ;   in Loop: Header=BB54_33 Depth=1
	s_mov_b32 s7, -1
	s_mov_b32 s5, 0
	s_branch .LBB54_53
.LBB54_50:                              ;   in Loop: Header=BB54_33 Depth=1
	s_or_b32 exec_lo, exec_lo, s8
	s_waitcnt vmcnt(0) lgkmcnt(0)
	s_barrier
	buffer_gl0_inv
	s_and_saveexec_b32 s5, s0
	s_cbranch_execz .LBB54_52
; %bb.51:                               ;   in Loop: Header=BB54_33 Depth=1
	ds_load_b32 v2, v13 offset:5136
	s_waitcnt lgkmcnt(0)
	v_ashrrev_i32_e32 v3, 31, v2
	ds_store_b64 v13, v[2:3] offset:5120
.LBB54_52:                              ;   in Loop: Header=BB54_33 Depth=1
	s_or_b32 exec_lo, exec_lo, s5
	s_waitcnt lgkmcnt(0)
	s_mov_b32 s5, -1
	s_barrier
.LBB54_53:                              ;   in Loop: Header=BB54_33 Depth=1
                                        ; implicit-def: $sgpr82_sgpr83
.LBB54_54:                              ;   in Loop: Header=BB54_33 Depth=1
	s_and_b32 vcc_lo, exec_lo, s7
	s_cbranch_vccz .LBB54_65
; %bb.55:                               ;   in Loop: Header=BB54_33 Depth=1
	v_mov_b32_e32 v6, 0
	s_and_saveexec_b32 s5, s1
	s_cbranch_execz .LBB54_57
; %bb.56:                               ;   in Loop: Header=BB54_33 Depth=1
	global_load_b32 v6, v[16:17], off
.LBB54_57:                              ;   in Loop: Header=BB54_33 Depth=1
	s_or_b32 exec_lo, exec_lo, s5
	s_and_saveexec_b32 s6, s1
	s_cbranch_execz .LBB54_62
; %bb.58:                               ;   in Loop: Header=BB54_33 Depth=1
	global_load_u16 v8, v13, s[74:75]
	s_mov_b32 s10, 0
	s_waitcnt vmcnt(0)
	v_readfirstlane_b32 s5, v8
	v_and_b32_e32 v8, 0xffff, v8
	s_delay_alu instid0(VALU_DEP_2) | instskip(NEXT) | instid1(SALU_CYCLE_1)
	s_and_b32 s5, 0xffff, s5
	v_add_nc_u32_e32 v7, s5, v0
	s_mul_i32 s8, s79, s5
	s_mul_hi_u32 s9, s78, s5
	s_lshl_b32 s7, s5, 2
	s_add_i32 s8, s9, s8
	v_mad_u64_u32 v[2:3], null, s78, v7, s[76:77]
	s_mul_i32 s9, s78, s5
	s_delay_alu instid0(VALU_DEP_1) | instskip(SKIP_1) | instid1(VALU_DEP_2)
	v_mad_u64_u32 v[4:5], null, s79, v7, v[3:4]
	v_mov_b32_e32 v7, v14
	v_mov_b32_e32 v3, v4
	v_dual_mov_b32 v5, v1 :: v_dual_mov_b32 v4, v0
	s_branch .LBB54_60
	.p2align	6
.LBB54_59:                              ;   in Loop: Header=BB54_60 Depth=2
	s_or_b32 exec_lo, exec_lo, s11
	s_delay_alu instid0(SALU_CYCLE_1)
	s_and_b32 s5, exec_lo, vcc_lo
	v_add_co_u32 v2, vcc_lo, v2, s9
	ds_store_b32 v7, v6
	s_waitcnt vmcnt(0)
	v_dual_mov_b32 v6, v9 :: v_dual_add_nc_u32 v7, s7, v7
	v_add_co_ci_u32_e32 v3, vcc_lo, s8, v3, vcc_lo
	s_or_b32 s10, s5, s10
	s_delay_alu instid0(SALU_CYCLE_1)
	s_and_not1_b32 exec_lo, exec_lo, s10
	s_cbranch_execz .LBB54_62
.LBB54_60:                              ;   Parent Loop BB54_33 Depth=1
                                        ; =>  This Inner Loop Header: Depth=2
	s_delay_alu instid0(VALU_DEP_1) | instskip(NEXT) | instid1(VALU_DEP_2)
	v_add_co_u32 v4, vcc_lo, v4, v8
	v_add_co_ci_u32_e32 v5, vcc_lo, 0, v5, vcc_lo
	v_mov_b32_e32 v9, 0
	s_mov_b32 s11, exec_lo
	s_delay_alu instid0(VALU_DEP_2)
	v_cmp_le_i64_e32 vcc_lo, s[36:37], v[4:5]
	v_cmpx_gt_i64_e64 s[36:37], v[4:5]
	s_cbranch_execz .LBB54_59
; %bb.61:                               ;   in Loop: Header=BB54_60 Depth=2
	global_load_b32 v9, v[2:3], off
	s_branch .LBB54_59
.LBB54_62:                              ;   in Loop: Header=BB54_33 Depth=1
	s_or_b32 exec_lo, exec_lo, s6
	s_waitcnt vmcnt(0) lgkmcnt(0)
	s_barrier
	buffer_gl0_inv
	s_and_saveexec_b32 s5, s0
	s_cbranch_execz .LBB54_64
; %bb.63:                               ;   in Loop: Header=BB54_33 Depth=1
	v_dual_mov_b32 v2, s36 :: v_dual_mov_b32 v3, s37
	ds_store_b64 v13, v[2:3] offset:5120
.LBB54_64:                              ;   in Loop: Header=BB54_33 Depth=1
	s_or_b32 exec_lo, exec_lo, s5
	s_mov_b32 s5, -1
	s_waitcnt lgkmcnt(0)
	s_barrier
                                        ; implicit-def: $sgpr82_sgpr83
.LBB54_65:                              ;   in Loop: Header=BB54_33 Depth=1
	s_and_b32 vcc_lo, exec_lo, s5
	s_cbranch_vccz .LBB54_67
; %bb.66:                               ;   in Loop: Header=BB54_33 Depth=1
	buffer_gl0_inv
	ds_load_b64 v[2:3], v13 offset:5120
	s_waitcnt lgkmcnt(0)
	v_readfirstlane_b32 s82, v2
.LBB54_67:                              ;   in Loop: Header=BB54_33 Depth=1
	s_delay_alu instid0(VALU_DEP_1)
	s_cmp_lt_i32 s82, 1
	s_cbranch_scc0 .LBB54_82
; %bb.68:                               ;   in Loop: Header=BB54_33 Depth=1
	global_load_u16 v4, v13, s[74:75]
	s_mov_b32 s6, s69
	s_mov_b32 s7, s37
	s_waitcnt vmcnt(0)
	v_readfirstlane_b32 s5, v4
	s_delay_alu instid0(VALU_DEP_1) | instskip(NEXT) | instid1(SALU_CYCLE_1)
	s_and_b32 s5, 0xffff, s5
	s_lshl_b32 s24, s5, 2
	s_cmp_lg_u64 s[6:7], 0
	s_cbranch_scc0 .LBB54_102
; %bb.69:                               ;   in Loop: Header=BB54_33 Depth=1
	v_cvt_f32_u32_e32 v2, s24
	s_sub_u32 s7, 0, s24
	s_subb_u32 s8, 0, 0
	s_delay_alu instid0(VALU_DEP_1) | instskip(NEXT) | instid1(VALU_DEP_1)
	v_fmac_f32_e32 v2, 0x4f800000, v45
	v_rcp_f32_e32 v2, v2
	s_waitcnt_depctr 0xfff
	v_mul_f32_e32 v2, 0x5f7ffffc, v2
	s_delay_alu instid0(VALU_DEP_1) | instskip(NEXT) | instid1(VALU_DEP_1)
	v_mul_f32_e32 v3, 0x2f800000, v2
	v_trunc_f32_e32 v3, v3
	s_delay_alu instid0(VALU_DEP_1) | instskip(SKIP_1) | instid1(VALU_DEP_2)
	v_fmac_f32_e32 v2, 0xcf800000, v3
	v_cvt_u32_f32_e32 v3, v3
	v_cvt_u32_f32_e32 v2, v2
	s_delay_alu instid0(VALU_DEP_2) | instskip(NEXT) | instid1(VALU_DEP_2)
	v_readfirstlane_b32 s5, v3
	v_readfirstlane_b32 s6, v2
	s_delay_alu instid0(VALU_DEP_2) | instskip(NEXT) | instid1(VALU_DEP_1)
	s_mul_i32 s9, s7, s5
	s_mul_hi_u32 s11, s7, s6
	s_mul_i32 s10, s8, s6
	s_add_i32 s9, s11, s9
	s_mul_i32 s12, s7, s6
	s_add_i32 s9, s9, s10
	s_mul_hi_u32 s11, s6, s12
	s_mul_hi_u32 s13, s5, s12
	s_mul_i32 s10, s5, s12
	s_mul_hi_u32 s12, s6, s9
	s_mul_i32 s6, s6, s9
	s_mul_hi_u32 s14, s5, s9
	s_add_u32 s6, s11, s6
	s_addc_u32 s11, 0, s12
	s_add_u32 s6, s6, s10
	s_mul_i32 s9, s5, s9
	s_addc_u32 s6, s11, s13
	s_addc_u32 s10, s14, 0
	s_add_u32 s6, s6, s9
	s_addc_u32 s9, 0, s10
	v_add_co_u32 v2, s6, v2, s6
	s_delay_alu instid0(VALU_DEP_1) | instskip(SKIP_1) | instid1(VALU_DEP_1)
	s_cmp_lg_u32 s6, 0
	s_addc_u32 s5, s5, s9
	v_readfirstlane_b32 s6, v2
	s_mul_i32 s9, s7, s5
	s_delay_alu instid0(VALU_DEP_1)
	s_mul_hi_u32 s10, s7, s6
	s_mul_i32 s8, s8, s6
	s_add_i32 s9, s10, s9
	s_mul_i32 s7, s7, s6
	s_add_i32 s9, s9, s8
	s_mul_hi_u32 s10, s5, s7
	s_mul_i32 s11, s5, s7
	s_mul_hi_u32 s7, s6, s7
	s_mul_hi_u32 s12, s6, s9
	s_mul_i32 s6, s6, s9
	s_mul_hi_u32 s8, s5, s9
	s_add_u32 s6, s7, s6
	s_addc_u32 s7, 0, s12
	s_add_u32 s6, s6, s11
	s_mul_i32 s9, s5, s9
	s_addc_u32 s6, s7, s10
	s_addc_u32 s7, s8, 0
	s_add_u32 s6, s6, s9
	s_addc_u32 s7, 0, s7
	v_add_co_u32 v2, s6, v2, s6
	s_delay_alu instid0(VALU_DEP_1) | instskip(SKIP_2) | instid1(VALU_DEP_1)
	s_cmp_lg_u32 s6, 0
	s_addc_u32 s5, s5, s7
	s_ashr_i32 s6, s37, 31
	v_readfirstlane_b32 s10, v2
	s_add_u32 s8, s36, s6
	s_mov_b32 s7, s6
	s_addc_u32 s9, s37, s6
	s_delay_alu instid0(SALU_CYCLE_1) | instskip(NEXT) | instid1(SALU_CYCLE_1)
	s_xor_b64 s[8:9], s[8:9], s[6:7]
	s_mul_i32 s11, s8, s5
	s_mul_hi_u32 s12, s8, s10
	s_mul_hi_u32 s7, s8, s5
	;; [unrolled: 1-line block ×3, first 2 shown]
	s_mul_i32 s10, s9, s10
	s_add_u32 s11, s12, s11
	s_addc_u32 s7, 0, s7
	s_mul_hi_u32 s13, s9, s5
	s_add_u32 s10, s11, s10
	s_mul_i32 s5, s9, s5
	s_addc_u32 s7, s7, s14
	s_addc_u32 s10, s13, 0
	s_add_u32 s5, s7, s5
	s_addc_u32 s7, 0, s10
	s_mul_hi_u32 s10, s24, s5
	s_mul_i32 s5, s24, s5
	s_mul_i32 s7, s24, s7
	v_sub_co_u32 v2, s5, s8, s5
	s_add_i32 s10, s10, s7
	s_cmp_lg_u32 s5, 0
	s_delay_alu instid0(VALU_DEP_1) | instskip(SKIP_2) | instid1(VALU_DEP_1)
	v_sub_co_u32 v3, s5, v2, s24
	s_subb_u32 s7, s9, s10
	s_cmp_lg_u32 s5, 0
	v_cmp_le_u32_e32 vcc_lo, s24, v3
	v_sub_co_u32 v5, s5, v3, s24
	s_subb_u32 s8, s7, 0
	s_cmp_lg_u32 s5, 0
	v_cndmask_b32_e64 v6, 0, -1, vcc_lo
	s_subb_u32 s5, s8, 0
	s_cmp_eq_u32 s8, 0
	v_mov_b32_e32 v8, s5
	s_cselect_b32 vcc_lo, -1, 0
	s_cmp_eq_u32 s7, 0
	v_cndmask_b32_e32 v6, -1, v6, vcc_lo
	v_cmp_le_u32_e32 vcc_lo, s24, v2
	s_cselect_b32 s5, -1, 0
	v_cndmask_b32_e64 v7, 0, -1, vcc_lo
	s_delay_alu instid0(VALU_DEP_3) | instskip(NEXT) | instid1(VALU_DEP_2)
	v_cmp_ne_u32_e32 vcc_lo, 0, v6
	v_cndmask_b32_e64 v6, -1, v7, s5
	v_cndmask_b32_e32 v7, s8, v8, vcc_lo
	v_cndmask_b32_e32 v3, v3, v5, vcc_lo
	s_delay_alu instid0(VALU_DEP_3) | instskip(NEXT) | instid1(VALU_DEP_2)
	v_cmp_ne_u32_e32 vcc_lo, 0, v6
	v_cndmask_b32_e32 v2, v2, v3, vcc_lo
	s_delay_alu instid0(VALU_DEP_4) | instskip(NEXT) | instid1(VALU_DEP_2)
	v_cndmask_b32_e32 v5, s7, v7, vcc_lo
	v_xor_b32_e32 v2, s6, v2
	s_delay_alu instid0(VALU_DEP_2) | instskip(NEXT) | instid1(VALU_DEP_2)
	v_xor_b32_e32 v3, s6, v5
	v_sub_co_u32 v28, vcc_lo, v2, s6
	s_delay_alu instid0(VALU_DEP_2)
	v_subrev_co_ci_u32_e32 v29, vcc_lo, s6, v3, vcc_lo
	s_cbranch_execnz .LBB54_71
.LBB54_70:                              ;   in Loop: Header=BB54_33 Depth=1
	v_cvt_f32_u32_e32 v2, s24
	s_sub_i32 s5, 0, s24
	s_delay_alu instid0(VALU_DEP_1) | instskip(SKIP_2) | instid1(VALU_DEP_1)
	v_rcp_iflag_f32_e32 v2, v2
	s_waitcnt_depctr 0xfff
	v_mul_f32_e32 v2, 0x4f7ffffe, v2
	v_cvt_u32_f32_e32 v2, v2
	s_delay_alu instid0(VALU_DEP_1) | instskip(NEXT) | instid1(VALU_DEP_1)
	v_mul_lo_u32 v3, s5, v2
	v_mul_hi_u32 v3, v2, v3
	s_delay_alu instid0(VALU_DEP_1) | instskip(NEXT) | instid1(VALU_DEP_1)
	v_add_nc_u32_e32 v2, v2, v3
	v_mul_hi_u32 v2, s36, v2
	s_delay_alu instid0(VALU_DEP_1) | instskip(NEXT) | instid1(VALU_DEP_1)
	v_mul_lo_u32 v2, v2, s24
	v_sub_nc_u32_e32 v2, s36, v2
	s_delay_alu instid0(VALU_DEP_1) | instskip(SKIP_1) | instid1(VALU_DEP_2)
	v_subrev_nc_u32_e32 v3, s24, v2
	v_cmp_le_u32_e32 vcc_lo, s24, v2
	v_cndmask_b32_e32 v2, v2, v3, vcc_lo
	s_delay_alu instid0(VALU_DEP_1) | instskip(SKIP_1) | instid1(VALU_DEP_2)
	v_subrev_nc_u32_e32 v3, s24, v2
	v_cmp_le_u32_e32 vcc_lo, s24, v2
	v_cndmask_b32_e32 v12, v2, v3, vcc_lo
	s_delay_alu instid0(VALU_DEP_1)
	v_dual_mov_b32 v29, v13 :: v_dual_mov_b32 v28, v12
.LBB54_71:                              ;   in Loop: Header=BB54_33 Depth=1
	v_mov_b32_e32 v2, 0
	v_dual_mov_b32 v3, 0 :: v_dual_and_b32 v12, 0xffff, v4
	s_delay_alu instid0(VALU_DEP_3) | instskip(NEXT) | instid1(VALU_DEP_4)
	v_sub_co_u32 v30, vcc_lo, s36, v28
	v_sub_co_ci_u32_e32 v31, vcc_lo, s37, v29, vcc_lo
	s_delay_alu instid0(VALU_DEP_3)
	v_dual_mov_b32 v5, v3 :: v_dual_mov_b32 v4, v2
	v_dual_mov_b32 v7, v3 :: v_dual_mov_b32 v6, v2
	;; [unrolled: 1-line block ×3, first 2 shown]
	s_mov_b64 s[84:85], 0
	s_mov_b32 s61, exec_lo
	v_cmpx_gt_i64_e64 v[30:31], v[14:15]
	s_cbranch_execz .LBB54_75
; %bb.72:                               ;   in Loop: Header=BB54_33 Depth=1
	v_mul_lo_u32 v2, s81, v12
	v_mul_hi_u32 v3, s80, v12
	v_mul_lo_u32 v26, s80, v12
	v_dual_mov_b32 v32, s72 :: v_dual_mov_b32 v33, s73
	v_dual_mov_b32 v35, v15 :: v_dual_mov_b32 v34, v14
	s_and_b32 s68, vcc_hi, 0xfe
	s_mov_b32 s83, 0
	s_delay_alu instid0(VALU_DEP_4)
	v_add_nc_u32_e32 v46, v3, v2
	s_mov_b64 s[86:87], 0
	s_mov_b64 s[88:89], 0
	;; [unrolled: 1-line block ×3, first 2 shown]
.LBB54_73:                              ;   Parent Loop BB54_33 Depth=1
                                        ; =>  This Inner Loop Header: Depth=2
	v_add_co_u32 v2, vcc_lo, v32, v23
	v_add_co_ci_u32_e32 v3, vcc_lo, v33, v24, vcc_lo
	global_load_b32 v4, v[2:3], off
	v_add_co_u32 v2, vcc_lo, v32, v22
	v_add_co_ci_u32_e32 v3, vcc_lo, v33, v41, vcc_lo
	global_load_b32 v5, v[2:3], off
	v_add_co_u32 v2, vcc_lo, v32, v20
	v_add_co_ci_u32_e32 v3, vcc_lo, v33, v21, vcc_lo
	global_load_b32 v6, v[2:3], off
	v_add_co_u32 v2, vcc_lo, v32, v18
	v_add_co_ci_u32_e32 v3, vcc_lo, v33, v19, vcc_lo
	global_load_b32 v2, v[2:3], off
	s_waitcnt vmcnt(3)
	v_cmp_lt_i32_e32 vcc_lo, -1, v4
	v_cmp_o_f32_e64 s5, v4, v4
	v_cndmask_b32_e64 v3, -1, 0x80000000, vcc_lo
	s_waitcnt vmcnt(2)
	v_cmp_lt_i32_e32 vcc_lo, -1, v5
	v_cmp_o_f32_e64 s6, v5, v5
	s_delay_alu instid0(VALU_DEP_3) | instskip(SKIP_1) | instid1(VALU_DEP_2)
	v_xor_b32_e32 v3, v3, v4
	v_cndmask_b32_e64 v4, -1, 0x80000000, vcc_lo
	v_cndmask_b32_e64 v3, -1, v3, s5
	s_waitcnt vmcnt(1)
	v_cmp_lt_i32_e32 vcc_lo, -1, v6
	v_cmp_o_f32_e64 s7, v6, v6
	v_xor_b32_e32 v4, v4, v5
	v_cndmask_b32_e64 v5, -1, 0x80000000, vcc_lo
	s_delay_alu instid0(VALU_DEP_2)
	v_cndmask_b32_e64 v4, -1, v4, s6
	s_waitcnt vmcnt(0)
	v_cmp_lt_i32_e32 vcc_lo, -1, v2
	v_cmp_o_f32_e64 s8, v2, v2
	v_xor_b32_e32 v5, v5, v6
	v_cndmask_b32_e64 v6, -1, 0x80000000, vcc_lo
	s_delay_alu instid0(VALU_DEP_2) | instskip(NEXT) | instid1(VALU_DEP_2)
	v_cndmask_b32_e64 v5, -1, v5, s7
	v_xor_b32_e32 v2, v6, v2
	v_and_b32_e32 v6, s59, v3
	v_bfe_u32 v3, v3, s68, 2
	s_delay_alu instid0(VALU_DEP_3) | instskip(NEXT) | instid1(VALU_DEP_3)
	v_cndmask_b32_e64 v2, -1, v2, s8
	v_cmp_eq_u32_e32 vcc_lo, s60, v6
	v_and_b32_e32 v6, s59, v4
	s_delay_alu instid0(VALU_DEP_4)
	v_cmp_eq_u32_e64 s8, 0, v3
	v_cmp_eq_u32_e64 s9, 1, v3
	;; [unrolled: 1-line block ×5, first 2 shown]
	v_and_b32_e32 v6, s59, v5
	v_bfe_u32 v3, v4, s68, 2
	s_and_b32 s8, vcc_lo, s8
	s_delay_alu instid0(VALU_DEP_2)
	v_cmp_eq_u32_e64 s6, s60, v6
	v_and_b32_e32 v6, s59, v2
	v_bfe_u32 v2, v2, s68, 2
	v_cmp_eq_u32_e64 s12, 0, v3
	v_cmp_eq_u32_e64 s13, 1, v3
	;; [unrolled: 1-line block ×4, first 2 shown]
	v_bfe_u32 v3, v5, s68, 2
	v_cmp_eq_u32_e64 s20, 0, v2
	v_cmp_eq_u32_e64 s21, 1, v2
	;; [unrolled: 1-line block ×4, first 2 shown]
	v_cndmask_b32_e64 v2, 0, 1, s8
	v_cmp_eq_u32_e64 s16, 0, v3
	s_and_b32 s12, s5, s12
	v_cmp_eq_u32_e64 s7, s60, v6
	v_cmp_eq_u32_e64 s17, 1, v3
	v_cmp_ne_u32_e64 s8, 0, v2
	v_cndmask_b32_e64 v2, 0, 1, s12
	s_and_b32 s16, s6, s16
	s_and_b32 s20, s7, s20
	v_cmp_eq_u32_e64 s18, 2, v3
	s_bcnt1_i32_b32 s8, s8
	v_cmp_ne_u32_e64 s12, 0, v2
	v_cndmask_b32_e64 v2, 0, 1, s16
	v_cmp_eq_u32_e64 s19, 3, v3
	s_delay_alu instid0(VALU_DEP_3) | instskip(NEXT) | instid1(VALU_DEP_2)
	s_bcnt1_i32_b32 s12, s12
	v_cmp_ne_u32_e64 s16, 0, v2
	v_cndmask_b32_e64 v2, 0, 1, s20
	s_add_i32 s8, s12, s8
	s_delay_alu instid0(VALU_DEP_2) | instskip(NEXT) | instid1(VALU_DEP_1)
	s_bcnt1_i32_b32 s16, s16
	v_cmp_ne_u32_e64 s20, 0, v2
	s_add_i32 s8, s8, s16
	s_delay_alu instid0(VALU_DEP_1) | instskip(NEXT) | instid1(SALU_CYCLE_1)
	s_bcnt1_i32_b32 s20, s20
	s_add_i32 s8, s8, s20
	s_delay_alu instid0(SALU_CYCLE_1)
	s_add_u32 s90, s90, s8
	s_addc_u32 s91, s91, 0
	s_and_b32 s8, vcc_lo, s9
	s_and_b32 s9, s5, s13
	v_cndmask_b32_e64 v2, 0, 1, s8
	s_and_b32 s12, s6, s17
	s_and_b32 s13, s7, s21
	s_delay_alu instid0(VALU_DEP_1) | instskip(SKIP_1) | instid1(VALU_DEP_2)
	v_cmp_ne_u32_e64 s8, 0, v2
	v_cndmask_b32_e64 v2, 0, 1, s9
	s_bcnt1_i32_b32 s8, s8
	s_delay_alu instid0(VALU_DEP_1) | instskip(SKIP_1) | instid1(VALU_DEP_2)
	v_cmp_ne_u32_e64 s9, 0, v2
	v_cndmask_b32_e64 v2, 0, 1, s12
	s_bcnt1_i32_b32 s9, s9
	s_delay_alu instid0(VALU_DEP_1) | instskip(SKIP_2) | instid1(VALU_DEP_2)
	v_cmp_ne_u32_e64 s12, 0, v2
	v_cndmask_b32_e64 v2, 0, 1, s13
	s_add_i32 s8, s9, s8
	s_bcnt1_i32_b32 s12, s12
	s_delay_alu instid0(VALU_DEP_1) | instskip(SKIP_1) | instid1(VALU_DEP_1)
	v_cmp_ne_u32_e64 s13, 0, v2
	s_add_i32 s8, s8, s12
	s_bcnt1_i32_b32 s13, s13
	s_delay_alu instid0(SALU_CYCLE_1) | instskip(NEXT) | instid1(SALU_CYCLE_1)
	s_add_i32 s8, s8, s13
	s_add_u32 s88, s88, s8
	s_addc_u32 s89, s89, 0
	s_and_b32 s8, vcc_lo, s10
	s_and_b32 s9, s5, s14
	v_cndmask_b32_e64 v2, 0, 1, s8
	s_and_b32 s10, s6, s18
	s_and_b32 s12, s7, s22
	v_dual_mov_b32 v4, s88 :: v_dual_mov_b32 v5, s89
	s_delay_alu instid0(VALU_DEP_2) | instskip(SKIP_1) | instid1(VALU_DEP_2)
	v_cmp_ne_u32_e64 s8, 0, v2
	v_cndmask_b32_e64 v2, 0, 1, s9
	s_bcnt1_i32_b32 s8, s8
	s_delay_alu instid0(VALU_DEP_1) | instskip(SKIP_1) | instid1(VALU_DEP_2)
	v_cmp_ne_u32_e64 s9, 0, v2
	v_cndmask_b32_e64 v2, 0, 1, s10
	s_bcnt1_i32_b32 s9, s9
	s_delay_alu instid0(VALU_DEP_1) | instskip(SKIP_3) | instid1(VALU_DEP_3)
	v_cmp_ne_u32_e64 s10, 0, v2
	v_cndmask_b32_e64 v2, 0, 1, s12
	s_add_i32 s8, s9, s8
	v_add_co_u32 v32, s9, v32, v26
	s_bcnt1_i32_b32 s10, s10
	s_delay_alu instid0(VALU_DEP_2) | instskip(SKIP_1) | instid1(VALU_DEP_1)
	v_cmp_ne_u32_e64 s12, 0, v2
	s_add_i32 s8, s8, s10
	s_bcnt1_i32_b32 s12, s12
	s_delay_alu instid0(SALU_CYCLE_1) | instskip(NEXT) | instid1(SALU_CYCLE_1)
	s_add_i32 s8, s8, s12
	s_add_u32 s86, s86, s8
	s_addc_u32 s87, s87, 0
	s_and_b32 s8, vcc_lo, s11
	s_and_b32 s5, s5, s15
	v_cndmask_b32_e64 v2, 0, 1, s8
	s_and_b32 s6, s6, s19
	s_and_b32 s7, s7, s23
	v_add_co_u32 v34, s8, v34, s24
	s_delay_alu instid0(VALU_DEP_2) | instskip(SKIP_3) | instid1(VALU_DEP_3)
	v_cmp_ne_u32_e32 vcc_lo, 0, v2
	v_cndmask_b32_e64 v2, 0, 1, s5
	v_add_co_ci_u32_e64 v35, s8, 0, v35, s8
	v_add_co_ci_u32_e64 v33, s8, v33, v46, s9
	v_cmp_ne_u32_e64 s5, 0, v2
	v_cndmask_b32_e64 v2, 0, 1, s6
	s_bcnt1_i32_b32 s9, vcc_lo
	v_cmp_ge_i64_e64 s8, v[34:35], v[30:31]
	v_mov_b32_e32 v6, s86
	s_bcnt1_i32_b32 s5, s5
	v_cmp_ne_u32_e64 s6, 0, v2
	v_cndmask_b32_e64 v2, 0, 1, s7
	s_add_i32 s5, s5, s9
	v_mov_b32_e32 v7, s87
	s_delay_alu instid0(VALU_DEP_3) | instskip(NEXT) | instid1(VALU_DEP_2)
	s_bcnt1_i32_b32 s6, s6
	v_cmp_ne_u32_e64 s7, 0, v2
	s_add_i32 s5, s5, s6
	v_dual_mov_b32 v2, s90 :: v_dual_mov_b32 v3, s91
	s_delay_alu instid0(VALU_DEP_2) | instskip(NEXT) | instid1(SALU_CYCLE_1)
	s_bcnt1_i32_b32 s7, s7
	s_add_i32 s5, s5, s7
	s_delay_alu instid0(SALU_CYCLE_1) | instskip(SKIP_1) | instid1(SALU_CYCLE_1)
	s_add_u32 s84, s84, s5
	s_addc_u32 s85, s85, 0
	v_dual_mov_b32 v8, s84 :: v_dual_mov_b32 v9, s85
	s_or_b32 s83, s8, s83
	s_delay_alu instid0(SALU_CYCLE_1)
	s_and_not1_b32 exec_lo, exec_lo, s83
	s_cbranch_execnz .LBB54_73
; %bb.74:                               ;   in Loop: Header=BB54_33 Depth=1
	s_or_b32 exec_lo, exec_lo, s83
.LBB54_75:                              ;   in Loop: Header=BB54_33 Depth=1
	s_delay_alu instid0(SALU_CYCLE_1) | instskip(SKIP_3) | instid1(VALU_DEP_2)
	s_or_b32 exec_lo, exec_lo, s61
	v_add_co_u32 v30, vcc_lo, v30, v0
	v_add_co_ci_u32_e32 v31, vcc_lo, 0, v31, vcc_lo
	v_mov_b32_e32 v34, 0
	v_cmp_gt_i64_e32 vcc_lo, s[36:37], v[30:31]
	s_and_saveexec_b32 s6, vcc_lo
	s_cbranch_execz .LBB54_77
; %bb.76:                               ;   in Loop: Header=BB54_33 Depth=1
	v_mul_lo_u32 v26, v31, s42
	v_mul_lo_u32 v34, v30, s43
	v_mad_u64_u32 v[32:33], null, v30, s42, 0
	s_delay_alu instid0(VALU_DEP_1) | instskip(NEXT) | instid1(VALU_DEP_1)
	v_add3_u32 v33, v33, v34, v26
	v_lshlrev_b64 v[32:33], 2, v[32:33]
	s_delay_alu instid0(VALU_DEP_1) | instskip(NEXT) | instid1(VALU_DEP_1)
	v_add_co_u32 v32, s5, s72, v32
	v_add_co_ci_u32_e64 v33, s5, s73, v33, s5
	global_load_b32 v34, v[32:33], off
.LBB54_77:                              ;   in Loop: Header=BB54_33 Depth=1
	s_or_b32 exec_lo, exec_lo, s6
	s_and_saveexec_b32 s9, vcc_lo
	s_cbranch_execz .LBB54_84
; %bb.78:                               ;   in Loop: Header=BB54_33 Depth=1
	v_add_co_u32 v26, vcc_lo, v42, v12
	v_add_co_ci_u32_e32 v32, vcc_lo, 0, v43, vcc_lo
	v_mul_lo_u32 v35, s79, v12
	s_delay_alu instid0(VALU_DEP_3) | instskip(NEXT) | instid1(VALU_DEP_3)
	v_sub_co_u32 v26, vcc_lo, v26, v28
	v_sub_co_ci_u32_e32 v28, vcc_lo, v32, v29, vcc_lo
	v_mul_hi_u32 v46, s78, v12
	s_delay_alu instid0(VALU_DEP_3) | instskip(SKIP_1) | instid1(VALU_DEP_3)
	v_mul_lo_u32 v33, s79, v26
	s_and_b32 s11, vcc_hi, 0xfe
	v_mul_lo_u32 v32, s78, v28
	v_mad_u64_u32 v[28:29], null, s78, v26, s[76:77]
	v_mul_lo_u32 v26, s78, v12
	s_mov_b32 s10, 0
	s_delay_alu instid0(VALU_DEP_2)
	v_add3_u32 v29, v33, v29, v32
	v_add_nc_u32_e32 v32, v46, v35
	s_branch .LBB54_80
.LBB54_79:                              ;   in Loop: Header=BB54_80 Depth=2
	s_or_b32 exec_lo, exec_lo, s6
	s_waitcnt vmcnt(0)
	v_cmp_lt_i32_e64 s5, -1, v34
	s_and_b32 s6, exec_lo, vcc_lo
	s_delay_alu instid0(SALU_CYCLE_1) | instskip(NEXT) | instid1(VALU_DEP_1)
	s_or_b32 s10, s6, s10
	v_cndmask_b32_e64 v35, -1, 0x80000000, s5
	v_cmp_o_f32_e64 s5, v34, v34
	s_delay_alu instid0(VALU_DEP_2) | instskip(NEXT) | instid1(VALU_DEP_1)
	v_xor_b32_e32 v35, v35, v34
	v_cndmask_b32_e64 v34, -1, v35, s5
	s_delay_alu instid0(VALU_DEP_1) | instskip(SKIP_1) | instid1(VALU_DEP_2)
	v_and_b32_e32 v35, s59, v34
	v_bfe_u32 v34, v34, s11, 2
	v_cmp_eq_u32_e32 vcc_lo, s60, v35
	s_delay_alu instid0(VALU_DEP_2) | instskip(SKIP_3) | instid1(VALU_DEP_4)
	v_cmp_eq_u32_e64 s5, 0, v34
	v_cmp_eq_u32_e64 s6, 1, v34
	;; [unrolled: 1-line block ×4, first 2 shown]
	s_and_b32 s5, vcc_lo, s5
	s_delay_alu instid0(SALU_CYCLE_1) | instskip(SKIP_1) | instid1(SALU_CYCLE_1)
	v_cndmask_b32_e64 v34, 0, 1, s5
	s_and_b32 s5, vcc_lo, s6
	v_cndmask_b32_e64 v35, 0, 1, s5
	s_and_b32 s5, vcc_lo, s7
	s_delay_alu instid0(SALU_CYCLE_1)
	v_cndmask_b32_e64 v46, 0, 1, s5
	s_and_b32 s5, vcc_lo, s8
	v_cmp_ne_u32_e32 vcc_lo, 0, v34
	v_mov_b32_e32 v34, v33
	v_cndmask_b32_e64 v47, 0, 1, s5
	v_cmp_ne_u32_e64 s5, 0, v35
	v_cmp_ne_u32_e64 s6, 0, v46
	s_bcnt1_i32_b32 s8, vcc_lo
	s_delay_alu instid0(SALU_CYCLE_1) | instskip(NEXT) | instid1(VALU_DEP_3)
	v_add_co_u32 v2, vcc_lo, v2, s8
	s_bcnt1_i32_b32 s5, s5
	v_cmp_ne_u32_e64 s7, 0, v47
	v_add_co_ci_u32_e32 v3, vcc_lo, 0, v3, vcc_lo
	v_add_co_u32 v4, vcc_lo, v4, s5
	s_bcnt1_i32_b32 s6, s6
	v_add_co_ci_u32_e32 v5, vcc_lo, 0, v5, vcc_lo
	v_add_co_u32 v6, vcc_lo, v6, s6
	s_bcnt1_i32_b32 s5, s7
	v_add_co_ci_u32_e32 v7, vcc_lo, 0, v7, vcc_lo
	v_add_co_u32 v8, vcc_lo, v8, s5
	v_add_co_ci_u32_e32 v9, vcc_lo, 0, v9, vcc_lo
	v_add_co_u32 v28, vcc_lo, v28, v26
	v_add_co_ci_u32_e32 v29, vcc_lo, v29, v32, vcc_lo
	s_and_not1_b32 exec_lo, exec_lo, s10
	s_cbranch_execz .LBB54_83
.LBB54_80:                              ;   Parent Loop BB54_33 Depth=1
                                        ; =>  This Inner Loop Header: Depth=2
	v_add_co_u32 v30, vcc_lo, v30, v12
	v_add_co_ci_u32_e32 v31, vcc_lo, 0, v31, vcc_lo
	v_mov_b32_e32 v33, 0
	s_mov_b32 s6, exec_lo
	s_delay_alu instid0(VALU_DEP_2)
	v_cmp_le_i64_e32 vcc_lo, s[36:37], v[30:31]
	v_cmpx_gt_i64_e64 s[36:37], v[30:31]
	s_cbranch_execz .LBB54_79
; %bb.81:                               ;   in Loop: Header=BB54_80 Depth=2
	global_load_b32 v33, v[28:29], off
	s_branch .LBB54_79
.LBB54_82:                              ;   in Loop: Header=BB54_33 Depth=1
                                        ; implicit-def: $vgpr8_vgpr9
                                        ; implicit-def: $vgpr4_vgpr5
	s_cbranch_execnz .LBB54_85
	s_branch .LBB54_94
.LBB54_83:                              ;   in Loop: Header=BB54_33 Depth=1
	s_or_b32 exec_lo, exec_lo, s10
.LBB54_84:                              ;   in Loop: Header=BB54_33 Depth=1
	s_delay_alu instid0(SALU_CYCLE_1)
	s_or_b32 exec_lo, exec_lo, s9
	s_branch .LBB54_94
.LBB54_85:                              ;   in Loop: Header=BB54_33 Depth=1
	global_load_u16 v8, v13, s[74:75]
	s_mov_b64 s[84:85], 0
	s_mov_b32 s83, exec_lo
	s_waitcnt vmcnt(0)
	v_readfirstlane_b32 s5, v8
	v_and_b32_e32 v26, 0xffff, v8
	s_delay_alu instid0(VALU_DEP_2) | instskip(NEXT) | instid1(SALU_CYCLE_1)
	s_and_b32 s5, 0xffff, s5
	s_lshl_b32 s61, s5, 2
	s_delay_alu instid0(SALU_CYCLE_1) | instskip(SKIP_1) | instid1(VALU_DEP_1)
	v_cvt_f32_u32_e32 v2, s61
	s_sub_i32 s6, 0, s61
	v_rcp_iflag_f32_e32 v2, v2
	s_waitcnt_depctr 0xfff
	v_mul_f32_e32 v2, 0x4f7ffffe, v2
	s_delay_alu instid0(VALU_DEP_1) | instskip(NEXT) | instid1(VALU_DEP_1)
	v_cvt_u32_f32_e32 v2, v2
	v_readfirstlane_b32 s5, v2
	v_mov_b32_e32 v2, 0
	v_mov_b32_e32 v3, 0
	s_delay_alu instid0(VALU_DEP_3) | instskip(NEXT) | instid1(VALU_DEP_1)
	s_mul_i32 s6, s6, s5
	v_dual_mov_b32 v5, v3 :: v_dual_mov_b32 v4, v2
	s_mul_hi_u32 s6, s5, s6
	v_dual_mov_b32 v7, v3 :: v_dual_mov_b32 v6, v2
	s_add_i32 s5, s5, s6
	v_dual_mov_b32 v9, v3 :: v_dual_mov_b32 v8, v2
	s_mul_hi_u32 s5, s82, s5
	s_delay_alu instid0(SALU_CYCLE_1) | instskip(NEXT) | instid1(SALU_CYCLE_1)
	s_mul_i32 s5, s5, s61
	s_sub_i32 s5, s82, s5
	s_delay_alu instid0(SALU_CYCLE_1) | instskip(SKIP_2) | instid1(SALU_CYCLE_1)
	s_sub_i32 s6, s5, s61
	s_cmp_ge_u32 s5, s61
	s_cselect_b32 s5, s6, s5
	s_sub_i32 s6, s5, s61
	s_cmp_ge_u32 s5, s61
	s_cselect_b32 s5, s6, s5
	s_delay_alu instid0(SALU_CYCLE_1) | instskip(NEXT) | instid1(SALU_CYCLE_1)
	s_sub_i32 s68, s82, s5
	v_cmpx_gt_u32_e64 s68, v14
	s_cbranch_execz .LBB54_89
; %bb.86:                               ;   in Loop: Header=BB54_33 Depth=1
	v_dual_mov_b32 v29, v15 :: v_dual_lshlrev_b32 v12, 4, v26
	v_mov_b32_e32 v30, v39
	v_mov_b32_e32 v28, v14
	s_and_b32 s48, vcc_hi, 0xfe
	s_mov_b32 s49, 0
	s_mov_b64 s[86:87], 0
	s_mov_b64 s[88:89], 0
	;; [unrolled: 1-line block ×3, first 2 shown]
.LBB54_87:                              ;   Parent Loop BB54_33 Depth=1
                                        ; =>  This Inner Loop Header: Depth=2
	ds_load_b128 v[2:5], v30
	v_add_co_u32 v28, vcc_lo, v28, s61
	v_add_co_ci_u32_e32 v29, vcc_lo, 0, v29, vcc_lo
	s_delay_alu instid0(VALU_DEP_1)
	v_cmp_le_u64_e32 vcc_lo, s[68:69], v[28:29]
	s_waitcnt lgkmcnt(0)
	v_cmp_lt_i32_e64 s5, -1, v2
	v_cmp_lt_i32_e64 s6, -1, v3
	;; [unrolled: 1-line block ×4, first 2 shown]
	v_cmp_o_f32_e64 s9, v3, v3
	v_cndmask_b32_e64 v6, -1, 0x80000000, s5
	v_cndmask_b32_e64 v7, -1, 0x80000000, s6
	;; [unrolled: 1-line block ×4, first 2 shown]
	v_cmp_o_f32_e64 s12, v2, v2
	v_xor_b32_e32 v2, v6, v2
	v_xor_b32_e32 v3, v7, v3
	v_cmp_o_f32_e64 s10, v4, v4
	v_xor_b32_e32 v4, v8, v4
	v_cmp_o_f32_e64 s11, v5, v5
	v_xor_b32_e32 v5, v9, v5
	v_cndmask_b32_e64 v2, -1, v2, s12
	v_cndmask_b32_e64 v3, -1, v3, s9
	;; [unrolled: 1-line block ×3, first 2 shown]
	s_delay_alu instid0(VALU_DEP_4) | instskip(NEXT) | instid1(VALU_DEP_4)
	v_cndmask_b32_e64 v5, -1, v5, s11
	v_and_b32_e32 v6, s59, v2
	s_delay_alu instid0(VALU_DEP_4)
	v_and_b32_e32 v7, s59, v3
	v_bfe_u32 v2, v2, s48, 2
	v_bfe_u32 v3, v3, s48, 2
	v_and_b32_e32 v8, s59, v4
	v_bfe_u32 v4, v4, s48, 2
	v_and_b32_e32 v9, s59, v5
	v_bfe_u32 v5, v5, s48, 2
	v_cmp_eq_u32_e64 s5, s60, v6
	v_cmp_eq_u32_e64 s6, s60, v7
	;; [unrolled: 1-line block ×8, first 2 shown]
	s_and_b32 s9, s5, s9
	s_and_b32 s10, s6, s10
	v_cmp_eq_u32_e64 s13, 1, v2
	v_cmp_eq_u32_e64 s14, 1, v3
	;; [unrolled: 1-line block ×6, first 2 shown]
	s_and_b32 s11, s7, s11
	v_cndmask_b32_e64 v2, 0, 1, s9
	v_cndmask_b32_e64 v3, 0, 1, s10
	v_cmp_eq_u32_e64 s15, 1, v4
	v_cmp_eq_u32_e64 s19, 2, v4
	;; [unrolled: 1-line block ×3, first 2 shown]
	s_and_b32 s12, s8, s12
	v_cndmask_b32_e64 v4, 0, 1, s11
	v_cmp_eq_u32_e64 s16, 1, v5
	v_cmp_eq_u32_e64 s20, 2, v5
	;; [unrolled: 1-line block ×3, first 2 shown]
	v_cndmask_b32_e64 v5, 0, 1, s12
	v_cmp_ne_u32_e64 s9, 0, v2
	v_cmp_ne_u32_e64 s10, 0, v3
	;; [unrolled: 1-line block ×3, first 2 shown]
	s_delay_alu instid0(VALU_DEP_4) | instskip(NEXT) | instid1(VALU_DEP_4)
	v_cmp_ne_u32_e64 s12, 0, v5
	s_bcnt1_i32_b32 s9, s9
	s_delay_alu instid0(VALU_DEP_3) | instskip(NEXT) | instid1(VALU_DEP_2)
	s_bcnt1_i32_b32 s10, s10
	s_bcnt1_i32_b32 s11, s11
	s_add_i32 s9, s10, s9
	s_bcnt1_i32_b32 s12, s12
	s_add_i32 s9, s9, s11
	s_delay_alu instid0(SALU_CYCLE_1) | instskip(NEXT) | instid1(SALU_CYCLE_1)
	s_add_i32 s9, s9, s12
	s_add_u32 s90, s90, s9
	s_addc_u32 s91, s91, 0
	s_and_b32 s9, s5, s13
	s_and_b32 s10, s6, s14
	;; [unrolled: 1-line block ×3, first 2 shown]
	v_cndmask_b32_e64 v2, 0, 1, s9
	v_cndmask_b32_e64 v3, 0, 1, s10
	s_and_b32 s12, s8, s16
	v_cndmask_b32_e64 v4, 0, 1, s11
	v_cndmask_b32_e64 v5, 0, 1, s12
	v_cmp_ne_u32_e64 s9, 0, v2
	v_cmp_ne_u32_e64 s10, 0, v3
	v_add_nc_u32_e32 v30, v30, v12
	v_cmp_ne_u32_e64 s11, 0, v4
	v_cmp_ne_u32_e64 s12, 0, v5
	s_bcnt1_i32_b32 s9, s9
	s_bcnt1_i32_b32 s10, s10
	s_delay_alu instid0(VALU_DEP_2) | instskip(SKIP_3) | instid1(SALU_CYCLE_1)
	s_bcnt1_i32_b32 s11, s11
	s_add_i32 s9, s10, s9
	s_bcnt1_i32_b32 s12, s12
	s_add_i32 s9, s9, s11
	s_add_i32 s9, s9, s12
	s_delay_alu instid0(SALU_CYCLE_1)
	s_add_u32 s88, s88, s9
	s_addc_u32 s89, s89, 0
	s_and_b32 s9, s5, s17
	s_and_b32 s10, s6, s18
	;; [unrolled: 1-line block ×3, first 2 shown]
	v_cndmask_b32_e64 v2, 0, 1, s9
	v_cndmask_b32_e64 v3, 0, 1, s10
	s_and_b32 s12, s8, s20
	v_cndmask_b32_e64 v4, 0, 1, s11
	v_cndmask_b32_e64 v5, 0, 1, s12
	v_cmp_ne_u32_e64 s9, 0, v2
	v_cmp_ne_u32_e64 s10, 0, v3
	s_delay_alu instid0(VALU_DEP_4) | instskip(NEXT) | instid1(VALU_DEP_4)
	v_cmp_ne_u32_e64 s11, 0, v4
	v_cmp_ne_u32_e64 s12, 0, v5
	s_delay_alu instid0(VALU_DEP_4) | instskip(NEXT) | instid1(VALU_DEP_3)
	s_bcnt1_i32_b32 s9, s9
	s_bcnt1_i32_b32 s10, s10
	s_delay_alu instid0(VALU_DEP_2) | instskip(SKIP_3) | instid1(SALU_CYCLE_1)
	s_bcnt1_i32_b32 s11, s11
	s_add_i32 s9, s10, s9
	s_bcnt1_i32_b32 s12, s12
	s_add_i32 s9, s9, s11
	s_add_i32 s9, s9, s12
	s_delay_alu instid0(SALU_CYCLE_1)
	s_add_u32 s86, s86, s9
	s_addc_u32 s87, s87, 0
	s_and_b32 s5, s5, s21
	s_and_b32 s6, s6, s22
	;; [unrolled: 1-line block ×3, first 2 shown]
	v_cndmask_b32_e64 v2, 0, 1, s5
	v_cndmask_b32_e64 v3, 0, 1, s6
	s_and_b32 s8, s8, s24
	v_cndmask_b32_e64 v4, 0, 1, s7
	v_cndmask_b32_e64 v5, 0, 1, s8
	v_cmp_ne_u32_e64 s5, 0, v2
	v_cmp_ne_u32_e64 s6, 0, v3
	v_dual_mov_b32 v2, s90 :: v_dual_mov_b32 v3, s91
	v_cmp_ne_u32_e64 s7, 0, v4
	v_cmp_ne_u32_e64 s8, 0, v5
	s_bcnt1_i32_b32 s5, s5
	s_bcnt1_i32_b32 s6, s6
	v_mov_b32_e32 v4, s88
	s_bcnt1_i32_b32 s7, s7
	s_add_i32 s5, s6, s5
	s_bcnt1_i32_b32 s6, s8
	s_add_i32 s5, s5, s7
	v_mov_b32_e32 v5, s89
	s_add_i32 s5, s5, s6
	s_delay_alu instid0(SALU_CYCLE_1)
	s_add_u32 s84, s84, s5
	s_addc_u32 s85, s85, 0
	v_mov_b32_e32 v6, s86
	v_dual_mov_b32 v8, s84 :: v_dual_mov_b32 v9, s85
	v_mov_b32_e32 v7, s87
	s_or_b32 s49, vcc_lo, s49
	s_delay_alu instid0(SALU_CYCLE_1)
	s_and_not1_b32 exec_lo, exec_lo, s49
	s_cbranch_execnz .LBB54_87
; %bb.88:                               ;   in Loop: Header=BB54_33 Depth=1
	s_or_b32 exec_lo, exec_lo, s49
.LBB54_89:                              ;   in Loop: Header=BB54_33 Depth=1
	s_delay_alu instid0(SALU_CYCLE_1) | instskip(SKIP_2) | instid1(VALU_DEP_1)
	s_or_b32 exec_lo, exec_lo, s83
	v_add_nc_u32_e32 v12, s68, v0
	s_mov_b32 s12, exec_lo
	v_cmpx_gt_u32_e64 s82, v12
	s_cbranch_execz .LBB54_93
; %bb.90:                               ;   in Loop: Header=BB54_33 Depth=1
	v_dual_mov_b32 v29, v13 :: v_dual_lshlrev_b32 v30, 2, v12
	v_mov_b32_e32 v28, v12
	s_mov_b32 s11, 0
	s_and_b32 s10, s82, 0x7fffffff
	s_and_b32 s14, vcc_hi, 0xfe
	s_mov_b32 s13, s11
.LBB54_91:                              ;   Parent Loop BB54_33 Depth=1
                                        ; =>  This Inner Loop Header: Depth=2
	ds_load_b32 v12, v30
	v_add_co_u32 v28, vcc_lo, v28, v26
	v_add_co_ci_u32_e32 v29, vcc_lo, 0, v29, vcc_lo
	v_add_nc_u32_e32 v30, s61, v30
	s_delay_alu instid0(VALU_DEP_2) | instskip(SKIP_2) | instid1(VALU_DEP_1)
	v_cmp_le_u64_e32 vcc_lo, s[10:11], v[28:29]
	s_waitcnt lgkmcnt(0)
	v_cmp_lt_i32_e64 s5, -1, v12
	v_cndmask_b32_e64 v31, -1, 0x80000000, s5
	v_cmp_o_f32_e64 s5, v12, v12
	s_delay_alu instid0(VALU_DEP_2) | instskip(NEXT) | instid1(VALU_DEP_1)
	v_xor_b32_e32 v31, v31, v12
	v_cndmask_b32_e64 v12, -1, v31, s5
	s_delay_alu instid0(VALU_DEP_1) | instskip(SKIP_1) | instid1(VALU_DEP_2)
	v_and_b32_e32 v31, s59, v12
	v_bfe_u32 v12, v12, s14, 2
	v_cmp_eq_u32_e64 s5, s60, v31
	s_delay_alu instid0(VALU_DEP_2) | instskip(SKIP_3) | instid1(VALU_DEP_4)
	v_cmp_eq_u32_e64 s6, 0, v12
	v_cmp_eq_u32_e64 s7, 1, v12
	;; [unrolled: 1-line block ×4, first 2 shown]
	s_and_b32 s6, s5, s6
	s_delay_alu instid0(SALU_CYCLE_1) | instskip(SKIP_1) | instid1(SALU_CYCLE_1)
	v_cndmask_b32_e64 v12, 0, 1, s6
	s_and_b32 s6, s5, s7
	v_cndmask_b32_e64 v31, 0, 1, s6
	s_and_b32 s6, s5, s8
	s_and_b32 s5, s5, s9
	v_cndmask_b32_e64 v32, 0, 1, s6
	v_cndmask_b32_e64 v33, 0, 1, s5
	v_cmp_ne_u32_e64 s5, 0, v12
	v_cmp_ne_u32_e64 s6, 0, v31
	s_delay_alu instid0(VALU_DEP_4) | instskip(NEXT) | instid1(VALU_DEP_4)
	v_cmp_ne_u32_e64 s7, 0, v32
	v_cmp_ne_u32_e64 s8, 0, v33
	s_delay_alu instid0(VALU_DEP_4) | instskip(NEXT) | instid1(VALU_DEP_3)
	s_bcnt1_i32_b32 s5, s5
	s_bcnt1_i32_b32 s6, s6
	v_add_co_u32 v2, s5, v2, s5
	s_delay_alu instid0(VALU_DEP_1)
	v_add_co_ci_u32_e64 v3, s5, 0, v3, s5
	v_add_co_u32 v4, s5, v4, s6
	s_bcnt1_i32_b32 s7, s7
	v_add_co_ci_u32_e64 v5, s5, 0, v5, s5
	v_add_co_u32 v6, s5, v6, s7
	s_bcnt1_i32_b32 s8, s8
	v_add_co_ci_u32_e64 v7, s5, 0, v7, s5
	v_add_co_u32 v8, s5, v8, s8
	s_delay_alu instid0(VALU_DEP_1) | instskip(SKIP_1) | instid1(SALU_CYCLE_1)
	v_add_co_ci_u32_e64 v9, s5, 0, v9, s5
	s_or_b32 s13, vcc_lo, s13
	s_and_not1_b32 exec_lo, exec_lo, s13
	s_cbranch_execnz .LBB54_91
; %bb.92:                               ;   in Loop: Header=BB54_33 Depth=1
	s_or_b32 exec_lo, exec_lo, s13
.LBB54_93:                              ;   in Loop: Header=BB54_33 Depth=1
	s_delay_alu instid0(SALU_CYCLE_1)
	s_or_b32 exec_lo, exec_lo, s12
.LBB54_94:                              ;   in Loop: Header=BB54_33 Depth=1
	s_lshl_b32 s5, s65, 7
	s_and_saveexec_b32 s6, s2
	s_cbranch_execz .LBB54_96
; %bb.95:                               ;   in Loop: Header=BB54_33 Depth=1
	v_or_b32_e32 v12, s5, v38
	s_delay_alu instid0(VALU_DEP_1)
	v_lshlrev_b32_e32 v12, 3, v12
	ds_store_b128 v12, v[2:5] offset:3072
	ds_store_b128 v12, v[6:9] offset:3088
.LBB54_96:                              ;   in Loop: Header=BB54_33 Depth=1
	s_or_b32 exec_lo, exec_lo, s6
	s_waitcnt vmcnt(0) lgkmcnt(0)
	s_barrier
	buffer_gl0_inv
	s_and_saveexec_b32 s6, s33
	s_cbranch_execz .LBB54_107
; %bb.97:                               ;   in Loop: Header=BB54_33 Depth=1
	v_mov_b32_e32 v2, 0
	v_mov_b32_e32 v3, 0
	s_and_not1_b32 vcc_lo, exec_lo, s99
	s_cbranch_vccnz .LBB54_106
; %bb.98:                               ;   in Loop: Header=BB54_33 Depth=1
	v_mov_b32_e32 v2, 0
	v_mov_b32_e32 v3, 0
	s_and_not1_b32 vcc_lo, exec_lo, s97
	s_cbranch_vccnz .LBB54_103
; %bb.99:                               ;   in Loop: Header=BB54_33 Depth=1
	v_lshl_add_u32 v4, s65, 10, v44
	s_mov_b32 s7, 0
	s_set_inst_prefetch_distance 0x1
	.p2align	6
.LBB54_100:                             ;   Parent Loop BB54_33 Depth=1
                                        ; =>  This Inner Loop Header: Depth=2
	ds_load_2addr_b64 v[5:8], v4 offset1:4
	ds_load_2addr_b64 v[28:31], v4 offset0:8 offset1:12
	ds_load_2addr_b64 v[32:35], v4 offset0:16 offset1:20
	s_add_i32 s7, s7, 8
	s_delay_alu instid0(SALU_CYCLE_1) | instskip(SKIP_3) | instid1(VALU_DEP_2)
	s_cmp_eq_u32 s98, s7
	s_waitcnt lgkmcnt(2)
	v_add_co_u32 v2, vcc_lo, v5, v2
	v_add_co_ci_u32_e32 v3, vcc_lo, v6, v3, vcc_lo
	v_add_co_u32 v2, vcc_lo, v7, v2
	s_delay_alu instid0(VALU_DEP_2)
	v_add_co_ci_u32_e32 v3, vcc_lo, v8, v3, vcc_lo
	ds_load_2addr_b64 v[5:8], v4 offset0:24 offset1:28
	s_waitcnt lgkmcnt(2)
	v_add_co_u32 v2, vcc_lo, v28, v2
	v_add_co_ci_u32_e32 v3, vcc_lo, v29, v3, vcc_lo
	v_add_nc_u32_e32 v4, 0x100, v4
	s_delay_alu instid0(VALU_DEP_3) | instskip(NEXT) | instid1(VALU_DEP_3)
	v_add_co_u32 v2, vcc_lo, v30, v2
	v_add_co_ci_u32_e32 v3, vcc_lo, v31, v3, vcc_lo
	s_waitcnt lgkmcnt(1)
	s_delay_alu instid0(VALU_DEP_2) | instskip(NEXT) | instid1(VALU_DEP_2)
	v_add_co_u32 v2, vcc_lo, v32, v2
	v_add_co_ci_u32_e32 v3, vcc_lo, v33, v3, vcc_lo
	s_delay_alu instid0(VALU_DEP_2) | instskip(NEXT) | instid1(VALU_DEP_2)
	v_add_co_u32 v2, vcc_lo, v34, v2
	v_add_co_ci_u32_e32 v3, vcc_lo, v35, v3, vcc_lo
	s_waitcnt lgkmcnt(0)
	s_delay_alu instid0(VALU_DEP_2) | instskip(NEXT) | instid1(VALU_DEP_2)
	v_add_co_u32 v2, vcc_lo, v5, v2
	v_add_co_ci_u32_e32 v3, vcc_lo, v6, v3, vcc_lo
	s_delay_alu instid0(VALU_DEP_2) | instskip(NEXT) | instid1(VALU_DEP_2)
	v_add_co_u32 v2, vcc_lo, v7, v2
	v_add_co_ci_u32_e32 v3, vcc_lo, v8, v3, vcc_lo
	s_cbranch_scc0 .LBB54_100
; %bb.101:                              ;   in Loop: Header=BB54_33 Depth=1
	s_set_inst_prefetch_distance 0x2
	s_mov_b32 s7, s98
	s_and_not1_b32 vcc_lo, exec_lo, s100
	s_cbranch_vccz .LBB54_104
	s_branch .LBB54_106
.LBB54_102:                             ;   in Loop: Header=BB54_33 Depth=1
                                        ; implicit-def: $vgpr28_vgpr29
	s_branch .LBB54_70
.LBB54_103:                             ;   in Loop: Header=BB54_33 Depth=1
	s_mov_b32 s7, 0
	s_and_not1_b32 vcc_lo, exec_lo, s100
	s_cbranch_vccnz .LBB54_106
.LBB54_104:                             ;   in Loop: Header=BB54_33 Depth=1
	s_lshl_b32 s8, s65, 10
	s_lshl_b32 s7, s7, 5
	s_delay_alu instid0(SALU_CYCLE_1)
	v_add3_u32 v4, s8, s7, v44
	s_mov_b32 s7, s96
.LBB54_105:                             ;   Parent Loop BB54_33 Depth=1
                                        ; =>  This Inner Loop Header: Depth=2
	ds_load_b64 v[5:6], v4
	v_add_nc_u32_e32 v4, 32, v4
	s_add_i32 s7, s7, -1
	s_delay_alu instid0(SALU_CYCLE_1)
	s_cmp_lg_u32 s7, 0
	s_waitcnt lgkmcnt(0)
	v_add_co_u32 v2, vcc_lo, v5, v2
	v_add_co_ci_u32_e32 v3, vcc_lo, v6, v3, vcc_lo
	s_cbranch_scc1 .LBB54_105
.LBB54_106:                             ;   in Loop: Header=BB54_33 Depth=1
	v_add_lshl_u32 v4, s5, v36, 3
	ds_store_b64 v4, v[2:3] offset:3072
.LBB54_107:                             ;   in Loop: Header=BB54_33 Depth=1
	s_or_b32 exec_lo, exec_lo, s6
	s_lshl_b32 s5, s5, 3
	s_waitcnt lgkmcnt(0)
	v_mov_b32_e32 v6, s5
	s_barrier
	buffer_gl0_inv
	s_and_b32 s19, vcc_hi, 0xfe
	s_mov_b32 s21, -1
	ds_load_b128 v[2:5], v6 offset:3072
	ds_load_b128 v[6:9], v6 offset:3088
	s_lshl_b32 s18, 3, s19
	s_delay_alu instid0(SALU_CYCLE_1)
	s_not_b32 s20, s18
	s_waitcnt lgkmcnt(1)
	v_readfirstlane_b32 s13, v3
	v_readfirstlane_b32 s12, v2
	;; [unrolled: 1-line block ×4, first 2 shown]
	s_waitcnt lgkmcnt(0)
	v_readfirstlane_b32 s8, v6
	v_readfirstlane_b32 s9, v7
	s_cmp_eq_u64 s[12:13], 1
	v_readfirstlane_b32 s6, v8
	s_cselect_b32 s5, -1, 0
	s_cmp_eq_u64 s[38:39], 1
	s_cselect_b32 s7, -1, 0
	s_delay_alu instid0(SALU_CYCLE_1)
	s_and_b32 s22, s5, s7
	v_readfirstlane_b32 s7, v9
	s_and_b32 vcc_lo, exec_lo, s22
	s_cbranch_vccz .LBB54_122
; %bb.108:                              ;   in Loop: Header=BB54_33 Depth=1
	ds_load_b64 v[2:3], v13 offset:5120
	s_waitcnt lgkmcnt(0)
	s_barrier
	buffer_gl0_inv
	v_readfirstlane_b32 s14, v2
	v_readfirstlane_b32 s15, v3
	s_and_saveexec_b32 s5, s3
	s_cbranch_execz .LBB54_110
; %bb.109:                              ;   in Loop: Header=BB54_33 Depth=1
	ds_store_b32 v37, v13
.LBB54_110:                             ;   in Loop: Header=BB54_33 Depth=1
	s_or_b32 exec_lo, exec_lo, s5
	s_delay_alu instid0(VALU_DEP_1)
	v_cmp_lt_i64_e64 s5, s[14:15], 1
	s_and_b32 s60, s60, s20
	s_or_b32 s59, s59, s18
	s_waitcnt lgkmcnt(0)
	s_barrier
	buffer_gl0_inv
	s_and_b32 vcc_lo, exec_lo, s5
	s_cbranch_vccz .LBB54_123
; %bb.111:                              ;   in Loop: Header=BB54_33 Depth=1
	s_mov_b32 s24, s69
	s_delay_alu instid0(SALU_CYCLE_1)
	s_cmp_lg_u64 s[24:25], 0
	s_cbranch_scc0 .LBB54_168
; %bb.112:                              ;   in Loop: Header=BB54_33 Depth=1
	v_cvt_f32_u32_e32 v2, s27
	s_sub_u32 s17, 0, s27
	s_subb_u32 s23, 0, 0
	s_delay_alu instid0(VALU_DEP_1) | instskip(NEXT) | instid1(VALU_DEP_1)
	v_fmac_f32_e32 v2, 0x4f800000, v45
	v_rcp_f32_e32 v2, v2
	s_waitcnt_depctr 0xfff
	v_mul_f32_e32 v2, 0x5f7ffffc, v2
	s_delay_alu instid0(VALU_DEP_1) | instskip(NEXT) | instid1(VALU_DEP_1)
	v_mul_f32_e32 v3, 0x2f800000, v2
	v_trunc_f32_e32 v3, v3
	s_delay_alu instid0(VALU_DEP_1) | instskip(SKIP_1) | instid1(VALU_DEP_2)
	v_fmac_f32_e32 v2, 0xcf800000, v3
	v_cvt_u32_f32_e32 v3, v3
	v_cvt_u32_f32_e32 v2, v2
	s_delay_alu instid0(VALU_DEP_2) | instskip(NEXT) | instid1(VALU_DEP_2)
	v_readfirstlane_b32 s5, v3
	v_readfirstlane_b32 s16, v2
	s_delay_alu instid0(VALU_DEP_2) | instskip(NEXT) | instid1(VALU_DEP_1)
	s_mul_i32 s24, s17, s5
	s_mul_hi_u32 s49, s17, s16
	s_mul_i32 s48, s23, s16
	s_add_i32 s24, s49, s24
	s_mul_i32 s50, s17, s16
	s_add_i32 s24, s24, s48
	s_mul_hi_u32 s49, s16, s50
	s_mul_hi_u32 s51, s5, s50
	s_mul_i32 s48, s5, s50
	s_mul_hi_u32 s50, s16, s24
	s_mul_i32 s16, s16, s24
	s_mul_hi_u32 s61, s5, s24
	s_add_u32 s16, s49, s16
	s_addc_u32 s49, 0, s50
	s_add_u32 s16, s16, s48
	s_mul_i32 s24, s5, s24
	s_addc_u32 s16, s49, s51
	s_addc_u32 s48, s61, 0
	s_add_u32 s16, s16, s24
	s_addc_u32 s24, 0, s48
	v_add_co_u32 v2, s16, v2, s16
	s_delay_alu instid0(VALU_DEP_1) | instskip(SKIP_1) | instid1(VALU_DEP_1)
	s_cmp_lg_u32 s16, 0
	s_addc_u32 s5, s5, s24
	v_readfirstlane_b32 s16, v2
	s_mul_i32 s24, s17, s5
	s_delay_alu instid0(VALU_DEP_1)
	s_mul_hi_u32 s48, s17, s16
	s_mul_i32 s23, s23, s16
	s_add_i32 s24, s48, s24
	s_mul_i32 s17, s17, s16
	s_add_i32 s24, s24, s23
	s_mul_hi_u32 s48, s5, s17
	s_mul_i32 s49, s5, s17
	s_mul_hi_u32 s17, s16, s17
	s_mul_hi_u32 s50, s16, s24
	s_mul_i32 s16, s16, s24
	s_mul_hi_u32 s23, s5, s24
	s_add_u32 s16, s17, s16
	s_addc_u32 s17, 0, s50
	s_add_u32 s16, s16, s49
	s_mul_i32 s24, s5, s24
	s_addc_u32 s16, s17, s48
	s_addc_u32 s17, s23, 0
	s_add_u32 s16, s16, s24
	s_addc_u32 s17, 0, s17
	v_add_co_u32 v2, s16, v2, s16
	s_delay_alu instid0(VALU_DEP_1) | instskip(SKIP_2) | instid1(VALU_DEP_1)
	s_cmp_lg_u32 s16, 0
	s_addc_u32 s5, s5, s17
	s_ashr_i32 s16, s25, 31
	v_readfirstlane_b32 s23, v2
	s_add_u32 s48, s95, s16
	s_mov_b32 s17, s16
	s_addc_u32 s49, s25, s16
	s_delay_alu instid0(SALU_CYCLE_1) | instskip(NEXT) | instid1(SALU_CYCLE_1)
	s_xor_b64 s[48:49], s[48:49], s[16:17]
	s_mul_i32 s24, s48, s5
	s_mul_hi_u32 s50, s48, s23
	s_mul_hi_u32 s17, s48, s5
	;; [unrolled: 1-line block ×3, first 2 shown]
	s_mul_i32 s23, s49, s23
	s_add_u32 s24, s50, s24
	s_addc_u32 s17, 0, s17
	s_mul_hi_u32 s51, s49, s5
	s_add_u32 s23, s24, s23
	s_mul_i32 s5, s49, s5
	s_addc_u32 s17, s17, s61
	s_addc_u32 s23, s51, 0
	s_add_u32 s5, s17, s5
	s_addc_u32 s17, 0, s23
	s_mul_hi_u32 s23, s27, s5
	s_mul_i32 s5, s27, s5
	s_mul_i32 s17, s27, s17
	v_sub_co_u32 v2, s5, s48, s5
	s_add_i32 s23, s23, s17
	s_cmp_lg_u32 s5, 0
	s_delay_alu instid0(VALU_DEP_1) | instskip(SKIP_2) | instid1(VALU_DEP_1)
	v_sub_co_u32 v3, s5, v2, s27
	s_subb_u32 s17, s49, s23
	s_cmp_lg_u32 s5, 0
	v_cmp_le_u32_e32 vcc_lo, s27, v3
	v_sub_co_u32 v4, s5, v3, s27
	s_subb_u32 s23, s17, 0
	s_cmp_lg_u32 s5, 0
	v_cmp_le_u32_e64 s5, s27, v2
	s_subb_u32 s24, s23, 0
	v_cndmask_b32_e64 v5, 0, -1, vcc_lo
	s_cmp_eq_u32 s23, 0
	s_cselect_b32 vcc_lo, -1, 0
	v_cndmask_b32_e64 v6, 0, -1, s5
	s_delay_alu instid0(VALU_DEP_2) | instskip(SKIP_2) | instid1(VALU_DEP_1)
	v_cndmask_b32_e32 v5, -1, v5, vcc_lo
	s_cmp_eq_u32 s17, 0
	s_cselect_b32 vcc_lo, -1, 0
	v_cmp_ne_u32_e64 s5, 0, v5
	v_dual_cndmask_b32 v5, -1, v6 :: v_dual_mov_b32 v6, s24
	s_delay_alu instid0(VALU_DEP_2) | instskip(NEXT) | instid1(VALU_DEP_2)
	v_cndmask_b32_e64 v3, v3, v4, s5
	v_cmp_ne_u32_e32 vcc_lo, 0, v5
	s_delay_alu instid0(VALU_DEP_3) | instskip(NEXT) | instid1(VALU_DEP_3)
	v_cndmask_b32_e64 v4, s23, v6, s5
	v_cndmask_b32_e32 v2, v2, v3, vcc_lo
	s_delay_alu instid0(VALU_DEP_2) | instskip(NEXT) | instid1(VALU_DEP_2)
	v_cndmask_b32_e32 v3, s17, v4, vcc_lo
	v_xor_b32_e32 v2, s16, v2
	s_delay_alu instid0(VALU_DEP_2) | instskip(NEXT) | instid1(VALU_DEP_2)
	v_xor_b32_e32 v3, s16, v3
	v_sub_co_u32 v2, vcc_lo, v2, s16
	s_delay_alu instid0(VALU_DEP_2)
	v_subrev_co_ci_u32_e32 v3, vcc_lo, s16, v3, vcc_lo
	s_cbranch_execnz .LBB54_114
.LBB54_113:                             ;   in Loop: Header=BB54_33 Depth=1
	v_cvt_f32_u32_e32 v2, s27
	s_sub_i32 s5, 0, s27
	s_delay_alu instid0(VALU_DEP_1) | instskip(SKIP_2) | instid1(VALU_DEP_1)
	v_rcp_iflag_f32_e32 v2, v2
	s_waitcnt_depctr 0xfff
	v_mul_f32_e32 v2, 0x4f7ffffe, v2
	v_cvt_u32_f32_e32 v2, v2
	s_delay_alu instid0(VALU_DEP_1) | instskip(NEXT) | instid1(VALU_DEP_1)
	v_mul_lo_u32 v3, s5, v2
	v_mul_hi_u32 v3, v2, v3
	s_delay_alu instid0(VALU_DEP_1) | instskip(NEXT) | instid1(VALU_DEP_1)
	v_add_nc_u32_e32 v2, v2, v3
	v_mul_hi_u32 v2, s95, v2
	s_delay_alu instid0(VALU_DEP_1) | instskip(NEXT) | instid1(VALU_DEP_1)
	v_mul_lo_u32 v2, v2, s27
	v_sub_nc_u32_e32 v2, s95, v2
	s_delay_alu instid0(VALU_DEP_1) | instskip(SKIP_1) | instid1(VALU_DEP_2)
	v_subrev_nc_u32_e32 v3, s27, v2
	v_cmp_le_u32_e32 vcc_lo, s27, v2
	v_cndmask_b32_e32 v2, v2, v3, vcc_lo
	s_delay_alu instid0(VALU_DEP_1) | instskip(SKIP_1) | instid1(VALU_DEP_2)
	v_subrev_nc_u32_e32 v3, s27, v2
	v_cmp_le_u32_e32 vcc_lo, s27, v2
	v_cndmask_b32_e32 v12, v2, v3, vcc_lo
	s_delay_alu instid0(VALU_DEP_1)
	v_dual_mov_b32 v2, v12 :: v_dual_mov_b32 v3, v13
.LBB54_114:                             ;   in Loop: Header=BB54_33 Depth=1
	s_delay_alu instid0(VALU_DEP_1) | instskip(NEXT) | instid1(VALU_DEP_2)
	v_sub_co_u32 v2, vcc_lo, s95, v2
	v_sub_co_ci_u32_e32 v3, vcc_lo, s25, v3, vcc_lo
	s_mov_b32 s5, 0
	s_mov_b32 s16, exec_lo
                                        ; implicit-def: $vgpr27
	s_delay_alu instid0(VALU_DEP_1)
	v_cmpx_gt_i64_e64 v[2:3], v[0:1]
	s_cbranch_execz .LBB54_125
; %bb.115:                              ;   in Loop: Header=BB54_33 Depth=1
	v_dual_mov_b32 v4, v10 :: v_dual_mov_b32 v5, v11
	v_dual_mov_b32 v7, v1 :: v_dual_mov_b32 v6, v0
	s_mov_b32 s17, 0
                                        ; implicit-def: $sgpr23
	s_set_inst_prefetch_distance 0x1
	s_branch .LBB54_117
	.p2align	6
.LBB54_116:                             ;   in Loop: Header=BB54_117 Depth=2
	s_or_b32 exec_lo, exec_lo, s5
	s_waitcnt vmcnt(0) lgkmcnt(0)
	s_barrier
	buffer_gl0_inv
	ds_load_b64 v[26:27], v13 offset:3072
	v_add_co_u32 v6, vcc_lo, v6, s27
	v_add_co_ci_u32_e32 v7, vcc_lo, 0, v7, vcc_lo
	s_waitcnt lgkmcnt(0)
	s_barrier
	buffer_gl0_inv
	v_cmp_ge_i64_e32 vcc_lo, v[6:7], v[2:3]
	v_cmp_neq_f32_e64 s5, 0, v26
	s_delay_alu instid0(VALU_DEP_1)
	s_or_b32 s24, s5, vcc_lo
	v_add_co_u32 v4, vcc_lo, v4, s70
	s_and_b32 s24, exec_lo, s24
	v_add_co_ci_u32_e32 v5, vcc_lo, s71, v5, vcc_lo
	s_or_b32 s17, s24, s17
	s_and_not1_b32 s23, s23, exec_lo
	s_and_b32 s5, s5, exec_lo
	s_delay_alu instid0(SALU_CYCLE_1)
	s_or_b32 s23, s23, s5
	s_and_not1_b32 exec_lo, exec_lo, s17
	s_cbranch_execz .LBB54_124
.LBB54_117:                             ;   Parent Loop BB54_33 Depth=1
                                        ; =>  This Inner Loop Header: Depth=2
	s_delay_alu instid0(VALU_DEP_1)
	v_cmp_gt_i64_e32 vcc_lo, s[36:37], v[6:7]
	v_mov_b32_e32 v26, 0
	s_and_saveexec_b32 s5, vcc_lo
	s_cbranch_execz .LBB54_119
; %bb.118:                              ;   in Loop: Header=BB54_117 Depth=2
	global_load_b32 v26, v[4:5], off
.LBB54_119:                             ;   in Loop: Header=BB54_117 Depth=2
	s_or_b32 exec_lo, exec_lo, s5
	s_and_saveexec_b32 s5, vcc_lo
	s_cbranch_execz .LBB54_116
; %bb.120:                              ;   in Loop: Header=BB54_117 Depth=2
	s_waitcnt vmcnt(0)
	v_cmp_lt_i32_e32 vcc_lo, -1, v26
	v_cndmask_b32_e64 v8, -1, 0x80000000, vcc_lo
	v_cmp_o_f32_e32 vcc_lo, v26, v26
	s_delay_alu instid0(VALU_DEP_2) | instskip(NEXT) | instid1(VALU_DEP_1)
	v_xor_b32_e32 v8, v8, v26
	v_cndmask_b32_e32 v8, -1, v8, vcc_lo
	s_delay_alu instid0(VALU_DEP_1) | instskip(NEXT) | instid1(VALU_DEP_1)
	v_and_b32_e32 v8, s59, v8
	v_cmp_eq_u32_e32 vcc_lo, s60, v8
	s_and_b32 exec_lo, exec_lo, vcc_lo
	s_cbranch_execz .LBB54_116
; %bb.121:                              ;   in Loop: Header=BB54_117 Depth=2
	ds_store_b64 v13, v[25:26] offset:3072
	s_branch .LBB54_116
.LBB54_122:                             ;   in Loop: Header=BB54_33 Depth=1
	s_mov_b32 s5, -1
                                        ; implicit-def: $sgpr16
                                        ; implicit-def: $sgpr23
                                        ; implicit-def: $sgpr17
	s_branch .LBB54_139
.LBB54_123:                             ;   in Loop: Header=BB54_33 Depth=1
	s_mov_b32 s16, -1
	s_mov_b32 s5, 0
                                        ; implicit-def: $sgpr17
                                        ; implicit-def: $vgpr27
	s_mov_b32 s23, s16
	s_cbranch_execnz .LBB54_126
	s_branch .LBB54_139
.LBB54_124:                             ;   in Loop: Header=BB54_33 Depth=1
	s_set_inst_prefetch_distance 0x2
	s_or_b32 exec_lo, exec_lo, s17
	s_delay_alu instid0(SALU_CYCLE_1)
	s_and_b32 s5, s23, exec_lo
.LBB54_125:                             ;   in Loop: Header=BB54_33 Depth=1
	s_or_b32 exec_lo, exec_lo, s16
	s_mov_b32 s17, -1
	s_mov_b32 s16, 0
	s_delay_alu instid0(SALU_CYCLE_1)
	s_mov_b32 s23, s16
	s_branch .LBB54_139
.LBB54_126:                             ;   in Loop: Header=BB54_33 Depth=1
	s_add_u32 s23, s93, s14
	s_addc_u32 s17, s94, s15
	s_mov_b32 s16, s69
	s_delay_alu instid0(SALU_CYCLE_1)
	s_cmp_lg_u64 s[16:17], 0
	s_cbranch_scc0 .LBB54_169
; %bb.127:                              ;   in Loop: Header=BB54_33 Depth=1
	v_cvt_f32_u32_e32 v2, s27
	s_sub_u32 s24, 0, s27
	s_subb_u32 s48, 0, 0
	s_delay_alu instid0(VALU_DEP_1) | instskip(NEXT) | instid1(VALU_DEP_1)
	v_fmac_f32_e32 v2, 0x4f800000, v45
	v_rcp_f32_e32 v2, v2
	s_waitcnt_depctr 0xfff
	v_mul_f32_e32 v2, 0x5f7ffffc, v2
	s_delay_alu instid0(VALU_DEP_1) | instskip(NEXT) | instid1(VALU_DEP_1)
	v_mul_f32_e32 v3, 0x2f800000, v2
	v_trunc_f32_e32 v3, v3
	s_delay_alu instid0(VALU_DEP_1) | instskip(SKIP_1) | instid1(VALU_DEP_2)
	v_fmac_f32_e32 v2, 0xcf800000, v3
	v_cvt_u32_f32_e32 v3, v3
	v_cvt_u32_f32_e32 v2, v2
	s_delay_alu instid0(VALU_DEP_2) | instskip(NEXT) | instid1(VALU_DEP_2)
	v_readfirstlane_b32 s5, v3
	v_readfirstlane_b32 s16, v2
	s_delay_alu instid0(VALU_DEP_2) | instskip(NEXT) | instid1(VALU_DEP_1)
	s_mul_i32 s49, s24, s5
	s_mul_hi_u32 s51, s24, s16
	s_mul_i32 s50, s48, s16
	s_add_i32 s49, s51, s49
	s_mul_i32 s61, s24, s16
	s_add_i32 s49, s49, s50
	s_mul_hi_u32 s51, s16, s61
	s_mul_hi_u32 s68, s5, s61
	s_mul_i32 s50, s5, s61
	s_mul_hi_u32 s61, s16, s49
	s_mul_i32 s16, s16, s49
	s_mul_hi_u32 s82, s5, s49
	s_add_u32 s16, s51, s16
	s_addc_u32 s51, 0, s61
	s_add_u32 s16, s16, s50
	s_mul_i32 s49, s5, s49
	s_addc_u32 s16, s51, s68
	s_addc_u32 s50, s82, 0
	s_add_u32 s16, s16, s49
	s_addc_u32 s49, 0, s50
	v_add_co_u32 v2, s16, v2, s16
	s_delay_alu instid0(VALU_DEP_1) | instskip(SKIP_1) | instid1(VALU_DEP_1)
	s_cmp_lg_u32 s16, 0
	s_addc_u32 s5, s5, s49
	v_readfirstlane_b32 s16, v2
	s_mul_i32 s49, s24, s5
	s_delay_alu instid0(VALU_DEP_1)
	s_mul_hi_u32 s50, s24, s16
	s_mul_i32 s48, s48, s16
	s_add_i32 s49, s50, s49
	s_mul_i32 s24, s24, s16
	s_add_i32 s49, s49, s48
	s_mul_hi_u32 s50, s5, s24
	s_mul_i32 s51, s5, s24
	s_mul_hi_u32 s24, s16, s24
	s_mul_hi_u32 s61, s16, s49
	s_mul_i32 s16, s16, s49
	s_mul_hi_u32 s48, s5, s49
	s_add_u32 s16, s24, s16
	s_addc_u32 s24, 0, s61
	s_add_u32 s16, s16, s51
	s_mul_i32 s49, s5, s49
	s_addc_u32 s16, s24, s50
	s_addc_u32 s24, s48, 0
	s_add_u32 s16, s16, s49
	s_addc_u32 s24, 0, s24
	v_add_co_u32 v2, s16, v2, s16
	s_delay_alu instid0(VALU_DEP_1) | instskip(SKIP_2) | instid1(VALU_DEP_1)
	s_cmp_lg_u32 s16, 0
	s_addc_u32 s5, s5, s24
	s_ashr_i32 s48, s17, 31
	v_readfirstlane_b32 s16, v2
	s_add_u32 s50, s23, s48
	s_mov_b32 s49, s48
	s_addc_u32 s51, s17, s48
	s_delay_alu instid0(SALU_CYCLE_1) | instskip(NEXT) | instid1(SALU_CYCLE_1)
	s_xor_b64 s[50:51], s[50:51], s[48:49]
	s_mul_i32 s49, s50, s5
	s_mul_hi_u32 s61, s50, s16
	s_mul_hi_u32 s24, s50, s5
	;; [unrolled: 1-line block ×3, first 2 shown]
	s_mul_i32 s16, s51, s16
	s_add_u32 s49, s61, s49
	s_addc_u32 s24, 0, s24
	s_mul_hi_u32 s68, s51, s5
	s_add_u32 s16, s49, s16
	s_mul_i32 s5, s51, s5
	s_addc_u32 s16, s24, s82
	s_addc_u32 s24, s68, 0
	s_add_u32 s5, s16, s5
	s_addc_u32 s16, 0, s24
	s_mul_hi_u32 s24, s27, s5
	s_mul_i32 s5, s27, s5
	s_mul_i32 s16, s27, s16
	v_sub_co_u32 v2, s5, s50, s5
	s_add_i32 s24, s24, s16
	s_cmp_lg_u32 s5, 0
	s_delay_alu instid0(VALU_DEP_1) | instskip(SKIP_2) | instid1(VALU_DEP_1)
	v_sub_co_u32 v3, s5, v2, s27
	s_subb_u32 s16, s51, s24
	s_cmp_lg_u32 s5, 0
	v_cmp_le_u32_e32 vcc_lo, s27, v3
	v_sub_co_u32 v4, s5, v3, s27
	s_subb_u32 s24, s16, 0
	s_cmp_lg_u32 s5, 0
	v_cmp_le_u32_e64 s5, s27, v2
	s_subb_u32 s49, s24, 0
	v_cndmask_b32_e64 v5, 0, -1, vcc_lo
	s_cmp_eq_u32 s24, 0
	s_cselect_b32 vcc_lo, -1, 0
	v_cndmask_b32_e64 v6, 0, -1, s5
	s_delay_alu instid0(VALU_DEP_2) | instskip(SKIP_2) | instid1(VALU_DEP_1)
	v_cndmask_b32_e32 v5, -1, v5, vcc_lo
	s_cmp_eq_u32 s16, 0
	s_cselect_b32 vcc_lo, -1, 0
	v_cmp_ne_u32_e64 s5, 0, v5
	v_dual_cndmask_b32 v5, -1, v6 :: v_dual_mov_b32 v6, s49
	s_delay_alu instid0(VALU_DEP_2) | instskip(NEXT) | instid1(VALU_DEP_2)
	v_cndmask_b32_e64 v3, v3, v4, s5
	v_cmp_ne_u32_e32 vcc_lo, 0, v5
	s_delay_alu instid0(VALU_DEP_3) | instskip(NEXT) | instid1(VALU_DEP_3)
	v_cndmask_b32_e64 v4, s24, v6, s5
	v_cndmask_b32_e32 v2, v2, v3, vcc_lo
	s_delay_alu instid0(VALU_DEP_2) | instskip(NEXT) | instid1(VALU_DEP_2)
	v_cndmask_b32_e32 v3, s16, v4, vcc_lo
	v_xor_b32_e32 v2, s48, v2
	s_delay_alu instid0(VALU_DEP_2) | instskip(NEXT) | instid1(VALU_DEP_2)
	v_xor_b32_e32 v3, s48, v3
	v_sub_co_u32 v2, vcc_lo, v2, s48
	s_delay_alu instid0(VALU_DEP_2)
	v_subrev_co_ci_u32_e32 v3, vcc_lo, s48, v3, vcc_lo
	s_cbranch_execnz .LBB54_129
.LBB54_128:                             ;   in Loop: Header=BB54_33 Depth=1
	v_cvt_f32_u32_e32 v2, s27
	s_sub_i32 s5, 0, s27
	s_delay_alu instid0(VALU_DEP_1) | instskip(SKIP_2) | instid1(VALU_DEP_1)
	v_rcp_iflag_f32_e32 v2, v2
	s_waitcnt_depctr 0xfff
	v_mul_f32_e32 v2, 0x4f7ffffe, v2
	v_cvt_u32_f32_e32 v2, v2
	s_delay_alu instid0(VALU_DEP_1) | instskip(NEXT) | instid1(VALU_DEP_1)
	v_mul_lo_u32 v3, s5, v2
	v_mul_hi_u32 v3, v2, v3
	s_delay_alu instid0(VALU_DEP_1) | instskip(NEXT) | instid1(VALU_DEP_1)
	v_add_nc_u32_e32 v2, v2, v3
	v_mul_hi_u32 v2, s23, v2
	s_delay_alu instid0(VALU_DEP_1) | instskip(NEXT) | instid1(VALU_DEP_1)
	v_mul_lo_u32 v2, v2, s27
	v_sub_nc_u32_e32 v2, s23, v2
	s_delay_alu instid0(VALU_DEP_1) | instskip(SKIP_1) | instid1(VALU_DEP_2)
	v_subrev_nc_u32_e32 v3, s27, v2
	v_cmp_le_u32_e32 vcc_lo, s27, v2
	v_cndmask_b32_e32 v2, v2, v3, vcc_lo
	s_delay_alu instid0(VALU_DEP_1) | instskip(SKIP_1) | instid1(VALU_DEP_2)
	v_subrev_nc_u32_e32 v3, s27, v2
	v_cmp_le_u32_e32 vcc_lo, s27, v2
	v_cndmask_b32_e32 v12, v2, v3, vcc_lo
	s_delay_alu instid0(VALU_DEP_1)
	v_dual_mov_b32 v2, v12 :: v_dual_mov_b32 v3, v13
.LBB54_129:                             ;   in Loop: Header=BB54_33 Depth=1
	s_delay_alu instid0(VALU_DEP_1) | instskip(NEXT) | instid1(VALU_DEP_2)
	v_sub_co_u32 v2, vcc_lo, s23, v2
	v_sub_co_ci_u32_e32 v3, vcc_lo, s17, v3, vcc_lo
	s_mov_b32 s5, 0
	s_mov_b32 s16, exec_lo
                                        ; implicit-def: $vgpr27
	s_delay_alu instid0(VALU_DEP_1)
	v_cmpx_gt_i64_e64 v[2:3], v[0:1]
	s_cbranch_execz .LBB54_138
; %bb.130:                              ;   in Loop: Header=BB54_33 Depth=1
	v_dual_mov_b32 v6, v14 :: v_dual_mov_b32 v5, v1
	v_mov_b32_e32 v4, v0
	s_mov_b32 s17, 0
                                        ; implicit-def: $sgpr23
	s_set_inst_prefetch_distance 0x1
	s_branch .LBB54_132
	.p2align	6
.LBB54_131:                             ;   in Loop: Header=BB54_132 Depth=2
	s_or_b32 exec_lo, exec_lo, s5
	s_waitcnt lgkmcnt(0)
	s_barrier
	buffer_gl0_inv
	ds_load_b64 v[26:27], v13 offset:3072
	v_add_co_u32 v4, vcc_lo, v4, s27
	v_add_co_ci_u32_e32 v5, vcc_lo, 0, v5, vcc_lo
	v_add_nc_u32_e32 v6, s101, v6
	s_waitcnt lgkmcnt(0)
	s_barrier
	s_delay_alu instid0(VALU_DEP_2) | instskip(SKIP_2) | instid1(VALU_DEP_1)
	v_cmp_ge_i64_e32 vcc_lo, v[4:5], v[2:3]
	buffer_gl0_inv
	v_cmp_neq_f32_e64 s5, 0, v26
	s_or_b32 s24, s5, vcc_lo
	s_delay_alu instid0(SALU_CYCLE_1) | instskip(NEXT) | instid1(SALU_CYCLE_1)
	s_and_b32 s24, exec_lo, s24
	s_or_b32 s17, s24, s17
	s_and_not1_b32 s23, s23, exec_lo
	s_and_b32 s5, s5, exec_lo
	s_delay_alu instid0(SALU_CYCLE_1)
	s_or_b32 s23, s23, s5
	s_and_not1_b32 exec_lo, exec_lo, s17
	s_cbranch_execz .LBB54_137
.LBB54_132:                             ;   Parent Loop BB54_33 Depth=1
                                        ; =>  This Inner Loop Header: Depth=2
	s_delay_alu instid0(VALU_DEP_1)
	v_cmp_gt_i64_e32 vcc_lo, s[14:15], v[4:5]
	v_mov_b32_e32 v26, 0
	s_and_saveexec_b32 s5, vcc_lo
	s_cbranch_execz .LBB54_134
; %bb.133:                              ;   in Loop: Header=BB54_132 Depth=2
	ds_load_b32 v26, v6
.LBB54_134:                             ;   in Loop: Header=BB54_132 Depth=2
	s_or_b32 exec_lo, exec_lo, s5
	s_and_saveexec_b32 s5, vcc_lo
	s_cbranch_execz .LBB54_131
; %bb.135:                              ;   in Loop: Header=BB54_132 Depth=2
	s_waitcnt lgkmcnt(0)
	v_cmp_lt_i32_e32 vcc_lo, -1, v26
	v_cndmask_b32_e64 v7, -1, 0x80000000, vcc_lo
	v_cmp_o_f32_e32 vcc_lo, v26, v26
	s_delay_alu instid0(VALU_DEP_2) | instskip(NEXT) | instid1(VALU_DEP_1)
	v_xor_b32_e32 v7, v7, v26
	v_cndmask_b32_e32 v7, -1, v7, vcc_lo
	s_delay_alu instid0(VALU_DEP_1) | instskip(NEXT) | instid1(VALU_DEP_1)
	v_and_b32_e32 v7, s59, v7
	v_cmp_eq_u32_e32 vcc_lo, s60, v7
	s_and_b32 exec_lo, exec_lo, vcc_lo
	s_cbranch_execz .LBB54_131
; %bb.136:                              ;   in Loop: Header=BB54_132 Depth=2
	ds_store_b64 v13, v[25:26] offset:3072
	s_branch .LBB54_131
.LBB54_137:                             ;   in Loop: Header=BB54_33 Depth=1
	s_set_inst_prefetch_distance 0x2
	s_or_b32 exec_lo, exec_lo, s17
	s_delay_alu instid0(SALU_CYCLE_1)
	s_and_b32 s5, s23, exec_lo
.LBB54_138:                             ;   in Loop: Header=BB54_33 Depth=1
	s_or_b32 exec_lo, exec_lo, s16
	s_mov_b32 s23, -1
	s_mov_b32 s16, 0
	s_mov_b32 s17, 0
.LBB54_139:                             ;   in Loop: Header=BB54_33 Depth=1
	s_and_not1_b32 s14, s66, exec_lo
	s_and_b32 s15, s16, exec_lo
	s_and_not1_b32 s16, s67, exec_lo
	s_or_b32 s66, s14, s15
	s_and_not1_b32 s14, s58, exec_lo
	s_and_b32 s15, s23, exec_lo
	s_and_b32 s17, s17, exec_lo
	s_or_b32 s58, s14, s15
	s_or_b32 s67, s16, s17
	s_and_saveexec_b32 s16, s5
	s_cbranch_execz .LBB54_32
; %bb.140:                              ;   in Loop: Header=BB54_33 Depth=1
	s_xor_b32 s5, s22, -1
	s_delay_alu instid0(SALU_CYCLE_1)
	s_and_not1_b32 vcc_lo, exec_lo, s5
	s_mov_b32 s5, 1
	s_cbranch_vccnz .LBB54_151
; %bb.141:                              ;   in Loop: Header=BB54_33 Depth=1
	v_cmp_gt_i64_e64 s5, s[38:39], s[12:13]
	s_mov_b32 s14, -1
                                        ; implicit-def: $sgpr15
                                        ; implicit-def: $sgpr17
	s_delay_alu instid0(VALU_DEP_1)
	s_and_b32 vcc_lo, exec_lo, s5
                                        ; implicit-def: $sgpr5
	s_cbranch_vccnz .LBB54_147
; %bb.142:                              ;   in Loop: Header=BB54_33 Depth=1
	ds_load_b64 v[2:3], v13 offset:5120
	s_waitcnt lgkmcnt(0)
	v_cmp_ne_u64_e32 vcc_lo, 0, v[2:3]
	s_cbranch_vccnz .LBB54_146
; %bb.143:                              ;   in Loop: Header=BB54_33 Depth=1
	s_and_saveexec_b32 s5, s0
	s_cbranch_execz .LBB54_145
; %bb.144:                              ;   in Loop: Header=BB54_33 Depth=1
	v_dual_mov_b32 v2, s12 :: v_dual_mov_b32 v3, s13
	ds_store_b64 v13, v[2:3] offset:5128
.LBB54_145:                             ;   in Loop: Header=BB54_33 Depth=1
	s_or_b32 exec_lo, exec_lo, s5
	s_waitcnt lgkmcnt(0)
	s_barrier
	buffer_gl0_inv
.LBB54_146:                             ;   in Loop: Header=BB54_33 Depth=1
	s_and_b32 s15, s60, s20
	s_or_b32 s17, s59, s18
	s_mov_b32 s14, 0
	s_mov_b32 s5, 8
.LBB54_147:                             ;   in Loop: Header=BB54_33 Depth=1
	s_and_not1_b32 vcc_lo, exec_lo, s14
	s_cbranch_vccnz .LBB54_149
; %bb.148:                              ;   in Loop: Header=BB54_33 Depth=1
	s_sub_u32 s38, s38, s12
	s_subb_u32 s39, s39, s13
	s_mov_b32 s14, -1
	s_mov_b32 s5, 0
	s_mov_b32 s15, s60
	;; [unrolled: 1-line block ×3, first 2 shown]
.LBB54_149:                             ;   in Loop: Header=BB54_33 Depth=1
	s_delay_alu instid0(SALU_CYCLE_1)
	s_mov_b32 s59, s17
	s_mov_b32 s60, s15
	s_and_b32 vcc_lo, exec_lo, s14
	s_mov_b32 s17, -1
	s_cbranch_vccnz .LBB54_152
.LBB54_150:                             ;   in Loop: Header=BB54_33 Depth=1
	s_mov_b32 s12, -1
                                        ; implicit-def: $sgpr14
                                        ; implicit-def: $sgpr21
                                        ; implicit-def: $sgpr15
	s_delay_alu instid0(SALU_CYCLE_1) | instskip(NEXT) | instid1(SALU_CYCLE_1)
	s_and_saveexec_b32 s6, s12
	s_xor_b32 s6, exec_lo, s6
	s_cbranch_execz .LBB54_31
	s_branch .LBB54_298
.LBB54_151:                             ;   in Loop: Header=BB54_33 Depth=1
	s_mov_b64 s[38:39], 1
	s_mov_b32 s17, -1
	s_branch .LBB54_150
.LBB54_152:                             ;   in Loop: Header=BB54_33 Depth=1
	s_cmp_eq_u64 s[10:11], 1
	s_mov_b32 s24, -1
	s_cselect_b32 s5, -1, 0
	s_cmp_eq_u64 s[38:39], 1
	s_cselect_b32 s12, -1, 0
	s_delay_alu instid0(SALU_CYCLE_1) | instskip(NEXT) | instid1(SALU_CYCLE_1)
	s_and_b32 s23, s5, s12
	s_and_b32 vcc_lo, exec_lo, s23
	s_cbranch_vccz .LBB54_167
; %bb.153:                              ;   in Loop: Header=BB54_33 Depth=1
	ds_load_b64 v[2:3], v13 offset:5120
	s_waitcnt lgkmcnt(0)
	s_barrier
	buffer_gl0_inv
	v_readfirstlane_b32 s12, v2
	v_readfirstlane_b32 s13, v3
	s_and_saveexec_b32 s5, s3
	s_cbranch_execz .LBB54_155
; %bb.154:                              ;   in Loop: Header=BB54_33 Depth=1
	ds_store_b32 v37, v13
.LBB54_155:                             ;   in Loop: Header=BB54_33 Depth=1
	s_or_b32 exec_lo, exec_lo, s5
	s_delay_alu instid0(VALU_DEP_1)
	v_cmp_gt_i64_e64 s15, s[12:13], 0
	s_lshl_b32 s5, 1, s19
	s_and_b32 s14, s60, s20
	s_or_b32 s59, s59, s18
	s_or_b32 s60, s14, s5
	s_waitcnt lgkmcnt(0)
	s_and_b32 vcc_lo, exec_lo, s15
	s_barrier
	buffer_gl0_inv
	s_cbranch_vccnz .LBB54_170
; %bb.156:                              ;   in Loop: Header=BB54_33 Depth=1
	s_mov_b32 s24, s69
	s_delay_alu instid0(SALU_CYCLE_1)
	s_cmp_lg_u64 s[24:25], 0
	s_cbranch_scc0 .LBB54_215
; %bb.157:                              ;   in Loop: Header=BB54_33 Depth=1
	v_cvt_f32_u32_e32 v2, s27
	s_sub_u32 s15, 0, s27
	s_subb_u32 s21, 0, 0
	s_delay_alu instid0(VALU_DEP_1) | instskip(NEXT) | instid1(VALU_DEP_1)
	v_fmac_f32_e32 v2, 0x4f800000, v45
	v_rcp_f32_e32 v2, v2
	s_waitcnt_depctr 0xfff
	v_mul_f32_e32 v2, 0x5f7ffffc, v2
	s_delay_alu instid0(VALU_DEP_1) | instskip(NEXT) | instid1(VALU_DEP_1)
	v_mul_f32_e32 v3, 0x2f800000, v2
	v_trunc_f32_e32 v3, v3
	s_delay_alu instid0(VALU_DEP_1) | instskip(SKIP_1) | instid1(VALU_DEP_2)
	v_fmac_f32_e32 v2, 0xcf800000, v3
	v_cvt_u32_f32_e32 v3, v3
	v_cvt_u32_f32_e32 v2, v2
	s_delay_alu instid0(VALU_DEP_2) | instskip(NEXT) | instid1(VALU_DEP_2)
	v_readfirstlane_b32 s5, v3
	v_readfirstlane_b32 s14, v2
	s_delay_alu instid0(VALU_DEP_2) | instskip(NEXT) | instid1(VALU_DEP_1)
	s_mul_i32 s22, s15, s5
	s_mul_hi_u32 s48, s15, s14
	s_mul_i32 s24, s21, s14
	s_add_i32 s22, s48, s22
	s_mul_i32 s49, s15, s14
	s_add_i32 s22, s22, s24
	s_mul_hi_u32 s48, s14, s49
	s_mul_hi_u32 s50, s5, s49
	s_mul_i32 s24, s5, s49
	s_mul_hi_u32 s49, s14, s22
	s_mul_i32 s14, s14, s22
	s_mul_hi_u32 s51, s5, s22
	s_add_u32 s14, s48, s14
	s_addc_u32 s48, 0, s49
	s_add_u32 s14, s14, s24
	s_mul_i32 s22, s5, s22
	s_addc_u32 s14, s48, s50
	s_addc_u32 s24, s51, 0
	s_add_u32 s14, s14, s22
	s_addc_u32 s22, 0, s24
	v_add_co_u32 v2, s14, v2, s14
	s_delay_alu instid0(VALU_DEP_1) | instskip(SKIP_1) | instid1(VALU_DEP_1)
	s_cmp_lg_u32 s14, 0
	s_addc_u32 s5, s5, s22
	v_readfirstlane_b32 s14, v2
	s_mul_i32 s22, s15, s5
	s_delay_alu instid0(VALU_DEP_1)
	s_mul_hi_u32 s24, s15, s14
	s_mul_i32 s21, s21, s14
	s_add_i32 s22, s24, s22
	s_mul_i32 s15, s15, s14
	s_add_i32 s22, s22, s21
	s_mul_hi_u32 s24, s5, s15
	s_mul_i32 s48, s5, s15
	s_mul_hi_u32 s15, s14, s15
	s_mul_hi_u32 s49, s14, s22
	s_mul_i32 s14, s14, s22
	s_mul_hi_u32 s21, s5, s22
	s_add_u32 s14, s15, s14
	s_addc_u32 s15, 0, s49
	s_add_u32 s14, s14, s48
	s_mul_i32 s22, s5, s22
	s_addc_u32 s14, s15, s24
	s_addc_u32 s15, s21, 0
	s_add_u32 s14, s14, s22
	s_addc_u32 s15, 0, s15
	v_add_co_u32 v2, s14, v2, s14
	s_delay_alu instid0(VALU_DEP_1) | instskip(SKIP_2) | instid1(VALU_DEP_1)
	s_cmp_lg_u32 s14, 0
	s_addc_u32 s5, s5, s15
	s_ashr_i32 s14, s25, 31
	v_readfirstlane_b32 s21, v2
	s_add_u32 s48, s95, s14
	s_mov_b32 s15, s14
	s_addc_u32 s49, s25, s14
	s_delay_alu instid0(SALU_CYCLE_1) | instskip(NEXT) | instid1(SALU_CYCLE_1)
	s_xor_b64 s[48:49], s[48:49], s[14:15]
	s_mul_i32 s22, s48, s5
	s_mul_hi_u32 s24, s48, s21
	s_mul_hi_u32 s15, s48, s5
	;; [unrolled: 1-line block ×3, first 2 shown]
	s_mul_i32 s21, s49, s21
	s_add_u32 s22, s24, s22
	s_addc_u32 s15, 0, s15
	s_mul_hi_u32 s50, s49, s5
	s_add_u32 s21, s22, s21
	s_mul_i32 s5, s49, s5
	s_addc_u32 s15, s15, s51
	s_addc_u32 s21, s50, 0
	s_add_u32 s5, s15, s5
	s_addc_u32 s15, 0, s21
	s_mul_hi_u32 s21, s27, s5
	s_mul_i32 s5, s27, s5
	s_mul_i32 s15, s27, s15
	v_sub_co_u32 v2, s5, s48, s5
	s_add_i32 s21, s21, s15
	s_cmp_lg_u32 s5, 0
	s_delay_alu instid0(VALU_DEP_1) | instskip(SKIP_2) | instid1(VALU_DEP_1)
	v_sub_co_u32 v3, s5, v2, s27
	s_subb_u32 s15, s49, s21
	s_cmp_lg_u32 s5, 0
	v_cmp_le_u32_e32 vcc_lo, s27, v3
	v_sub_co_u32 v4, s5, v3, s27
	s_subb_u32 s21, s15, 0
	s_cmp_lg_u32 s5, 0
	v_cndmask_b32_e64 v5, 0, -1, vcc_lo
	s_subb_u32 s5, s21, 0
	s_cmp_eq_u32 s21, 0
	v_mov_b32_e32 v7, s5
	s_cselect_b32 vcc_lo, -1, 0
	s_cmp_eq_u32 s15, 0
	v_cndmask_b32_e32 v5, -1, v5, vcc_lo
	v_cmp_le_u32_e32 vcc_lo, s27, v2
	s_cselect_b32 s5, -1, 0
	v_cndmask_b32_e64 v6, 0, -1, vcc_lo
	s_delay_alu instid0(VALU_DEP_3) | instskip(NEXT) | instid1(VALU_DEP_2)
	v_cmp_ne_u32_e32 vcc_lo, 0, v5
	v_cndmask_b32_e64 v5, -1, v6, s5
	v_cndmask_b32_e32 v3, v3, v4, vcc_lo
	v_cndmask_b32_e32 v6, s21, v7, vcc_lo
	s_delay_alu instid0(VALU_DEP_3) | instskip(NEXT) | instid1(VALU_DEP_3)
	v_cmp_ne_u32_e32 vcc_lo, 0, v5
	v_cndmask_b32_e32 v2, v2, v3, vcc_lo
	s_delay_alu instid0(VALU_DEP_3) | instskip(NEXT) | instid1(VALU_DEP_2)
	v_cndmask_b32_e32 v4, s15, v6, vcc_lo
	v_xor_b32_e32 v2, s14, v2
	s_delay_alu instid0(VALU_DEP_2) | instskip(NEXT) | instid1(VALU_DEP_2)
	v_xor_b32_e32 v3, s14, v4
	v_sub_co_u32 v2, vcc_lo, v2, s14
	s_delay_alu instid0(VALU_DEP_2)
	v_subrev_co_ci_u32_e32 v3, vcc_lo, s14, v3, vcc_lo
	s_cbranch_execnz .LBB54_159
.LBB54_158:                             ;   in Loop: Header=BB54_33 Depth=1
	v_cvt_f32_u32_e32 v2, s27
	s_sub_i32 s5, 0, s27
	s_delay_alu instid0(VALU_DEP_1) | instskip(SKIP_2) | instid1(VALU_DEP_1)
	v_rcp_iflag_f32_e32 v2, v2
	s_waitcnt_depctr 0xfff
	v_mul_f32_e32 v2, 0x4f7ffffe, v2
	v_cvt_u32_f32_e32 v2, v2
	s_delay_alu instid0(VALU_DEP_1) | instskip(NEXT) | instid1(VALU_DEP_1)
	v_mul_lo_u32 v3, s5, v2
	v_mul_hi_u32 v3, v2, v3
	s_delay_alu instid0(VALU_DEP_1) | instskip(NEXT) | instid1(VALU_DEP_1)
	v_add_nc_u32_e32 v2, v2, v3
	v_mul_hi_u32 v2, s95, v2
	s_delay_alu instid0(VALU_DEP_1) | instskip(NEXT) | instid1(VALU_DEP_1)
	v_mul_lo_u32 v2, v2, s27
	v_sub_nc_u32_e32 v2, s95, v2
	s_delay_alu instid0(VALU_DEP_1) | instskip(SKIP_1) | instid1(VALU_DEP_2)
	v_subrev_nc_u32_e32 v3, s27, v2
	v_cmp_le_u32_e32 vcc_lo, s27, v2
	v_cndmask_b32_e32 v2, v2, v3, vcc_lo
	s_delay_alu instid0(VALU_DEP_1) | instskip(SKIP_1) | instid1(VALU_DEP_2)
	v_subrev_nc_u32_e32 v3, s27, v2
	v_cmp_le_u32_e32 vcc_lo, s27, v2
	v_cndmask_b32_e32 v12, v2, v3, vcc_lo
	s_delay_alu instid0(VALU_DEP_1)
	v_dual_mov_b32 v2, v12 :: v_dual_mov_b32 v3, v13
.LBB54_159:                             ;   in Loop: Header=BB54_33 Depth=1
	s_delay_alu instid0(VALU_DEP_1) | instskip(NEXT) | instid1(VALU_DEP_2)
	v_sub_co_u32 v2, vcc_lo, s95, v2
	v_sub_co_ci_u32_e32 v3, vcc_lo, s25, v3, vcc_lo
	s_mov_b32 s24, 0
	s_mov_b32 s14, exec_lo
                                        ; implicit-def: $vgpr27
	s_delay_alu instid0(VALU_DEP_1)
	v_cmpx_gt_i64_e64 v[2:3], v[0:1]
	s_cbranch_execz .LBB54_172
; %bb.160:                              ;   in Loop: Header=BB54_33 Depth=1
	v_dual_mov_b32 v4, v10 :: v_dual_mov_b32 v5, v11
	v_dual_mov_b32 v7, v1 :: v_dual_mov_b32 v6, v0
	s_mov_b32 s15, 0
                                        ; implicit-def: $sgpr21
	s_set_inst_prefetch_distance 0x1
	s_branch .LBB54_162
	.p2align	6
.LBB54_161:                             ;   in Loop: Header=BB54_162 Depth=2
	s_or_b32 exec_lo, exec_lo, s5
	s_waitcnt vmcnt(0) lgkmcnt(0)
	s_barrier
	buffer_gl0_inv
	ds_load_b64 v[26:27], v13 offset:3072
	v_add_co_u32 v6, vcc_lo, v6, s27
	v_add_co_ci_u32_e32 v7, vcc_lo, 0, v7, vcc_lo
	s_waitcnt lgkmcnt(0)
	s_barrier
	buffer_gl0_inv
	v_cmp_ge_i64_e32 vcc_lo, v[6:7], v[2:3]
	v_cmp_neq_f32_e64 s5, 0, v26
	s_delay_alu instid0(VALU_DEP_1)
	s_or_b32 s22, s5, vcc_lo
	v_add_co_u32 v4, vcc_lo, v4, s70
	s_and_b32 s22, exec_lo, s22
	v_add_co_ci_u32_e32 v5, vcc_lo, s71, v5, vcc_lo
	s_or_b32 s15, s22, s15
	s_and_not1_b32 s21, s21, exec_lo
	s_and_b32 s5, s5, exec_lo
	s_delay_alu instid0(SALU_CYCLE_1)
	s_or_b32 s21, s21, s5
	s_and_not1_b32 exec_lo, exec_lo, s15
	s_cbranch_execz .LBB54_171
.LBB54_162:                             ;   Parent Loop BB54_33 Depth=1
                                        ; =>  This Inner Loop Header: Depth=2
	s_delay_alu instid0(VALU_DEP_1)
	v_cmp_gt_i64_e32 vcc_lo, s[36:37], v[6:7]
	v_mov_b32_e32 v26, 0
	s_and_saveexec_b32 s5, vcc_lo
	s_cbranch_execz .LBB54_164
; %bb.163:                              ;   in Loop: Header=BB54_162 Depth=2
	global_load_b32 v26, v[4:5], off
.LBB54_164:                             ;   in Loop: Header=BB54_162 Depth=2
	s_or_b32 exec_lo, exec_lo, s5
	s_and_saveexec_b32 s5, vcc_lo
	s_cbranch_execz .LBB54_161
; %bb.165:                              ;   in Loop: Header=BB54_162 Depth=2
	s_waitcnt vmcnt(0)
	v_cmp_lt_i32_e32 vcc_lo, -1, v26
	v_cndmask_b32_e64 v8, -1, 0x80000000, vcc_lo
	v_cmp_o_f32_e32 vcc_lo, v26, v26
	s_delay_alu instid0(VALU_DEP_2) | instskip(NEXT) | instid1(VALU_DEP_1)
	v_xor_b32_e32 v8, v8, v26
	v_cndmask_b32_e32 v8, -1, v8, vcc_lo
	s_delay_alu instid0(VALU_DEP_1) | instskip(NEXT) | instid1(VALU_DEP_1)
	v_and_b32_e32 v8, s59, v8
	v_cmp_eq_u32_e32 vcc_lo, s60, v8
	s_and_b32 exec_lo, exec_lo, vcc_lo
	s_cbranch_execz .LBB54_161
; %bb.166:                              ;   in Loop: Header=BB54_162 Depth=2
	ds_store_b64 v13, v[25:26] offset:3072
	s_branch .LBB54_161
.LBB54_167:                             ;   in Loop: Header=BB54_33 Depth=1
                                        ; implicit-def: $sgpr15
                                        ; implicit-def: $sgpr21
                                        ; implicit-def: $sgpr14
	s_branch .LBB54_186
.LBB54_168:                             ;   in Loop: Header=BB54_33 Depth=1
                                        ; implicit-def: $vgpr2_vgpr3
	s_branch .LBB54_113
.LBB54_169:                             ;   in Loop: Header=BB54_33 Depth=1
                                        ; implicit-def: $vgpr2_vgpr3
	s_branch .LBB54_128
.LBB54_170:                             ;   in Loop: Header=BB54_33 Depth=1
	s_mov_b32 s15, -1
	s_mov_b32 s24, 0
                                        ; implicit-def: $sgpr14
                                        ; implicit-def: $vgpr27
	s_mov_b32 s21, s15
	s_cbranch_execnz .LBB54_173
	s_branch .LBB54_186
.LBB54_171:                             ;   in Loop: Header=BB54_33 Depth=1
	s_set_inst_prefetch_distance 0x2
	s_or_b32 exec_lo, exec_lo, s15
	s_delay_alu instid0(SALU_CYCLE_1)
	s_and_b32 s24, s21, exec_lo
.LBB54_172:                             ;   in Loop: Header=BB54_33 Depth=1
	s_or_b32 exec_lo, exec_lo, s14
	s_mov_b32 s14, -1
	s_mov_b32 s15, 0
	s_delay_alu instid0(SALU_CYCLE_1)
	s_mov_b32 s21, s15
	s_branch .LBB54_186
.LBB54_173:                             ;   in Loop: Header=BB54_33 Depth=1
	s_add_u32 s21, s93, s12
	s_addc_u32 s15, s94, s13
	s_mov_b32 s14, s69
	s_delay_alu instid0(SALU_CYCLE_1)
	s_cmp_lg_u64 s[14:15], 0
	s_cbranch_scc0 .LBB54_216
; %bb.174:                              ;   in Loop: Header=BB54_33 Depth=1
	v_cvt_f32_u32_e32 v2, s27
	s_sub_u32 s22, 0, s27
	s_subb_u32 s24, 0, 0
	s_delay_alu instid0(VALU_DEP_1) | instskip(NEXT) | instid1(VALU_DEP_1)
	v_fmac_f32_e32 v2, 0x4f800000, v45
	v_rcp_f32_e32 v2, v2
	s_waitcnt_depctr 0xfff
	v_mul_f32_e32 v2, 0x5f7ffffc, v2
	s_delay_alu instid0(VALU_DEP_1) | instskip(NEXT) | instid1(VALU_DEP_1)
	v_mul_f32_e32 v3, 0x2f800000, v2
	v_trunc_f32_e32 v3, v3
	s_delay_alu instid0(VALU_DEP_1) | instskip(SKIP_1) | instid1(VALU_DEP_2)
	v_fmac_f32_e32 v2, 0xcf800000, v3
	v_cvt_u32_f32_e32 v3, v3
	v_cvt_u32_f32_e32 v2, v2
	s_delay_alu instid0(VALU_DEP_2) | instskip(NEXT) | instid1(VALU_DEP_2)
	v_readfirstlane_b32 s5, v3
	v_readfirstlane_b32 s14, v2
	s_delay_alu instid0(VALU_DEP_2) | instskip(NEXT) | instid1(VALU_DEP_1)
	s_mul_i32 s48, s22, s5
	s_mul_hi_u32 s50, s22, s14
	s_mul_i32 s49, s24, s14
	s_add_i32 s48, s50, s48
	s_mul_i32 s51, s22, s14
	s_add_i32 s48, s48, s49
	s_mul_hi_u32 s50, s14, s51
	s_mul_hi_u32 s61, s5, s51
	s_mul_i32 s49, s5, s51
	s_mul_hi_u32 s51, s14, s48
	s_mul_i32 s14, s14, s48
	s_mul_hi_u32 s68, s5, s48
	s_add_u32 s14, s50, s14
	s_addc_u32 s50, 0, s51
	s_add_u32 s14, s14, s49
	s_mul_i32 s48, s5, s48
	s_addc_u32 s14, s50, s61
	s_addc_u32 s49, s68, 0
	s_add_u32 s14, s14, s48
	s_addc_u32 s48, 0, s49
	v_add_co_u32 v2, s14, v2, s14
	s_delay_alu instid0(VALU_DEP_1) | instskip(SKIP_1) | instid1(VALU_DEP_1)
	s_cmp_lg_u32 s14, 0
	s_addc_u32 s5, s5, s48
	v_readfirstlane_b32 s14, v2
	s_mul_i32 s48, s22, s5
	s_delay_alu instid0(VALU_DEP_1)
	s_mul_hi_u32 s49, s22, s14
	s_mul_i32 s24, s24, s14
	s_add_i32 s48, s49, s48
	s_mul_i32 s22, s22, s14
	s_add_i32 s48, s48, s24
	s_mul_hi_u32 s49, s5, s22
	s_mul_i32 s50, s5, s22
	s_mul_hi_u32 s22, s14, s22
	s_mul_hi_u32 s51, s14, s48
	s_mul_i32 s14, s14, s48
	s_mul_hi_u32 s24, s5, s48
	s_add_u32 s14, s22, s14
	s_addc_u32 s22, 0, s51
	s_add_u32 s14, s14, s50
	s_mul_i32 s48, s5, s48
	s_addc_u32 s14, s22, s49
	s_addc_u32 s22, s24, 0
	s_add_u32 s14, s14, s48
	s_addc_u32 s22, 0, s22
	v_add_co_u32 v2, s14, v2, s14
	s_delay_alu instid0(VALU_DEP_1) | instskip(SKIP_2) | instid1(VALU_DEP_1)
	s_cmp_lg_u32 s14, 0
	s_addc_u32 s5, s5, s22
	s_ashr_i32 s48, s15, 31
	v_readfirstlane_b32 s14, v2
	s_add_u32 s50, s21, s48
	s_mov_b32 s49, s48
	s_addc_u32 s51, s15, s48
	s_delay_alu instid0(SALU_CYCLE_1) | instskip(NEXT) | instid1(SALU_CYCLE_1)
	s_xor_b64 s[50:51], s[50:51], s[48:49]
	s_mul_i32 s24, s50, s5
	s_mul_hi_u32 s49, s50, s14
	s_mul_hi_u32 s22, s50, s5
	;; [unrolled: 1-line block ×3, first 2 shown]
	s_mul_i32 s14, s51, s14
	s_add_u32 s24, s49, s24
	s_addc_u32 s22, 0, s22
	s_mul_hi_u32 s61, s51, s5
	s_add_u32 s14, s24, s14
	s_mul_i32 s5, s51, s5
	s_addc_u32 s14, s22, s68
	s_addc_u32 s22, s61, 0
	s_add_u32 s5, s14, s5
	s_addc_u32 s14, 0, s22
	s_mul_hi_u32 s22, s27, s5
	s_mul_i32 s5, s27, s5
	s_mul_i32 s14, s27, s14
	v_sub_co_u32 v2, s5, s50, s5
	s_add_i32 s22, s22, s14
	s_cmp_lg_u32 s5, 0
	s_delay_alu instid0(VALU_DEP_1) | instskip(SKIP_2) | instid1(VALU_DEP_1)
	v_sub_co_u32 v3, s5, v2, s27
	s_subb_u32 s14, s51, s22
	s_cmp_lg_u32 s5, 0
	v_cmp_le_u32_e32 vcc_lo, s27, v3
	v_sub_co_u32 v4, s5, v3, s27
	s_subb_u32 s22, s14, 0
	s_cmp_lg_u32 s5, 0
	v_cmp_le_u32_e64 s5, s27, v2
	s_subb_u32 s24, s22, 0
	v_cndmask_b32_e64 v5, 0, -1, vcc_lo
	s_cmp_eq_u32 s22, 0
	s_cselect_b32 vcc_lo, -1, 0
	v_cndmask_b32_e64 v6, 0, -1, s5
	s_delay_alu instid0(VALU_DEP_2) | instskip(SKIP_2) | instid1(VALU_DEP_1)
	v_cndmask_b32_e32 v5, -1, v5, vcc_lo
	s_cmp_eq_u32 s14, 0
	s_cselect_b32 vcc_lo, -1, 0
	v_cmp_ne_u32_e64 s5, 0, v5
	v_dual_cndmask_b32 v5, -1, v6 :: v_dual_mov_b32 v6, s24
	s_delay_alu instid0(VALU_DEP_2) | instskip(NEXT) | instid1(VALU_DEP_2)
	v_cndmask_b32_e64 v3, v3, v4, s5
	v_cmp_ne_u32_e32 vcc_lo, 0, v5
	s_delay_alu instid0(VALU_DEP_3) | instskip(NEXT) | instid1(VALU_DEP_3)
	v_cndmask_b32_e64 v4, s22, v6, s5
	v_cndmask_b32_e32 v2, v2, v3, vcc_lo
	s_delay_alu instid0(VALU_DEP_2) | instskip(NEXT) | instid1(VALU_DEP_2)
	v_cndmask_b32_e32 v3, s14, v4, vcc_lo
	v_xor_b32_e32 v2, s48, v2
	s_delay_alu instid0(VALU_DEP_2) | instskip(NEXT) | instid1(VALU_DEP_2)
	v_xor_b32_e32 v3, s48, v3
	v_sub_co_u32 v2, vcc_lo, v2, s48
	s_delay_alu instid0(VALU_DEP_2)
	v_subrev_co_ci_u32_e32 v3, vcc_lo, s48, v3, vcc_lo
	s_cbranch_execnz .LBB54_176
.LBB54_175:                             ;   in Loop: Header=BB54_33 Depth=1
	v_cvt_f32_u32_e32 v2, s27
	s_sub_i32 s5, 0, s27
	s_delay_alu instid0(VALU_DEP_1) | instskip(SKIP_2) | instid1(VALU_DEP_1)
	v_rcp_iflag_f32_e32 v2, v2
	s_waitcnt_depctr 0xfff
	v_mul_f32_e32 v2, 0x4f7ffffe, v2
	v_cvt_u32_f32_e32 v2, v2
	s_delay_alu instid0(VALU_DEP_1) | instskip(NEXT) | instid1(VALU_DEP_1)
	v_mul_lo_u32 v3, s5, v2
	v_mul_hi_u32 v3, v2, v3
	s_delay_alu instid0(VALU_DEP_1) | instskip(NEXT) | instid1(VALU_DEP_1)
	v_add_nc_u32_e32 v2, v2, v3
	v_mul_hi_u32 v2, s21, v2
	s_delay_alu instid0(VALU_DEP_1) | instskip(NEXT) | instid1(VALU_DEP_1)
	v_mul_lo_u32 v2, v2, s27
	v_sub_nc_u32_e32 v2, s21, v2
	s_delay_alu instid0(VALU_DEP_1) | instskip(SKIP_1) | instid1(VALU_DEP_2)
	v_subrev_nc_u32_e32 v3, s27, v2
	v_cmp_le_u32_e32 vcc_lo, s27, v2
	v_cndmask_b32_e32 v2, v2, v3, vcc_lo
	s_delay_alu instid0(VALU_DEP_1) | instskip(SKIP_1) | instid1(VALU_DEP_2)
	v_subrev_nc_u32_e32 v3, s27, v2
	v_cmp_le_u32_e32 vcc_lo, s27, v2
	v_cndmask_b32_e32 v12, v2, v3, vcc_lo
	s_delay_alu instid0(VALU_DEP_1)
	v_dual_mov_b32 v2, v12 :: v_dual_mov_b32 v3, v13
.LBB54_176:                             ;   in Loop: Header=BB54_33 Depth=1
	s_delay_alu instid0(VALU_DEP_1) | instskip(NEXT) | instid1(VALU_DEP_2)
	v_sub_co_u32 v2, vcc_lo, s21, v2
	v_sub_co_ci_u32_e32 v3, vcc_lo, s15, v3, vcc_lo
	s_mov_b32 s24, 0
	s_mov_b32 s14, exec_lo
                                        ; implicit-def: $vgpr27
	s_delay_alu instid0(VALU_DEP_1)
	v_cmpx_gt_i64_e64 v[2:3], v[0:1]
	s_cbranch_execz .LBB54_185
; %bb.177:                              ;   in Loop: Header=BB54_33 Depth=1
	v_dual_mov_b32 v6, v14 :: v_dual_mov_b32 v5, v1
	v_mov_b32_e32 v4, v0
	s_mov_b32 s15, 0
                                        ; implicit-def: $sgpr21
	s_set_inst_prefetch_distance 0x1
	s_branch .LBB54_179
	.p2align	6
.LBB54_178:                             ;   in Loop: Header=BB54_179 Depth=2
	s_or_b32 exec_lo, exec_lo, s5
	s_waitcnt lgkmcnt(0)
	s_barrier
	buffer_gl0_inv
	ds_load_b64 v[26:27], v13 offset:3072
	v_add_co_u32 v4, vcc_lo, v4, s27
	v_add_co_ci_u32_e32 v5, vcc_lo, 0, v5, vcc_lo
	v_add_nc_u32_e32 v6, s101, v6
	s_waitcnt lgkmcnt(0)
	s_barrier
	s_delay_alu instid0(VALU_DEP_2) | instskip(SKIP_2) | instid1(VALU_DEP_1)
	v_cmp_ge_i64_e32 vcc_lo, v[4:5], v[2:3]
	buffer_gl0_inv
	v_cmp_neq_f32_e64 s5, 0, v26
	s_or_b32 s22, s5, vcc_lo
	s_delay_alu instid0(SALU_CYCLE_1) | instskip(NEXT) | instid1(SALU_CYCLE_1)
	s_and_b32 s22, exec_lo, s22
	s_or_b32 s15, s22, s15
	s_and_not1_b32 s21, s21, exec_lo
	s_and_b32 s5, s5, exec_lo
	s_delay_alu instid0(SALU_CYCLE_1)
	s_or_b32 s21, s21, s5
	s_and_not1_b32 exec_lo, exec_lo, s15
	s_cbranch_execz .LBB54_184
.LBB54_179:                             ;   Parent Loop BB54_33 Depth=1
                                        ; =>  This Inner Loop Header: Depth=2
	s_delay_alu instid0(VALU_DEP_1)
	v_cmp_gt_i64_e32 vcc_lo, s[12:13], v[4:5]
	v_mov_b32_e32 v26, 0
	s_and_saveexec_b32 s5, vcc_lo
	s_cbranch_execz .LBB54_181
; %bb.180:                              ;   in Loop: Header=BB54_179 Depth=2
	ds_load_b32 v26, v6
.LBB54_181:                             ;   in Loop: Header=BB54_179 Depth=2
	s_or_b32 exec_lo, exec_lo, s5
	s_and_saveexec_b32 s5, vcc_lo
	s_cbranch_execz .LBB54_178
; %bb.182:                              ;   in Loop: Header=BB54_179 Depth=2
	s_waitcnt lgkmcnt(0)
	v_cmp_lt_i32_e32 vcc_lo, -1, v26
	v_cndmask_b32_e64 v7, -1, 0x80000000, vcc_lo
	v_cmp_o_f32_e32 vcc_lo, v26, v26
	s_delay_alu instid0(VALU_DEP_2) | instskip(NEXT) | instid1(VALU_DEP_1)
	v_xor_b32_e32 v7, v7, v26
	v_cndmask_b32_e32 v7, -1, v7, vcc_lo
	s_delay_alu instid0(VALU_DEP_1) | instskip(NEXT) | instid1(VALU_DEP_1)
	v_and_b32_e32 v7, s59, v7
	v_cmp_eq_u32_e32 vcc_lo, s60, v7
	s_and_b32 exec_lo, exec_lo, vcc_lo
	s_cbranch_execz .LBB54_178
; %bb.183:                              ;   in Loop: Header=BB54_179 Depth=2
	ds_store_b64 v13, v[25:26] offset:3072
	s_branch .LBB54_178
.LBB54_184:                             ;   in Loop: Header=BB54_33 Depth=1
	s_set_inst_prefetch_distance 0x2
	s_or_b32 exec_lo, exec_lo, s15
	s_delay_alu instid0(SALU_CYCLE_1)
	s_and_b32 s24, s21, exec_lo
.LBB54_185:                             ;   in Loop: Header=BB54_33 Depth=1
	s_or_b32 exec_lo, exec_lo, s14
	s_mov_b32 s21, -1
	s_mov_b32 s15, 0
	s_mov_b32 s14, 0
.LBB54_186:                             ;   in Loop: Header=BB54_33 Depth=1
	s_mov_b32 s12, 0
                                        ; implicit-def: $sgpr5
	s_and_saveexec_b32 s22, s24
	s_cbranch_execz .LBB54_297
; %bb.187:                              ;   in Loop: Header=BB54_33 Depth=1
	s_xor_b32 s5, s23, -1
	s_delay_alu instid0(SALU_CYCLE_1)
	s_and_not1_b32 vcc_lo, exec_lo, s5
	s_mov_b32 s5, 1
	s_cbranch_vccnz .LBB54_198
; %bb.188:                              ;   in Loop: Header=BB54_33 Depth=1
	v_cmp_gt_i64_e64 s5, s[38:39], s[10:11]
	s_mov_b32 s12, -1
                                        ; implicit-def: $sgpr13
                                        ; implicit-def: $sgpr23
	s_delay_alu instid0(VALU_DEP_1)
	s_and_b32 vcc_lo, exec_lo, s5
                                        ; implicit-def: $sgpr5
	s_cbranch_vccnz .LBB54_194
; %bb.189:                              ;   in Loop: Header=BB54_33 Depth=1
	ds_load_b64 v[2:3], v13 offset:5120
	s_waitcnt lgkmcnt(0)
	v_cmp_ne_u64_e32 vcc_lo, 0, v[2:3]
	s_cbranch_vccnz .LBB54_193
; %bb.190:                              ;   in Loop: Header=BB54_33 Depth=1
	s_and_saveexec_b32 s5, s0
	s_cbranch_execz .LBB54_192
; %bb.191:                              ;   in Loop: Header=BB54_33 Depth=1
	v_dual_mov_b32 v2, s10 :: v_dual_mov_b32 v3, s11
	ds_store_b64 v13, v[2:3] offset:5128
.LBB54_192:                             ;   in Loop: Header=BB54_33 Depth=1
	s_or_b32 exec_lo, exec_lo, s5
	s_waitcnt lgkmcnt(0)
	s_barrier
	buffer_gl0_inv
.LBB54_193:                             ;   in Loop: Header=BB54_33 Depth=1
	s_lshl_b32 s5, 1, s19
	s_and_b32 s12, s60, s20
	s_or_b32 s23, s59, s18
	s_or_b32 s13, s12, s5
	s_mov_b32 s12, 0
	s_mov_b32 s5, 8
.LBB54_194:                             ;   in Loop: Header=BB54_33 Depth=1
	s_and_not1_b32 vcc_lo, exec_lo, s12
	s_cbranch_vccnz .LBB54_196
; %bb.195:                              ;   in Loop: Header=BB54_33 Depth=1
	s_sub_u32 s38, s38, s10
	s_subb_u32 s39, s39, s11
	s_mov_b32 s12, -1
	s_mov_b32 s5, 0
	s_mov_b32 s13, s60
	;; [unrolled: 1-line block ×3, first 2 shown]
.LBB54_196:                             ;   in Loop: Header=BB54_33 Depth=1
	s_delay_alu instid0(SALU_CYCLE_1)
	s_mov_b32 s59, s23
	s_mov_b32 s60, s13
	s_and_not1_b32 vcc_lo, exec_lo, s12
	s_mov_b32 s10, -1
	s_cbranch_vccz .LBB54_199
.LBB54_197:                             ;   in Loop: Header=BB54_33 Depth=1
                                        ; implicit-def: $sgpr13
                                        ; implicit-def: $sgpr23
                                        ; implicit-def: $sgpr12
	s_branch .LBB54_296
.LBB54_198:                             ;   in Loop: Header=BB54_33 Depth=1
	s_mov_b64 s[38:39], 1
	s_and_not1_b32 vcc_lo, exec_lo, s12
	s_mov_b32 s10, -1
	s_cbranch_vccnz .LBB54_197
.LBB54_199:                             ;   in Loop: Header=BB54_33 Depth=1
	s_cmp_eq_u64 s[8:9], 1
	s_mov_b32 s24, -1
	s_cselect_b32 s5, -1, 0
	s_cmp_eq_u64 s[38:39], 1
	s_cselect_b32 s10, -1, 0
	s_delay_alu instid0(SALU_CYCLE_1) | instskip(NEXT) | instid1(SALU_CYCLE_1)
	s_and_b32 s68, s5, s10
	s_and_b32 vcc_lo, exec_lo, s68
	s_cbranch_vccz .LBB54_214
; %bb.200:                              ;   in Loop: Header=BB54_33 Depth=1
	ds_load_b64 v[2:3], v13 offset:5120
	s_waitcnt lgkmcnt(0)
	s_barrier
	buffer_gl0_inv
	v_readfirstlane_b32 s10, v2
	v_readfirstlane_b32 s11, v3
	s_and_saveexec_b32 s5, s3
	s_cbranch_execz .LBB54_202
; %bb.201:                              ;   in Loop: Header=BB54_33 Depth=1
	ds_store_b32 v37, v13
.LBB54_202:                             ;   in Loop: Header=BB54_33 Depth=1
	s_or_b32 exec_lo, exec_lo, s5
	s_delay_alu instid0(VALU_DEP_1)
	v_cmp_gt_i64_e64 s13, s[10:11], 0
	s_lshl_b32 s5, 2, s19
	s_and_b32 s12, s60, s20
	s_or_b32 s59, s59, s18
	s_or_b32 s60, s12, s5
	s_waitcnt lgkmcnt(0)
	s_and_b32 vcc_lo, exec_lo, s13
	s_barrier
	buffer_gl0_inv
	s_cbranch_vccnz .LBB54_217
; %bb.203:                              ;   in Loop: Header=BB54_33 Depth=1
	s_mov_b32 s24, s69
	s_delay_alu instid0(SALU_CYCLE_1)
	s_cmp_lg_u64 s[24:25], 0
	s_cbranch_scc0 .LBB54_262
; %bb.204:                              ;   in Loop: Header=BB54_33 Depth=1
	v_cvt_f32_u32_e32 v2, s27
	s_sub_u32 s13, 0, s27
	s_subb_u32 s23, 0, 0
	s_delay_alu instid0(VALU_DEP_1) | instskip(NEXT) | instid1(VALU_DEP_1)
	v_fmac_f32_e32 v2, 0x4f800000, v45
	v_rcp_f32_e32 v2, v2
	s_waitcnt_depctr 0xfff
	v_mul_f32_e32 v2, 0x5f7ffffc, v2
	s_delay_alu instid0(VALU_DEP_1) | instskip(NEXT) | instid1(VALU_DEP_1)
	v_mul_f32_e32 v3, 0x2f800000, v2
	v_trunc_f32_e32 v3, v3
	s_delay_alu instid0(VALU_DEP_1) | instskip(SKIP_1) | instid1(VALU_DEP_2)
	v_fmac_f32_e32 v2, 0xcf800000, v3
	v_cvt_u32_f32_e32 v3, v3
	v_cvt_u32_f32_e32 v2, v2
	s_delay_alu instid0(VALU_DEP_2) | instskip(NEXT) | instid1(VALU_DEP_2)
	v_readfirstlane_b32 s5, v3
	v_readfirstlane_b32 s12, v2
	s_delay_alu instid0(VALU_DEP_2) | instskip(NEXT) | instid1(VALU_DEP_1)
	s_mul_i32 s24, s13, s5
	s_mul_hi_u32 s49, s13, s12
	s_mul_i32 s48, s23, s12
	s_add_i32 s24, s49, s24
	s_mul_i32 s50, s13, s12
	s_add_i32 s24, s24, s48
	s_mul_hi_u32 s49, s12, s50
	s_mul_hi_u32 s51, s5, s50
	s_mul_i32 s48, s5, s50
	s_mul_hi_u32 s50, s12, s24
	s_mul_i32 s12, s12, s24
	s_mul_hi_u32 s61, s5, s24
	s_add_u32 s12, s49, s12
	s_addc_u32 s49, 0, s50
	s_add_u32 s12, s12, s48
	s_mul_i32 s24, s5, s24
	s_addc_u32 s12, s49, s51
	s_addc_u32 s48, s61, 0
	s_add_u32 s12, s12, s24
	s_addc_u32 s24, 0, s48
	v_add_co_u32 v2, s12, v2, s12
	s_delay_alu instid0(VALU_DEP_1) | instskip(SKIP_1) | instid1(VALU_DEP_1)
	s_cmp_lg_u32 s12, 0
	s_addc_u32 s5, s5, s24
	v_readfirstlane_b32 s12, v2
	s_mul_i32 s24, s13, s5
	s_delay_alu instid0(VALU_DEP_1)
	s_mul_hi_u32 s48, s13, s12
	s_mul_i32 s23, s23, s12
	s_add_i32 s24, s48, s24
	s_mul_i32 s13, s13, s12
	s_add_i32 s24, s24, s23
	s_mul_hi_u32 s48, s5, s13
	s_mul_i32 s49, s5, s13
	s_mul_hi_u32 s13, s12, s13
	s_mul_hi_u32 s50, s12, s24
	s_mul_i32 s12, s12, s24
	s_mul_hi_u32 s23, s5, s24
	s_add_u32 s12, s13, s12
	s_addc_u32 s13, 0, s50
	s_add_u32 s12, s12, s49
	s_mul_i32 s24, s5, s24
	s_addc_u32 s12, s13, s48
	s_addc_u32 s13, s23, 0
	s_add_u32 s12, s12, s24
	s_addc_u32 s13, 0, s13
	v_add_co_u32 v2, s12, v2, s12
	s_delay_alu instid0(VALU_DEP_1) | instskip(SKIP_2) | instid1(VALU_DEP_1)
	s_cmp_lg_u32 s12, 0
	s_addc_u32 s5, s5, s13
	s_ashr_i32 s12, s25, 31
	v_readfirstlane_b32 s23, v2
	s_add_u32 s48, s95, s12
	s_mov_b32 s13, s12
	s_addc_u32 s49, s25, s12
	s_delay_alu instid0(SALU_CYCLE_1) | instskip(NEXT) | instid1(SALU_CYCLE_1)
	s_xor_b64 s[48:49], s[48:49], s[12:13]
	s_mul_i32 s24, s48, s5
	s_mul_hi_u32 s50, s48, s23
	s_mul_hi_u32 s13, s48, s5
	;; [unrolled: 1-line block ×3, first 2 shown]
	s_mul_i32 s23, s49, s23
	s_add_u32 s24, s50, s24
	s_addc_u32 s13, 0, s13
	s_mul_hi_u32 s51, s49, s5
	s_add_u32 s23, s24, s23
	s_mul_i32 s5, s49, s5
	s_addc_u32 s13, s13, s61
	s_addc_u32 s23, s51, 0
	s_add_u32 s5, s13, s5
	s_addc_u32 s13, 0, s23
	s_mul_hi_u32 s23, s27, s5
	s_mul_i32 s5, s27, s5
	s_mul_i32 s13, s27, s13
	v_sub_co_u32 v2, s5, s48, s5
	s_add_i32 s23, s23, s13
	s_cmp_lg_u32 s5, 0
	s_delay_alu instid0(VALU_DEP_1) | instskip(SKIP_2) | instid1(VALU_DEP_1)
	v_sub_co_u32 v3, s5, v2, s27
	s_subb_u32 s13, s49, s23
	s_cmp_lg_u32 s5, 0
	v_cmp_le_u32_e32 vcc_lo, s27, v3
	v_sub_co_u32 v4, s5, v3, s27
	s_subb_u32 s23, s13, 0
	s_cmp_lg_u32 s5, 0
	v_cmp_le_u32_e64 s5, s27, v2
	s_subb_u32 s24, s23, 0
	v_cndmask_b32_e64 v5, 0, -1, vcc_lo
	s_cmp_eq_u32 s23, 0
	s_cselect_b32 vcc_lo, -1, 0
	v_cndmask_b32_e64 v6, 0, -1, s5
	s_delay_alu instid0(VALU_DEP_2) | instskip(SKIP_2) | instid1(VALU_DEP_1)
	v_cndmask_b32_e32 v5, -1, v5, vcc_lo
	s_cmp_eq_u32 s13, 0
	s_cselect_b32 vcc_lo, -1, 0
	v_cmp_ne_u32_e64 s5, 0, v5
	v_dual_cndmask_b32 v5, -1, v6 :: v_dual_mov_b32 v6, s24
	s_delay_alu instid0(VALU_DEP_2) | instskip(NEXT) | instid1(VALU_DEP_2)
	v_cndmask_b32_e64 v3, v3, v4, s5
	v_cmp_ne_u32_e32 vcc_lo, 0, v5
	s_delay_alu instid0(VALU_DEP_3) | instskip(NEXT) | instid1(VALU_DEP_3)
	v_cndmask_b32_e64 v4, s23, v6, s5
	v_cndmask_b32_e32 v2, v2, v3, vcc_lo
	s_delay_alu instid0(VALU_DEP_2) | instskip(NEXT) | instid1(VALU_DEP_2)
	v_cndmask_b32_e32 v3, s13, v4, vcc_lo
	v_xor_b32_e32 v2, s12, v2
	s_delay_alu instid0(VALU_DEP_2) | instskip(NEXT) | instid1(VALU_DEP_2)
	v_xor_b32_e32 v3, s12, v3
	v_sub_co_u32 v2, vcc_lo, v2, s12
	s_delay_alu instid0(VALU_DEP_2)
	v_subrev_co_ci_u32_e32 v3, vcc_lo, s12, v3, vcc_lo
	s_cbranch_execnz .LBB54_206
.LBB54_205:                             ;   in Loop: Header=BB54_33 Depth=1
	v_cvt_f32_u32_e32 v2, s27
	s_sub_i32 s5, 0, s27
	s_delay_alu instid0(VALU_DEP_1) | instskip(SKIP_2) | instid1(VALU_DEP_1)
	v_rcp_iflag_f32_e32 v2, v2
	s_waitcnt_depctr 0xfff
	v_mul_f32_e32 v2, 0x4f7ffffe, v2
	v_cvt_u32_f32_e32 v2, v2
	s_delay_alu instid0(VALU_DEP_1) | instskip(NEXT) | instid1(VALU_DEP_1)
	v_mul_lo_u32 v3, s5, v2
	v_mul_hi_u32 v3, v2, v3
	s_delay_alu instid0(VALU_DEP_1) | instskip(NEXT) | instid1(VALU_DEP_1)
	v_add_nc_u32_e32 v2, v2, v3
	v_mul_hi_u32 v2, s95, v2
	s_delay_alu instid0(VALU_DEP_1) | instskip(NEXT) | instid1(VALU_DEP_1)
	v_mul_lo_u32 v2, v2, s27
	v_sub_nc_u32_e32 v2, s95, v2
	s_delay_alu instid0(VALU_DEP_1) | instskip(SKIP_1) | instid1(VALU_DEP_2)
	v_subrev_nc_u32_e32 v3, s27, v2
	v_cmp_le_u32_e32 vcc_lo, s27, v2
	v_cndmask_b32_e32 v2, v2, v3, vcc_lo
	s_delay_alu instid0(VALU_DEP_1) | instskip(SKIP_1) | instid1(VALU_DEP_2)
	v_subrev_nc_u32_e32 v3, s27, v2
	v_cmp_le_u32_e32 vcc_lo, s27, v2
	v_cndmask_b32_e32 v12, v2, v3, vcc_lo
	s_delay_alu instid0(VALU_DEP_1)
	v_dual_mov_b32 v2, v12 :: v_dual_mov_b32 v3, v13
.LBB54_206:                             ;   in Loop: Header=BB54_33 Depth=1
	s_delay_alu instid0(VALU_DEP_1) | instskip(NEXT) | instid1(VALU_DEP_2)
	v_sub_co_u32 v2, vcc_lo, s95, v2
	v_sub_co_ci_u32_e32 v3, vcc_lo, s25, v3, vcc_lo
	s_mov_b32 s24, 0
	s_mov_b32 s12, exec_lo
                                        ; implicit-def: $vgpr27
	s_delay_alu instid0(VALU_DEP_1)
	v_cmpx_gt_i64_e64 v[2:3], v[0:1]
	s_cbranch_execz .LBB54_219
; %bb.207:                              ;   in Loop: Header=BB54_33 Depth=1
	v_dual_mov_b32 v4, v10 :: v_dual_mov_b32 v5, v11
	v_dual_mov_b32 v7, v1 :: v_dual_mov_b32 v6, v0
	s_mov_b32 s13, 0
                                        ; implicit-def: $sgpr23
	s_set_inst_prefetch_distance 0x1
	s_branch .LBB54_209
	.p2align	6
.LBB54_208:                             ;   in Loop: Header=BB54_209 Depth=2
	s_or_b32 exec_lo, exec_lo, s5
	s_waitcnt vmcnt(0) lgkmcnt(0)
	s_barrier
	buffer_gl0_inv
	ds_load_b64 v[26:27], v13 offset:3072
	v_add_co_u32 v6, vcc_lo, v6, s27
	v_add_co_ci_u32_e32 v7, vcc_lo, 0, v7, vcc_lo
	s_waitcnt lgkmcnt(0)
	s_barrier
	buffer_gl0_inv
	v_cmp_ge_i64_e32 vcc_lo, v[6:7], v[2:3]
	v_cmp_neq_f32_e64 s5, 0, v26
	s_delay_alu instid0(VALU_DEP_1)
	s_or_b32 s24, s5, vcc_lo
	v_add_co_u32 v4, vcc_lo, v4, s70
	s_and_b32 s24, exec_lo, s24
	v_add_co_ci_u32_e32 v5, vcc_lo, s71, v5, vcc_lo
	s_or_b32 s13, s24, s13
	s_and_not1_b32 s23, s23, exec_lo
	s_and_b32 s5, s5, exec_lo
	s_delay_alu instid0(SALU_CYCLE_1)
	s_or_b32 s23, s23, s5
	s_and_not1_b32 exec_lo, exec_lo, s13
	s_cbranch_execz .LBB54_218
.LBB54_209:                             ;   Parent Loop BB54_33 Depth=1
                                        ; =>  This Inner Loop Header: Depth=2
	s_delay_alu instid0(VALU_DEP_1)
	v_cmp_gt_i64_e32 vcc_lo, s[36:37], v[6:7]
	v_mov_b32_e32 v26, 0
	s_and_saveexec_b32 s5, vcc_lo
	s_cbranch_execz .LBB54_211
; %bb.210:                              ;   in Loop: Header=BB54_209 Depth=2
	global_load_b32 v26, v[4:5], off
.LBB54_211:                             ;   in Loop: Header=BB54_209 Depth=2
	s_or_b32 exec_lo, exec_lo, s5
	s_and_saveexec_b32 s5, vcc_lo
	s_cbranch_execz .LBB54_208
; %bb.212:                              ;   in Loop: Header=BB54_209 Depth=2
	s_waitcnt vmcnt(0)
	v_cmp_lt_i32_e32 vcc_lo, -1, v26
	v_cndmask_b32_e64 v8, -1, 0x80000000, vcc_lo
	v_cmp_o_f32_e32 vcc_lo, v26, v26
	s_delay_alu instid0(VALU_DEP_2) | instskip(NEXT) | instid1(VALU_DEP_1)
	v_xor_b32_e32 v8, v8, v26
	v_cndmask_b32_e32 v8, -1, v8, vcc_lo
	s_delay_alu instid0(VALU_DEP_1) | instskip(NEXT) | instid1(VALU_DEP_1)
	v_and_b32_e32 v8, s59, v8
	v_cmp_eq_u32_e32 vcc_lo, s60, v8
	s_and_b32 exec_lo, exec_lo, vcc_lo
	s_cbranch_execz .LBB54_208
; %bb.213:                              ;   in Loop: Header=BB54_209 Depth=2
	ds_store_b64 v13, v[25:26] offset:3072
	s_branch .LBB54_208
.LBB54_214:                             ;   in Loop: Header=BB54_33 Depth=1
                                        ; implicit-def: $sgpr12
                                        ; implicit-def: $sgpr23
                                        ; implicit-def: $sgpr13
	s_branch .LBB54_233
.LBB54_215:                             ;   in Loop: Header=BB54_33 Depth=1
                                        ; implicit-def: $vgpr2_vgpr3
	s_branch .LBB54_158
.LBB54_216:                             ;   in Loop: Header=BB54_33 Depth=1
                                        ; implicit-def: $vgpr2_vgpr3
	s_branch .LBB54_175
.LBB54_217:                             ;   in Loop: Header=BB54_33 Depth=1
	s_mov_b32 s12, -1
	s_mov_b32 s24, 0
                                        ; implicit-def: $sgpr13
                                        ; implicit-def: $vgpr27
	s_mov_b32 s23, s12
	s_cbranch_execnz .LBB54_220
	s_branch .LBB54_233
.LBB54_218:                             ;   in Loop: Header=BB54_33 Depth=1
	s_set_inst_prefetch_distance 0x2
	s_or_b32 exec_lo, exec_lo, s13
	s_delay_alu instid0(SALU_CYCLE_1)
	s_and_b32 s24, s23, exec_lo
.LBB54_219:                             ;   in Loop: Header=BB54_33 Depth=1
	s_or_b32 exec_lo, exec_lo, s12
	s_mov_b32 s13, -1
	s_mov_b32 s12, 0
	s_delay_alu instid0(SALU_CYCLE_1)
	s_mov_b32 s23, s12
	s_branch .LBB54_233
.LBB54_220:                             ;   in Loop: Header=BB54_33 Depth=1
	s_add_u32 s23, s93, s10
	s_addc_u32 s13, s94, s11
	s_mov_b32 s12, s69
	s_delay_alu instid0(SALU_CYCLE_1)
	s_cmp_lg_u64 s[12:13], 0
	s_cbranch_scc0 .LBB54_263
; %bb.221:                              ;   in Loop: Header=BB54_33 Depth=1
	v_cvt_f32_u32_e32 v2, s27
	s_sub_u32 s24, 0, s27
	s_subb_u32 s48, 0, 0
	s_delay_alu instid0(VALU_DEP_1) | instskip(NEXT) | instid1(VALU_DEP_1)
	v_fmac_f32_e32 v2, 0x4f800000, v45
	v_rcp_f32_e32 v2, v2
	s_waitcnt_depctr 0xfff
	v_mul_f32_e32 v2, 0x5f7ffffc, v2
	s_delay_alu instid0(VALU_DEP_1) | instskip(NEXT) | instid1(VALU_DEP_1)
	v_mul_f32_e32 v3, 0x2f800000, v2
	v_trunc_f32_e32 v3, v3
	s_delay_alu instid0(VALU_DEP_1) | instskip(SKIP_1) | instid1(VALU_DEP_2)
	v_fmac_f32_e32 v2, 0xcf800000, v3
	v_cvt_u32_f32_e32 v3, v3
	v_cvt_u32_f32_e32 v2, v2
	s_delay_alu instid0(VALU_DEP_2) | instskip(NEXT) | instid1(VALU_DEP_2)
	v_readfirstlane_b32 s5, v3
	v_readfirstlane_b32 s12, v2
	s_delay_alu instid0(VALU_DEP_2) | instskip(NEXT) | instid1(VALU_DEP_1)
	s_mul_i32 s49, s24, s5
	s_mul_hi_u32 s51, s24, s12
	s_mul_i32 s50, s48, s12
	s_add_i32 s49, s51, s49
	s_mul_i32 s61, s24, s12
	s_add_i32 s49, s49, s50
	s_mul_hi_u32 s51, s12, s61
	s_mul_hi_u32 s82, s5, s61
	s_mul_i32 s50, s5, s61
	s_mul_hi_u32 s61, s12, s49
	s_mul_i32 s12, s12, s49
	s_mul_hi_u32 s83, s5, s49
	s_add_u32 s12, s51, s12
	s_addc_u32 s51, 0, s61
	s_add_u32 s12, s12, s50
	s_mul_i32 s49, s5, s49
	s_addc_u32 s12, s51, s82
	s_addc_u32 s50, s83, 0
	s_add_u32 s12, s12, s49
	s_addc_u32 s49, 0, s50
	v_add_co_u32 v2, s12, v2, s12
	s_delay_alu instid0(VALU_DEP_1) | instskip(SKIP_1) | instid1(VALU_DEP_1)
	s_cmp_lg_u32 s12, 0
	s_addc_u32 s5, s5, s49
	v_readfirstlane_b32 s12, v2
	s_mul_i32 s49, s24, s5
	s_delay_alu instid0(VALU_DEP_1)
	s_mul_hi_u32 s50, s24, s12
	s_mul_i32 s48, s48, s12
	s_add_i32 s49, s50, s49
	s_mul_i32 s24, s24, s12
	s_add_i32 s49, s49, s48
	s_mul_hi_u32 s50, s5, s24
	s_mul_i32 s51, s5, s24
	s_mul_hi_u32 s24, s12, s24
	s_mul_hi_u32 s61, s12, s49
	s_mul_i32 s12, s12, s49
	s_mul_hi_u32 s48, s5, s49
	s_add_u32 s12, s24, s12
	s_addc_u32 s24, 0, s61
	s_add_u32 s12, s12, s51
	s_mul_i32 s49, s5, s49
	s_addc_u32 s12, s24, s50
	s_addc_u32 s24, s48, 0
	s_add_u32 s12, s12, s49
	s_addc_u32 s24, 0, s24
	v_add_co_u32 v2, s12, v2, s12
	s_delay_alu instid0(VALU_DEP_1) | instskip(SKIP_2) | instid1(VALU_DEP_1)
	s_cmp_lg_u32 s12, 0
	s_addc_u32 s5, s5, s24
	s_ashr_i32 s48, s13, 31
	v_readfirstlane_b32 s12, v2
	s_add_u32 s50, s23, s48
	s_mov_b32 s49, s48
	s_addc_u32 s51, s13, s48
	s_delay_alu instid0(SALU_CYCLE_1) | instskip(NEXT) | instid1(SALU_CYCLE_1)
	s_xor_b64 s[50:51], s[50:51], s[48:49]
	s_mul_i32 s49, s50, s5
	s_mul_hi_u32 s61, s50, s12
	s_mul_hi_u32 s24, s50, s5
	;; [unrolled: 1-line block ×3, first 2 shown]
	s_mul_i32 s12, s51, s12
	s_add_u32 s49, s61, s49
	s_addc_u32 s24, 0, s24
	s_mul_hi_u32 s82, s51, s5
	s_add_u32 s12, s49, s12
	s_mul_i32 s5, s51, s5
	s_addc_u32 s12, s24, s83
	s_addc_u32 s24, s82, 0
	s_add_u32 s5, s12, s5
	s_addc_u32 s12, 0, s24
	s_mul_hi_u32 s24, s27, s5
	s_mul_i32 s5, s27, s5
	s_mul_i32 s12, s27, s12
	v_sub_co_u32 v2, s5, s50, s5
	s_add_i32 s24, s24, s12
	s_cmp_lg_u32 s5, 0
	s_delay_alu instid0(VALU_DEP_1) | instskip(SKIP_2) | instid1(VALU_DEP_1)
	v_sub_co_u32 v3, s5, v2, s27
	s_subb_u32 s12, s51, s24
	s_cmp_lg_u32 s5, 0
	v_cmp_le_u32_e32 vcc_lo, s27, v3
	v_sub_co_u32 v4, s5, v3, s27
	s_subb_u32 s24, s12, 0
	s_cmp_lg_u32 s5, 0
	v_cmp_le_u32_e64 s5, s27, v2
	s_subb_u32 s49, s24, 0
	v_cndmask_b32_e64 v5, 0, -1, vcc_lo
	s_cmp_eq_u32 s24, 0
	s_cselect_b32 vcc_lo, -1, 0
	v_cndmask_b32_e64 v6, 0, -1, s5
	s_delay_alu instid0(VALU_DEP_2) | instskip(SKIP_2) | instid1(VALU_DEP_1)
	v_cndmask_b32_e32 v5, -1, v5, vcc_lo
	s_cmp_eq_u32 s12, 0
	s_cselect_b32 vcc_lo, -1, 0
	v_cmp_ne_u32_e64 s5, 0, v5
	v_dual_cndmask_b32 v5, -1, v6 :: v_dual_mov_b32 v6, s49
	s_delay_alu instid0(VALU_DEP_2) | instskip(NEXT) | instid1(VALU_DEP_2)
	v_cndmask_b32_e64 v3, v3, v4, s5
	v_cmp_ne_u32_e32 vcc_lo, 0, v5
	s_delay_alu instid0(VALU_DEP_3) | instskip(NEXT) | instid1(VALU_DEP_3)
	v_cndmask_b32_e64 v4, s24, v6, s5
	v_cndmask_b32_e32 v2, v2, v3, vcc_lo
	s_delay_alu instid0(VALU_DEP_2) | instskip(NEXT) | instid1(VALU_DEP_2)
	v_cndmask_b32_e32 v3, s12, v4, vcc_lo
	v_xor_b32_e32 v2, s48, v2
	s_delay_alu instid0(VALU_DEP_2) | instskip(NEXT) | instid1(VALU_DEP_2)
	v_xor_b32_e32 v3, s48, v3
	v_sub_co_u32 v2, vcc_lo, v2, s48
	s_delay_alu instid0(VALU_DEP_2)
	v_subrev_co_ci_u32_e32 v3, vcc_lo, s48, v3, vcc_lo
	s_cbranch_execnz .LBB54_223
.LBB54_222:                             ;   in Loop: Header=BB54_33 Depth=1
	v_cvt_f32_u32_e32 v2, s27
	s_sub_i32 s5, 0, s27
	s_delay_alu instid0(VALU_DEP_1) | instskip(SKIP_2) | instid1(VALU_DEP_1)
	v_rcp_iflag_f32_e32 v2, v2
	s_waitcnt_depctr 0xfff
	v_mul_f32_e32 v2, 0x4f7ffffe, v2
	v_cvt_u32_f32_e32 v2, v2
	s_delay_alu instid0(VALU_DEP_1) | instskip(NEXT) | instid1(VALU_DEP_1)
	v_mul_lo_u32 v3, s5, v2
	v_mul_hi_u32 v3, v2, v3
	s_delay_alu instid0(VALU_DEP_1) | instskip(NEXT) | instid1(VALU_DEP_1)
	v_add_nc_u32_e32 v2, v2, v3
	v_mul_hi_u32 v2, s23, v2
	s_delay_alu instid0(VALU_DEP_1) | instskip(NEXT) | instid1(VALU_DEP_1)
	v_mul_lo_u32 v2, v2, s27
	v_sub_nc_u32_e32 v2, s23, v2
	s_delay_alu instid0(VALU_DEP_1) | instskip(SKIP_1) | instid1(VALU_DEP_2)
	v_subrev_nc_u32_e32 v3, s27, v2
	v_cmp_le_u32_e32 vcc_lo, s27, v2
	v_cndmask_b32_e32 v2, v2, v3, vcc_lo
	s_delay_alu instid0(VALU_DEP_1) | instskip(SKIP_1) | instid1(VALU_DEP_2)
	v_subrev_nc_u32_e32 v3, s27, v2
	v_cmp_le_u32_e32 vcc_lo, s27, v2
	v_cndmask_b32_e32 v12, v2, v3, vcc_lo
	s_delay_alu instid0(VALU_DEP_1)
	v_dual_mov_b32 v2, v12 :: v_dual_mov_b32 v3, v13
.LBB54_223:                             ;   in Loop: Header=BB54_33 Depth=1
	s_delay_alu instid0(VALU_DEP_1) | instskip(NEXT) | instid1(VALU_DEP_2)
	v_sub_co_u32 v2, vcc_lo, s23, v2
	v_sub_co_ci_u32_e32 v3, vcc_lo, s13, v3, vcc_lo
	s_mov_b32 s24, 0
	s_mov_b32 s12, exec_lo
                                        ; implicit-def: $vgpr27
	s_delay_alu instid0(VALU_DEP_1)
	v_cmpx_gt_i64_e64 v[2:3], v[0:1]
	s_cbranch_execz .LBB54_232
; %bb.224:                              ;   in Loop: Header=BB54_33 Depth=1
	v_dual_mov_b32 v6, v14 :: v_dual_mov_b32 v5, v1
	v_mov_b32_e32 v4, v0
	s_mov_b32 s13, 0
                                        ; implicit-def: $sgpr23
	s_set_inst_prefetch_distance 0x1
	s_branch .LBB54_226
	.p2align	6
.LBB54_225:                             ;   in Loop: Header=BB54_226 Depth=2
	s_or_b32 exec_lo, exec_lo, s5
	s_waitcnt lgkmcnt(0)
	s_barrier
	buffer_gl0_inv
	ds_load_b64 v[26:27], v13 offset:3072
	v_add_co_u32 v4, vcc_lo, v4, s27
	v_add_co_ci_u32_e32 v5, vcc_lo, 0, v5, vcc_lo
	v_add_nc_u32_e32 v6, s101, v6
	s_waitcnt lgkmcnt(0)
	s_barrier
	s_delay_alu instid0(VALU_DEP_2) | instskip(SKIP_2) | instid1(VALU_DEP_1)
	v_cmp_ge_i64_e32 vcc_lo, v[4:5], v[2:3]
	buffer_gl0_inv
	v_cmp_neq_f32_e64 s5, 0, v26
	s_or_b32 s24, s5, vcc_lo
	s_delay_alu instid0(SALU_CYCLE_1) | instskip(NEXT) | instid1(SALU_CYCLE_1)
	s_and_b32 s24, exec_lo, s24
	s_or_b32 s13, s24, s13
	s_and_not1_b32 s23, s23, exec_lo
	s_and_b32 s5, s5, exec_lo
	s_delay_alu instid0(SALU_CYCLE_1)
	s_or_b32 s23, s23, s5
	s_and_not1_b32 exec_lo, exec_lo, s13
	s_cbranch_execz .LBB54_231
.LBB54_226:                             ;   Parent Loop BB54_33 Depth=1
                                        ; =>  This Inner Loop Header: Depth=2
	s_delay_alu instid0(VALU_DEP_1)
	v_cmp_gt_i64_e32 vcc_lo, s[10:11], v[4:5]
	v_mov_b32_e32 v26, 0
	s_and_saveexec_b32 s5, vcc_lo
	s_cbranch_execz .LBB54_228
; %bb.227:                              ;   in Loop: Header=BB54_226 Depth=2
	ds_load_b32 v26, v6
.LBB54_228:                             ;   in Loop: Header=BB54_226 Depth=2
	s_or_b32 exec_lo, exec_lo, s5
	s_and_saveexec_b32 s5, vcc_lo
	s_cbranch_execz .LBB54_225
; %bb.229:                              ;   in Loop: Header=BB54_226 Depth=2
	s_waitcnt lgkmcnt(0)
	v_cmp_lt_i32_e32 vcc_lo, -1, v26
	v_cndmask_b32_e64 v7, -1, 0x80000000, vcc_lo
	v_cmp_o_f32_e32 vcc_lo, v26, v26
	s_delay_alu instid0(VALU_DEP_2) | instskip(NEXT) | instid1(VALU_DEP_1)
	v_xor_b32_e32 v7, v7, v26
	v_cndmask_b32_e32 v7, -1, v7, vcc_lo
	s_delay_alu instid0(VALU_DEP_1) | instskip(NEXT) | instid1(VALU_DEP_1)
	v_and_b32_e32 v7, s59, v7
	v_cmp_eq_u32_e32 vcc_lo, s60, v7
	s_and_b32 exec_lo, exec_lo, vcc_lo
	s_cbranch_execz .LBB54_225
; %bb.230:                              ;   in Loop: Header=BB54_226 Depth=2
	ds_store_b64 v13, v[25:26] offset:3072
	s_branch .LBB54_225
.LBB54_231:                             ;   in Loop: Header=BB54_33 Depth=1
	s_set_inst_prefetch_distance 0x2
	s_or_b32 exec_lo, exec_lo, s13
	s_delay_alu instid0(SALU_CYCLE_1)
	s_and_b32 s24, s23, exec_lo
.LBB54_232:                             ;   in Loop: Header=BB54_33 Depth=1
	s_or_b32 exec_lo, exec_lo, s12
	s_mov_b32 s23, -1
	s_mov_b32 s12, 0
	s_mov_b32 s13, 0
.LBB54_233:                             ;   in Loop: Header=BB54_33 Depth=1
	s_mov_b32 s10, 0
                                        ; implicit-def: $sgpr5
	s_and_saveexec_b32 s61, s24
	s_cbranch_execz .LBB54_295
; %bb.234:                              ;   in Loop: Header=BB54_33 Depth=1
	s_xor_b32 s5, s68, -1
	s_delay_alu instid0(SALU_CYCLE_1)
	s_and_not1_b32 vcc_lo, exec_lo, s5
	s_mov_b32 s5, 1
	s_cbranch_vccnz .LBB54_245
; %bb.235:                              ;   in Loop: Header=BB54_33 Depth=1
	v_cmp_gt_i64_e64 s5, s[38:39], s[8:9]
	s_mov_b32 s10, -1
                                        ; implicit-def: $sgpr11
                                        ; implicit-def: $sgpr24
	s_delay_alu instid0(VALU_DEP_1)
	s_and_b32 vcc_lo, exec_lo, s5
                                        ; implicit-def: $sgpr5
	s_cbranch_vccnz .LBB54_241
; %bb.236:                              ;   in Loop: Header=BB54_33 Depth=1
	ds_load_b64 v[2:3], v13 offset:5120
	s_waitcnt lgkmcnt(0)
	v_cmp_ne_u64_e32 vcc_lo, 0, v[2:3]
	s_cbranch_vccnz .LBB54_240
; %bb.237:                              ;   in Loop: Header=BB54_33 Depth=1
	s_and_saveexec_b32 s5, s0
	s_cbranch_execz .LBB54_239
; %bb.238:                              ;   in Loop: Header=BB54_33 Depth=1
	v_dual_mov_b32 v2, s8 :: v_dual_mov_b32 v3, s9
	ds_store_b64 v13, v[2:3] offset:5128
.LBB54_239:                             ;   in Loop: Header=BB54_33 Depth=1
	s_or_b32 exec_lo, exec_lo, s5
	s_waitcnt lgkmcnt(0)
	s_barrier
	buffer_gl0_inv
.LBB54_240:                             ;   in Loop: Header=BB54_33 Depth=1
	s_lshl_b32 s5, 2, s19
	s_and_b32 s10, s60, s20
	s_or_b32 s24, s59, s18
	s_or_b32 s11, s10, s5
	s_mov_b32 s10, 0
	s_mov_b32 s5, 8
.LBB54_241:                             ;   in Loop: Header=BB54_33 Depth=1
	s_and_not1_b32 vcc_lo, exec_lo, s10
	s_cbranch_vccnz .LBB54_243
; %bb.242:                              ;   in Loop: Header=BB54_33 Depth=1
	s_sub_u32 s38, s38, s8
	s_subb_u32 s39, s39, s9
	s_mov_b32 s10, -1
	s_mov_b32 s5, 0
	s_mov_b32 s11, s60
	;; [unrolled: 1-line block ×3, first 2 shown]
.LBB54_243:                             ;   in Loop: Header=BB54_33 Depth=1
	s_delay_alu instid0(SALU_CYCLE_1)
	s_mov_b32 s59, s24
	s_mov_b32 s60, s11
	s_and_not1_b32 vcc_lo, exec_lo, s10
	s_mov_b32 s49, -1
	s_cbranch_vccz .LBB54_246
.LBB54_244:                             ;   in Loop: Header=BB54_33 Depth=1
                                        ; implicit-def: $sgpr10
                                        ; implicit-def: $sgpr20
                                        ; implicit-def: $sgpr11
	s_branch .LBB54_294
.LBB54_245:                             ;   in Loop: Header=BB54_33 Depth=1
	s_mov_b64 s[38:39], 1
	s_and_not1_b32 vcc_lo, exec_lo, s10
	s_mov_b32 s49, -1
	s_cbranch_vccnz .LBB54_244
.LBB54_246:                             ;   in Loop: Header=BB54_33 Depth=1
	s_cmp_eq_u64 s[6:7], 1
	s_mov_b32 s24, -1
	s_cselect_b32 s5, -1, 0
	s_cmp_eq_u64 s[38:39], 1
	s_cselect_b32 s8, -1, 0
	s_delay_alu instid0(SALU_CYCLE_1) | instskip(NEXT) | instid1(SALU_CYCLE_1)
	s_and_b32 s19, s5, s8
	s_and_b32 vcc_lo, exec_lo, s19
	s_cbranch_vccz .LBB54_261
; %bb.247:                              ;   in Loop: Header=BB54_33 Depth=1
	ds_load_b64 v[2:3], v13 offset:5120
	s_waitcnt lgkmcnt(0)
	s_barrier
	buffer_gl0_inv
	v_readfirstlane_b32 s8, v2
	v_readfirstlane_b32 s9, v3
	s_and_saveexec_b32 s5, s3
	s_cbranch_execz .LBB54_249
; %bb.248:                              ;   in Loop: Header=BB54_33 Depth=1
	ds_store_b32 v37, v13
.LBB54_249:                             ;   in Loop: Header=BB54_33 Depth=1
	s_or_b32 exec_lo, exec_lo, s5
	s_delay_alu instid0(VALU_DEP_1)
	v_cmp_gt_i64_e64 s5, s[8:9], 0
	s_or_b32 s60, s60, s18
	s_or_b32 s59, s59, s18
	s_waitcnt lgkmcnt(0)
	s_barrier
	buffer_gl0_inv
	s_and_b32 vcc_lo, exec_lo, s5
	s_cbranch_vccnz .LBB54_264
; %bb.250:                              ;   in Loop: Header=BB54_33 Depth=1
	s_mov_b32 s24, s69
	s_delay_alu instid0(SALU_CYCLE_1)
	s_cmp_lg_u64 s[24:25], 0
	s_cbranch_scc0 .LBB54_300
; %bb.251:                              ;   in Loop: Header=BB54_33 Depth=1
	v_cvt_f32_u32_e32 v2, s27
	s_sub_u32 s11, 0, s27
	s_subb_u32 s20, 0, 0
	s_delay_alu instid0(VALU_DEP_1) | instskip(NEXT) | instid1(VALU_DEP_1)
	v_fmac_f32_e32 v2, 0x4f800000, v45
	v_rcp_f32_e32 v2, v2
	s_waitcnt_depctr 0xfff
	v_mul_f32_e32 v2, 0x5f7ffffc, v2
	s_delay_alu instid0(VALU_DEP_1) | instskip(NEXT) | instid1(VALU_DEP_1)
	v_mul_f32_e32 v3, 0x2f800000, v2
	v_trunc_f32_e32 v3, v3
	s_delay_alu instid0(VALU_DEP_1) | instskip(SKIP_1) | instid1(VALU_DEP_2)
	v_fmac_f32_e32 v2, 0xcf800000, v3
	v_cvt_u32_f32_e32 v3, v3
	v_cvt_u32_f32_e32 v2, v2
	s_delay_alu instid0(VALU_DEP_2) | instskip(NEXT) | instid1(VALU_DEP_2)
	v_readfirstlane_b32 s5, v3
	v_readfirstlane_b32 s10, v2
	s_delay_alu instid0(VALU_DEP_2) | instskip(NEXT) | instid1(VALU_DEP_1)
	s_mul_i32 s24, s11, s5
	s_mul_hi_u32 s49, s11, s10
	s_mul_i32 s48, s20, s10
	s_add_i32 s24, s49, s24
	s_mul_i32 s50, s11, s10
	s_add_i32 s24, s24, s48
	s_mul_hi_u32 s49, s10, s50
	s_mul_hi_u32 s51, s5, s50
	s_mul_i32 s48, s5, s50
	s_mul_hi_u32 s50, s10, s24
	s_mul_i32 s10, s10, s24
	s_mul_hi_u32 s68, s5, s24
	s_add_u32 s10, s49, s10
	s_addc_u32 s49, 0, s50
	s_add_u32 s10, s10, s48
	s_mul_i32 s24, s5, s24
	s_addc_u32 s10, s49, s51
	s_addc_u32 s48, s68, 0
	s_add_u32 s10, s10, s24
	s_addc_u32 s24, 0, s48
	v_add_co_u32 v2, s10, v2, s10
	s_delay_alu instid0(VALU_DEP_1) | instskip(SKIP_1) | instid1(VALU_DEP_1)
	s_cmp_lg_u32 s10, 0
	s_addc_u32 s5, s5, s24
	v_readfirstlane_b32 s10, v2
	s_mul_i32 s24, s11, s5
	s_delay_alu instid0(VALU_DEP_1)
	s_mul_hi_u32 s48, s11, s10
	s_mul_i32 s20, s20, s10
	s_add_i32 s24, s48, s24
	s_mul_i32 s11, s11, s10
	s_add_i32 s24, s24, s20
	s_mul_hi_u32 s48, s5, s11
	s_mul_i32 s49, s5, s11
	s_mul_hi_u32 s11, s10, s11
	s_mul_hi_u32 s50, s10, s24
	s_mul_i32 s10, s10, s24
	s_mul_hi_u32 s20, s5, s24
	s_add_u32 s10, s11, s10
	s_addc_u32 s11, 0, s50
	s_add_u32 s10, s10, s49
	s_mul_i32 s24, s5, s24
	s_addc_u32 s10, s11, s48
	s_addc_u32 s11, s20, 0
	s_add_u32 s10, s10, s24
	s_addc_u32 s11, 0, s11
	v_add_co_u32 v2, s10, v2, s10
	s_delay_alu instid0(VALU_DEP_1) | instskip(SKIP_2) | instid1(VALU_DEP_1)
	s_cmp_lg_u32 s10, 0
	s_addc_u32 s5, s5, s11
	s_ashr_i32 s10, s25, 31
	v_readfirstlane_b32 s20, v2
	s_add_u32 s48, s95, s10
	s_mov_b32 s11, s10
	s_addc_u32 s49, s25, s10
	s_delay_alu instid0(SALU_CYCLE_1) | instskip(NEXT) | instid1(SALU_CYCLE_1)
	s_xor_b64 s[48:49], s[48:49], s[10:11]
	s_mul_i32 s24, s48, s5
	s_mul_hi_u32 s50, s48, s20
	s_mul_hi_u32 s11, s48, s5
	;; [unrolled: 1-line block ×3, first 2 shown]
	s_mul_i32 s20, s49, s20
	s_add_u32 s24, s50, s24
	s_addc_u32 s11, 0, s11
	s_mul_hi_u32 s51, s49, s5
	s_add_u32 s20, s24, s20
	s_mul_i32 s5, s49, s5
	s_addc_u32 s11, s11, s68
	s_addc_u32 s20, s51, 0
	s_add_u32 s5, s11, s5
	s_addc_u32 s11, 0, s20
	s_mul_hi_u32 s20, s27, s5
	s_mul_i32 s5, s27, s5
	s_mul_i32 s11, s27, s11
	v_sub_co_u32 v2, s5, s48, s5
	s_add_i32 s20, s20, s11
	s_cmp_lg_u32 s5, 0
	s_delay_alu instid0(VALU_DEP_1) | instskip(SKIP_2) | instid1(VALU_DEP_1)
	v_sub_co_u32 v3, s5, v2, s27
	s_subb_u32 s11, s49, s20
	s_cmp_lg_u32 s5, 0
	v_cmp_le_u32_e32 vcc_lo, s27, v3
	v_sub_co_u32 v4, s5, v3, s27
	s_subb_u32 s20, s11, 0
	s_cmp_lg_u32 s5, 0
	v_cmp_le_u32_e64 s5, s27, v2
	s_subb_u32 s24, s20, 0
	v_cndmask_b32_e64 v5, 0, -1, vcc_lo
	s_cmp_eq_u32 s20, 0
	s_cselect_b32 vcc_lo, -1, 0
	v_cndmask_b32_e64 v6, 0, -1, s5
	s_delay_alu instid0(VALU_DEP_2) | instskip(SKIP_2) | instid1(VALU_DEP_1)
	v_cndmask_b32_e32 v5, -1, v5, vcc_lo
	s_cmp_eq_u32 s11, 0
	s_cselect_b32 vcc_lo, -1, 0
	v_cmp_ne_u32_e64 s5, 0, v5
	v_dual_cndmask_b32 v5, -1, v6 :: v_dual_mov_b32 v6, s24
	s_delay_alu instid0(VALU_DEP_2) | instskip(NEXT) | instid1(VALU_DEP_2)
	v_cndmask_b32_e64 v3, v3, v4, s5
	v_cmp_ne_u32_e32 vcc_lo, 0, v5
	s_delay_alu instid0(VALU_DEP_3) | instskip(NEXT) | instid1(VALU_DEP_3)
	v_cndmask_b32_e64 v4, s20, v6, s5
	v_cndmask_b32_e32 v2, v2, v3, vcc_lo
	s_delay_alu instid0(VALU_DEP_2) | instskip(NEXT) | instid1(VALU_DEP_2)
	v_cndmask_b32_e32 v3, s11, v4, vcc_lo
	v_xor_b32_e32 v2, s10, v2
	s_delay_alu instid0(VALU_DEP_2) | instskip(NEXT) | instid1(VALU_DEP_2)
	v_xor_b32_e32 v3, s10, v3
	v_sub_co_u32 v2, vcc_lo, v2, s10
	s_delay_alu instid0(VALU_DEP_2)
	v_subrev_co_ci_u32_e32 v3, vcc_lo, s10, v3, vcc_lo
	s_cbranch_execnz .LBB54_253
.LBB54_252:                             ;   in Loop: Header=BB54_33 Depth=1
	v_cvt_f32_u32_e32 v2, s27
	s_sub_i32 s5, 0, s27
	s_delay_alu instid0(VALU_DEP_1) | instskip(SKIP_2) | instid1(VALU_DEP_1)
	v_rcp_iflag_f32_e32 v2, v2
	s_waitcnt_depctr 0xfff
	v_mul_f32_e32 v2, 0x4f7ffffe, v2
	v_cvt_u32_f32_e32 v2, v2
	s_delay_alu instid0(VALU_DEP_1) | instskip(NEXT) | instid1(VALU_DEP_1)
	v_mul_lo_u32 v3, s5, v2
	v_mul_hi_u32 v3, v2, v3
	s_delay_alu instid0(VALU_DEP_1) | instskip(NEXT) | instid1(VALU_DEP_1)
	v_add_nc_u32_e32 v2, v2, v3
	v_mul_hi_u32 v2, s95, v2
	s_delay_alu instid0(VALU_DEP_1) | instskip(NEXT) | instid1(VALU_DEP_1)
	v_mul_lo_u32 v2, v2, s27
	v_sub_nc_u32_e32 v2, s95, v2
	s_delay_alu instid0(VALU_DEP_1) | instskip(SKIP_1) | instid1(VALU_DEP_2)
	v_subrev_nc_u32_e32 v3, s27, v2
	v_cmp_le_u32_e32 vcc_lo, s27, v2
	v_cndmask_b32_e32 v2, v2, v3, vcc_lo
	s_delay_alu instid0(VALU_DEP_1) | instskip(SKIP_1) | instid1(VALU_DEP_2)
	v_subrev_nc_u32_e32 v3, s27, v2
	v_cmp_le_u32_e32 vcc_lo, s27, v2
	v_cndmask_b32_e32 v12, v2, v3, vcc_lo
	s_delay_alu instid0(VALU_DEP_1)
	v_dual_mov_b32 v2, v12 :: v_dual_mov_b32 v3, v13
.LBB54_253:                             ;   in Loop: Header=BB54_33 Depth=1
	s_delay_alu instid0(VALU_DEP_1) | instskip(NEXT) | instid1(VALU_DEP_2)
	v_sub_co_u32 v2, vcc_lo, s95, v2
	v_sub_co_ci_u32_e32 v3, vcc_lo, s25, v3, vcc_lo
	s_mov_b32 s24, 0
	s_mov_b32 s10, exec_lo
                                        ; implicit-def: $vgpr27
	s_delay_alu instid0(VALU_DEP_1)
	v_cmpx_gt_i64_e64 v[2:3], v[0:1]
	s_cbranch_execz .LBB54_266
; %bb.254:                              ;   in Loop: Header=BB54_33 Depth=1
	v_dual_mov_b32 v4, v10 :: v_dual_mov_b32 v5, v11
	v_dual_mov_b32 v7, v1 :: v_dual_mov_b32 v6, v0
	s_mov_b32 s11, 0
                                        ; implicit-def: $sgpr20
	s_set_inst_prefetch_distance 0x1
	s_branch .LBB54_256
	.p2align	6
.LBB54_255:                             ;   in Loop: Header=BB54_256 Depth=2
	s_or_b32 exec_lo, exec_lo, s5
	s_waitcnt vmcnt(0) lgkmcnt(0)
	s_barrier
	buffer_gl0_inv
	ds_load_b64 v[26:27], v13 offset:3072
	v_add_co_u32 v6, vcc_lo, v6, s27
	v_add_co_ci_u32_e32 v7, vcc_lo, 0, v7, vcc_lo
	s_waitcnt lgkmcnt(0)
	s_barrier
	buffer_gl0_inv
	v_cmp_ge_i64_e32 vcc_lo, v[6:7], v[2:3]
	v_cmp_neq_f32_e64 s5, 0, v26
	s_delay_alu instid0(VALU_DEP_1)
	s_or_b32 s24, s5, vcc_lo
	v_add_co_u32 v4, vcc_lo, v4, s70
	s_and_b32 s24, exec_lo, s24
	v_add_co_ci_u32_e32 v5, vcc_lo, s71, v5, vcc_lo
	s_or_b32 s11, s24, s11
	s_and_not1_b32 s20, s20, exec_lo
	s_and_b32 s5, s5, exec_lo
	s_delay_alu instid0(SALU_CYCLE_1)
	s_or_b32 s20, s20, s5
	s_and_not1_b32 exec_lo, exec_lo, s11
	s_cbranch_execz .LBB54_265
.LBB54_256:                             ;   Parent Loop BB54_33 Depth=1
                                        ; =>  This Inner Loop Header: Depth=2
	s_delay_alu instid0(VALU_DEP_1)
	v_cmp_gt_i64_e32 vcc_lo, s[36:37], v[6:7]
	v_mov_b32_e32 v26, 0
	s_and_saveexec_b32 s5, vcc_lo
	s_cbranch_execz .LBB54_258
; %bb.257:                              ;   in Loop: Header=BB54_256 Depth=2
	global_load_b32 v26, v[4:5], off
.LBB54_258:                             ;   in Loop: Header=BB54_256 Depth=2
	s_or_b32 exec_lo, exec_lo, s5
	s_and_saveexec_b32 s5, vcc_lo
	s_cbranch_execz .LBB54_255
; %bb.259:                              ;   in Loop: Header=BB54_256 Depth=2
	s_waitcnt vmcnt(0)
	v_cmp_lt_i32_e32 vcc_lo, -1, v26
	v_cndmask_b32_e64 v8, -1, 0x80000000, vcc_lo
	v_cmp_o_f32_e32 vcc_lo, v26, v26
	s_delay_alu instid0(VALU_DEP_2) | instskip(NEXT) | instid1(VALU_DEP_1)
	v_xor_b32_e32 v8, v8, v26
	v_cndmask_b32_e32 v8, -1, v8, vcc_lo
	s_delay_alu instid0(VALU_DEP_1) | instskip(NEXT) | instid1(VALU_DEP_1)
	v_and_b32_e32 v8, s59, v8
	v_cmp_eq_u32_e32 vcc_lo, s60, v8
	s_and_b32 exec_lo, exec_lo, vcc_lo
	s_cbranch_execz .LBB54_255
; %bb.260:                              ;   in Loop: Header=BB54_256 Depth=2
	ds_store_b64 v13, v[25:26] offset:3072
	s_branch .LBB54_255
.LBB54_261:                             ;   in Loop: Header=BB54_33 Depth=1
                                        ; implicit-def: $sgpr10
                                        ; implicit-def: $sgpr20
                                        ; implicit-def: $sgpr11
	s_branch .LBB54_280
.LBB54_262:                             ;   in Loop: Header=BB54_33 Depth=1
                                        ; implicit-def: $vgpr2_vgpr3
	s_branch .LBB54_205
.LBB54_263:                             ;   in Loop: Header=BB54_33 Depth=1
                                        ; implicit-def: $vgpr2_vgpr3
	s_branch .LBB54_222
.LBB54_264:                             ;   in Loop: Header=BB54_33 Depth=1
	s_mov_b32 s10, -1
	s_mov_b32 s24, 0
                                        ; implicit-def: $sgpr11
                                        ; implicit-def: $vgpr27
	s_mov_b32 s20, s10
	s_cbranch_execnz .LBB54_267
	s_branch .LBB54_280
.LBB54_265:                             ;   in Loop: Header=BB54_33 Depth=1
	s_set_inst_prefetch_distance 0x2
	s_or_b32 exec_lo, exec_lo, s11
	s_delay_alu instid0(SALU_CYCLE_1)
	s_and_b32 s24, s20, exec_lo
.LBB54_266:                             ;   in Loop: Header=BB54_33 Depth=1
	s_or_b32 exec_lo, exec_lo, s10
	s_mov_b32 s11, -1
	s_mov_b32 s10, 0
	s_delay_alu instid0(SALU_CYCLE_1)
	s_mov_b32 s20, s10
	s_branch .LBB54_280
.LBB54_267:                             ;   in Loop: Header=BB54_33 Depth=1
	s_add_u32 s20, s93, s8
	s_addc_u32 s11, s94, s9
	s_mov_b32 s10, s69
	s_delay_alu instid0(SALU_CYCLE_1)
	s_cmp_lg_u64 s[10:11], 0
	s_cbranch_scc0 .LBB54_301
; %bb.268:                              ;   in Loop: Header=BB54_33 Depth=1
	v_cvt_f32_u32_e32 v2, s27
	s_sub_u32 s24, 0, s27
	s_subb_u32 s48, 0, 0
	s_delay_alu instid0(VALU_DEP_1) | instskip(NEXT) | instid1(VALU_DEP_1)
	v_fmac_f32_e32 v2, 0x4f800000, v45
	v_rcp_f32_e32 v2, v2
	s_waitcnt_depctr 0xfff
	v_mul_f32_e32 v2, 0x5f7ffffc, v2
	s_delay_alu instid0(VALU_DEP_1) | instskip(NEXT) | instid1(VALU_DEP_1)
	v_mul_f32_e32 v3, 0x2f800000, v2
	v_trunc_f32_e32 v3, v3
	s_delay_alu instid0(VALU_DEP_1) | instskip(SKIP_1) | instid1(VALU_DEP_2)
	v_fmac_f32_e32 v2, 0xcf800000, v3
	v_cvt_u32_f32_e32 v3, v3
	v_cvt_u32_f32_e32 v2, v2
	s_delay_alu instid0(VALU_DEP_2) | instskip(NEXT) | instid1(VALU_DEP_2)
	v_readfirstlane_b32 s5, v3
	v_readfirstlane_b32 s10, v2
	s_delay_alu instid0(VALU_DEP_2) | instskip(NEXT) | instid1(VALU_DEP_1)
	s_mul_i32 s49, s24, s5
	s_mul_hi_u32 s51, s24, s10
	s_mul_i32 s50, s48, s10
	s_add_i32 s49, s51, s49
	s_mul_i32 s68, s24, s10
	s_add_i32 s49, s49, s50
	s_mul_hi_u32 s51, s10, s68
	s_mul_hi_u32 s82, s5, s68
	s_mul_i32 s50, s5, s68
	s_mul_hi_u32 s68, s10, s49
	s_mul_i32 s10, s10, s49
	s_mul_hi_u32 s83, s5, s49
	s_add_u32 s10, s51, s10
	s_addc_u32 s51, 0, s68
	s_add_u32 s10, s10, s50
	s_mul_i32 s49, s5, s49
	s_addc_u32 s10, s51, s82
	s_addc_u32 s50, s83, 0
	s_add_u32 s10, s10, s49
	s_addc_u32 s49, 0, s50
	v_add_co_u32 v2, s10, v2, s10
	s_delay_alu instid0(VALU_DEP_1) | instskip(SKIP_1) | instid1(VALU_DEP_1)
	s_cmp_lg_u32 s10, 0
	s_addc_u32 s5, s5, s49
	v_readfirstlane_b32 s10, v2
	s_mul_i32 s49, s24, s5
	s_delay_alu instid0(VALU_DEP_1)
	s_mul_hi_u32 s50, s24, s10
	s_mul_i32 s48, s48, s10
	s_add_i32 s49, s50, s49
	s_mul_i32 s24, s24, s10
	s_add_i32 s49, s49, s48
	s_mul_hi_u32 s50, s5, s24
	s_mul_i32 s51, s5, s24
	s_mul_hi_u32 s24, s10, s24
	s_mul_hi_u32 s68, s10, s49
	s_mul_i32 s10, s10, s49
	s_mul_hi_u32 s48, s5, s49
	s_add_u32 s10, s24, s10
	s_addc_u32 s24, 0, s68
	s_add_u32 s10, s10, s51
	s_mul_i32 s49, s5, s49
	s_addc_u32 s10, s24, s50
	s_addc_u32 s24, s48, 0
	s_add_u32 s10, s10, s49
	s_addc_u32 s24, 0, s24
	v_add_co_u32 v2, s10, v2, s10
	s_delay_alu instid0(VALU_DEP_1) | instskip(SKIP_2) | instid1(VALU_DEP_1)
	s_cmp_lg_u32 s10, 0
	s_addc_u32 s5, s5, s24
	s_ashr_i32 s48, s11, 31
	v_readfirstlane_b32 s10, v2
	s_add_u32 s50, s20, s48
	s_mov_b32 s49, s48
	s_addc_u32 s51, s11, s48
	s_delay_alu instid0(SALU_CYCLE_1) | instskip(NEXT) | instid1(SALU_CYCLE_1)
	s_xor_b64 s[50:51], s[50:51], s[48:49]
	s_mul_i32 s49, s50, s5
	s_mul_hi_u32 s68, s50, s10
	s_mul_hi_u32 s24, s50, s5
	;; [unrolled: 1-line block ×3, first 2 shown]
	s_mul_i32 s10, s51, s10
	s_add_u32 s49, s68, s49
	s_addc_u32 s24, 0, s24
	s_mul_hi_u32 s82, s51, s5
	s_add_u32 s10, s49, s10
	s_mul_i32 s5, s51, s5
	s_addc_u32 s10, s24, s83
	s_addc_u32 s24, s82, 0
	s_add_u32 s5, s10, s5
	s_addc_u32 s10, 0, s24
	s_mul_hi_u32 s24, s27, s5
	s_mul_i32 s5, s27, s5
	s_mul_i32 s10, s27, s10
	v_sub_co_u32 v2, s5, s50, s5
	s_add_i32 s24, s24, s10
	s_cmp_lg_u32 s5, 0
	s_delay_alu instid0(VALU_DEP_1) | instskip(SKIP_2) | instid1(VALU_DEP_1)
	v_sub_co_u32 v3, s5, v2, s27
	s_subb_u32 s10, s51, s24
	s_cmp_lg_u32 s5, 0
	v_cmp_le_u32_e32 vcc_lo, s27, v3
	v_sub_co_u32 v4, s5, v3, s27
	s_subb_u32 s24, s10, 0
	s_cmp_lg_u32 s5, 0
	v_cmp_le_u32_e64 s5, s27, v2
	s_subb_u32 s49, s24, 0
	v_cndmask_b32_e64 v5, 0, -1, vcc_lo
	s_cmp_eq_u32 s24, 0
	s_cselect_b32 vcc_lo, -1, 0
	v_cndmask_b32_e64 v6, 0, -1, s5
	s_delay_alu instid0(VALU_DEP_2) | instskip(SKIP_2) | instid1(VALU_DEP_1)
	v_cndmask_b32_e32 v5, -1, v5, vcc_lo
	s_cmp_eq_u32 s10, 0
	s_cselect_b32 vcc_lo, -1, 0
	v_cmp_ne_u32_e64 s5, 0, v5
	v_dual_cndmask_b32 v5, -1, v6 :: v_dual_mov_b32 v6, s49
	s_delay_alu instid0(VALU_DEP_2) | instskip(NEXT) | instid1(VALU_DEP_2)
	v_cndmask_b32_e64 v3, v3, v4, s5
	v_cmp_ne_u32_e32 vcc_lo, 0, v5
	s_delay_alu instid0(VALU_DEP_3) | instskip(NEXT) | instid1(VALU_DEP_3)
	v_cndmask_b32_e64 v4, s24, v6, s5
	v_cndmask_b32_e32 v2, v2, v3, vcc_lo
	s_delay_alu instid0(VALU_DEP_2) | instskip(NEXT) | instid1(VALU_DEP_2)
	v_cndmask_b32_e32 v3, s10, v4, vcc_lo
	v_xor_b32_e32 v2, s48, v2
	s_delay_alu instid0(VALU_DEP_2) | instskip(NEXT) | instid1(VALU_DEP_2)
	v_xor_b32_e32 v3, s48, v3
	v_sub_co_u32 v2, vcc_lo, v2, s48
	s_delay_alu instid0(VALU_DEP_2)
	v_subrev_co_ci_u32_e32 v3, vcc_lo, s48, v3, vcc_lo
	s_cbranch_execnz .LBB54_270
.LBB54_269:                             ;   in Loop: Header=BB54_33 Depth=1
	v_cvt_f32_u32_e32 v2, s27
	s_sub_i32 s5, 0, s27
	s_delay_alu instid0(VALU_DEP_1) | instskip(SKIP_2) | instid1(VALU_DEP_1)
	v_rcp_iflag_f32_e32 v2, v2
	s_waitcnt_depctr 0xfff
	v_mul_f32_e32 v2, 0x4f7ffffe, v2
	v_cvt_u32_f32_e32 v2, v2
	s_delay_alu instid0(VALU_DEP_1) | instskip(NEXT) | instid1(VALU_DEP_1)
	v_mul_lo_u32 v3, s5, v2
	v_mul_hi_u32 v3, v2, v3
	s_delay_alu instid0(VALU_DEP_1) | instskip(NEXT) | instid1(VALU_DEP_1)
	v_add_nc_u32_e32 v2, v2, v3
	v_mul_hi_u32 v2, s20, v2
	s_delay_alu instid0(VALU_DEP_1) | instskip(NEXT) | instid1(VALU_DEP_1)
	v_mul_lo_u32 v2, v2, s27
	v_sub_nc_u32_e32 v2, s20, v2
	s_delay_alu instid0(VALU_DEP_1) | instskip(SKIP_1) | instid1(VALU_DEP_2)
	v_subrev_nc_u32_e32 v3, s27, v2
	v_cmp_le_u32_e32 vcc_lo, s27, v2
	v_cndmask_b32_e32 v2, v2, v3, vcc_lo
	s_delay_alu instid0(VALU_DEP_1) | instskip(SKIP_1) | instid1(VALU_DEP_2)
	v_subrev_nc_u32_e32 v3, s27, v2
	v_cmp_le_u32_e32 vcc_lo, s27, v2
	v_cndmask_b32_e32 v12, v2, v3, vcc_lo
	s_delay_alu instid0(VALU_DEP_1)
	v_dual_mov_b32 v2, v12 :: v_dual_mov_b32 v3, v13
.LBB54_270:                             ;   in Loop: Header=BB54_33 Depth=1
	s_delay_alu instid0(VALU_DEP_1) | instskip(NEXT) | instid1(VALU_DEP_2)
	v_sub_co_u32 v2, vcc_lo, s20, v2
	v_sub_co_ci_u32_e32 v3, vcc_lo, s11, v3, vcc_lo
	s_mov_b32 s24, 0
	s_mov_b32 s10, exec_lo
                                        ; implicit-def: $vgpr27
	s_delay_alu instid0(VALU_DEP_1)
	v_cmpx_gt_i64_e64 v[2:3], v[0:1]
	s_cbranch_execz .LBB54_279
; %bb.271:                              ;   in Loop: Header=BB54_33 Depth=1
	v_dual_mov_b32 v6, v14 :: v_dual_mov_b32 v5, v1
	v_mov_b32_e32 v4, v0
	s_mov_b32 s11, 0
                                        ; implicit-def: $sgpr20
	s_set_inst_prefetch_distance 0x1
	s_branch .LBB54_273
	.p2align	6
.LBB54_272:                             ;   in Loop: Header=BB54_273 Depth=2
	s_or_b32 exec_lo, exec_lo, s5
	s_waitcnt lgkmcnt(0)
	s_barrier
	buffer_gl0_inv
	ds_load_b64 v[26:27], v13 offset:3072
	v_add_co_u32 v4, vcc_lo, v4, s27
	v_add_co_ci_u32_e32 v5, vcc_lo, 0, v5, vcc_lo
	v_add_nc_u32_e32 v6, s101, v6
	s_waitcnt lgkmcnt(0)
	s_barrier
	s_delay_alu instid0(VALU_DEP_2) | instskip(SKIP_2) | instid1(VALU_DEP_1)
	v_cmp_ge_i64_e32 vcc_lo, v[4:5], v[2:3]
	buffer_gl0_inv
	v_cmp_neq_f32_e64 s5, 0, v26
	s_or_b32 s24, s5, vcc_lo
	s_delay_alu instid0(SALU_CYCLE_1) | instskip(NEXT) | instid1(SALU_CYCLE_1)
	s_and_b32 s24, exec_lo, s24
	s_or_b32 s11, s24, s11
	s_and_not1_b32 s20, s20, exec_lo
	s_and_b32 s5, s5, exec_lo
	s_delay_alu instid0(SALU_CYCLE_1)
	s_or_b32 s20, s20, s5
	s_and_not1_b32 exec_lo, exec_lo, s11
	s_cbranch_execz .LBB54_278
.LBB54_273:                             ;   Parent Loop BB54_33 Depth=1
                                        ; =>  This Inner Loop Header: Depth=2
	s_delay_alu instid0(VALU_DEP_1)
	v_cmp_gt_i64_e32 vcc_lo, s[8:9], v[4:5]
	v_mov_b32_e32 v26, 0
	s_and_saveexec_b32 s5, vcc_lo
	s_cbranch_execz .LBB54_275
; %bb.274:                              ;   in Loop: Header=BB54_273 Depth=2
	ds_load_b32 v26, v6
.LBB54_275:                             ;   in Loop: Header=BB54_273 Depth=2
	s_or_b32 exec_lo, exec_lo, s5
	s_and_saveexec_b32 s5, vcc_lo
	s_cbranch_execz .LBB54_272
; %bb.276:                              ;   in Loop: Header=BB54_273 Depth=2
	s_waitcnt lgkmcnt(0)
	v_cmp_lt_i32_e32 vcc_lo, -1, v26
	v_cndmask_b32_e64 v7, -1, 0x80000000, vcc_lo
	v_cmp_o_f32_e32 vcc_lo, v26, v26
	s_delay_alu instid0(VALU_DEP_2) | instskip(NEXT) | instid1(VALU_DEP_1)
	v_xor_b32_e32 v7, v7, v26
	v_cndmask_b32_e32 v7, -1, v7, vcc_lo
	s_delay_alu instid0(VALU_DEP_1) | instskip(NEXT) | instid1(VALU_DEP_1)
	v_and_b32_e32 v7, s59, v7
	v_cmp_eq_u32_e32 vcc_lo, s60, v7
	s_and_b32 exec_lo, exec_lo, vcc_lo
	s_cbranch_execz .LBB54_272
; %bb.277:                              ;   in Loop: Header=BB54_273 Depth=2
	ds_store_b64 v13, v[25:26] offset:3072
	s_branch .LBB54_272
.LBB54_278:                             ;   in Loop: Header=BB54_33 Depth=1
	s_set_inst_prefetch_distance 0x2
	s_or_b32 exec_lo, exec_lo, s11
	s_delay_alu instid0(SALU_CYCLE_1)
	s_and_b32 s24, s20, exec_lo
.LBB54_279:                             ;   in Loop: Header=BB54_33 Depth=1
	s_or_b32 exec_lo, exec_lo, s10
	s_mov_b32 s20, -1
	s_mov_b32 s10, 0
	s_mov_b32 s11, 0
.LBB54_280:                             ;   in Loop: Header=BB54_33 Depth=1
	s_mov_b32 s49, 0
                                        ; implicit-def: $sgpr5
                                        ; implicit-def: $sgpr8_sgpr9
	s_and_saveexec_b32 s48, s24
	s_cbranch_execz .LBB54_293
; %bb.281:                              ;   in Loop: Header=BB54_33 Depth=1
	s_xor_b32 s5, s19, -1
	s_mov_b64 s[8:9], 1
	s_and_not1_b32 vcc_lo, exec_lo, s5
	s_mov_b32 s5, 1
	s_cbranch_vccnz .LBB54_292
; %bb.282:                              ;   in Loop: Header=BB54_33 Depth=1
	v_cmp_gt_i64_e64 s5, s[38:39], s[6:7]
	s_delay_alu instid0(VALU_DEP_1)
	s_and_b32 vcc_lo, exec_lo, s5
	s_cbranch_vccnz .LBB54_288
; %bb.283:                              ;   in Loop: Header=BB54_33 Depth=1
	ds_load_b64 v[2:3], v13 offset:5120
	s_waitcnt lgkmcnt(0)
	v_cmp_ne_u64_e32 vcc_lo, 0, v[2:3]
	s_cbranch_vccnz .LBB54_287
; %bb.284:                              ;   in Loop: Header=BB54_33 Depth=1
	s_and_saveexec_b32 s5, s0
	s_cbranch_execz .LBB54_286
; %bb.285:                              ;   in Loop: Header=BB54_33 Depth=1
	v_dual_mov_b32 v2, s6 :: v_dual_mov_b32 v3, s7
	ds_store_b64 v13, v[2:3] offset:5128
.LBB54_286:                             ;   in Loop: Header=BB54_33 Depth=1
	s_or_b32 exec_lo, exec_lo, s5
	s_waitcnt lgkmcnt(0)
	s_barrier
	buffer_gl0_inv
.LBB54_287:                             ;   in Loop: Header=BB54_33 Depth=1
	s_or_b32 s19, s60, s18
	s_or_b32 s18, s59, s18
	s_mov_b32 s8, 0
	s_mov_b32 s5, 8
	s_branch .LBB54_289
.LBB54_288:                             ;   in Loop: Header=BB54_33 Depth=1
	s_mov_b32 s8, -1
                                        ; implicit-def: $sgpr5
                                        ; implicit-def: $sgpr19
                                        ; implicit-def: $sgpr18
.LBB54_289:                             ;   in Loop: Header=BB54_33 Depth=1
	s_delay_alu instid0(SALU_CYCLE_1)
	s_and_not1_b32 vcc_lo, exec_lo, s8
	s_cbranch_vccnz .LBB54_291
; %bb.290:                              ;   in Loop: Header=BB54_33 Depth=1
	s_sub_u32 s38, s38, s6
	s_subb_u32 s39, s39, s7
	s_mov_b32 s5, 8
	s_mov_b32 s19, s60
	;; [unrolled: 1-line block ×3, first 2 shown]
.LBB54_291:                             ;   in Loop: Header=BB54_33 Depth=1
	s_mov_b64 s[8:9], s[38:39]
	s_mov_b32 s60, s19
	s_mov_b32 s59, s18
.LBB54_292:                             ;   in Loop: Header=BB54_33 Depth=1
	s_mov_b32 s49, exec_lo
.LBB54_293:                             ;   in Loop: Header=BB54_33 Depth=1
	s_or_b32 exec_lo, exec_lo, s48
	s_mov_b64 s[38:39], s[8:9]
.LBB54_294:                             ;   in Loop: Header=BB54_33 Depth=1
	s_and_not1_b32 s6, s12, exec_lo
	s_and_b32 s7, s10, exec_lo
	s_and_not1_b32 s8, s13, exec_lo
	s_or_b32 s12, s6, s7
	s_and_not1_b32 s6, s23, exec_lo
	s_and_b32 s7, s20, exec_lo
	s_and_b32 s9, s11, exec_lo
	s_or_b32 s23, s6, s7
	s_or_b32 s13, s8, s9
	s_and_b32 s10, s49, exec_lo
.LBB54_295:                             ;   in Loop: Header=BB54_33 Depth=1
	s_or_b32 exec_lo, exec_lo, s61
.LBB54_296:                             ;   in Loop: Header=BB54_33 Depth=1
	s_delay_alu instid0(SALU_CYCLE_1)
	s_and_not1_b32 s6, s15, exec_lo
	s_and_b32 s7, s12, exec_lo
	s_and_not1_b32 s8, s14, exec_lo
	s_or_b32 s15, s6, s7
	s_and_not1_b32 s6, s21, exec_lo
	s_and_b32 s7, s23, exec_lo
	s_and_b32 s9, s13, exec_lo
	s_or_b32 s21, s6, s7
	s_or_b32 s14, s8, s9
	s_and_b32 s12, s10, exec_lo
.LBB54_297:                             ;   in Loop: Header=BB54_33 Depth=1
	s_or_b32 exec_lo, exec_lo, s22
	s_and_saveexec_b32 s6, s12
	s_delay_alu instid0(SALU_CYCLE_1)
	s_xor_b32 s6, exec_lo, s6
	s_cbranch_execz .LBB54_31
.LBB54_298:                             ;   in Loop: Header=BB54_33 Depth=1
	s_and_b32 s5, s5, -9
	s_delay_alu instid0(SALU_CYCLE_1)
	s_cmp_eq_u32 s5, 0
	s_cbranch_scc1 .LBB54_29
; %bb.299:                              ;   in Loop: Header=BB54_33 Depth=1
	s_mov_b32 s5, -1
	s_mov_b32 s7, -1
                                        ; implicit-def: $sgpr59
                                        ; implicit-def: $vcc_hi
                                        ; implicit-def: $sgpr65
	s_branch .LBB54_30
.LBB54_300:                             ;   in Loop: Header=BB54_33 Depth=1
                                        ; implicit-def: $vgpr2_vgpr3
	s_branch .LBB54_252
.LBB54_301:                             ;   in Loop: Header=BB54_33 Depth=1
                                        ; implicit-def: $vgpr2_vgpr3
	s_branch .LBB54_269
.LBB54_302:
	s_or_b32 exec_lo, exec_lo, s102
	s_xor_b32 s5, s64, -1
	s_xor_b32 s2, s103, -1
	;; [unrolled: 1-line block ×3, first 2 shown]
	s_mov_b32 s3, 0
	s_and_saveexec_b32 s6, s2
	s_delay_alu instid0(SALU_CYCLE_1)
	s_xor_b32 s2, exec_lo, s6
	s_cbranch_execz .LBB54_325
; %bb.303:
	s_and_saveexec_b32 s3, s5
	s_delay_alu instid0(SALU_CYCLE_1)
	s_xor_b32 s3, exec_lo, s3
	s_cbranch_execz .LBB54_323
; %bb.304:
	s_and_saveexec_b32 s5, s4
	s_delay_alu instid0(SALU_CYCLE_1)
	s_xor_b32 s4, exec_lo, s5
; %bb.305:
	v_cmp_lt_i32_e32 vcc_lo, -1, v2
	v_cndmask_b32_e64 v3, 0x80000000, -1, vcc_lo
	s_delay_alu instid0(VALU_DEP_1)
	v_xor_b32_e32 v27, v3, v2
; %bb.306:
	s_or_b32 exec_lo, exec_lo, s4
	s_and_saveexec_b32 s4, s0
	s_cbranch_execz .LBB54_308
; %bb.307:
	v_dual_mov_b32 v2, 0 :: v_dual_mov_b32 v3, s36
	ds_store_b32 v2, v3 offset:5140
.LBB54_308:
	s_or_b32 exec_lo, exec_lo, s4
	s_waitcnt lgkmcnt(0)
	s_barrier
	buffer_gl0_inv
	s_and_saveexec_b32 s4, s1
	s_cbranch_execz .LBB54_320
; %bb.309:
	v_mov_b32_e32 v2, 0
	v_cmp_u_f32_e32 vcc_lo, v27, v27
	s_mov_b32 s5, 0
                                        ; implicit-def: $sgpr7
                                        ; implicit-def: $sgpr8
                                        ; implicit-def: $sgpr9
	ds_load_b32 v4, v2 offset:5140
	s_xor_b32 s6, vcc_lo, -1
	s_waitcnt lgkmcnt(0)
	v_ashrrev_i32_e32 v5, 31, v4
	s_set_inst_prefetch_distance 0x1
	s_branch .LBB54_312
	.p2align	6
.LBB54_310:                             ;   in Loop: Header=BB54_312 Depth=1
	s_or_b32 exec_lo, exec_lo, s13
	s_delay_alu instid0(SALU_CYCLE_1)
	s_and_not1_b32 s1, s9, exec_lo
	s_and_b32 s9, s11, exec_lo
	s_and_not1_b32 s8, s8, exec_lo
	s_and_b32 s11, s12, exec_lo
	s_or_b32 s9, s1, s9
	s_or_b32 s8, s8, s11
.LBB54_311:                             ;   in Loop: Header=BB54_312 Depth=1
	s_or_b32 exec_lo, exec_lo, s10
	s_delay_alu instid0(SALU_CYCLE_1) | instskip(NEXT) | instid1(SALU_CYCLE_1)
	s_and_b32 s1, exec_lo, s8
	s_or_b32 s5, s1, s5
	s_and_not1_b32 s1, s7, exec_lo
	s_and_b32 s7, s9, exec_lo
	s_delay_alu instid0(SALU_CYCLE_1)
	s_or_b32 s7, s1, s7
	s_and_not1_b32 exec_lo, exec_lo, s5
	s_cbranch_execz .LBB54_315
.LBB54_312:                             ; =>This Inner Loop Header: Depth=1
	v_dual_mov_b32 v3, v1 :: v_dual_mov_b32 v2, v0
	s_or_b32 s9, s9, exec_lo
	s_or_b32 s8, s8, exec_lo
	s_mov_b32 s10, exec_lo
                                        ; implicit-def: $vgpr0_vgpr1
	s_delay_alu instid0(VALU_DEP_1)
	v_cmpx_lt_i64_e64 v[2:3], v[4:5]
	s_cbranch_execz .LBB54_311
; %bb.313:                              ;   in Loop: Header=BB54_312 Depth=1
	global_load_b32 v0, v[10:11], off
	s_mov_b32 s12, -1
	s_waitcnt vmcnt(0)
	v_cmp_o_f32_e32 vcc_lo, v0, v0
	v_cmp_neq_f32_e64 s1, v0, v27
                                        ; implicit-def: $vgpr0_vgpr1
	s_or_b32 s11, vcc_lo, s6
	s_delay_alu instid0(VALU_DEP_1) | instid1(SALU_CYCLE_1)
	s_and_b32 s1, s1, s11
	s_mov_b32 s11, 0
	s_and_saveexec_b32 s13, s1
	s_cbranch_execz .LBB54_310
; %bb.314:                              ;   in Loop: Header=BB54_312 Depth=1
	v_add_co_u32 v0, vcc_lo, v2, s27
	v_add_co_ci_u32_e32 v1, vcc_lo, 0, v3, vcc_lo
	v_add_co_u32 v10, s1, v10, s70
	s_mov_b32 s11, exec_lo
	s_delay_alu instid0(VALU_DEP_2)
	v_cmp_le_i64_e32 vcc_lo, s[36:37], v[0:1]
	v_add_co_ci_u32_e64 v11, s1, s71, v11, s1
	s_or_not1_b32 s12, vcc_lo, exec_lo
	s_branch .LBB54_310
.LBB54_315:
	s_set_inst_prefetch_distance 0x2
	s_or_b32 exec_lo, exec_lo, s5
	s_xor_b32 s1, s7, -1
	s_delay_alu instid0(SALU_CYCLE_1) | instskip(NEXT) | instid1(SALU_CYCLE_1)
	s_and_saveexec_b32 s5, s1
	s_xor_b32 s5, exec_lo, s5
	s_cbranch_execz .LBB54_320
; %bb.316:
	s_mov_b32 s5, exec_lo
	s_brev_b32 s1, -2
.LBB54_317:                             ; =>This Inner Loop Header: Depth=1
	s_ctz_i32_b32 s6, s5
	s_delay_alu instid0(SALU_CYCLE_1) | instskip(SKIP_1) | instid1(SALU_CYCLE_1)
	v_readlane_b32 s7, v2, s6
	s_lshl_b32 s6, 1, s6
	s_and_not1_b32 s5, s5, s6
	s_delay_alu instid0(VALU_DEP_1)
	s_min_i32 s1, s1, s7
	s_cmp_lg_u32 s5, 0
	s_cbranch_scc1 .LBB54_317
; %bb.318:
	v_mbcnt_lo_u32_b32 v0, exec_lo, 0
	s_mov_b32 s5, exec_lo
	s_delay_alu instid0(VALU_DEP_1)
	v_cmpx_eq_u32_e32 0, v0
	s_xor_b32 s5, exec_lo, s5
	s_cbranch_execz .LBB54_320
; %bb.319:
	v_dual_mov_b32 v0, 0 :: v_dual_mov_b32 v1, s1
	ds_min_i32 v0, v1 offset:5140
.LBB54_320:
	s_or_b32 exec_lo, exec_lo, s4
	s_waitcnt lgkmcnt(0)
	s_barrier
	buffer_gl0_inv
	s_and_saveexec_b32 s4, s0
	s_cbranch_execz .LBB54_322
; %bb.321:
	s_mul_i32 s0, s56, s47
	s_mul_hi_u32 s1, s56, s46
	v_readlane_b32 s16, v48, 0
	s_add_i32 s0, s1, s0
	s_mul_i32 s1, s57, s46
	v_readlane_b32 s17, v48, 1
	s_mul_i32 s5, s56, s46
	s_add_i32 s0, s0, s1
	s_sub_u32 s5, s26, s5
	s_subb_u32 s0, 0, s0
	s_mul_i32 s1, s5, s17
	s_mul_hi_u32 s6, s5, s16
	s_mul_i32 s0, s0, s16
	s_add_i32 s1, s6, s1
	s_mul_i32 s6, s40, s29
	s_mul_hi_u32 s7, s40, s28
	s_add_i32 s1, s1, s0
	s_add_i32 s0, s7, s6
	s_mul_i32 s6, s41, s28
	s_mul_i32 s7, s40, s28
	s_add_i32 s0, s0, s6
	s_sub_u32 s6, s34, s7
	s_subb_u32 s0, s35, s0
	s_mul_i32 s7, s6, s55
	s_mul_hi_u32 s8, s6, s54
	s_mul_i32 s0, s0, s54
	s_add_i32 s7, s8, s7
	s_mul_i32 s8, s40, s53
	s_mul_hi_u32 s9, s40, s52
	s_add_i32 s7, s7, s0
	s_add_i32 s0, s9, s8
	s_mul_i32 s8, s41, s52
	s_mul_i32 s10, s34, s31
	s_mul_hi_u32 s11, s34, s30
	v_readlane_b32 s18, v48, 6
	s_add_i32 s9, s0, s8
	s_add_i32 s0, s11, s10
	s_mul_i32 s8, s35, s30
	v_readlane_b32 s19, v48, 7
	s_mul_i32 s10, s34, s30
	s_add_i32 s0, s0, s8
	s_sub_u32 s10, s26, s10
	s_subb_u32 s0, 0, s0
	s_mul_i32 s8, s10, s19
	s_mul_hi_u32 s11, s10, s18
	s_mul_i32 s0, s0, s18
	s_add_i32 s8, s11, s8
	s_mul_i32 s12, s62, s45
	s_mul_hi_u32 s13, s62, s44
	v_readlane_b32 s20, v48, 2
	s_add_i32 s11, s8, s0
	s_add_i32 s0, s13, s12
	s_mul_i32 s8, s63, s44
	v_readlane_b32 s22, v48, 4
	v_readlane_b32 s23, v48, 5
	v_mov_b32_e32 v2, 0
	s_mul_i32 s12, s62, s44
	s_add_i32 s0, s0, s8
	v_readlane_b32 s21, v48, 3
	s_sub_u32 s12, s56, s12
	ds_load_b32 v0, v2 offset:5140
	s_mul_i32 s13, s12, s23
	s_mul_hi_u32 s14, s12, s22
	s_subb_u32 s0, s57, s0
	s_add_i32 s13, s14, s13
	s_mul_i32 s14, s62, s21
	s_mul_hi_u32 s15, s62, s20
	v_readlane_b32 s24, v48, 10
	s_mul_i32 s8, s40, s52
	v_readlane_b32 s25, v48, 11
	s_mul_i32 s0, s0, s22
	s_add_i32 s14, s15, s14
	s_mul_i32 s15, s63, s20
	s_lshl_b64 s[8:9], s[8:9], 2
	s_mul_i32 s6, s6, s54
	s_add_i32 s13, s13, s0
	s_add_i32 s15, s14, s15
	s_add_u32 s0, s24, s8
	s_addc_u32 s8, s25, s9
	s_lshl_b64 s[6:7], s[6:7], 2
	s_mul_i32 s10, s10, s18
	s_add_u32 s0, s0, s6
	s_addc_u32 s8, s8, s7
	s_lshl_b64 s[6:7], s[10:11], 2
	v_readlane_b32 s10, v48, 8
	s_mul_i32 s14, s62, s20
	v_readlane_b32 s11, v48, 9
	s_add_u32 s6, s0, s6
	s_addc_u32 s7, s8, s7
	s_lshl_b64 s[8:9], s[14:15], 3
	s_mul_i32 s12, s12, s22
	s_add_u32 s10, s10, s8
	s_addc_u32 s11, s11, s9
	s_lshl_b64 s[8:9], s[12:13], 3
	s_mul_i32 s0, s5, s16
	s_add_u32 s5, s10, s8
	s_addc_u32 s8, s11, s9
	s_lshl_b64 s[0:1], s[0:1], 3
	s_waitcnt lgkmcnt(0)
	v_ashrrev_i32_e32 v1, 31, v0
	s_add_u32 s0, s5, s0
	s_addc_u32 s1, s8, s1
	s_clause 0x1
	global_store_b64 v2, v[0:1], s[0:1]
	global_store_b32 v2, v27, s[6:7]
.LBB54_322:
	s_or_b32 exec_lo, exec_lo, s4
.LBB54_323:
	s_or_saveexec_b32 s0, s3
	s_mov_b32 s1, 0
	s_xor_b32 exec_lo, exec_lo, s0
	s_cbranch_execnz .LBB54_331
.LBB54_324:
	s_or_b32 exec_lo, exec_lo, s0
	s_delay_alu instid0(SALU_CYCLE_1)
	s_and_b32 s3, s1, exec_lo
.LBB54_325:
	s_and_not1_saveexec_b32 s0, s2
	s_cbranch_execnz .LBB54_329
; %bb.326:
	s_or_b32 exec_lo, exec_lo, s0
	s_and_saveexec_b32 s0, s3
.LBB54_327:
	; divergent unreachable
.LBB54_328:
	s_nop 0
	s_sendmsg sendmsg(MSG_DEALLOC_VGPRS)
	s_endpgm
.LBB54_329:
	s_cbranch_execnz .LBB54_333
; %bb.330:
	s_or_b32 s3, s3, exec_lo
	s_or_b32 exec_lo, exec_lo, s0
	s_and_saveexec_b32 s0, s3
	s_cbranch_execnz .LBB54_327
	s_branch .LBB54_328
.LBB54_331:
	s_cbranch_execnz .LBB54_335
; %bb.332:
	s_mov_b32 s1, exec_lo
	s_branch .LBB54_324
.LBB54_333:
	s_trap 2
	s_sendmsg_rtn_b32 s0, sendmsg(MSG_RTN_GET_DOORBELL)
	s_mov_b32 ttmp2, m0
	s_waitcnt lgkmcnt(0)
	s_and_b32 s0, s0, 0x3ff
	s_delay_alu instid0(SALU_CYCLE_1) | instskip(NEXT) | instid1(SALU_CYCLE_1)
	s_bitset1_b32 s0, 10
	s_mov_b32 m0, s0
	s_sendmsg sendmsg(MSG_INTERRUPT)
	s_mov_b32 m0, ttmp2
.LBB54_334:                             ; =>This Inner Loop Header: Depth=1
	s_sethalt 5
	s_branch .LBB54_334
.LBB54_335:
	s_trap 2
	s_sendmsg_rtn_b32 s0, sendmsg(MSG_RTN_GET_DOORBELL)
	s_mov_b32 ttmp2, m0
	s_waitcnt lgkmcnt(0)
	s_and_b32 s0, s0, 0x3ff
	s_delay_alu instid0(SALU_CYCLE_1) | instskip(NEXT) | instid1(SALU_CYCLE_1)
	s_bitset1_b32 s0, 10
	s_mov_b32 m0, s0
	s_sendmsg sendmsg(MSG_INTERRUPT)
	s_mov_b32 m0, ttmp2
.LBB54_336:                             ; =>This Inner Loop Header: Depth=1
	s_sethalt 5
	s_branch .LBB54_336
	.section	.rodata,"a",@progbits
	.p2align	6, 0x0
	.amdhsa_kernel _ZN2at6native12_GLOBAL__N_114gatherKthValueIflLi3EEEvNS_4cuda6detail10TensorInfoIKT_T0_EES8_S8_S8_S8_NS5_IS6_S8_EENS5_IlS8_EE
		.amdhsa_group_segment_fixed_size 5144
		.amdhsa_private_segment_fixed_size 0
		.amdhsa_kernarg_size 1536
		.amdhsa_user_sgpr_count 13
		.amdhsa_user_sgpr_dispatch_ptr 0
		.amdhsa_user_sgpr_queue_ptr 0
		.amdhsa_user_sgpr_kernarg_segment_ptr 1
		.amdhsa_user_sgpr_dispatch_id 0
		.amdhsa_user_sgpr_private_segment_size 0
		.amdhsa_wavefront_size32 1
		.amdhsa_uses_dynamic_stack 0
		.amdhsa_enable_private_segment 0
		.amdhsa_system_sgpr_workgroup_id_x 1
		.amdhsa_system_sgpr_workgroup_id_y 1
		.amdhsa_system_sgpr_workgroup_id_z 1
		.amdhsa_system_sgpr_workgroup_info 0
		.amdhsa_system_vgpr_workitem_id 0
		.amdhsa_next_free_vgpr 49
		.amdhsa_next_free_sgpr 105
		.amdhsa_reserve_vcc 1
		.amdhsa_float_round_mode_32 0
		.amdhsa_float_round_mode_16_64 0
		.amdhsa_float_denorm_mode_32 3
		.amdhsa_float_denorm_mode_16_64 3
		.amdhsa_dx10_clamp 1
		.amdhsa_ieee_mode 1
		.amdhsa_fp16_overflow 0
		.amdhsa_workgroup_processor_mode 1
		.amdhsa_memory_ordered 1
		.amdhsa_forward_progress 0
		.amdhsa_shared_vgpr_count 0
		.amdhsa_exception_fp_ieee_invalid_op 0
		.amdhsa_exception_fp_denorm_src 0
		.amdhsa_exception_fp_ieee_div_zero 0
		.amdhsa_exception_fp_ieee_overflow 0
		.amdhsa_exception_fp_ieee_underflow 0
		.amdhsa_exception_fp_ieee_inexact 0
		.amdhsa_exception_int_div_zero 0
	.end_amdhsa_kernel
	.section	.text._ZN2at6native12_GLOBAL__N_114gatherKthValueIflLi3EEEvNS_4cuda6detail10TensorInfoIKT_T0_EES8_S8_S8_S8_NS5_IS6_S8_EENS5_IlS8_EE,"axG",@progbits,_ZN2at6native12_GLOBAL__N_114gatherKthValueIflLi3EEEvNS_4cuda6detail10TensorInfoIKT_T0_EES8_S8_S8_S8_NS5_IS6_S8_EENS5_IlS8_EE,comdat
.Lfunc_end54:
	.size	_ZN2at6native12_GLOBAL__N_114gatherKthValueIflLi3EEEvNS_4cuda6detail10TensorInfoIKT_T0_EES8_S8_S8_S8_NS5_IS6_S8_EENS5_IlS8_EE, .Lfunc_end54-_ZN2at6native12_GLOBAL__N_114gatherKthValueIflLi3EEEvNS_4cuda6detail10TensorInfoIKT_T0_EES8_S8_S8_S8_NS5_IS6_S8_EENS5_IlS8_EE
                                        ; -- End function
	.section	.AMDGPU.csdata,"",@progbits
; Kernel info:
; codeLenInByte = 22988
; NumSgprs: 107
; NumVgprs: 49
; ScratchSize: 0
; MemoryBound: 0
; FloatMode: 240
; IeeeMode: 1
; LDSByteSize: 5144 bytes/workgroup (compile time only)
; SGPRBlocks: 13
; VGPRBlocks: 6
; NumSGPRsForWavesPerEU: 107
; NumVGPRsForWavesPerEU: 49
; Occupancy: 16
; WaveLimiterHint : 1
; COMPUTE_PGM_RSRC2:SCRATCH_EN: 0
; COMPUTE_PGM_RSRC2:USER_SGPR: 13
; COMPUTE_PGM_RSRC2:TRAP_HANDLER: 0
; COMPUTE_PGM_RSRC2:TGID_X_EN: 1
; COMPUTE_PGM_RSRC2:TGID_Y_EN: 1
; COMPUTE_PGM_RSRC2:TGID_Z_EN: 1
; COMPUTE_PGM_RSRC2:TIDIG_COMP_CNT: 0
	.section	.text._ZN2at6native12_GLOBAL__N_114gatherKthValueIflLin1EEEvNS_4cuda6detail10TensorInfoIKT_T0_EES8_S8_S8_S8_NS5_IS6_S8_EENS5_IlS8_EE,"axG",@progbits,_ZN2at6native12_GLOBAL__N_114gatherKthValueIflLin1EEEvNS_4cuda6detail10TensorInfoIKT_T0_EES8_S8_S8_S8_NS5_IS6_S8_EENS5_IlS8_EE,comdat
	.globl	_ZN2at6native12_GLOBAL__N_114gatherKthValueIflLin1EEEvNS_4cuda6detail10TensorInfoIKT_T0_EES8_S8_S8_S8_NS5_IS6_S8_EENS5_IlS8_EE ; -- Begin function _ZN2at6native12_GLOBAL__N_114gatherKthValueIflLin1EEEvNS_4cuda6detail10TensorInfoIKT_T0_EES8_S8_S8_S8_NS5_IS6_S8_EENS5_IlS8_EE
	.p2align	8
	.type	_ZN2at6native12_GLOBAL__N_114gatherKthValueIflLin1EEEvNS_4cuda6detail10TensorInfoIKT_T0_EES8_S8_S8_S8_NS5_IS6_S8_EENS5_IlS8_EE,@function
_ZN2at6native12_GLOBAL__N_114gatherKthValueIflLin1EEEvNS_4cuda6detail10TensorInfoIKT_T0_EES8_S8_S8_S8_NS5_IS6_S8_EENS5_IlS8_EE: ; @_ZN2at6native12_GLOBAL__N_114gatherKthValueIflLin1EEEvNS_4cuda6detail10TensorInfoIKT_T0_EES8_S8_S8_S8_NS5_IS6_S8_EENS5_IlS8_EE
; %bb.0:
	s_clause 0x1
	s_load_b64 s[8:9], s[0:1], 0x500
	s_load_b256 s[36:43], s[0:1], 0x1a0
	s_add_u32 s6, s0, 0x500
	s_addc_u32 s7, s1, 0
	s_mov_b32 s5, 0
	s_waitcnt lgkmcnt(0)
	s_mul_i32 s2, s9, s15
	s_delay_alu instid0(SALU_CYCLE_1) | instskip(NEXT) | instid1(SALU_CYCLE_1)
	s_add_i32 s2, s2, s14
	s_mul_i32 s2, s2, s8
	s_delay_alu instid0(SALU_CYCLE_1) | instskip(NEXT) | instid1(SALU_CYCLE_1)
	s_add_i32 s4, s2, s13
	v_cmp_ge_i64_e64 s2, s[4:5], s[40:41]
	s_delay_alu instid0(VALU_DEP_1)
	s_and_b32 vcc_lo, exec_lo, s2
	s_cbranch_vccnz .LBB55_328
; %bb.1:
	s_load_b32 s9, s[0:1], 0x198
	s_mov_b64 s[2:3], 0
	s_mov_b64 s[10:11], s[4:5]
	s_waitcnt lgkmcnt(0)
	s_cmp_lt_i32 s9, 2
	s_cbranch_scc1 .LBB55_9
; %bb.2:
	s_mov_b32 s14, 0
	s_add_i32 s2, s9, -1
	s_mov_b32 s3, s14
	s_add_i32 s9, s9, 1
	s_lshl_b64 s[10:11], s[2:3], 3
	s_mov_b64 s[2:3], 0
	s_add_u32 s10, s10, s0
	s_addc_u32 s11, s11, s1
	s_add_u32 s16, s10, 8
	s_addc_u32 s17, s11, 0
	s_mov_b64 s[18:19], s[4:5]
.LBB55_3:                               ; =>This Inner Loop Header: Depth=1
	s_load_b64 s[20:21], s[16:17], 0x0
	s_mov_b32 s12, -1
	s_waitcnt lgkmcnt(0)
	s_or_b64 s[10:11], s[18:19], s[20:21]
	s_delay_alu instid0(SALU_CYCLE_1) | instskip(NEXT) | instid1(SALU_CYCLE_1)
	s_mov_b32 s15, s11
                                        ; implicit-def: $sgpr10_sgpr11
	s_cmp_lg_u64 s[14:15], 0
	s_cbranch_scc0 .LBB55_5
; %bb.4:                                ;   in Loop: Header=BB55_3 Depth=1
	s_ashr_i32 s10, s21, 31
	s_delay_alu instid0(SALU_CYCLE_1) | instskip(SKIP_2) | instid1(SALU_CYCLE_1)
	s_add_u32 s22, s20, s10
	s_mov_b32 s11, s10
	s_addc_u32 s23, s21, s10
	s_xor_b64 s[22:23], s[22:23], s[10:11]
	s_delay_alu instid0(SALU_CYCLE_1)
	v_cvt_f32_u32_e32 v1, s22
	v_cvt_f32_u32_e32 v2, s23
	s_sub_u32 s24, 0, s22
	s_subb_u32 s25, 0, s23
	s_waitcnt_depctr 0xfff
	v_fmac_f32_e32 v1, 0x4f800000, v2
	s_delay_alu instid0(VALU_DEP_1) | instskip(SKIP_2) | instid1(VALU_DEP_1)
	v_rcp_f32_e32 v1, v1
	s_waitcnt_depctr 0xfff
	v_mul_f32_e32 v1, 0x5f7ffffc, v1
	v_mul_f32_e32 v2, 0x2f800000, v1
	s_delay_alu instid0(VALU_DEP_1) | instskip(NEXT) | instid1(VALU_DEP_1)
	v_trunc_f32_e32 v2, v2
	v_fmac_f32_e32 v1, 0xcf800000, v2
	v_cvt_u32_f32_e32 v2, v2
	s_delay_alu instid0(VALU_DEP_2) | instskip(NEXT) | instid1(VALU_DEP_2)
	v_cvt_u32_f32_e32 v1, v1
	v_readfirstlane_b32 s12, v2
	s_delay_alu instid0(VALU_DEP_2) | instskip(NEXT) | instid1(VALU_DEP_2)
	v_readfirstlane_b32 s15, v1
	s_mul_i32 s26, s24, s12
	s_delay_alu instid0(VALU_DEP_1)
	s_mul_hi_u32 s28, s24, s15
	s_mul_i32 s27, s25, s15
	s_add_i32 s26, s28, s26
	s_mul_i32 s29, s24, s15
	s_add_i32 s26, s26, s27
	s_mul_hi_u32 s28, s15, s29
	s_mul_hi_u32 s30, s12, s29
	s_mul_i32 s27, s12, s29
	s_mul_hi_u32 s29, s15, s26
	s_mul_i32 s15, s15, s26
	s_mul_hi_u32 s31, s12, s26
	s_add_u32 s15, s28, s15
	s_addc_u32 s28, 0, s29
	s_add_u32 s15, s15, s27
	s_mul_i32 s26, s12, s26
	s_addc_u32 s15, s28, s30
	s_addc_u32 s27, s31, 0
	s_add_u32 s15, s15, s26
	s_addc_u32 s26, 0, s27
	v_add_co_u32 v1, s15, v1, s15
	s_delay_alu instid0(VALU_DEP_1) | instskip(SKIP_1) | instid1(VALU_DEP_1)
	s_cmp_lg_u32 s15, 0
	s_addc_u32 s12, s12, s26
	v_readfirstlane_b32 s15, v1
	s_mul_i32 s26, s24, s12
	s_delay_alu instid0(VALU_DEP_1)
	s_mul_hi_u32 s27, s24, s15
	s_mul_i32 s25, s25, s15
	s_add_i32 s26, s27, s26
	s_mul_i32 s24, s24, s15
	s_add_i32 s26, s26, s25
	s_mul_hi_u32 s27, s12, s24
	s_mul_i32 s28, s12, s24
	s_mul_hi_u32 s24, s15, s24
	s_mul_hi_u32 s29, s15, s26
	s_mul_i32 s15, s15, s26
	s_mul_hi_u32 s25, s12, s26
	s_add_u32 s15, s24, s15
	s_addc_u32 s24, 0, s29
	s_add_u32 s15, s15, s28
	s_mul_i32 s26, s12, s26
	s_addc_u32 s15, s24, s27
	s_addc_u32 s24, s25, 0
	s_add_u32 s15, s15, s26
	s_addc_u32 s24, 0, s24
	v_add_co_u32 v1, s15, v1, s15
	s_delay_alu instid0(VALU_DEP_1) | instskip(SKIP_2) | instid1(VALU_DEP_1)
	s_cmp_lg_u32 s15, 0
	s_addc_u32 s12, s12, s24
	s_ashr_i32 s24, s19, 31
	v_readfirstlane_b32 s15, v1
	s_add_u32 s26, s18, s24
	s_mov_b32 s25, s24
	s_addc_u32 s27, s19, s24
	s_delay_alu instid0(SALU_CYCLE_1) | instskip(NEXT) | instid1(SALU_CYCLE_1)
	s_xor_b64 s[26:27], s[26:27], s[24:25]
	s_mul_i32 s29, s26, s12
	s_mul_hi_u32 s30, s26, s15
	s_mul_hi_u32 s28, s26, s12
	;; [unrolled: 1-line block ×3, first 2 shown]
	s_mul_i32 s15, s27, s15
	s_add_u32 s29, s30, s29
	s_addc_u32 s28, 0, s28
	s_mul_hi_u32 s31, s27, s12
	s_add_u32 s15, s29, s15
	s_mul_i32 s12, s27, s12
	s_addc_u32 s15, s28, s33
	s_addc_u32 s28, s31, 0
	s_add_u32 s12, s15, s12
	s_addc_u32 s15, 0, s28
	s_mul_i32 s31, s22, s12
	s_mul_hi_u32 s28, s22, s12
	s_mul_i32 s30, s22, s15
	v_sub_co_u32 v1, s26, s26, s31
	s_mul_i32 s29, s23, s12
	s_add_i32 s28, s28, s30
	s_delay_alu instid0(SALU_CYCLE_1) | instskip(NEXT) | instid1(VALU_DEP_1)
	s_add_i32 s28, s28, s29
	v_sub_co_u32 v2, s30, v1, s22
	s_sub_i32 s29, s27, s28
	s_cmp_lg_u32 s26, 0
	s_subb_u32 s29, s29, s23
	s_cmp_lg_u32 s30, 0
	v_readfirstlane_b32 s30, v2
	s_subb_u32 s29, s29, 0
	s_delay_alu instid0(SALU_CYCLE_1) | instskip(SKIP_1) | instid1(VALU_DEP_1)
	s_cmp_ge_u32 s29, s23
	s_cselect_b32 s31, -1, 0
	s_cmp_ge_u32 s30, s22
	s_cselect_b32 s30, -1, 0
	s_cmp_eq_u32 s29, s23
	s_cselect_b32 s29, s30, s31
	s_add_u32 s30, s12, 1
	s_addc_u32 s31, s15, 0
	s_add_u32 s33, s12, 2
	s_addc_u32 s34, s15, 0
	s_cmp_lg_u32 s29, 0
	s_cselect_b32 s29, s33, s30
	s_cselect_b32 s30, s34, s31
	s_cmp_lg_u32 s26, 0
	v_readfirstlane_b32 s26, v1
	s_subb_u32 s27, s27, s28
	s_delay_alu instid0(SALU_CYCLE_1) | instskip(SKIP_1) | instid1(VALU_DEP_1)
	s_cmp_ge_u32 s27, s23
	s_cselect_b32 s28, -1, 0
	s_cmp_ge_u32 s26, s22
	s_cselect_b32 s22, -1, 0
	s_cmp_eq_u32 s27, s23
	s_cselect_b32 s22, s22, s28
	s_delay_alu instid0(SALU_CYCLE_1)
	s_cmp_lg_u32 s22, 0
	s_cselect_b32 s23, s30, s15
	s_cselect_b32 s22, s29, s12
	s_xor_b64 s[10:11], s[24:25], s[10:11]
	s_mov_b32 s12, 0
	s_xor_b64 s[22:23], s[22:23], s[10:11]
	s_delay_alu instid0(SALU_CYCLE_1)
	s_sub_u32 s10, s22, s10
	s_subb_u32 s11, s23, s11
.LBB55_5:                               ;   in Loop: Header=BB55_3 Depth=1
	s_and_not1_b32 vcc_lo, exec_lo, s12
	s_cbranch_vccnz .LBB55_7
; %bb.6:                                ;   in Loop: Header=BB55_3 Depth=1
	v_cvt_f32_u32_e32 v1, s20
	s_sub_i32 s11, 0, s20
	s_waitcnt_depctr 0xfff
	v_rcp_iflag_f32_e32 v1, v1
	s_waitcnt_depctr 0xfff
	v_mul_f32_e32 v1, 0x4f7ffffe, v1
	s_delay_alu instid0(VALU_DEP_1) | instskip(NEXT) | instid1(VALU_DEP_1)
	v_cvt_u32_f32_e32 v1, v1
	v_readfirstlane_b32 s10, v1
	s_delay_alu instid0(VALU_DEP_1) | instskip(NEXT) | instid1(SALU_CYCLE_1)
	s_mul_i32 s11, s11, s10
	s_mul_hi_u32 s11, s10, s11
	s_delay_alu instid0(SALU_CYCLE_1) | instskip(NEXT) | instid1(SALU_CYCLE_1)
	s_add_i32 s10, s10, s11
	s_mul_hi_u32 s10, s18, s10
	s_delay_alu instid0(SALU_CYCLE_1) | instskip(SKIP_2) | instid1(SALU_CYCLE_1)
	s_mul_i32 s11, s10, s20
	s_add_i32 s12, s10, 1
	s_sub_i32 s11, s18, s11
	s_sub_i32 s15, s11, s20
	s_cmp_ge_u32 s11, s20
	s_cselect_b32 s10, s12, s10
	s_cselect_b32 s11, s15, s11
	s_add_i32 s12, s10, 1
	s_cmp_ge_u32 s11, s20
	s_mov_b32 s11, s14
	s_cselect_b32 s10, s12, s10
.LBB55_7:                               ;   in Loop: Header=BB55_3 Depth=1
	s_load_b64 s[22:23], s[16:17], 0xc8
	s_mul_i32 s12, s10, s21
	s_mul_hi_u32 s15, s10, s20
	s_mul_i32 s21, s11, s20
	s_add_i32 s12, s15, s12
	s_mul_i32 s15, s10, s20
	s_add_i32 s12, s12, s21
	s_sub_u32 s15, s18, s15
	s_subb_u32 s12, s19, s12
	s_waitcnt lgkmcnt(0)
	s_mul_i32 s12, s22, s12
	s_mul_hi_u32 s18, s22, s15
	s_mul_i32 s19, s23, s15
	s_add_i32 s12, s18, s12
	s_mul_i32 s15, s22, s15
	s_add_i32 s12, s12, s19
	s_add_u32 s2, s15, s2
	s_addc_u32 s3, s12, s3
	s_add_i32 s9, s9, -1
	s_add_u32 s16, s16, -8
	s_addc_u32 s17, s17, -1
	s_cmp_gt_u32 s9, 2
	s_cbranch_scc0 .LBB55_9
; %bb.8:                                ;   in Loop: Header=BB55_3 Depth=1
	s_mov_b64 s[18:19], s[10:11]
	s_branch .LBB55_3
.LBB55_9:
	s_clause 0x1
	s_load_b32 s9, s[0:1], 0x358
	s_load_b64 s[14:15], s[0:1], 0xd0
	s_add_u32 s16, s0, 0x1c0
	s_addc_u32 s17, s1, 0
	s_mov_b64 s[26:27], 0
	s_mov_b64 s[28:29], s[4:5]
	s_waitcnt lgkmcnt(0)
	s_cmp_lt_i32 s9, 2
	s_cbranch_scc1 .LBB55_17
; %bb.10:
	s_mov_b32 s18, 0
	s_add_i32 s20, s9, -1
	s_mov_b32 s21, s18
	s_add_i32 s9, s9, 1
	s_lshl_b64 s[20:21], s[20:21], 3
	s_mov_b64 s[22:23], s[4:5]
	s_add_u32 s12, s20, s16
	s_addc_u32 s19, s21, s17
	s_add_u32 s20, s12, 8
	s_addc_u32 s21, s19, 0
.LBB55_11:                              ; =>This Inner Loop Header: Depth=1
	s_load_b64 s[24:25], s[20:21], 0x0
	s_mov_b32 s12, -1
	s_waitcnt lgkmcnt(0)
	s_or_b64 s[28:29], s[22:23], s[24:25]
	s_delay_alu instid0(SALU_CYCLE_1) | instskip(NEXT) | instid1(SALU_CYCLE_1)
	s_mov_b32 s19, s29
                                        ; implicit-def: $sgpr28_sgpr29
	s_cmp_lg_u64 s[18:19], 0
	s_cbranch_scc0 .LBB55_13
; %bb.12:                               ;   in Loop: Header=BB55_11 Depth=1
	s_ashr_i32 s28, s25, 31
	s_delay_alu instid0(SALU_CYCLE_1) | instskip(SKIP_2) | instid1(SALU_CYCLE_1)
	s_add_u32 s30, s24, s28
	s_mov_b32 s29, s28
	s_addc_u32 s31, s25, s28
	s_xor_b64 s[30:31], s[30:31], s[28:29]
	s_delay_alu instid0(SALU_CYCLE_1)
	v_cvt_f32_u32_e32 v1, s30
	v_cvt_f32_u32_e32 v2, s31
	s_sub_u32 s33, 0, s30
	s_subb_u32 s34, 0, s31
	s_waitcnt_depctr 0xfff
	v_fmac_f32_e32 v1, 0x4f800000, v2
	s_delay_alu instid0(VALU_DEP_1) | instskip(SKIP_2) | instid1(VALU_DEP_1)
	v_rcp_f32_e32 v1, v1
	s_waitcnt_depctr 0xfff
	v_mul_f32_e32 v1, 0x5f7ffffc, v1
	v_mul_f32_e32 v2, 0x2f800000, v1
	s_delay_alu instid0(VALU_DEP_1) | instskip(NEXT) | instid1(VALU_DEP_1)
	v_trunc_f32_e32 v2, v2
	v_fmac_f32_e32 v1, 0xcf800000, v2
	v_cvt_u32_f32_e32 v2, v2
	s_delay_alu instid0(VALU_DEP_2) | instskip(NEXT) | instid1(VALU_DEP_2)
	v_cvt_u32_f32_e32 v1, v1
	v_readfirstlane_b32 s12, v2
	s_delay_alu instid0(VALU_DEP_2) | instskip(NEXT) | instid1(VALU_DEP_2)
	v_readfirstlane_b32 s19, v1
	s_mul_i32 s35, s33, s12
	s_delay_alu instid0(VALU_DEP_1)
	s_mul_hi_u32 s41, s33, s19
	s_mul_i32 s40, s34, s19
	s_add_i32 s35, s41, s35
	s_mul_i32 s44, s33, s19
	s_add_i32 s35, s35, s40
	s_mul_hi_u32 s41, s19, s44
	s_mul_hi_u32 s45, s12, s44
	s_mul_i32 s40, s12, s44
	s_mul_hi_u32 s44, s19, s35
	s_mul_i32 s19, s19, s35
	s_mul_hi_u32 s46, s12, s35
	s_add_u32 s19, s41, s19
	s_addc_u32 s41, 0, s44
	s_add_u32 s19, s19, s40
	s_mul_i32 s35, s12, s35
	s_addc_u32 s19, s41, s45
	s_addc_u32 s40, s46, 0
	s_add_u32 s19, s19, s35
	s_addc_u32 s35, 0, s40
	v_add_co_u32 v1, s19, v1, s19
	s_delay_alu instid0(VALU_DEP_1) | instskip(SKIP_1) | instid1(VALU_DEP_1)
	s_cmp_lg_u32 s19, 0
	s_addc_u32 s12, s12, s35
	v_readfirstlane_b32 s19, v1
	s_mul_i32 s35, s33, s12
	s_delay_alu instid0(VALU_DEP_1)
	s_mul_hi_u32 s40, s33, s19
	s_mul_i32 s34, s34, s19
	s_add_i32 s35, s40, s35
	s_mul_i32 s33, s33, s19
	s_add_i32 s35, s35, s34
	s_mul_hi_u32 s40, s12, s33
	s_mul_i32 s41, s12, s33
	s_mul_hi_u32 s33, s19, s33
	s_mul_hi_u32 s44, s19, s35
	s_mul_i32 s19, s19, s35
	s_mul_hi_u32 s34, s12, s35
	s_add_u32 s19, s33, s19
	s_addc_u32 s33, 0, s44
	s_add_u32 s19, s19, s41
	s_mul_i32 s35, s12, s35
	s_addc_u32 s19, s33, s40
	s_addc_u32 s33, s34, 0
	s_add_u32 s19, s19, s35
	s_addc_u32 s33, 0, s33
	v_add_co_u32 v1, s19, v1, s19
	s_delay_alu instid0(VALU_DEP_1) | instskip(SKIP_2) | instid1(VALU_DEP_1)
	s_cmp_lg_u32 s19, 0
	s_addc_u32 s12, s12, s33
	s_ashr_i32 s34, s23, 31
	v_readfirstlane_b32 s19, v1
	s_add_u32 s40, s22, s34
	s_mov_b32 s35, s34
	s_addc_u32 s41, s23, s34
	s_delay_alu instid0(SALU_CYCLE_1) | instskip(NEXT) | instid1(SALU_CYCLE_1)
	s_xor_b64 s[40:41], s[40:41], s[34:35]
	s_mul_i32 s44, s40, s12
	s_mul_hi_u32 s45, s40, s19
	s_mul_hi_u32 s33, s40, s12
	;; [unrolled: 1-line block ×3, first 2 shown]
	s_mul_i32 s19, s41, s19
	s_add_u32 s44, s45, s44
	s_addc_u32 s33, 0, s33
	s_mul_hi_u32 s46, s41, s12
	s_add_u32 s19, s44, s19
	s_mul_i32 s12, s41, s12
	s_addc_u32 s19, s33, s47
	s_addc_u32 s33, s46, 0
	s_add_u32 s12, s19, s12
	s_addc_u32 s19, 0, s33
	s_mul_i32 s46, s30, s12
	s_mul_hi_u32 s33, s30, s12
	s_mul_i32 s45, s30, s19
	v_sub_co_u32 v1, s40, s40, s46
	s_mul_i32 s44, s31, s12
	s_add_i32 s33, s33, s45
	s_delay_alu instid0(SALU_CYCLE_1) | instskip(NEXT) | instid1(VALU_DEP_1)
	s_add_i32 s33, s33, s44
	v_sub_co_u32 v2, s45, v1, s30
	s_sub_i32 s44, s41, s33
	s_cmp_lg_u32 s40, 0
	s_subb_u32 s44, s44, s31
	s_cmp_lg_u32 s45, 0
	v_readfirstlane_b32 s45, v2
	s_subb_u32 s44, s44, 0
	s_delay_alu instid0(SALU_CYCLE_1) | instskip(SKIP_1) | instid1(VALU_DEP_1)
	s_cmp_ge_u32 s44, s31
	s_cselect_b32 s46, -1, 0
	s_cmp_ge_u32 s45, s30
	s_cselect_b32 s45, -1, 0
	s_cmp_eq_u32 s44, s31
	s_cselect_b32 s44, s45, s46
	s_add_u32 s45, s12, 1
	s_addc_u32 s46, s19, 0
	s_add_u32 s47, s12, 2
	s_addc_u32 s48, s19, 0
	s_cmp_lg_u32 s44, 0
	s_cselect_b32 s44, s47, s45
	s_cselect_b32 s45, s48, s46
	s_cmp_lg_u32 s40, 0
	v_readfirstlane_b32 s40, v1
	s_subb_u32 s33, s41, s33
	s_delay_alu instid0(SALU_CYCLE_1) | instskip(SKIP_1) | instid1(VALU_DEP_1)
	s_cmp_ge_u32 s33, s31
	s_cselect_b32 s41, -1, 0
	s_cmp_ge_u32 s40, s30
	s_cselect_b32 s30, -1, 0
	s_cmp_eq_u32 s33, s31
	s_cselect_b32 s30, s30, s41
	s_delay_alu instid0(SALU_CYCLE_1)
	s_cmp_lg_u32 s30, 0
	s_cselect_b32 s31, s45, s19
	s_cselect_b32 s30, s44, s12
	s_xor_b64 s[28:29], s[34:35], s[28:29]
	s_mov_b32 s12, 0
	s_xor_b64 s[30:31], s[30:31], s[28:29]
	s_delay_alu instid0(SALU_CYCLE_1)
	s_sub_u32 s28, s30, s28
	s_subb_u32 s29, s31, s29
.LBB55_13:                              ;   in Loop: Header=BB55_11 Depth=1
	s_and_not1_b32 vcc_lo, exec_lo, s12
	s_cbranch_vccnz .LBB55_15
; %bb.14:                               ;   in Loop: Header=BB55_11 Depth=1
	v_cvt_f32_u32_e32 v1, s24
	s_sub_i32 s19, 0, s24
	s_waitcnt_depctr 0xfff
	v_rcp_iflag_f32_e32 v1, v1
	s_waitcnt_depctr 0xfff
	v_mul_f32_e32 v1, 0x4f7ffffe, v1
	s_delay_alu instid0(VALU_DEP_1) | instskip(NEXT) | instid1(VALU_DEP_1)
	v_cvt_u32_f32_e32 v1, v1
	v_readfirstlane_b32 s12, v1
	s_delay_alu instid0(VALU_DEP_1) | instskip(NEXT) | instid1(SALU_CYCLE_1)
	s_mul_i32 s19, s19, s12
	s_mul_hi_u32 s19, s12, s19
	s_delay_alu instid0(SALU_CYCLE_1) | instskip(NEXT) | instid1(SALU_CYCLE_1)
	s_add_i32 s12, s12, s19
	s_mul_hi_u32 s12, s22, s12
	s_delay_alu instid0(SALU_CYCLE_1) | instskip(SKIP_2) | instid1(SALU_CYCLE_1)
	s_mul_i32 s19, s12, s24
	s_add_i32 s28, s12, 1
	s_sub_i32 s19, s22, s19
	s_sub_i32 s29, s19, s24
	s_cmp_ge_u32 s19, s24
	s_cselect_b32 s12, s28, s12
	s_cselect_b32 s19, s29, s19
	s_add_i32 s28, s12, 1
	s_cmp_ge_u32 s19, s24
	s_mov_b32 s29, s18
	s_cselect_b32 s28, s28, s12
.LBB55_15:                              ;   in Loop: Header=BB55_11 Depth=1
	s_load_b64 s[30:31], s[20:21], 0xc8
	s_mul_i32 s12, s28, s25
	s_mul_hi_u32 s19, s28, s24
	s_mul_i32 s25, s29, s24
	s_add_i32 s12, s19, s12
	s_mul_i32 s19, s28, s24
	s_add_i32 s12, s12, s25
	s_sub_u32 s19, s22, s19
	s_subb_u32 s12, s23, s12
	s_waitcnt lgkmcnt(0)
	s_mul_i32 s12, s30, s12
	s_mul_hi_u32 s22, s30, s19
	s_mul_i32 s23, s31, s19
	s_add_i32 s12, s22, s12
	s_mul_i32 s19, s30, s19
	s_add_i32 s12, s12, s23
	s_add_u32 s26, s19, s26
	s_addc_u32 s27, s12, s27
	s_add_i32 s9, s9, -1
	s_add_u32 s20, s20, -8
	s_addc_u32 s21, s21, -1
	s_cmp_gt_u32 s9, 2
	s_cbranch_scc0 .LBB55_17
; %bb.16:                               ;   in Loop: Header=BB55_11 Depth=1
	s_mov_b64 s[22:23], s[28:29]
	s_branch .LBB55_11
.LBB55_17:
	s_clause 0x1
	s_load_b32 s9, s[0:1], 0x4f8
	s_load_b64 s[30:31], s[16:17], 0xd0
	s_add_u32 s12, s0, 0x360
	s_addc_u32 s17, s1, 0
	s_mov_b64 s[34:35], 0
	s_waitcnt lgkmcnt(0)
	s_cmp_lt_i32 s9, 2
	s_cbranch_scc1 .LBB55_25
; %bb.18:
	s_mov_b32 s16, 0
	s_add_i32 s18, s9, -1
	s_mov_b32 s19, s16
	s_add_i32 s9, s9, 1
	s_lshl_b64 s[18:19], s[18:19], 3
	s_delay_alu instid0(SALU_CYCLE_1)
	s_add_u32 s12, s18, s12
	s_addc_u32 s17, s19, s17
	s_add_u32 s18, s12, 8
	s_addc_u32 s19, s17, 0
.LBB55_19:                              ; =>This Inner Loop Header: Depth=1
	s_load_b64 s[20:21], s[18:19], 0x0
	s_mov_b32 s12, -1
                                        ; implicit-def: $sgpr40_sgpr41
	s_waitcnt lgkmcnt(0)
	s_or_b64 s[22:23], s[4:5], s[20:21]
	s_delay_alu instid0(SALU_CYCLE_1) | instskip(NEXT) | instid1(SALU_CYCLE_1)
	s_mov_b32 s17, s23
	s_cmp_lg_u64 s[16:17], 0
	s_cbranch_scc0 .LBB55_21
; %bb.20:                               ;   in Loop: Header=BB55_19 Depth=1
	s_ashr_i32 s22, s21, 31
	s_delay_alu instid0(SALU_CYCLE_1) | instskip(SKIP_2) | instid1(SALU_CYCLE_1)
	s_add_u32 s24, s20, s22
	s_mov_b32 s23, s22
	s_addc_u32 s25, s21, s22
	s_xor_b64 s[24:25], s[24:25], s[22:23]
	s_delay_alu instid0(SALU_CYCLE_1)
	v_cvt_f32_u32_e32 v1, s24
	v_cvt_f32_u32_e32 v2, s25
	s_sub_u32 s33, 0, s24
	s_subb_u32 s40, 0, s25
	s_waitcnt_depctr 0xfff
	v_fmac_f32_e32 v1, 0x4f800000, v2
	s_delay_alu instid0(VALU_DEP_1) | instskip(SKIP_2) | instid1(VALU_DEP_1)
	v_rcp_f32_e32 v1, v1
	s_waitcnt_depctr 0xfff
	v_mul_f32_e32 v1, 0x5f7ffffc, v1
	v_mul_f32_e32 v2, 0x2f800000, v1
	s_delay_alu instid0(VALU_DEP_1) | instskip(NEXT) | instid1(VALU_DEP_1)
	v_trunc_f32_e32 v2, v2
	v_fmac_f32_e32 v1, 0xcf800000, v2
	v_cvt_u32_f32_e32 v2, v2
	s_delay_alu instid0(VALU_DEP_2) | instskip(NEXT) | instid1(VALU_DEP_2)
	v_cvt_u32_f32_e32 v1, v1
	v_readfirstlane_b32 s12, v2
	s_delay_alu instid0(VALU_DEP_2) | instskip(NEXT) | instid1(VALU_DEP_2)
	v_readfirstlane_b32 s17, v1
	s_mul_i32 s41, s33, s12
	s_delay_alu instid0(VALU_DEP_1)
	s_mul_hi_u32 s45, s33, s17
	s_mul_i32 s44, s40, s17
	s_add_i32 s41, s45, s41
	s_mul_i32 s46, s33, s17
	s_add_i32 s41, s41, s44
	s_mul_hi_u32 s45, s17, s46
	s_mul_hi_u32 s47, s12, s46
	s_mul_i32 s44, s12, s46
	s_mul_hi_u32 s46, s17, s41
	s_mul_i32 s17, s17, s41
	s_mul_hi_u32 s48, s12, s41
	s_add_u32 s17, s45, s17
	s_addc_u32 s45, 0, s46
	s_add_u32 s17, s17, s44
	s_mul_i32 s41, s12, s41
	s_addc_u32 s17, s45, s47
	s_addc_u32 s44, s48, 0
	s_add_u32 s17, s17, s41
	s_addc_u32 s41, 0, s44
	v_add_co_u32 v1, s17, v1, s17
	s_delay_alu instid0(VALU_DEP_1) | instskip(SKIP_1) | instid1(VALU_DEP_1)
	s_cmp_lg_u32 s17, 0
	s_addc_u32 s12, s12, s41
	v_readfirstlane_b32 s17, v1
	s_mul_i32 s41, s33, s12
	s_delay_alu instid0(VALU_DEP_1)
	s_mul_hi_u32 s44, s33, s17
	s_mul_i32 s40, s40, s17
	s_add_i32 s41, s44, s41
	s_mul_i32 s33, s33, s17
	s_add_i32 s41, s41, s40
	s_mul_hi_u32 s44, s12, s33
	s_mul_i32 s45, s12, s33
	s_mul_hi_u32 s33, s17, s33
	s_mul_hi_u32 s46, s17, s41
	s_mul_i32 s17, s17, s41
	s_mul_hi_u32 s40, s12, s41
	s_add_u32 s17, s33, s17
	s_addc_u32 s33, 0, s46
	s_add_u32 s17, s17, s45
	s_mul_i32 s41, s12, s41
	s_addc_u32 s17, s33, s44
	s_addc_u32 s33, s40, 0
	s_add_u32 s17, s17, s41
	s_addc_u32 s33, 0, s33
	v_add_co_u32 v1, s17, v1, s17
	s_delay_alu instid0(VALU_DEP_1) | instskip(SKIP_2) | instid1(VALU_DEP_1)
	s_cmp_lg_u32 s17, 0
	s_addc_u32 s12, s12, s33
	s_ashr_i32 s40, s5, 31
	v_readfirstlane_b32 s17, v1
	s_add_u32 s44, s4, s40
	s_mov_b32 s41, s40
	s_addc_u32 s45, s5, s40
	s_delay_alu instid0(SALU_CYCLE_1) | instskip(NEXT) | instid1(SALU_CYCLE_1)
	s_xor_b64 s[44:45], s[44:45], s[40:41]
	s_mul_i32 s46, s44, s12
	s_mul_hi_u32 s47, s44, s17
	s_mul_hi_u32 s33, s44, s12
	;; [unrolled: 1-line block ×3, first 2 shown]
	s_mul_i32 s17, s45, s17
	s_add_u32 s46, s47, s46
	s_addc_u32 s33, 0, s33
	s_mul_hi_u32 s48, s45, s12
	s_add_u32 s17, s46, s17
	s_mul_i32 s12, s45, s12
	s_addc_u32 s17, s33, s49
	s_addc_u32 s33, s48, 0
	s_add_u32 s12, s17, s12
	s_addc_u32 s17, 0, s33
	s_mul_i32 s48, s24, s12
	s_mul_hi_u32 s33, s24, s12
	s_mul_i32 s47, s24, s17
	v_sub_co_u32 v1, s44, s44, s48
	s_mul_i32 s46, s25, s12
	s_add_i32 s33, s33, s47
	s_delay_alu instid0(SALU_CYCLE_1) | instskip(NEXT) | instid1(VALU_DEP_1)
	s_add_i32 s33, s33, s46
	v_sub_co_u32 v2, s47, v1, s24
	s_sub_i32 s46, s45, s33
	s_cmp_lg_u32 s44, 0
	s_subb_u32 s46, s46, s25
	s_cmp_lg_u32 s47, 0
	v_readfirstlane_b32 s47, v2
	s_subb_u32 s46, s46, 0
	s_delay_alu instid0(SALU_CYCLE_1) | instskip(SKIP_1) | instid1(VALU_DEP_1)
	s_cmp_ge_u32 s46, s25
	s_cselect_b32 s48, -1, 0
	s_cmp_ge_u32 s47, s24
	s_cselect_b32 s47, -1, 0
	s_cmp_eq_u32 s46, s25
	s_cselect_b32 s46, s47, s48
	s_add_u32 s47, s12, 1
	s_addc_u32 s48, s17, 0
	s_add_u32 s49, s12, 2
	s_addc_u32 s50, s17, 0
	s_cmp_lg_u32 s46, 0
	s_cselect_b32 s46, s49, s47
	s_cselect_b32 s47, s50, s48
	s_cmp_lg_u32 s44, 0
	v_readfirstlane_b32 s44, v1
	s_subb_u32 s33, s45, s33
	s_delay_alu instid0(SALU_CYCLE_1) | instskip(SKIP_1) | instid1(VALU_DEP_1)
	s_cmp_ge_u32 s33, s25
	s_cselect_b32 s45, -1, 0
	s_cmp_ge_u32 s44, s24
	s_cselect_b32 s24, -1, 0
	s_cmp_eq_u32 s33, s25
	s_cselect_b32 s24, s24, s45
	s_delay_alu instid0(SALU_CYCLE_1)
	s_cmp_lg_u32 s24, 0
	s_cselect_b32 s25, s47, s17
	s_cselect_b32 s24, s46, s12
	s_xor_b64 s[22:23], s[40:41], s[22:23]
	s_mov_b32 s12, 0
	s_xor_b64 s[24:25], s[24:25], s[22:23]
	s_delay_alu instid0(SALU_CYCLE_1)
	s_sub_u32 s40, s24, s22
	s_subb_u32 s41, s25, s23
.LBB55_21:                              ;   in Loop: Header=BB55_19 Depth=1
	s_and_not1_b32 vcc_lo, exec_lo, s12
	s_cbranch_vccnz .LBB55_23
; %bb.22:                               ;   in Loop: Header=BB55_19 Depth=1
	v_cvt_f32_u32_e32 v1, s20
	s_sub_i32 s17, 0, s20
	s_mov_b32 s41, s16
	s_waitcnt_depctr 0xfff
	v_rcp_iflag_f32_e32 v1, v1
	s_waitcnt_depctr 0xfff
	v_mul_f32_e32 v1, 0x4f7ffffe, v1
	s_delay_alu instid0(VALU_DEP_1) | instskip(NEXT) | instid1(VALU_DEP_1)
	v_cvt_u32_f32_e32 v1, v1
	v_readfirstlane_b32 s12, v1
	s_delay_alu instid0(VALU_DEP_1) | instskip(NEXT) | instid1(SALU_CYCLE_1)
	s_mul_i32 s17, s17, s12
	s_mul_hi_u32 s17, s12, s17
	s_delay_alu instid0(SALU_CYCLE_1) | instskip(NEXT) | instid1(SALU_CYCLE_1)
	s_add_i32 s12, s12, s17
	s_mul_hi_u32 s12, s4, s12
	s_delay_alu instid0(SALU_CYCLE_1) | instskip(SKIP_2) | instid1(SALU_CYCLE_1)
	s_mul_i32 s17, s12, s20
	s_add_i32 s22, s12, 1
	s_sub_i32 s17, s4, s17
	s_sub_i32 s23, s17, s20
	s_cmp_ge_u32 s17, s20
	s_cselect_b32 s12, s22, s12
	s_cselect_b32 s17, s23, s17
	s_add_i32 s22, s12, 1
	s_cmp_ge_u32 s17, s20
	s_cselect_b32 s40, s22, s12
.LBB55_23:                              ;   in Loop: Header=BB55_19 Depth=1
	s_load_b64 s[22:23], s[18:19], 0xc8
	s_mul_i32 s12, s40, s21
	s_mul_hi_u32 s17, s40, s20
	s_mul_i32 s21, s41, s20
	s_add_i32 s12, s17, s12
	s_mul_i32 s17, s40, s20
	s_add_i32 s12, s12, s21
	s_sub_u32 s4, s4, s17
	s_subb_u32 s5, s5, s12
	s_waitcnt lgkmcnt(0)
	s_mul_i32 s5, s22, s5
	s_mul_hi_u32 s12, s22, s4
	s_mul_i32 s17, s23, s4
	s_add_i32 s5, s12, s5
	s_mul_i32 s4, s22, s4
	s_add_i32 s5, s5, s17
	s_add_u32 s34, s4, s34
	s_addc_u32 s35, s5, s35
	s_add_i32 s9, s9, -1
	s_add_u32 s18, s18, -8
	s_addc_u32 s19, s19, -1
	s_cmp_gt_u32 s9, 2
	s_cbranch_scc0 .LBB55_26
; %bb.24:                               ;   in Loop: Header=BB55_19 Depth=1
	s_mov_b64 s[4:5], s[40:41]
	s_branch .LBB55_19
.LBB55_25:
	s_mov_b64 s[40:41], s[4:5]
.LBB55_26:
	s_clause 0x3
	s_load_b64 s[16:17], s[0:1], 0x0
	s_load_b64 s[48:49], s[0:1], 0x1c0
	s_load_b64 s[46:47], s[0:1], 0x430
	s_load_b64 s[44:45], s[0:1], 0x360
	v_cmp_eq_u32_e64 s0, 0, v0
	s_mov_b32 s51, 0
	s_delay_alu instid0(VALU_DEP_1)
	s_and_saveexec_b32 s1, s0
	s_cbranch_execz .LBB55_28
; %bb.27:
	v_dual_mov_b32 v1, 0 :: v_dual_mov_b32 v4, s37
	s_delay_alu instid0(VALU_DEP_1)
	v_dual_mov_b32 v3, s36 :: v_dual_mov_b32 v2, v1
	ds_store_b32 v1, v1 offset:5136
	ds_store_b128 v1, v[1:4] offset:5120
.LBB55_28:
	s_or_b32 exec_lo, exec_lo, s1
	s_mul_i32 s1, s14, s11
	s_mul_hi_u32 s4, s14, s10
	v_mad_u64_u32 v[2:3], null, v0, s42, 0
	s_add_i32 s1, s4, s1
	s_mul_i32 s4, s15, s10
	s_waitcnt lgkmcnt(0)
	s_add_i32 s5, s1, s4
	s_mul_i32 s4, s14, s10
	s_barrier
	s_lshl_b64 s[10:11], s[4:5], 2
	buffer_gl0_inv
	s_load_b32 s5, s[6:7], 0xc
	v_dual_mov_b32 v1, v3 :: v_dual_lshlrev_b32 v14, 2, v0
	v_dual_mov_b32 v13, 0 :: v_dual_lshlrev_b32 v46, 4, v0
	v_mbcnt_lo_u32_b32 v43, -1, 0
	s_delay_alu instid0(VALU_DEP_3) | instskip(NEXT) | instid1(VALU_DEP_3)
	v_mad_u64_u32 v[3:4], null, v0, s43, v[1:2]
	v_dual_mov_b32 v1, v13 :: v_dual_add_nc_u32 v44, 0xc00, v14
	s_delay_alu instid0(VALU_DEP_4)
	v_or_b32_e32 v11, 12, v46
	v_or_b32_e32 v12, 8, v46
	s_lshl_b64 s[54:55], s[2:3], 2
	s_add_u32 s14, s16, s10
	v_cmp_gt_u32_e32 vcc_lo, 32, v0
	v_cmp_gt_i32_e64 s1, 4, v43
	v_lshrrev_b32_e32 v6, 3, v0
	v_or_b32_e32 v24, 4, v46
	s_addc_u32 s15, s17, s11
	s_add_u32 s74, s14, s54
	v_mad_u64_u32 v[18:19], null, s42, v11, s[14:15]
	v_mad_u64_u32 v[20:21], null, s42, v12, s[14:15]
	s_addc_u32 s75, s15, s55
	s_waitcnt lgkmcnt(0)
	s_and_b32 s33, s5, 0xffff
	s_and_b32 s76, vcc_lo, s1
	s_bfe_u32 s9, s5, 0xb0005
	v_mad_u64_u32 v[22:23], null, s42, v24, s[14:15]
	v_and_b32_e32 v45, 0x7c, v6
	v_lshlrev_b64 v[6:7], v43, -1
	s_add_u32 s78, s33, -1
	s_addc_u32 s79, 0, -1
	s_add_u32 s80, s78, s36
	s_addc_u32 s25, s79, s37
	s_delay_alu instid0(VALU_DEP_3)
	v_mov_b32_e32 v8, v23
	s_cmp_lt_u32 s13, s8
	v_mov_b32_e32 v15, v13
	v_not_b32_e32 v47, v6
	v_dual_mov_b32 v6, v19 :: v_dual_mov_b32 v7, v21
	v_mov_b32_e32 v26, 1.0
	s_cselect_b32 s8, 12, 18
	v_lshlrev_b64 v[4:5], 2, v[2:3]
	s_add_u32 s56, s6, s8
	s_addc_u32 s57, s7, 0
	s_add_i32 s6, s9, -1
	s_bfe_u32 s81, s33, 0x30005
	v_mad_u64_u32 v[9:10], null, s43, v11, v[6:7]
	s_cmp_gt_u32 s6, 6
	v_lshlrev_b64 v[2:3], 4, v[2:3]
	s_cselect_b32 s82, -1, 0
	s_and_b32 s83, s9, 0x7f8
	s_cmp_lg_u32 s81, 0
	v_cmp_gt_u16_e64 s84, s5, 31
	s_cselect_b32 s85, -1, 0
	s_add_u32 s5, s10, s54
	v_mad_u64_u32 v[10:11], null, s43, v12, v[7:8]
	s_addc_u32 s6, s11, s55
	v_add_co_u32 v16, vcc_lo, s74, v4
	v_mad_u64_u32 v[6:7], null, s43, v24, v[8:9]
	s_add_u32 s58, s16, s5
	v_add_co_u32 v48, s5, s36, v0
	s_addc_u32 s59, s17, s6
	s_lshl_b64 s[60:61], s[42:43], 2
	s_lshl_b64 s[62:63], s[42:43], 4
	v_add_co_ci_u32_e32 v17, vcc_lo, s75, v5, vcc_lo
	v_add_co_ci_u32_e64 v49, null, s37, 0, s5
	s_add_u32 s5, s16, s54
	v_add_co_u32 v24, vcc_lo, s14, v2
	s_addc_u32 s6, s17, s55
	s_add_u32 s5, s5, s10
	v_add_co_ci_u32_e32 v25, vcc_lo, s15, v3, vcc_lo
	v_mov_b32_e32 v21, v10
	s_addc_u32 s9, s6, s11
	v_add_co_u32 v10, vcc_lo, s5, v4
	v_cmp_lt_i64_e64 s77, 0x300, s[36:37]
	v_cmp_gt_u64_e64 s4, s[36:37], v[0:1]
	v_cmp_gt_i64_e64 s1, s[36:37], v[0:1]
	s_mul_i32 s7, s43, s33
	s_mul_hi_u32 s8, s42, s33
	v_cmp_eq_u32_e64 s2, 0, v43
	v_cmp_gt_u32_e64 s3, 2, v0
	v_dual_mov_b32 v19, v9 :: v_dual_mov_b32 v28, 0
	v_mov_b32_e32 v23, v6
	v_lshl_or_b32 v50, v43, 3, 0xc00
	v_add_co_ci_u32_e32 v11, vcc_lo, s9, v5, vcc_lo
	v_cvt_f32_ubyte0_e32 v51, 0
	s_add_i32 s7, s8, s7
	s_mul_i32 s6, s42, s33
	s_lshl_b32 s86, s33, 2
	s_lshl_b64 s[52:53], s[6:7], 2
	s_mov_b32 s90, 30
	s_mov_b32 s87, 0
	;; [unrolled: 1-line block ×5, first 2 shown]
                                        ; implicit-def: $sgpr88
                                        ; implicit-def: $sgpr91
                                        ; implicit-def: $sgpr89
                                        ; implicit-def: $sgpr94
                                        ; implicit-def: $sgpr95
                                        ; implicit-def: $sgpr93
	s_branch .LBB55_33
.LBB55_29:                              ;   in Loop: Header=BB55_33 Depth=1
	s_xor_b32 s92, s92, 1
	s_add_i32 s8, s90, -2
	s_cmp_eq_u32 s90, 0
	s_mov_b32 s5, 0
	s_cselect_b32 s7, -1, 0
	s_mov_b32 s90, s8
.LBB55_30:                              ;   in Loop: Header=BB55_33 Depth=1
	s_and_not1_b32 s8, s15, exec_lo
	s_and_b32 s5, s5, exec_lo
	s_and_not1_b32 s21, s21, exec_lo
	s_or_b32 s15, s8, s5
	s_and_not1_b32 s14, s14, exec_lo
	s_or_not1_b32 s17, s7, exec_lo
.LBB55_31:                              ;   in Loop: Header=BB55_33 Depth=1
	s_or_b32 exec_lo, exec_lo, s6
	s_delay_alu instid0(SALU_CYCLE_1)
	s_and_not1_b32 s5, s93, exec_lo
	s_and_b32 s6, s15, exec_lo
	s_and_not1_b32 s7, s94, exec_lo
	s_or_b32 s93, s5, s6
	s_and_not1_b32 s5, s95, exec_lo
	s_and_b32 s6, s21, exec_lo
	s_and_b32 s8, s14, exec_lo
	s_or_b32 s95, s5, s6
	s_or_b32 s94, s7, s8
	s_or_not1_b32 s21, s17, exec_lo
.LBB55_32:                              ;   in Loop: Header=BB55_33 Depth=1
	s_or_b32 exec_lo, exec_lo, s16
	s_delay_alu instid0(SALU_CYCLE_1)
	s_and_b32 s5, exec_lo, s21
	v_mov_b32_e32 v2, s97
	s_or_b32 s87, s5, s87
	s_and_not1_b32 s5, s89, exec_lo
	s_and_b32 s6, s93, exec_lo
	s_and_not1_b32 s7, s88, exec_lo
	s_or_b32 s89, s5, s6
	s_and_not1_b32 s5, s91, exec_lo
	s_and_b32 s6, s95, exec_lo
	s_and_b32 s8, s94, exec_lo
	s_or_b32 s91, s5, s6
	s_or_b32 s88, s7, s8
	s_and_not1_b32 exec_lo, exec_lo, s87
	s_cbranch_execz .LBB55_302
.LBB55_33:                              ; =>This Loop Header: Depth=1
                                        ;     Child Loop BB55_41 Depth 2
                                        ;     Child Loop BB55_60 Depth 2
	;; [unrolled: 1-line block ×16, first 2 shown]
	ds_load_b128 v[2:5], v13 offset:5120
	s_waitcnt lgkmcnt(0)
	v_readfirstlane_b32 s65, v3
	v_readfirstlane_b32 s64, v2
	s_delay_alu instid0(VALU_DEP_1) | instskip(NEXT) | instid1(VALU_DEP_1)
	v_cmp_gt_i64_e64 s5, s[64:65], 0
	s_and_b32 vcc_lo, exec_lo, s5
	s_cbranch_vccnz .LBB55_67
; %bb.34:                               ;   in Loop: Header=BB55_33 Depth=1
	s_and_b32 vcc_lo, exec_lo, s77
	s_cbranch_vccz .LBB55_49
; %bb.35:                               ;   in Loop: Header=BB55_33 Depth=1
	v_cmp_gt_i64_e32 vcc_lo, 0x301, v[4:5]
	s_mov_b32 s7, 0
	s_mov_b32 s5, 0
	s_cbranch_vccz .LBB55_54
; %bb.36:                               ;   in Loop: Header=BB55_33 Depth=1
	v_mov_b32_e32 v6, 0
	s_and_saveexec_b32 s5, s4
	s_cbranch_execz .LBB55_38
; %bb.37:                               ;   in Loop: Header=BB55_33 Depth=1
	global_load_b32 v6, v[16:17], off
.LBB55_38:                              ;   in Loop: Header=BB55_33 Depth=1
	s_or_b32 exec_lo, exec_lo, s5
	s_and_saveexec_b32 s8, s4
	s_cbranch_execz .LBB55_50
; %bb.39:                               ;   in Loop: Header=BB55_33 Depth=1
	global_load_u16 v7, v13, s[56:57]
	s_mov_b32 s11, 0
	s_waitcnt vmcnt(0)
	v_readfirstlane_b32 s5, v7
	v_and_b32_e32 v7, 0xffff, v7
	s_delay_alu instid0(VALU_DEP_2) | instskip(NEXT) | instid1(SALU_CYCLE_1)
	s_and_b32 s5, 0xffff, s5
	v_add_nc_u32_e32 v8, s5, v0
	s_mul_i32 s6, s61, s5
	s_mul_hi_u32 s9, s60, s5
	s_mul_i32 s10, s60, s5
	s_add_i32 s9, s9, s6
	v_mad_u64_u32 v[2:3], null, s60, v8, s[58:59]
	s_delay_alu instid0(VALU_DEP_1) | instskip(NEXT) | instid1(VALU_DEP_1)
	v_mad_u64_u32 v[4:5], null, s61, v8, v[3:4]
	v_mov_b32_e32 v3, v4
	v_dual_mov_b32 v5, v1 :: v_dual_mov_b32 v4, v0
	s_branch .LBB55_41
.LBB55_40:                              ;   in Loop: Header=BB55_41 Depth=2
	s_or_b32 exec_lo, exec_lo, s6
	v_add_co_u32 v2, vcc_lo, v2, s10
	v_add_co_ci_u32_e32 v3, vcc_lo, s9, v3, vcc_lo
	s_waitcnt vmcnt(0)
	v_mov_b32_e32 v6, v8
	s_and_not1_b32 exec_lo, exec_lo, s11
	s_cbranch_execz .LBB55_50
.LBB55_41:                              ;   Parent Loop BB55_33 Depth=1
                                        ; =>  This Inner Loop Header: Depth=2
	s_delay_alu instid0(VALU_DEP_1) | instskip(NEXT) | instid1(VALU_DEP_2)
	v_add_co_u32 v4, vcc_lo, v4, v7
	v_add_co_ci_u32_e32 v5, vcc_lo, 0, v5, vcc_lo
	s_waitcnt lgkmcnt(0)
	v_dual_mov_b32 v9, 0 :: v_dual_mov_b32 v8, 0
	s_mov_b32 s6, exec_lo
	s_delay_alu instid0(VALU_DEP_2)
	v_cmp_le_i64_e32 vcc_lo, s[36:37], v[4:5]
	v_cmpx_gt_i64_e64 s[36:37], v[4:5]
	s_cbranch_execz .LBB55_43
; %bb.42:                               ;   in Loop: Header=BB55_41 Depth=2
	global_load_b32 v8, v[2:3], off
.LBB55_43:                              ;   in Loop: Header=BB55_41 Depth=2
	s_or_b32 exec_lo, exec_lo, s6
	v_cmp_lt_i32_e64 s5, -1, v6
	s_delay_alu instid0(VALU_DEP_1) | instskip(SKIP_1) | instid1(VALU_DEP_2)
	v_cndmask_b32_e64 v12, -1, 0x80000000, s5
	v_cmp_o_f32_e64 s5, v6, v6
	v_xor_b32_e32 v12, v12, v6
	s_delay_alu instid0(VALU_DEP_1) | instskip(NEXT) | instid1(VALU_DEP_1)
	v_cndmask_b32_e64 v12, -1, v12, s5
	v_and_b32_e32 v12, s96, v12
	s_delay_alu instid0(VALU_DEP_1) | instskip(NEXT) | instid1(VALU_DEP_1)
	v_cmp_eq_u32_e64 s5, s97, v12
	s_cmp_lg_u32 s5, 0
	s_cselect_b32 s6, -1, 0
	s_delay_alu instid0(SALU_CYCLE_1) | instskip(NEXT) | instid1(SALU_CYCLE_1)
	s_and_b32 s6, s2, s6
	s_and_saveexec_b32 s12, s6
	s_cbranch_execz .LBB55_47
; %bb.44:                               ;   in Loop: Header=BB55_41 Depth=2
	s_mov_b32 s15, exec_lo
	s_bcnt1_i32_b32 s13, s5
	v_mbcnt_lo_u32_b32 v9, s15, 0
	s_mov_b32 s14, exec_lo
                                        ; implicit-def: $vgpr12
	s_delay_alu instid0(VALU_DEP_1)
	v_cmpx_eq_u32_e32 0, v9
	s_cbranch_execz .LBB55_46
; %bb.45:                               ;   in Loop: Header=BB55_41 Depth=2
	s_bcnt1_i32_b32 s6, s15
	s_delay_alu instid0(SALU_CYCLE_1) | instskip(NEXT) | instid1(SALU_CYCLE_1)
	s_mul_i32 s6, s13, s6
	v_mov_b32_e32 v12, s6
	ds_add_rtn_u32 v12, v13, v12 offset:5136
.LBB55_46:                              ;   in Loop: Header=BB55_41 Depth=2
	s_or_b32 exec_lo, exec_lo, s14
	s_waitcnt lgkmcnt(0)
	v_readfirstlane_b32 s6, v12
	s_delay_alu instid0(VALU_DEP_1)
	v_mad_u32_u24 v9, s13, v9, s6
.LBB55_47:                              ;   in Loop: Header=BB55_41 Depth=2
	s_or_b32 exec_lo, exec_lo, s12
	ds_bpermute_b32 v9, v13, v9
	s_and_b32 s6, exec_lo, vcc_lo
	s_delay_alu instid0(SALU_CYCLE_1)
	s_or_b32 s11, s6, s11
	s_and_saveexec_b32 s6, s5
	s_cbranch_execz .LBB55_40
; %bb.48:                               ;   in Loop: Header=BB55_41 Depth=2
	v_and_b32_e32 v12, s5, v47
	s_delay_alu instid0(VALU_DEP_1) | instskip(NEXT) | instid1(VALU_DEP_1)
	v_bcnt_u32_b32 v12, v12, 0
	v_lshlrev_b32_e32 v12, 2, v12
	s_waitcnt lgkmcnt(0)
	s_delay_alu instid0(VALU_DEP_1)
	v_lshl_add_u32 v9, v9, 2, v12
	ds_store_b32 v9, v6
	s_branch .LBB55_40
.LBB55_49:                              ;   in Loop: Header=BB55_33 Depth=1
	s_mov_b32 s7, -1
	s_mov_b32 s5, 0
	s_branch .LBB55_53
.LBB55_50:                              ;   in Loop: Header=BB55_33 Depth=1
	s_or_b32 exec_lo, exec_lo, s8
	s_waitcnt vmcnt(0) lgkmcnt(0)
	s_barrier
	buffer_gl0_inv
	s_and_saveexec_b32 s5, s0
	s_cbranch_execz .LBB55_52
; %bb.51:                               ;   in Loop: Header=BB55_33 Depth=1
	ds_load_b32 v2, v13 offset:5136
	s_waitcnt lgkmcnt(0)
	v_ashrrev_i32_e32 v3, 31, v2
	ds_store_b64 v13, v[2:3] offset:5120
.LBB55_52:                              ;   in Loop: Header=BB55_33 Depth=1
	s_or_b32 exec_lo, exec_lo, s5
	s_waitcnt lgkmcnt(0)
	s_mov_b32 s5, -1
	s_barrier
.LBB55_53:                              ;   in Loop: Header=BB55_33 Depth=1
                                        ; implicit-def: $sgpr64_sgpr65
.LBB55_54:                              ;   in Loop: Header=BB55_33 Depth=1
	s_and_b32 vcc_lo, exec_lo, s7
	s_cbranch_vccz .LBB55_65
; %bb.55:                               ;   in Loop: Header=BB55_33 Depth=1
	v_mov_b32_e32 v6, 0
	s_and_saveexec_b32 s5, s1
	s_cbranch_execz .LBB55_57
; %bb.56:                               ;   in Loop: Header=BB55_33 Depth=1
	global_load_b32 v6, v[16:17], off
.LBB55_57:                              ;   in Loop: Header=BB55_33 Depth=1
	s_or_b32 exec_lo, exec_lo, s5
	s_and_saveexec_b32 s6, s1
	s_cbranch_execz .LBB55_62
; %bb.58:                               ;   in Loop: Header=BB55_33 Depth=1
	global_load_u16 v8, v13, s[56:57]
	s_mov_b32 s10, 0
	s_waitcnt vmcnt(0)
	v_readfirstlane_b32 s5, v8
	v_and_b32_e32 v8, 0xffff, v8
	s_delay_alu instid0(VALU_DEP_2) | instskip(NEXT) | instid1(SALU_CYCLE_1)
	s_and_b32 s5, 0xffff, s5
	v_add_nc_u32_e32 v7, s5, v0
	s_mul_i32 s8, s61, s5
	s_mul_hi_u32 s9, s60, s5
	s_lshl_b32 s7, s5, 2
	s_add_i32 s8, s9, s8
	v_mad_u64_u32 v[2:3], null, s60, v7, s[58:59]
	s_mul_i32 s9, s60, s5
	s_delay_alu instid0(VALU_DEP_1) | instskip(SKIP_1) | instid1(VALU_DEP_2)
	v_mad_u64_u32 v[4:5], null, s61, v7, v[3:4]
	v_mov_b32_e32 v7, v14
	v_mov_b32_e32 v3, v4
	v_dual_mov_b32 v5, v1 :: v_dual_mov_b32 v4, v0
	s_branch .LBB55_60
	.p2align	6
.LBB55_59:                              ;   in Loop: Header=BB55_60 Depth=2
	s_or_b32 exec_lo, exec_lo, s11
	s_delay_alu instid0(SALU_CYCLE_1)
	s_and_b32 s5, exec_lo, vcc_lo
	v_add_co_u32 v2, vcc_lo, v2, s9
	ds_store_b32 v7, v6
	s_waitcnt vmcnt(0)
	v_dual_mov_b32 v6, v9 :: v_dual_add_nc_u32 v7, s7, v7
	v_add_co_ci_u32_e32 v3, vcc_lo, s8, v3, vcc_lo
	s_or_b32 s10, s5, s10
	s_delay_alu instid0(SALU_CYCLE_1)
	s_and_not1_b32 exec_lo, exec_lo, s10
	s_cbranch_execz .LBB55_62
.LBB55_60:                              ;   Parent Loop BB55_33 Depth=1
                                        ; =>  This Inner Loop Header: Depth=2
	s_delay_alu instid0(VALU_DEP_1) | instskip(NEXT) | instid1(VALU_DEP_2)
	v_add_co_u32 v4, vcc_lo, v4, v8
	v_add_co_ci_u32_e32 v5, vcc_lo, 0, v5, vcc_lo
	v_mov_b32_e32 v9, 0
	s_mov_b32 s11, exec_lo
	s_delay_alu instid0(VALU_DEP_2)
	v_cmp_le_i64_e32 vcc_lo, s[36:37], v[4:5]
	v_cmpx_gt_i64_e64 s[36:37], v[4:5]
	s_cbranch_execz .LBB55_59
; %bb.61:                               ;   in Loop: Header=BB55_60 Depth=2
	global_load_b32 v9, v[2:3], off
	s_branch .LBB55_59
.LBB55_62:                              ;   in Loop: Header=BB55_33 Depth=1
	s_or_b32 exec_lo, exec_lo, s6
	s_waitcnt vmcnt(0) lgkmcnt(0)
	s_barrier
	buffer_gl0_inv
	s_and_saveexec_b32 s5, s0
	s_cbranch_execz .LBB55_64
; %bb.63:                               ;   in Loop: Header=BB55_33 Depth=1
	v_dual_mov_b32 v2, s36 :: v_dual_mov_b32 v3, s37
	ds_store_b64 v13, v[2:3] offset:5120
.LBB55_64:                              ;   in Loop: Header=BB55_33 Depth=1
	s_or_b32 exec_lo, exec_lo, s5
	s_mov_b32 s5, -1
	s_waitcnt lgkmcnt(0)
	s_barrier
                                        ; implicit-def: $sgpr64_sgpr65
.LBB55_65:                              ;   in Loop: Header=BB55_33 Depth=1
	s_and_b32 vcc_lo, exec_lo, s5
	s_cbranch_vccz .LBB55_67
; %bb.66:                               ;   in Loop: Header=BB55_33 Depth=1
	buffer_gl0_inv
	ds_load_b64 v[2:3], v13 offset:5120
	s_waitcnt lgkmcnt(0)
	v_readfirstlane_b32 s64, v2
.LBB55_67:                              ;   in Loop: Header=BB55_33 Depth=1
	s_delay_alu instid0(VALU_DEP_1)
	s_cmp_lt_i32 s64, 1
	s_cbranch_scc0 .LBB55_82
; %bb.68:                               ;   in Loop: Header=BB55_33 Depth=1
	global_load_u16 v2, v13, s[56:57]
	s_mov_b32 s6, s51
	s_mov_b32 s7, s37
	s_waitcnt vmcnt(0)
	v_readfirstlane_b32 s5, v2
	s_delay_alu instid0(VALU_DEP_1) | instskip(NEXT) | instid1(SALU_CYCLE_1)
	s_and_b32 s50, s5, 0xffff
	s_lshl_b32 s65, s50, 2
	s_cmp_lg_u64 s[6:7], 0
	s_cbranch_scc0 .LBB55_102
; %bb.69:                               ;   in Loop: Header=BB55_33 Depth=1
	v_cvt_f32_u32_e32 v2, s65
	s_sub_u32 s7, 0, s65
	s_subb_u32 s8, 0, 0
	s_delay_alu instid0(VALU_DEP_1) | instskip(NEXT) | instid1(VALU_DEP_1)
	v_fmac_f32_e32 v2, 0x4f800000, v51
	v_rcp_f32_e32 v2, v2
	s_waitcnt_depctr 0xfff
	v_mul_f32_e32 v2, 0x5f7ffffc, v2
	s_delay_alu instid0(VALU_DEP_1) | instskip(NEXT) | instid1(VALU_DEP_1)
	v_mul_f32_e32 v3, 0x2f800000, v2
	v_trunc_f32_e32 v3, v3
	s_delay_alu instid0(VALU_DEP_1) | instskip(SKIP_1) | instid1(VALU_DEP_2)
	v_fmac_f32_e32 v2, 0xcf800000, v3
	v_cvt_u32_f32_e32 v3, v3
	v_cvt_u32_f32_e32 v2, v2
	s_delay_alu instid0(VALU_DEP_2) | instskip(NEXT) | instid1(VALU_DEP_2)
	v_readfirstlane_b32 s5, v3
	v_readfirstlane_b32 s6, v2
	s_delay_alu instid0(VALU_DEP_2) | instskip(NEXT) | instid1(VALU_DEP_1)
	s_mul_i32 s9, s7, s5
	s_mul_hi_u32 s11, s7, s6
	s_mul_i32 s10, s8, s6
	s_add_i32 s9, s11, s9
	s_mul_i32 s12, s7, s6
	s_add_i32 s9, s9, s10
	s_mul_hi_u32 s11, s6, s12
	s_mul_hi_u32 s13, s5, s12
	s_mul_i32 s10, s5, s12
	s_mul_hi_u32 s12, s6, s9
	s_mul_i32 s6, s6, s9
	s_mul_hi_u32 s14, s5, s9
	s_add_u32 s6, s11, s6
	s_addc_u32 s11, 0, s12
	s_add_u32 s6, s6, s10
	s_mul_i32 s9, s5, s9
	s_addc_u32 s6, s11, s13
	s_addc_u32 s10, s14, 0
	s_add_u32 s6, s6, s9
	s_addc_u32 s9, 0, s10
	v_add_co_u32 v2, s6, v2, s6
	s_delay_alu instid0(VALU_DEP_1) | instskip(SKIP_1) | instid1(VALU_DEP_1)
	s_cmp_lg_u32 s6, 0
	s_addc_u32 s5, s5, s9
	v_readfirstlane_b32 s6, v2
	s_mul_i32 s9, s7, s5
	s_delay_alu instid0(VALU_DEP_1)
	s_mul_hi_u32 s10, s7, s6
	s_mul_i32 s8, s8, s6
	s_add_i32 s9, s10, s9
	s_mul_i32 s7, s7, s6
	s_add_i32 s9, s9, s8
	s_mul_hi_u32 s10, s5, s7
	s_mul_i32 s11, s5, s7
	s_mul_hi_u32 s7, s6, s7
	s_mul_hi_u32 s12, s6, s9
	s_mul_i32 s6, s6, s9
	s_mul_hi_u32 s8, s5, s9
	s_add_u32 s6, s7, s6
	s_addc_u32 s7, 0, s12
	s_add_u32 s6, s6, s11
	s_mul_i32 s9, s5, s9
	s_addc_u32 s6, s7, s10
	s_addc_u32 s7, s8, 0
	s_add_u32 s6, s6, s9
	s_addc_u32 s7, 0, s7
	v_add_co_u32 v2, s6, v2, s6
	s_delay_alu instid0(VALU_DEP_1) | instskip(SKIP_2) | instid1(VALU_DEP_1)
	s_cmp_lg_u32 s6, 0
	s_addc_u32 s5, s5, s7
	s_ashr_i32 s6, s37, 31
	v_readfirstlane_b32 s10, v2
	s_add_u32 s8, s36, s6
	s_mov_b32 s7, s6
	s_addc_u32 s9, s37, s6
	s_delay_alu instid0(SALU_CYCLE_1) | instskip(NEXT) | instid1(SALU_CYCLE_1)
	s_xor_b64 s[8:9], s[8:9], s[6:7]
	s_mul_i32 s11, s8, s5
	s_mul_hi_u32 s12, s8, s10
	s_mul_hi_u32 s7, s8, s5
	;; [unrolled: 1-line block ×3, first 2 shown]
	s_mul_i32 s10, s9, s10
	s_add_u32 s11, s12, s11
	s_addc_u32 s7, 0, s7
	s_mul_hi_u32 s13, s9, s5
	s_add_u32 s10, s11, s10
	s_mul_i32 s5, s9, s5
	s_addc_u32 s7, s7, s14
	s_addc_u32 s10, s13, 0
	s_add_u32 s5, s7, s5
	s_addc_u32 s7, 0, s10
	s_mul_hi_u32 s10, s65, s5
	s_mul_i32 s5, s65, s5
	s_mul_i32 s7, s65, s7
	v_sub_co_u32 v2, s5, s8, s5
	s_add_i32 s10, s10, s7
	s_cmp_lg_u32 s5, 0
	s_delay_alu instid0(VALU_DEP_1) | instskip(SKIP_2) | instid1(VALU_DEP_1)
	v_sub_co_u32 v3, s5, v2, s65
	s_subb_u32 s7, s9, s10
	s_cmp_lg_u32 s5, 0
	v_cmp_le_u32_e32 vcc_lo, s65, v3
	v_sub_co_u32 v4, s5, v3, s65
	s_subb_u32 s8, s7, 0
	s_cmp_lg_u32 s5, 0
	v_cndmask_b32_e64 v5, 0, -1, vcc_lo
	s_subb_u32 s5, s8, 0
	s_cmp_eq_u32 s8, 0
	v_mov_b32_e32 v7, s5
	s_cselect_b32 vcc_lo, -1, 0
	s_cmp_eq_u32 s7, 0
	v_cndmask_b32_e32 v5, -1, v5, vcc_lo
	v_cmp_le_u32_e32 vcc_lo, s65, v2
	s_cselect_b32 s5, -1, 0
	v_cndmask_b32_e64 v6, 0, -1, vcc_lo
	s_delay_alu instid0(VALU_DEP_3) | instskip(NEXT) | instid1(VALU_DEP_2)
	v_cmp_ne_u32_e32 vcc_lo, 0, v5
	v_cndmask_b32_e64 v5, -1, v6, s5
	v_cndmask_b32_e32 v3, v3, v4, vcc_lo
	v_cndmask_b32_e32 v6, s8, v7, vcc_lo
	s_delay_alu instid0(VALU_DEP_3) | instskip(NEXT) | instid1(VALU_DEP_3)
	v_cmp_ne_u32_e32 vcc_lo, 0, v5
	v_cndmask_b32_e32 v2, v2, v3, vcc_lo
	s_delay_alu instid0(VALU_DEP_3) | instskip(NEXT) | instid1(VALU_DEP_2)
	v_cndmask_b32_e32 v4, s7, v6, vcc_lo
	v_xor_b32_e32 v2, s6, v2
	s_delay_alu instid0(VALU_DEP_2) | instskip(NEXT) | instid1(VALU_DEP_2)
	v_xor_b32_e32 v3, s6, v4
	v_sub_co_u32 v29, vcc_lo, v2, s6
	s_delay_alu instid0(VALU_DEP_2)
	v_subrev_co_ci_u32_e32 v30, vcc_lo, s6, v3, vcc_lo
	s_cbranch_execnz .LBB55_71
.LBB55_70:                              ;   in Loop: Header=BB55_33 Depth=1
	v_cvt_f32_u32_e32 v2, s65
	s_sub_i32 s5, 0, s65
	s_delay_alu instid0(VALU_DEP_1) | instskip(SKIP_2) | instid1(VALU_DEP_1)
	v_rcp_iflag_f32_e32 v2, v2
	s_waitcnt_depctr 0xfff
	v_mul_f32_e32 v2, 0x4f7ffffe, v2
	v_cvt_u32_f32_e32 v2, v2
	s_delay_alu instid0(VALU_DEP_1) | instskip(NEXT) | instid1(VALU_DEP_1)
	v_mul_lo_u32 v3, s5, v2
	v_mul_hi_u32 v3, v2, v3
	s_delay_alu instid0(VALU_DEP_1) | instskip(NEXT) | instid1(VALU_DEP_1)
	v_add_nc_u32_e32 v2, v2, v3
	v_mul_hi_u32 v2, s36, v2
	s_delay_alu instid0(VALU_DEP_1) | instskip(NEXT) | instid1(VALU_DEP_1)
	v_mul_lo_u32 v2, v2, s65
	v_sub_nc_u32_e32 v2, s36, v2
	s_delay_alu instid0(VALU_DEP_1) | instskip(SKIP_1) | instid1(VALU_DEP_2)
	v_subrev_nc_u32_e32 v3, s65, v2
	v_cmp_le_u32_e32 vcc_lo, s65, v2
	v_cndmask_b32_e32 v2, v2, v3, vcc_lo
	s_delay_alu instid0(VALU_DEP_1) | instskip(SKIP_1) | instid1(VALU_DEP_2)
	v_subrev_nc_u32_e32 v3, s65, v2
	v_cmp_le_u32_e32 vcc_lo, s65, v2
	v_cndmask_b32_e32 v12, v2, v3, vcc_lo
	s_delay_alu instid0(VALU_DEP_1)
	v_dual_mov_b32 v30, v13 :: v_dual_mov_b32 v29, v12
.LBB55_71:                              ;   in Loop: Header=BB55_33 Depth=1
	v_mov_b32_e32 v2, 0
	v_mov_b32_e32 v3, 0
	s_delay_alu instid0(VALU_DEP_3) | instskip(NEXT) | instid1(VALU_DEP_4)
	v_sub_co_u32 v31, vcc_lo, s36, v29
	v_sub_co_ci_u32_e32 v32, vcc_lo, s37, v30, vcc_lo
	s_delay_alu instid0(VALU_DEP_3)
	v_dual_mov_b32 v5, v3 :: v_dual_mov_b32 v4, v2
	v_dual_mov_b32 v7, v3 :: v_dual_mov_b32 v6, v2
	;; [unrolled: 1-line block ×3, first 2 shown]
	s_mov_b64 s[66:67], 0
	s_mov_b32 s98, exec_lo
	v_cmpx_gt_i64_e64 v[31:32], v[14:15]
	s_cbranch_execz .LBB55_75
; %bb.72:                               ;   in Loop: Header=BB55_33 Depth=1
	v_dual_mov_b32 v34, v25 :: v_dual_mov_b32 v33, v24
	v_dual_mov_b32 v36, v23 :: v_dual_mov_b32 v35, v22
	;; [unrolled: 1-line block ×5, first 2 shown]
	s_mul_i32 s5, s63, s50
	s_mul_hi_u32 s6, s62, s50
	s_and_b32 s99, s90, 0xfe
	s_add_i32 s100, s6, s5
	s_mul_i32 s101, s62, s50
	s_mov_b32 s102, 0
	s_mov_b64 s[68:69], 0
	s_mov_b64 s[70:71], 0
	;; [unrolled: 1-line block ×3, first 2 shown]
.LBB55_73:                              ;   Parent Loop BB55_33 Depth=1
                                        ; =>  This Inner Loop Header: Depth=2
	v_add_co_u32 v2, vcc_lo, v33, s54
	v_add_co_ci_u32_e32 v3, vcc_lo, s55, v34, vcc_lo
	v_add_co_u32 v4, vcc_lo, v35, s54
	v_add_co_ci_u32_e32 v5, vcc_lo, s55, v36, vcc_lo
	v_add_co_u32 v6, vcc_lo, v37, s54
	v_add_co_ci_u32_e32 v7, vcc_lo, s55, v38, vcc_lo
	v_add_co_u32 v8, vcc_lo, v39, s54
	v_add_co_ci_u32_e32 v9, vcc_lo, s55, v40, vcc_lo
	global_load_b32 v2, v[2:3], off
	global_load_b32 v3, v[4:5], off
	;; [unrolled: 1-line block ×4, first 2 shown]
	v_add_co_u32 v41, vcc_lo, v41, s65
	v_add_co_ci_u32_e32 v42, vcc_lo, 0, v42, vcc_lo
	v_add_co_u32 v39, vcc_lo, v39, s101
	v_add_co_ci_u32_e32 v40, vcc_lo, s100, v40, vcc_lo
	;; [unrolled: 2-line block ×5, first 2 shown]
	v_cmp_ge_i64_e32 vcc_lo, v[41:42], v[31:32]
	s_waitcnt vmcnt(3)
	v_cmp_lt_i32_e64 s5, -1, v2
	v_cmp_o_f32_e64 s8, v2, v2
	s_waitcnt vmcnt(1)
	v_cmp_o_f32_e64 s6, v4, v4
	s_waitcnt vmcnt(0)
	v_cmp_o_f32_e64 s7, v5, v5
	v_cndmask_b32_e64 v6, -1, 0x80000000, s5
	v_cmp_lt_i32_e64 s5, -1, v3
	s_delay_alu instid0(VALU_DEP_2) | instskip(NEXT) | instid1(VALU_DEP_2)
	v_xor_b32_e32 v6, v6, v2
	v_cndmask_b32_e64 v7, -1, 0x80000000, s5
	v_cmp_lt_i32_e64 s5, -1, v4
	s_delay_alu instid0(VALU_DEP_3) | instskip(NEXT) | instid1(VALU_DEP_3)
	v_cndmask_b32_e64 v2, -1, v6, s8
	v_xor_b32_e32 v7, v7, v3
	s_delay_alu instid0(VALU_DEP_3) | instskip(SKIP_1) | instid1(VALU_DEP_4)
	v_cndmask_b32_e64 v8, -1, 0x80000000, s5
	v_cmp_lt_i32_e64 s5, -1, v5
	v_and_b32_e32 v6, s96, v2
	v_bfe_u32 v2, v2, s99, 2
	s_delay_alu instid0(VALU_DEP_3) | instskip(SKIP_2) | instid1(VALU_DEP_4)
	v_cndmask_b32_e64 v9, -1, 0x80000000, s5
	v_cmp_o_f32_e64 s5, v3, v3
	v_xor_b32_e32 v3, v8, v4
	v_cmp_eq_u32_e64 s9, 0, v2
	v_cmp_eq_u32_e64 s13, 1, v2
	v_xor_b32_e32 v4, v9, v5
	v_cndmask_b32_e64 v5, -1, v7, s5
	v_cndmask_b32_e64 v3, -1, v3, s6
	v_cmp_eq_u32_e64 s5, s97, v6
	v_cmp_eq_u32_e64 s17, 2, v2
	v_cndmask_b32_e64 v4, -1, v4, s7
	v_and_b32_e32 v7, s96, v5
	v_bfe_u32 v5, v5, s99, 2
	v_and_b32_e32 v8, s96, v3
	v_bfe_u32 v3, v3, s99, 2
	;; [unrolled: 2-line block ×3, first 2 shown]
	v_cmp_eq_u32_e64 s6, s97, v7
	v_cmp_eq_u32_e64 s10, 0, v5
	;; [unrolled: 1-line block ×4, first 2 shown]
	s_and_b32 s9, s5, s9
	v_cmp_eq_u32_e64 s8, s97, v9
	v_cmp_eq_u32_e64 s12, 0, v4
	v_cmp_eq_u32_e64 s21, 3, v2
	v_cndmask_b32_e64 v2, 0, 1, s9
	s_and_b32 s9, s6, s10
	v_cmp_eq_u32_e64 s15, 1, v3
	v_cmp_eq_u32_e64 s19, 2, v3
	v_cmp_eq_u32_e64 s23, 3, v3
	v_cndmask_b32_e64 v3, 0, 1, s9
	s_and_b32 s9, s7, s11
	v_cmp_eq_u32_e64 s16, 1, v4
	v_cmp_eq_u32_e64 s20, 2, v4
	v_cmp_eq_u32_e64 s24, 3, v4
	v_cndmask_b32_e64 v4, 0, 1, s9
	s_and_b32 s9, s8, s12
	v_cmp_eq_u32_e64 s14, 1, v5
	v_cmp_eq_u32_e64 s18, 2, v5
	v_cmp_eq_u32_e64 s22, 3, v5
	v_cndmask_b32_e64 v5, 0, 1, s9
	v_cmp_ne_u32_e64 s9, 0, v2
	v_cmp_ne_u32_e64 s10, 0, v3
	;; [unrolled: 1-line block ×3, first 2 shown]
	s_delay_alu instid0(VALU_DEP_4) | instskip(NEXT) | instid1(VALU_DEP_4)
	v_cmp_ne_u32_e64 s12, 0, v5
	s_bcnt1_i32_b32 s9, s9
	s_delay_alu instid0(VALU_DEP_3) | instskip(NEXT) | instid1(VALU_DEP_2)
	s_bcnt1_i32_b32 s10, s10
	s_bcnt1_i32_b32 s11, s11
	s_add_i32 s9, s10, s9
	s_bcnt1_i32_b32 s12, s12
	s_add_i32 s9, s9, s11
	s_delay_alu instid0(SALU_CYCLE_1) | instskip(NEXT) | instid1(SALU_CYCLE_1)
	s_add_i32 s9, s9, s12
	s_add_u32 s72, s72, s9
	s_addc_u32 s73, s73, 0
	s_and_b32 s9, s5, s13
	s_delay_alu instid0(SALU_CYCLE_1) | instskip(SKIP_1) | instid1(SALU_CYCLE_1)
	v_cndmask_b32_e64 v2, 0, 1, s9
	s_and_b32 s9, s6, s14
	v_cndmask_b32_e64 v3, 0, 1, s9
	s_and_b32 s9, s7, s15
	s_delay_alu instid0(SALU_CYCLE_1) | instskip(SKIP_1) | instid1(VALU_DEP_2)
	v_cndmask_b32_e64 v4, 0, 1, s9
	s_and_b32 s9, s8, s16
	v_cmp_ne_u32_e64 s10, 0, v3
	v_cndmask_b32_e64 v5, 0, 1, s9
	v_cmp_ne_u32_e64 s9, 0, v2
	v_cmp_ne_u32_e64 s11, 0, v4
	s_delay_alu instid0(VALU_DEP_4) | instskip(NEXT) | instid1(VALU_DEP_3)
	s_bcnt1_i32_b32 s10, s10
	v_cmp_ne_u32_e64 s12, 0, v5
	s_delay_alu instid0(VALU_DEP_3) | instskip(NEXT) | instid1(VALU_DEP_2)
	s_bcnt1_i32_b32 s9, s9
	s_bcnt1_i32_b32 s11, s11
	s_add_i32 s9, s10, s9
	s_delay_alu instid0(VALU_DEP_1) | instskip(SKIP_1) | instid1(SALU_CYCLE_1)
	s_bcnt1_i32_b32 s12, s12
	s_add_i32 s9, s9, s11
	s_add_i32 s9, s9, s12
	s_delay_alu instid0(SALU_CYCLE_1) | instskip(SKIP_2) | instid1(SALU_CYCLE_1)
	s_add_u32 s70, s70, s9
	s_addc_u32 s71, s71, 0
	s_and_b32 s9, s5, s17
	v_cndmask_b32_e64 v2, 0, 1, s9
	s_and_b32 s9, s6, s18
	s_delay_alu instid0(SALU_CYCLE_1) | instskip(SKIP_1) | instid1(SALU_CYCLE_1)
	v_cndmask_b32_e64 v3, 0, 1, s9
	s_and_b32 s9, s7, s19
	v_cndmask_b32_e64 v4, 0, 1, s9
	s_and_b32 s9, s8, s20
	s_delay_alu instid0(VALU_DEP_2) | instskip(SKIP_3) | instid1(VALU_DEP_4)
	v_cmp_ne_u32_e64 s10, 0, v3
	v_cndmask_b32_e64 v5, 0, 1, s9
	v_cmp_ne_u32_e64 s9, 0, v2
	v_cmp_ne_u32_e64 s11, 0, v4
	s_bcnt1_i32_b32 s10, s10
	s_delay_alu instid0(VALU_DEP_3) | instskip(NEXT) | instid1(VALU_DEP_3)
	v_cmp_ne_u32_e64 s12, 0, v5
	s_bcnt1_i32_b32 s9, s9
	s_delay_alu instid0(VALU_DEP_2) | instskip(SKIP_1) | instid1(VALU_DEP_1)
	s_bcnt1_i32_b32 s11, s11
	s_add_i32 s9, s10, s9
	s_bcnt1_i32_b32 s12, s12
	s_add_i32 s9, s9, s11
	s_delay_alu instid0(SALU_CYCLE_1) | instskip(NEXT) | instid1(SALU_CYCLE_1)
	s_add_i32 s9, s9, s12
	s_add_u32 s68, s68, s9
	s_addc_u32 s69, s69, 0
	s_and_b32 s5, s5, s21
	v_dual_mov_b32 v6, s68 :: v_dual_mov_b32 v7, s69
	v_cndmask_b32_e64 v2, 0, 1, s5
	s_and_b32 s5, s6, s22
	s_delay_alu instid0(SALU_CYCLE_1) | instskip(SKIP_1) | instid1(SALU_CYCLE_1)
	v_cndmask_b32_e64 v3, 0, 1, s5
	s_and_b32 s5, s7, s23
	v_cndmask_b32_e64 v4, 0, 1, s5
	s_and_b32 s5, s8, s24
	s_delay_alu instid0(VALU_DEP_2)
	v_cmp_ne_u32_e64 s6, 0, v3
	v_cndmask_b32_e64 v5, 0, 1, s5
	v_cmp_ne_u32_e64 s5, 0, v2
	v_cmp_ne_u32_e64 s7, 0, v4
	v_mov_b32_e32 v2, s72
	s_bcnt1_i32_b32 s6, s6
	v_cmp_ne_u32_e64 s8, 0, v5
	s_bcnt1_i32_b32 s5, s5
	s_bcnt1_i32_b32 s7, s7
	s_add_i32 s5, s6, s5
	v_mov_b32_e32 v4, s70
	s_bcnt1_i32_b32 s6, s8
	s_add_i32 s5, s5, s7
	v_mov_b32_e32 v3, s73
	s_add_i32 s5, s5, s6
	v_mov_b32_e32 v5, s71
	s_add_u32 s66, s66, s5
	s_addc_u32 s67, s67, 0
	s_delay_alu instid0(SALU_CYCLE_1) | instskip(SKIP_1) | instid1(SALU_CYCLE_1)
	v_dual_mov_b32 v8, s66 :: v_dual_mov_b32 v9, s67
	s_or_b32 s102, vcc_lo, s102
	s_and_not1_b32 exec_lo, exec_lo, s102
	s_cbranch_execnz .LBB55_73
; %bb.74:                               ;   in Loop: Header=BB55_33 Depth=1
	s_or_b32 exec_lo, exec_lo, s102
.LBB55_75:                              ;   in Loop: Header=BB55_33 Depth=1
	s_delay_alu instid0(SALU_CYCLE_1) | instskip(SKIP_3) | instid1(VALU_DEP_2)
	s_or_b32 exec_lo, exec_lo, s98
	v_add_co_u32 v31, vcc_lo, v31, v0
	v_add_co_ci_u32_e32 v32, vcc_lo, 0, v32, vcc_lo
	v_mov_b32_e32 v27, 0
	v_cmp_gt_i64_e32 vcc_lo, s[36:37], v[31:32]
	s_and_saveexec_b32 s6, vcc_lo
	s_cbranch_execz .LBB55_77
; %bb.76:                               ;   in Loop: Header=BB55_33 Depth=1
	v_mul_lo_u32 v12, v32, s42
	v_mul_lo_u32 v27, v31, s43
	v_mad_u64_u32 v[33:34], null, v31, s42, 0
	s_delay_alu instid0(VALU_DEP_1) | instskip(NEXT) | instid1(VALU_DEP_1)
	v_add3_u32 v34, v34, v27, v12
	v_lshlrev_b64 v[33:34], 2, v[33:34]
	s_delay_alu instid0(VALU_DEP_1) | instskip(NEXT) | instid1(VALU_DEP_1)
	v_add_co_u32 v33, s5, s74, v33
	v_add_co_ci_u32_e64 v34, s5, s75, v34, s5
	global_load_b32 v27, v[33:34], off
.LBB55_77:                              ;   in Loop: Header=BB55_33 Depth=1
	s_or_b32 exec_lo, exec_lo, s6
	s_and_saveexec_b32 s9, vcc_lo
	s_cbranch_execz .LBB55_84
; %bb.78:                               ;   in Loop: Header=BB55_33 Depth=1
	v_add_co_u32 v12, vcc_lo, v48, s50
	v_add_co_ci_u32_e32 v33, vcc_lo, 0, v49, vcc_lo
	s_mul_i32 s5, s61, s50
	s_delay_alu instid0(VALU_DEP_2) | instskip(NEXT) | instid1(VALU_DEP_2)
	v_sub_co_u32 v12, vcc_lo, v12, v29
	v_sub_co_ci_u32_e32 v29, vcc_lo, v33, v30, vcc_lo
	s_mul_hi_u32 s6, s60, s50
	s_delay_alu instid0(VALU_DEP_2) | instskip(SKIP_1) | instid1(VALU_DEP_2)
	v_mul_lo_u32 v34, s61, v12
	s_and_b32 s10, s90, 0xfe
	v_mul_lo_u32 v33, s60, v29
	v_mad_u64_u32 v[29:30], null, s60, v12, s[58:59]
	s_add_i32 s11, s6, s5
	s_mul_i32 s12, s60, s50
	s_mov_b32 s13, 0
	s_delay_alu instid0(VALU_DEP_1)
	v_add3_u32 v30, v34, v30, v33
	s_branch .LBB55_80
.LBB55_79:                              ;   in Loop: Header=BB55_80 Depth=2
	s_or_b32 exec_lo, exec_lo, s6
	s_waitcnt vmcnt(0)
	v_cmp_lt_i32_e64 s5, -1, v27
	s_and_b32 s6, exec_lo, vcc_lo
	s_delay_alu instid0(SALU_CYCLE_1) | instskip(NEXT) | instid1(VALU_DEP_1)
	s_or_b32 s13, s6, s13
	v_cndmask_b32_e64 v33, -1, 0x80000000, s5
	v_cmp_o_f32_e64 s5, v27, v27
	s_delay_alu instid0(VALU_DEP_2) | instskip(NEXT) | instid1(VALU_DEP_1)
	v_xor_b32_e32 v33, v33, v27
	v_cndmask_b32_e64 v27, -1, v33, s5
	s_delay_alu instid0(VALU_DEP_1) | instskip(SKIP_1) | instid1(VALU_DEP_2)
	v_and_b32_e32 v33, s96, v27
	v_bfe_u32 v27, v27, s10, 2
	v_cmp_eq_u32_e32 vcc_lo, s97, v33
	s_delay_alu instid0(VALU_DEP_2) | instskip(SKIP_3) | instid1(VALU_DEP_4)
	v_cmp_eq_u32_e64 s5, 0, v27
	v_cmp_eq_u32_e64 s6, 1, v27
	;; [unrolled: 1-line block ×4, first 2 shown]
	s_and_b32 s5, vcc_lo, s5
	s_delay_alu instid0(SALU_CYCLE_1) | instskip(SKIP_1) | instid1(SALU_CYCLE_1)
	v_cndmask_b32_e64 v27, 0, 1, s5
	s_and_b32 s5, vcc_lo, s6
	v_cndmask_b32_e64 v33, 0, 1, s5
	s_and_b32 s5, vcc_lo, s7
	s_delay_alu instid0(SALU_CYCLE_1)
	v_cndmask_b32_e64 v34, 0, 1, s5
	s_and_b32 s5, vcc_lo, s8
	v_cmp_ne_u32_e32 vcc_lo, 0, v27
	v_cndmask_b32_e64 v35, 0, 1, s5
	v_cmp_ne_u32_e64 s5, 0, v33
	v_cmp_ne_u32_e64 s6, 0, v34
	v_mov_b32_e32 v27, v12
	s_bcnt1_i32_b32 s8, vcc_lo
	v_cmp_ne_u32_e64 s7, 0, v35
	v_add_co_u32 v2, vcc_lo, v2, s8
	s_bcnt1_i32_b32 s5, s5
	v_add_co_ci_u32_e32 v3, vcc_lo, 0, v3, vcc_lo
	v_add_co_u32 v4, vcc_lo, v4, s5
	s_bcnt1_i32_b32 s6, s6
	v_add_co_ci_u32_e32 v5, vcc_lo, 0, v5, vcc_lo
	;; [unrolled: 3-line block ×3, first 2 shown]
	v_add_co_u32 v8, vcc_lo, v8, s5
	v_add_co_ci_u32_e32 v9, vcc_lo, 0, v9, vcc_lo
	v_add_co_u32 v29, vcc_lo, v29, s12
	v_add_co_ci_u32_e32 v30, vcc_lo, s11, v30, vcc_lo
	s_and_not1_b32 exec_lo, exec_lo, s13
	s_cbranch_execz .LBB55_83
.LBB55_80:                              ;   Parent Loop BB55_33 Depth=1
                                        ; =>  This Inner Loop Header: Depth=2
	v_add_co_u32 v31, vcc_lo, v31, s50
	v_add_co_ci_u32_e32 v32, vcc_lo, 0, v32, vcc_lo
	v_mov_b32_e32 v12, 0
	s_mov_b32 s6, exec_lo
	s_delay_alu instid0(VALU_DEP_2)
	v_cmp_le_i64_e32 vcc_lo, s[36:37], v[31:32]
	v_cmpx_gt_i64_e64 s[36:37], v[31:32]
	s_cbranch_execz .LBB55_79
; %bb.81:                               ;   in Loop: Header=BB55_80 Depth=2
	global_load_b32 v12, v[29:30], off
	s_branch .LBB55_79
.LBB55_82:                              ;   in Loop: Header=BB55_33 Depth=1
                                        ; implicit-def: $vgpr8_vgpr9
                                        ; implicit-def: $vgpr4_vgpr5
	s_cbranch_execnz .LBB55_85
	s_branch .LBB55_94
.LBB55_83:                              ;   in Loop: Header=BB55_33 Depth=1
	s_or_b32 exec_lo, exec_lo, s13
.LBB55_84:                              ;   in Loop: Header=BB55_33 Depth=1
	s_delay_alu instid0(SALU_CYCLE_1)
	s_or_b32 exec_lo, exec_lo, s9
	s_branch .LBB55_94
.LBB55_85:                              ;   in Loop: Header=BB55_33 Depth=1
	global_load_u16 v8, v13, s[56:57]
	s_mov_b64 s[66:67], 0
	s_mov_b32 s98, exec_lo
	s_waitcnt vmcnt(0)
	v_readfirstlane_b32 s5, v8
	v_and_b32_e32 v27, 0xffff, v8
	s_delay_alu instid0(VALU_DEP_2) | instskip(NEXT) | instid1(SALU_CYCLE_1)
	s_and_b32 s5, 0xffff, s5
	s_lshl_b32 s65, s5, 2
	s_delay_alu instid0(SALU_CYCLE_1) | instskip(SKIP_1) | instid1(VALU_DEP_1)
	v_cvt_f32_u32_e32 v2, s65
	s_sub_i32 s6, 0, s65
	v_rcp_iflag_f32_e32 v2, v2
	s_waitcnt_depctr 0xfff
	v_mul_f32_e32 v2, 0x4f7ffffe, v2
	s_delay_alu instid0(VALU_DEP_1) | instskip(NEXT) | instid1(VALU_DEP_1)
	v_cvt_u32_f32_e32 v2, v2
	v_readfirstlane_b32 s5, v2
	v_mov_b32_e32 v2, 0
	v_mov_b32_e32 v3, 0
	s_delay_alu instid0(VALU_DEP_3) | instskip(NEXT) | instid1(VALU_DEP_1)
	s_mul_i32 s6, s6, s5
	v_dual_mov_b32 v5, v3 :: v_dual_mov_b32 v4, v2
	s_mul_hi_u32 s6, s5, s6
	v_dual_mov_b32 v7, v3 :: v_dual_mov_b32 v6, v2
	s_add_i32 s5, s5, s6
	v_dual_mov_b32 v9, v3 :: v_dual_mov_b32 v8, v2
	s_mul_hi_u32 s5, s64, s5
	s_delay_alu instid0(SALU_CYCLE_1) | instskip(NEXT) | instid1(SALU_CYCLE_1)
	s_mul_i32 s5, s5, s65
	s_sub_i32 s5, s64, s5
	s_delay_alu instid0(SALU_CYCLE_1) | instskip(SKIP_2) | instid1(SALU_CYCLE_1)
	s_sub_i32 s6, s5, s65
	s_cmp_ge_u32 s5, s65
	s_cselect_b32 s5, s6, s5
	s_sub_i32 s6, s5, s65
	s_cmp_ge_u32 s5, s65
	s_cselect_b32 s5, s6, s5
	s_delay_alu instid0(SALU_CYCLE_1) | instskip(NEXT) | instid1(SALU_CYCLE_1)
	s_sub_i32 s50, s64, s5
	v_cmpx_gt_u32_e64 s50, v14
	s_cbranch_execz .LBB55_89
; %bb.86:                               ;   in Loop: Header=BB55_33 Depth=1
	v_dual_mov_b32 v31, v46 :: v_dual_lshlrev_b32 v12, 4, v27
	v_dual_mov_b32 v30, v15 :: v_dual_mov_b32 v29, v14
	s_and_b32 s99, s90, 0xfe
	s_mov_b32 s100, 0
	s_mov_b64 s[68:69], 0
	s_mov_b64 s[70:71], 0
	;; [unrolled: 1-line block ×3, first 2 shown]
.LBB55_87:                              ;   Parent Loop BB55_33 Depth=1
                                        ; =>  This Inner Loop Header: Depth=2
	ds_load_b128 v[2:5], v31
	v_add_co_u32 v29, vcc_lo, v29, s65
	v_add_co_ci_u32_e32 v30, vcc_lo, 0, v30, vcc_lo
	s_delay_alu instid0(VALU_DEP_1)
	v_cmp_le_u64_e32 vcc_lo, s[50:51], v[29:30]
	s_waitcnt lgkmcnt(0)
	v_cmp_lt_i32_e64 s5, -1, v2
	v_cmp_o_f32_e64 s8, v2, v2
	v_cmp_o_f32_e64 s6, v4, v4
	v_cmp_o_f32_e64 s7, v5, v5
	s_delay_alu instid0(VALU_DEP_4) | instskip(SKIP_1) | instid1(VALU_DEP_2)
	v_cndmask_b32_e64 v6, -1, 0x80000000, s5
	v_cmp_lt_i32_e64 s5, -1, v3
	v_xor_b32_e32 v6, v6, v2
	s_delay_alu instid0(VALU_DEP_2) | instskip(SKIP_1) | instid1(VALU_DEP_3)
	v_cndmask_b32_e64 v7, -1, 0x80000000, s5
	v_cmp_lt_i32_e64 s5, -1, v4
	v_cndmask_b32_e64 v2, -1, v6, s8
	s_delay_alu instid0(VALU_DEP_3) | instskip(NEXT) | instid1(VALU_DEP_3)
	v_xor_b32_e32 v7, v7, v3
	v_cndmask_b32_e64 v8, -1, 0x80000000, s5
	v_cmp_lt_i32_e64 s5, -1, v5
	s_delay_alu instid0(VALU_DEP_4) | instskip(SKIP_1) | instid1(VALU_DEP_3)
	v_and_b32_e32 v6, s96, v2
	v_bfe_u32 v2, v2, s99, 2
	v_cndmask_b32_e64 v9, -1, 0x80000000, s5
	v_cmp_o_f32_e64 s5, v3, v3
	v_xor_b32_e32 v3, v8, v4
	s_delay_alu instid0(VALU_DEP_4)
	v_cmp_eq_u32_e64 s9, 0, v2
	v_cmp_eq_u32_e64 s13, 1, v2
	v_xor_b32_e32 v4, v9, v5
	v_cndmask_b32_e64 v5, -1, v7, s5
	v_cndmask_b32_e64 v3, -1, v3, s6
	v_cmp_eq_u32_e64 s5, s97, v6
	v_cmp_eq_u32_e64 s17, 2, v2
	v_cndmask_b32_e64 v4, -1, v4, s7
	v_and_b32_e32 v7, s96, v5
	v_bfe_u32 v5, v5, s99, 2
	v_and_b32_e32 v8, s96, v3
	v_bfe_u32 v3, v3, s99, 2
	;; [unrolled: 2-line block ×3, first 2 shown]
	v_cmp_eq_u32_e64 s6, s97, v7
	v_cmp_eq_u32_e64 s10, 0, v5
	v_cmp_eq_u32_e64 s7, s97, v8
	v_cmp_eq_u32_e64 s11, 0, v3
	s_and_b32 s9, s5, s9
	v_cmp_eq_u32_e64 s8, s97, v9
	v_cmp_eq_u32_e64 s12, 0, v4
	v_cmp_eq_u32_e64 s21, 3, v2
	v_cndmask_b32_e64 v2, 0, 1, s9
	s_and_b32 s9, s6, s10
	v_cmp_eq_u32_e64 s15, 1, v3
	v_cmp_eq_u32_e64 s19, 2, v3
	v_cmp_eq_u32_e64 s23, 3, v3
	v_cndmask_b32_e64 v3, 0, 1, s9
	;; [unrolled: 5-line block ×4, first 2 shown]
	v_cmp_ne_u32_e64 s9, 0, v2
	v_cmp_ne_u32_e64 s10, 0, v3
	;; [unrolled: 1-line block ×3, first 2 shown]
	s_delay_alu instid0(VALU_DEP_4) | instskip(NEXT) | instid1(VALU_DEP_4)
	v_cmp_ne_u32_e64 s12, 0, v5
	s_bcnt1_i32_b32 s9, s9
	s_delay_alu instid0(VALU_DEP_3) | instskip(NEXT) | instid1(VALU_DEP_2)
	s_bcnt1_i32_b32 s10, s10
	s_bcnt1_i32_b32 s11, s11
	s_add_i32 s9, s10, s9
	s_bcnt1_i32_b32 s12, s12
	s_add_i32 s9, s9, s11
	s_delay_alu instid0(SALU_CYCLE_1) | instskip(NEXT) | instid1(SALU_CYCLE_1)
	s_add_i32 s9, s9, s12
	s_add_u32 s72, s72, s9
	s_addc_u32 s73, s73, 0
	s_and_b32 s9, s5, s13
	v_add_nc_u32_e32 v31, v31, v12
	v_cndmask_b32_e64 v2, 0, 1, s9
	s_and_b32 s9, s6, s14
	s_delay_alu instid0(SALU_CYCLE_1) | instskip(SKIP_1) | instid1(SALU_CYCLE_1)
	v_cndmask_b32_e64 v3, 0, 1, s9
	s_and_b32 s9, s7, s15
	v_cndmask_b32_e64 v4, 0, 1, s9
	s_and_b32 s9, s8, s16
	s_delay_alu instid0(VALU_DEP_2) | instskip(SKIP_3) | instid1(VALU_DEP_4)
	v_cmp_ne_u32_e64 s10, 0, v3
	v_cndmask_b32_e64 v5, 0, 1, s9
	v_cmp_ne_u32_e64 s9, 0, v2
	v_cmp_ne_u32_e64 s11, 0, v4
	s_bcnt1_i32_b32 s10, s10
	s_delay_alu instid0(VALU_DEP_3) | instskip(NEXT) | instid1(VALU_DEP_3)
	v_cmp_ne_u32_e64 s12, 0, v5
	s_bcnt1_i32_b32 s9, s9
	s_delay_alu instid0(VALU_DEP_2) | instskip(SKIP_1) | instid1(VALU_DEP_1)
	s_bcnt1_i32_b32 s11, s11
	s_add_i32 s9, s10, s9
	s_bcnt1_i32_b32 s12, s12
	s_add_i32 s9, s9, s11
	s_delay_alu instid0(SALU_CYCLE_1) | instskip(NEXT) | instid1(SALU_CYCLE_1)
	s_add_i32 s9, s9, s12
	s_add_u32 s70, s70, s9
	s_addc_u32 s71, s71, 0
	s_and_b32 s9, s5, s17
	s_delay_alu instid0(SALU_CYCLE_1) | instskip(SKIP_1) | instid1(SALU_CYCLE_1)
	v_cndmask_b32_e64 v2, 0, 1, s9
	s_and_b32 s9, s6, s18
	v_cndmask_b32_e64 v3, 0, 1, s9
	s_and_b32 s9, s7, s19
	s_delay_alu instid0(SALU_CYCLE_1) | instskip(SKIP_1) | instid1(VALU_DEP_2)
	v_cndmask_b32_e64 v4, 0, 1, s9
	s_and_b32 s9, s8, s20
	v_cmp_ne_u32_e64 s10, 0, v3
	v_cndmask_b32_e64 v5, 0, 1, s9
	v_cmp_ne_u32_e64 s9, 0, v2
	v_cmp_ne_u32_e64 s11, 0, v4
	s_delay_alu instid0(VALU_DEP_4) | instskip(NEXT) | instid1(VALU_DEP_3)
	s_bcnt1_i32_b32 s10, s10
	v_cmp_ne_u32_e64 s12, 0, v5
	s_delay_alu instid0(VALU_DEP_3) | instskip(NEXT) | instid1(VALU_DEP_2)
	s_bcnt1_i32_b32 s9, s9
	s_bcnt1_i32_b32 s11, s11
	s_add_i32 s9, s10, s9
	s_delay_alu instid0(VALU_DEP_1) | instskip(SKIP_1) | instid1(SALU_CYCLE_1)
	s_bcnt1_i32_b32 s12, s12
	s_add_i32 s9, s9, s11
	s_add_i32 s9, s9, s12
	s_delay_alu instid0(SALU_CYCLE_1)
	s_add_u32 s68, s68, s9
	s_addc_u32 s69, s69, 0
	s_and_b32 s5, s5, s21
	v_mov_b32_e32 v6, s68
	v_cndmask_b32_e64 v2, 0, 1, s5
	s_and_b32 s5, s6, s22
	s_delay_alu instid0(SALU_CYCLE_1) | instskip(SKIP_1) | instid1(SALU_CYCLE_1)
	v_cndmask_b32_e64 v3, 0, 1, s5
	s_and_b32 s5, s7, s23
	v_cndmask_b32_e64 v4, 0, 1, s5
	s_and_b32 s5, s8, s24
	s_delay_alu instid0(VALU_DEP_2)
	v_cmp_ne_u32_e64 s6, 0, v3
	v_cndmask_b32_e64 v5, 0, 1, s5
	v_cmp_ne_u32_e64 s5, 0, v2
	v_mov_b32_e32 v2, s72
	v_cmp_ne_u32_e64 s7, 0, v4
	s_bcnt1_i32_b32 s6, s6
	v_cmp_ne_u32_e64 s8, 0, v5
	s_bcnt1_i32_b32 s5, s5
	v_mov_b32_e32 v4, s70
	s_bcnt1_i32_b32 s7, s7
	s_add_i32 s5, s6, s5
	s_bcnt1_i32_b32 s6, s8
	s_add_i32 s5, s5, s7
	v_mov_b32_e32 v3, s73
	s_add_i32 s5, s5, s6
	v_mov_b32_e32 v5, s71
	s_add_u32 s66, s66, s5
	s_addc_u32 s67, s67, 0
	v_dual_mov_b32 v7, s69 :: v_dual_mov_b32 v8, s66
	v_mov_b32_e32 v9, s67
	s_or_b32 s100, vcc_lo, s100
	s_delay_alu instid0(SALU_CYCLE_1)
	s_and_not1_b32 exec_lo, exec_lo, s100
	s_cbranch_execnz .LBB55_87
; %bb.88:                               ;   in Loop: Header=BB55_33 Depth=1
	s_or_b32 exec_lo, exec_lo, s100
.LBB55_89:                              ;   in Loop: Header=BB55_33 Depth=1
	s_delay_alu instid0(SALU_CYCLE_1) | instskip(SKIP_2) | instid1(VALU_DEP_1)
	s_or_b32 exec_lo, exec_lo, s98
	v_add_nc_u32_e32 v12, s50, v0
	s_mov_b32 s12, exec_lo
	v_cmpx_gt_u32_e64 s64, v12
	s_cbranch_execz .LBB55_93
; %bb.90:                               ;   in Loop: Header=BB55_33 Depth=1
	v_dual_mov_b32 v30, v13 :: v_dual_lshlrev_b32 v31, 2, v12
	v_mov_b32_e32 v29, v12
	s_mov_b32 s11, 0
	s_and_b32 s10, s64, 0x7fffffff
	s_and_b32 s14, s90, 0xfe
	s_mov_b32 s13, s11
.LBB55_91:                              ;   Parent Loop BB55_33 Depth=1
                                        ; =>  This Inner Loop Header: Depth=2
	ds_load_b32 v12, v31
	v_add_co_u32 v29, vcc_lo, v29, v27
	v_add_co_ci_u32_e32 v30, vcc_lo, 0, v30, vcc_lo
	v_add_nc_u32_e32 v31, s65, v31
	s_delay_alu instid0(VALU_DEP_2) | instskip(SKIP_2) | instid1(VALU_DEP_1)
	v_cmp_le_u64_e32 vcc_lo, s[10:11], v[29:30]
	s_waitcnt lgkmcnt(0)
	v_cmp_lt_i32_e64 s5, -1, v12
	v_cndmask_b32_e64 v32, -1, 0x80000000, s5
	v_cmp_o_f32_e64 s5, v12, v12
	s_delay_alu instid0(VALU_DEP_2) | instskip(NEXT) | instid1(VALU_DEP_1)
	v_xor_b32_e32 v32, v32, v12
	v_cndmask_b32_e64 v12, -1, v32, s5
	s_delay_alu instid0(VALU_DEP_1) | instskip(SKIP_1) | instid1(VALU_DEP_2)
	v_and_b32_e32 v32, s96, v12
	v_bfe_u32 v12, v12, s14, 2
	v_cmp_eq_u32_e64 s5, s97, v32
	s_delay_alu instid0(VALU_DEP_2) | instskip(SKIP_3) | instid1(VALU_DEP_4)
	v_cmp_eq_u32_e64 s6, 0, v12
	v_cmp_eq_u32_e64 s7, 1, v12
	;; [unrolled: 1-line block ×4, first 2 shown]
	s_and_b32 s6, s5, s6
	s_delay_alu instid0(SALU_CYCLE_1) | instskip(SKIP_1) | instid1(SALU_CYCLE_1)
	v_cndmask_b32_e64 v12, 0, 1, s6
	s_and_b32 s6, s5, s7
	v_cndmask_b32_e64 v32, 0, 1, s6
	s_and_b32 s6, s5, s8
	s_and_b32 s5, s5, s9
	v_cndmask_b32_e64 v33, 0, 1, s6
	v_cndmask_b32_e64 v34, 0, 1, s5
	v_cmp_ne_u32_e64 s5, 0, v12
	v_cmp_ne_u32_e64 s6, 0, v32
	s_delay_alu instid0(VALU_DEP_4) | instskip(NEXT) | instid1(VALU_DEP_4)
	v_cmp_ne_u32_e64 s7, 0, v33
	v_cmp_ne_u32_e64 s8, 0, v34
	s_delay_alu instid0(VALU_DEP_4) | instskip(NEXT) | instid1(VALU_DEP_3)
	s_bcnt1_i32_b32 s5, s5
	s_bcnt1_i32_b32 s6, s6
	v_add_co_u32 v2, s5, v2, s5
	s_delay_alu instid0(VALU_DEP_1)
	v_add_co_ci_u32_e64 v3, s5, 0, v3, s5
	v_add_co_u32 v4, s5, v4, s6
	s_bcnt1_i32_b32 s7, s7
	v_add_co_ci_u32_e64 v5, s5, 0, v5, s5
	v_add_co_u32 v6, s5, v6, s7
	s_bcnt1_i32_b32 s8, s8
	v_add_co_ci_u32_e64 v7, s5, 0, v7, s5
	v_add_co_u32 v8, s5, v8, s8
	s_delay_alu instid0(VALU_DEP_1) | instskip(SKIP_1) | instid1(SALU_CYCLE_1)
	v_add_co_ci_u32_e64 v9, s5, 0, v9, s5
	s_or_b32 s13, vcc_lo, s13
	s_and_not1_b32 exec_lo, exec_lo, s13
	s_cbranch_execnz .LBB55_91
; %bb.92:                               ;   in Loop: Header=BB55_33 Depth=1
	s_or_b32 exec_lo, exec_lo, s13
.LBB55_93:                              ;   in Loop: Header=BB55_33 Depth=1
	s_delay_alu instid0(SALU_CYCLE_1)
	s_or_b32 exec_lo, exec_lo, s12
.LBB55_94:                              ;   in Loop: Header=BB55_33 Depth=1
	s_lshl_b32 s5, s92, 7
	s_and_saveexec_b32 s6, s2
	s_cbranch_execz .LBB55_96
; %bb.95:                               ;   in Loop: Header=BB55_33 Depth=1
	v_or_b32_e32 v12, s5, v45
	s_delay_alu instid0(VALU_DEP_1)
	v_lshlrev_b32_e32 v12, 3, v12
	ds_store_b128 v12, v[2:5] offset:3072
	ds_store_b128 v12, v[6:9] offset:3088
.LBB55_96:                              ;   in Loop: Header=BB55_33 Depth=1
	s_or_b32 exec_lo, exec_lo, s6
	s_waitcnt vmcnt(0) lgkmcnt(0)
	s_barrier
	buffer_gl0_inv
	s_and_saveexec_b32 s6, s76
	s_cbranch_execz .LBB55_107
; %bb.97:                               ;   in Loop: Header=BB55_33 Depth=1
	v_mov_b32_e32 v2, 0
	v_mov_b32_e32 v3, 0
	s_and_not1_b32 vcc_lo, exec_lo, s84
	s_cbranch_vccnz .LBB55_106
; %bb.98:                               ;   in Loop: Header=BB55_33 Depth=1
	v_mov_b32_e32 v2, 0
	v_mov_b32_e32 v3, 0
	s_and_not1_b32 vcc_lo, exec_lo, s82
	s_cbranch_vccnz .LBB55_103
; %bb.99:                               ;   in Loop: Header=BB55_33 Depth=1
	v_lshl_add_u32 v4, s92, 10, v50
	s_mov_b32 s7, 0
	s_set_inst_prefetch_distance 0x1
	.p2align	6
.LBB55_100:                             ;   Parent Loop BB55_33 Depth=1
                                        ; =>  This Inner Loop Header: Depth=2
	ds_load_2addr_b64 v[5:8], v4 offset1:4
	ds_load_2addr_b64 v[29:32], v4 offset0:8 offset1:12
	ds_load_2addr_b64 v[33:36], v4 offset0:16 offset1:20
	s_add_i32 s7, s7, 8
	s_delay_alu instid0(SALU_CYCLE_1) | instskip(SKIP_3) | instid1(VALU_DEP_2)
	s_cmp_eq_u32 s83, s7
	s_waitcnt lgkmcnt(2)
	v_add_co_u32 v2, vcc_lo, v5, v2
	v_add_co_ci_u32_e32 v3, vcc_lo, v6, v3, vcc_lo
	v_add_co_u32 v2, vcc_lo, v7, v2
	s_delay_alu instid0(VALU_DEP_2)
	v_add_co_ci_u32_e32 v3, vcc_lo, v8, v3, vcc_lo
	ds_load_2addr_b64 v[5:8], v4 offset0:24 offset1:28
	s_waitcnt lgkmcnt(2)
	v_add_co_u32 v2, vcc_lo, v29, v2
	v_add_co_ci_u32_e32 v3, vcc_lo, v30, v3, vcc_lo
	v_add_nc_u32_e32 v4, 0x100, v4
	s_delay_alu instid0(VALU_DEP_3) | instskip(NEXT) | instid1(VALU_DEP_3)
	v_add_co_u32 v2, vcc_lo, v31, v2
	v_add_co_ci_u32_e32 v3, vcc_lo, v32, v3, vcc_lo
	s_waitcnt lgkmcnt(1)
	s_delay_alu instid0(VALU_DEP_2) | instskip(NEXT) | instid1(VALU_DEP_2)
	v_add_co_u32 v2, vcc_lo, v33, v2
	v_add_co_ci_u32_e32 v3, vcc_lo, v34, v3, vcc_lo
	s_delay_alu instid0(VALU_DEP_2) | instskip(NEXT) | instid1(VALU_DEP_2)
	v_add_co_u32 v2, vcc_lo, v35, v2
	v_add_co_ci_u32_e32 v3, vcc_lo, v36, v3, vcc_lo
	s_waitcnt lgkmcnt(0)
	s_delay_alu instid0(VALU_DEP_2) | instskip(NEXT) | instid1(VALU_DEP_2)
	v_add_co_u32 v2, vcc_lo, v5, v2
	v_add_co_ci_u32_e32 v3, vcc_lo, v6, v3, vcc_lo
	s_delay_alu instid0(VALU_DEP_2) | instskip(NEXT) | instid1(VALU_DEP_2)
	v_add_co_u32 v2, vcc_lo, v7, v2
	v_add_co_ci_u32_e32 v3, vcc_lo, v8, v3, vcc_lo
	s_cbranch_scc0 .LBB55_100
; %bb.101:                              ;   in Loop: Header=BB55_33 Depth=1
	s_set_inst_prefetch_distance 0x2
	s_mov_b32 s7, s83
	s_and_not1_b32 vcc_lo, exec_lo, s85
	s_cbranch_vccz .LBB55_104
	s_branch .LBB55_106
.LBB55_102:                             ;   in Loop: Header=BB55_33 Depth=1
                                        ; implicit-def: $vgpr29_vgpr30
	s_branch .LBB55_70
.LBB55_103:                             ;   in Loop: Header=BB55_33 Depth=1
	s_mov_b32 s7, 0
	s_and_not1_b32 vcc_lo, exec_lo, s85
	s_cbranch_vccnz .LBB55_106
.LBB55_104:                             ;   in Loop: Header=BB55_33 Depth=1
	s_lshl_b32 s8, s92, 10
	s_lshl_b32 s7, s7, 5
	s_delay_alu instid0(SALU_CYCLE_1)
	v_add3_u32 v4, s8, s7, v50
	s_mov_b32 s7, s81
.LBB55_105:                             ;   Parent Loop BB55_33 Depth=1
                                        ; =>  This Inner Loop Header: Depth=2
	ds_load_b64 v[5:6], v4
	v_add_nc_u32_e32 v4, 32, v4
	s_add_i32 s7, s7, -1
	s_delay_alu instid0(SALU_CYCLE_1)
	s_cmp_lg_u32 s7, 0
	s_waitcnt lgkmcnt(0)
	v_add_co_u32 v2, vcc_lo, v5, v2
	v_add_co_ci_u32_e32 v3, vcc_lo, v6, v3, vcc_lo
	s_cbranch_scc1 .LBB55_105
.LBB55_106:                             ;   in Loop: Header=BB55_33 Depth=1
	v_add_lshl_u32 v4, s5, v43, 3
	ds_store_b64 v4, v[2:3] offset:3072
.LBB55_107:                             ;   in Loop: Header=BB55_33 Depth=1
	s_or_b32 exec_lo, exec_lo, s6
	s_lshl_b32 s5, s5, 3
	s_waitcnt lgkmcnt(0)
	v_mov_b32_e32 v6, s5
	s_barrier
	buffer_gl0_inv
	s_and_b32 s19, s90, 0xfe
	s_mov_b32 s21, -1
	ds_load_b128 v[2:5], v6 offset:3072
	ds_load_b128 v[6:9], v6 offset:3088
	s_lshl_b32 s18, 3, s19
	s_delay_alu instid0(SALU_CYCLE_1)
	s_not_b32 s20, s18
	s_waitcnt lgkmcnt(1)
	v_readfirstlane_b32 s13, v3
	v_readfirstlane_b32 s12, v2
	;; [unrolled: 1-line block ×4, first 2 shown]
	s_waitcnt lgkmcnt(0)
	v_readfirstlane_b32 s8, v6
	v_readfirstlane_b32 s9, v7
	s_cmp_eq_u64 s[12:13], 1
	v_readfirstlane_b32 s6, v8
	s_cselect_b32 s5, -1, 0
	s_cmp_eq_u64 s[38:39], 1
	s_cselect_b32 s7, -1, 0
	s_delay_alu instid0(SALU_CYCLE_1)
	s_and_b32 s22, s5, s7
	v_readfirstlane_b32 s7, v9
	s_and_b32 vcc_lo, exec_lo, s22
	s_cbranch_vccz .LBB55_122
; %bb.108:                              ;   in Loop: Header=BB55_33 Depth=1
	ds_load_b64 v[2:3], v13 offset:5120
	s_waitcnt lgkmcnt(0)
	s_barrier
	buffer_gl0_inv
	v_readfirstlane_b32 s14, v2
	v_readfirstlane_b32 s15, v3
	s_and_saveexec_b32 s5, s3
	s_cbranch_execz .LBB55_110
; %bb.109:                              ;   in Loop: Header=BB55_33 Depth=1
	ds_store_b32 v44, v13
.LBB55_110:                             ;   in Loop: Header=BB55_33 Depth=1
	s_or_b32 exec_lo, exec_lo, s5
	s_delay_alu instid0(VALU_DEP_1)
	v_cmp_lt_i64_e64 s5, s[14:15], 1
	s_and_b32 s97, s97, s20
	s_or_b32 s96, s96, s18
	s_waitcnt lgkmcnt(0)
	s_barrier
	buffer_gl0_inv
	s_and_b32 vcc_lo, exec_lo, s5
	s_cbranch_vccz .LBB55_123
; %bb.111:                              ;   in Loop: Header=BB55_33 Depth=1
	s_mov_b32 s24, s51
	s_delay_alu instid0(SALU_CYCLE_1)
	s_cmp_lg_u64 s[24:25], 0
	s_cbranch_scc0 .LBB55_168
; %bb.112:                              ;   in Loop: Header=BB55_33 Depth=1
	v_cvt_f32_u32_e32 v2, s33
	s_sub_u32 s17, 0, s33
	s_subb_u32 s23, 0, 0
	s_delay_alu instid0(VALU_DEP_1) | instskip(NEXT) | instid1(VALU_DEP_1)
	v_fmac_f32_e32 v2, 0x4f800000, v51
	v_rcp_f32_e32 v2, v2
	s_waitcnt_depctr 0xfff
	v_mul_f32_e32 v2, 0x5f7ffffc, v2
	s_delay_alu instid0(VALU_DEP_1) | instskip(NEXT) | instid1(VALU_DEP_1)
	v_mul_f32_e32 v3, 0x2f800000, v2
	v_trunc_f32_e32 v3, v3
	s_delay_alu instid0(VALU_DEP_1) | instskip(SKIP_1) | instid1(VALU_DEP_2)
	v_fmac_f32_e32 v2, 0xcf800000, v3
	v_cvt_u32_f32_e32 v3, v3
	v_cvt_u32_f32_e32 v2, v2
	s_delay_alu instid0(VALU_DEP_2) | instskip(NEXT) | instid1(VALU_DEP_2)
	v_readfirstlane_b32 s5, v3
	v_readfirstlane_b32 s16, v2
	s_delay_alu instid0(VALU_DEP_2) | instskip(NEXT) | instid1(VALU_DEP_1)
	s_mul_i32 s24, s17, s5
	s_mul_hi_u32 s64, s17, s16
	s_mul_i32 s50, s23, s16
	s_add_i32 s24, s64, s24
	s_mul_i32 s65, s17, s16
	s_add_i32 s24, s24, s50
	s_mul_hi_u32 s64, s16, s65
	s_mul_hi_u32 s66, s5, s65
	s_mul_i32 s50, s5, s65
	s_mul_hi_u32 s65, s16, s24
	s_mul_i32 s16, s16, s24
	s_mul_hi_u32 s67, s5, s24
	s_add_u32 s16, s64, s16
	s_addc_u32 s64, 0, s65
	s_add_u32 s16, s16, s50
	s_mul_i32 s24, s5, s24
	s_addc_u32 s16, s64, s66
	s_addc_u32 s50, s67, 0
	s_add_u32 s16, s16, s24
	s_addc_u32 s24, 0, s50
	v_add_co_u32 v2, s16, v2, s16
	s_delay_alu instid0(VALU_DEP_1) | instskip(SKIP_1) | instid1(VALU_DEP_1)
	s_cmp_lg_u32 s16, 0
	s_addc_u32 s5, s5, s24
	v_readfirstlane_b32 s16, v2
	s_mul_i32 s24, s17, s5
	s_delay_alu instid0(VALU_DEP_1)
	s_mul_hi_u32 s50, s17, s16
	s_mul_i32 s23, s23, s16
	s_add_i32 s24, s50, s24
	s_mul_i32 s17, s17, s16
	s_add_i32 s24, s24, s23
	s_mul_hi_u32 s50, s5, s17
	s_mul_i32 s64, s5, s17
	s_mul_hi_u32 s17, s16, s17
	s_mul_hi_u32 s65, s16, s24
	s_mul_i32 s16, s16, s24
	s_mul_hi_u32 s23, s5, s24
	s_add_u32 s16, s17, s16
	s_addc_u32 s17, 0, s65
	s_add_u32 s16, s16, s64
	s_mul_i32 s24, s5, s24
	s_addc_u32 s16, s17, s50
	s_addc_u32 s17, s23, 0
	s_add_u32 s16, s16, s24
	s_addc_u32 s17, 0, s17
	v_add_co_u32 v2, s16, v2, s16
	s_delay_alu instid0(VALU_DEP_1) | instskip(SKIP_2) | instid1(VALU_DEP_1)
	s_cmp_lg_u32 s16, 0
	s_addc_u32 s5, s5, s17
	s_ashr_i32 s16, s25, 31
	v_readfirstlane_b32 s23, v2
	s_add_u32 s64, s80, s16
	s_mov_b32 s17, s16
	s_addc_u32 s65, s25, s16
	s_delay_alu instid0(SALU_CYCLE_1) | instskip(NEXT) | instid1(SALU_CYCLE_1)
	s_xor_b64 s[64:65], s[64:65], s[16:17]
	s_mul_i32 s24, s64, s5
	s_mul_hi_u32 s50, s64, s23
	s_mul_hi_u32 s17, s64, s5
	;; [unrolled: 1-line block ×3, first 2 shown]
	s_mul_i32 s23, s65, s23
	s_add_u32 s24, s50, s24
	s_addc_u32 s17, 0, s17
	s_mul_hi_u32 s66, s65, s5
	s_add_u32 s23, s24, s23
	s_mul_i32 s5, s65, s5
	s_addc_u32 s17, s17, s67
	s_addc_u32 s23, s66, 0
	s_add_u32 s5, s17, s5
	s_addc_u32 s17, 0, s23
	s_mul_hi_u32 s23, s33, s5
	s_mul_i32 s5, s33, s5
	s_mul_i32 s17, s33, s17
	v_sub_co_u32 v2, s5, s64, s5
	s_add_i32 s23, s23, s17
	s_cmp_lg_u32 s5, 0
	s_delay_alu instid0(VALU_DEP_1) | instskip(SKIP_2) | instid1(VALU_DEP_1)
	v_sub_co_u32 v3, s5, v2, s33
	s_subb_u32 s17, s65, s23
	s_cmp_lg_u32 s5, 0
	v_cmp_le_u32_e32 vcc_lo, s33, v3
	v_sub_co_u32 v4, s5, v3, s33
	s_subb_u32 s23, s17, 0
	s_cmp_lg_u32 s5, 0
	v_cndmask_b32_e64 v5, 0, -1, vcc_lo
	s_subb_u32 s5, s23, 0
	s_cmp_eq_u32 s23, 0
	v_mov_b32_e32 v7, s5
	s_cselect_b32 vcc_lo, -1, 0
	s_cmp_eq_u32 s17, 0
	v_cndmask_b32_e32 v5, -1, v5, vcc_lo
	v_cmp_le_u32_e32 vcc_lo, s33, v2
	s_cselect_b32 s5, -1, 0
	v_cndmask_b32_e64 v6, 0, -1, vcc_lo
	s_delay_alu instid0(VALU_DEP_3) | instskip(NEXT) | instid1(VALU_DEP_2)
	v_cmp_ne_u32_e32 vcc_lo, 0, v5
	v_cndmask_b32_e64 v5, -1, v6, s5
	v_cndmask_b32_e32 v3, v3, v4, vcc_lo
	v_cndmask_b32_e32 v6, s23, v7, vcc_lo
	s_delay_alu instid0(VALU_DEP_3) | instskip(NEXT) | instid1(VALU_DEP_3)
	v_cmp_ne_u32_e32 vcc_lo, 0, v5
	v_cndmask_b32_e32 v2, v2, v3, vcc_lo
	s_delay_alu instid0(VALU_DEP_3) | instskip(NEXT) | instid1(VALU_DEP_2)
	v_cndmask_b32_e32 v4, s17, v6, vcc_lo
	v_xor_b32_e32 v2, s16, v2
	s_delay_alu instid0(VALU_DEP_2) | instskip(NEXT) | instid1(VALU_DEP_2)
	v_xor_b32_e32 v3, s16, v4
	v_sub_co_u32 v2, vcc_lo, v2, s16
	s_delay_alu instid0(VALU_DEP_2)
	v_subrev_co_ci_u32_e32 v3, vcc_lo, s16, v3, vcc_lo
	s_cbranch_execnz .LBB55_114
.LBB55_113:                             ;   in Loop: Header=BB55_33 Depth=1
	v_cvt_f32_u32_e32 v2, s33
	s_sub_i32 s5, 0, s33
	s_delay_alu instid0(VALU_DEP_1) | instskip(SKIP_2) | instid1(VALU_DEP_1)
	v_rcp_iflag_f32_e32 v2, v2
	s_waitcnt_depctr 0xfff
	v_mul_f32_e32 v2, 0x4f7ffffe, v2
	v_cvt_u32_f32_e32 v2, v2
	s_delay_alu instid0(VALU_DEP_1) | instskip(NEXT) | instid1(VALU_DEP_1)
	v_mul_lo_u32 v3, s5, v2
	v_mul_hi_u32 v3, v2, v3
	s_delay_alu instid0(VALU_DEP_1) | instskip(NEXT) | instid1(VALU_DEP_1)
	v_add_nc_u32_e32 v2, v2, v3
	v_mul_hi_u32 v2, s80, v2
	s_delay_alu instid0(VALU_DEP_1) | instskip(NEXT) | instid1(VALU_DEP_1)
	v_mul_lo_u32 v2, v2, s33
	v_sub_nc_u32_e32 v2, s80, v2
	s_delay_alu instid0(VALU_DEP_1) | instskip(SKIP_1) | instid1(VALU_DEP_2)
	v_subrev_nc_u32_e32 v3, s33, v2
	v_cmp_le_u32_e32 vcc_lo, s33, v2
	v_cndmask_b32_e32 v2, v2, v3, vcc_lo
	s_delay_alu instid0(VALU_DEP_1) | instskip(SKIP_1) | instid1(VALU_DEP_2)
	v_subrev_nc_u32_e32 v3, s33, v2
	v_cmp_le_u32_e32 vcc_lo, s33, v2
	v_cndmask_b32_e32 v12, v2, v3, vcc_lo
	s_delay_alu instid0(VALU_DEP_1)
	v_dual_mov_b32 v2, v12 :: v_dual_mov_b32 v3, v13
.LBB55_114:                             ;   in Loop: Header=BB55_33 Depth=1
	s_delay_alu instid0(VALU_DEP_1) | instskip(NEXT) | instid1(VALU_DEP_2)
	v_sub_co_u32 v2, vcc_lo, s80, v2
	v_sub_co_ci_u32_e32 v3, vcc_lo, s25, v3, vcc_lo
	s_mov_b32 s5, 0
	s_mov_b32 s16, exec_lo
                                        ; implicit-def: $vgpr28
	s_delay_alu instid0(VALU_DEP_1)
	v_cmpx_gt_i64_e64 v[2:3], v[0:1]
	s_cbranch_execz .LBB55_125
; %bb.115:                              ;   in Loop: Header=BB55_33 Depth=1
	v_dual_mov_b32 v4, v10 :: v_dual_mov_b32 v5, v11
	v_dual_mov_b32 v7, v1 :: v_dual_mov_b32 v6, v0
	s_mov_b32 s17, 0
                                        ; implicit-def: $sgpr23
	s_set_inst_prefetch_distance 0x1
	s_branch .LBB55_117
	.p2align	6
.LBB55_116:                             ;   in Loop: Header=BB55_117 Depth=2
	s_or_b32 exec_lo, exec_lo, s5
	s_waitcnt vmcnt(0) lgkmcnt(0)
	s_barrier
	buffer_gl0_inv
	ds_load_b64 v[27:28], v13 offset:3072
	v_add_co_u32 v6, vcc_lo, v6, s33
	v_add_co_ci_u32_e32 v7, vcc_lo, 0, v7, vcc_lo
	s_waitcnt lgkmcnt(0)
	s_barrier
	buffer_gl0_inv
	v_cmp_ge_i64_e32 vcc_lo, v[6:7], v[2:3]
	v_cmp_neq_f32_e64 s5, 0, v27
	s_delay_alu instid0(VALU_DEP_1)
	s_or_b32 s24, s5, vcc_lo
	v_add_co_u32 v4, vcc_lo, v4, s52
	s_and_b32 s24, exec_lo, s24
	v_add_co_ci_u32_e32 v5, vcc_lo, s53, v5, vcc_lo
	s_or_b32 s17, s24, s17
	s_and_not1_b32 s23, s23, exec_lo
	s_and_b32 s5, s5, exec_lo
	s_delay_alu instid0(SALU_CYCLE_1)
	s_or_b32 s23, s23, s5
	s_and_not1_b32 exec_lo, exec_lo, s17
	s_cbranch_execz .LBB55_124
.LBB55_117:                             ;   Parent Loop BB55_33 Depth=1
                                        ; =>  This Inner Loop Header: Depth=2
	s_delay_alu instid0(VALU_DEP_1)
	v_cmp_gt_i64_e32 vcc_lo, s[36:37], v[6:7]
	v_mov_b32_e32 v27, 0
	s_and_saveexec_b32 s5, vcc_lo
	s_cbranch_execz .LBB55_119
; %bb.118:                              ;   in Loop: Header=BB55_117 Depth=2
	global_load_b32 v27, v[4:5], off
.LBB55_119:                             ;   in Loop: Header=BB55_117 Depth=2
	s_or_b32 exec_lo, exec_lo, s5
	s_and_saveexec_b32 s5, vcc_lo
	s_cbranch_execz .LBB55_116
; %bb.120:                              ;   in Loop: Header=BB55_117 Depth=2
	s_waitcnt vmcnt(0)
	v_cmp_lt_i32_e32 vcc_lo, -1, v27
	v_cndmask_b32_e64 v8, -1, 0x80000000, vcc_lo
	v_cmp_o_f32_e32 vcc_lo, v27, v27
	s_delay_alu instid0(VALU_DEP_2) | instskip(NEXT) | instid1(VALU_DEP_1)
	v_xor_b32_e32 v8, v8, v27
	v_cndmask_b32_e32 v8, -1, v8, vcc_lo
	s_delay_alu instid0(VALU_DEP_1) | instskip(NEXT) | instid1(VALU_DEP_1)
	v_and_b32_e32 v8, s96, v8
	v_cmp_eq_u32_e32 vcc_lo, s97, v8
	s_and_b32 exec_lo, exec_lo, vcc_lo
	s_cbranch_execz .LBB55_116
; %bb.121:                              ;   in Loop: Header=BB55_117 Depth=2
	ds_store_b64 v13, v[26:27] offset:3072
	s_branch .LBB55_116
.LBB55_122:                             ;   in Loop: Header=BB55_33 Depth=1
	s_mov_b32 s5, -1
                                        ; implicit-def: $sgpr16
                                        ; implicit-def: $sgpr23
                                        ; implicit-def: $sgpr17
	s_branch .LBB55_139
.LBB55_123:                             ;   in Loop: Header=BB55_33 Depth=1
	s_mov_b32 s16, -1
	s_mov_b32 s5, 0
                                        ; implicit-def: $sgpr17
                                        ; implicit-def: $vgpr28
	s_mov_b32 s23, s16
	s_cbranch_execnz .LBB55_126
	s_branch .LBB55_139
.LBB55_124:                             ;   in Loop: Header=BB55_33 Depth=1
	s_set_inst_prefetch_distance 0x2
	s_or_b32 exec_lo, exec_lo, s17
	s_delay_alu instid0(SALU_CYCLE_1)
	s_and_b32 s5, s23, exec_lo
.LBB55_125:                             ;   in Loop: Header=BB55_33 Depth=1
	s_or_b32 exec_lo, exec_lo, s16
	s_mov_b32 s17, -1
	s_mov_b32 s16, 0
	s_delay_alu instid0(SALU_CYCLE_1)
	s_mov_b32 s23, s16
	s_branch .LBB55_139
.LBB55_126:                             ;   in Loop: Header=BB55_33 Depth=1
	s_add_u32 s23, s78, s14
	s_addc_u32 s17, s79, s15
	s_mov_b32 s16, s51
	s_delay_alu instid0(SALU_CYCLE_1)
	s_cmp_lg_u64 s[16:17], 0
	s_cbranch_scc0 .LBB55_169
; %bb.127:                              ;   in Loop: Header=BB55_33 Depth=1
	v_cvt_f32_u32_e32 v2, s33
	s_sub_u32 s24, 0, s33
	s_subb_u32 s50, 0, 0
	s_delay_alu instid0(VALU_DEP_1) | instskip(NEXT) | instid1(VALU_DEP_1)
	v_fmac_f32_e32 v2, 0x4f800000, v51
	v_rcp_f32_e32 v2, v2
	s_waitcnt_depctr 0xfff
	v_mul_f32_e32 v2, 0x5f7ffffc, v2
	s_delay_alu instid0(VALU_DEP_1) | instskip(NEXT) | instid1(VALU_DEP_1)
	v_mul_f32_e32 v3, 0x2f800000, v2
	v_trunc_f32_e32 v3, v3
	s_delay_alu instid0(VALU_DEP_1) | instskip(SKIP_1) | instid1(VALU_DEP_2)
	v_fmac_f32_e32 v2, 0xcf800000, v3
	v_cvt_u32_f32_e32 v3, v3
	v_cvt_u32_f32_e32 v2, v2
	s_delay_alu instid0(VALU_DEP_2) | instskip(NEXT) | instid1(VALU_DEP_2)
	v_readfirstlane_b32 s5, v3
	v_readfirstlane_b32 s16, v2
	s_delay_alu instid0(VALU_DEP_2) | instskip(NEXT) | instid1(VALU_DEP_1)
	s_mul_i32 s64, s24, s5
	s_mul_hi_u32 s66, s24, s16
	s_mul_i32 s65, s50, s16
	s_add_i32 s64, s66, s64
	s_mul_i32 s67, s24, s16
	s_add_i32 s64, s64, s65
	s_mul_hi_u32 s66, s16, s67
	s_mul_hi_u32 s68, s5, s67
	s_mul_i32 s65, s5, s67
	s_mul_hi_u32 s67, s16, s64
	s_mul_i32 s16, s16, s64
	s_mul_hi_u32 s69, s5, s64
	s_add_u32 s16, s66, s16
	s_addc_u32 s66, 0, s67
	s_add_u32 s16, s16, s65
	s_mul_i32 s64, s5, s64
	s_addc_u32 s16, s66, s68
	s_addc_u32 s65, s69, 0
	s_add_u32 s16, s16, s64
	s_addc_u32 s64, 0, s65
	v_add_co_u32 v2, s16, v2, s16
	s_delay_alu instid0(VALU_DEP_1) | instskip(SKIP_1) | instid1(VALU_DEP_1)
	s_cmp_lg_u32 s16, 0
	s_addc_u32 s5, s5, s64
	v_readfirstlane_b32 s16, v2
	s_mul_i32 s64, s24, s5
	s_delay_alu instid0(VALU_DEP_1)
	s_mul_hi_u32 s65, s24, s16
	s_mul_i32 s50, s50, s16
	s_add_i32 s64, s65, s64
	s_mul_i32 s24, s24, s16
	s_add_i32 s64, s64, s50
	s_mul_hi_u32 s65, s5, s24
	s_mul_i32 s66, s5, s24
	s_mul_hi_u32 s24, s16, s24
	s_mul_hi_u32 s67, s16, s64
	s_mul_i32 s16, s16, s64
	s_mul_hi_u32 s50, s5, s64
	s_add_u32 s16, s24, s16
	s_addc_u32 s24, 0, s67
	s_add_u32 s16, s16, s66
	s_mul_i32 s64, s5, s64
	s_addc_u32 s16, s24, s65
	s_addc_u32 s24, s50, 0
	s_add_u32 s16, s16, s64
	s_addc_u32 s24, 0, s24
	v_add_co_u32 v2, s16, v2, s16
	s_delay_alu instid0(VALU_DEP_1) | instskip(SKIP_2) | instid1(VALU_DEP_1)
	s_cmp_lg_u32 s16, 0
	s_addc_u32 s5, s5, s24
	s_ashr_i32 s64, s17, 31
	v_readfirstlane_b32 s16, v2
	s_add_u32 s66, s23, s64
	s_mov_b32 s65, s64
	s_addc_u32 s67, s17, s64
	s_delay_alu instid0(SALU_CYCLE_1) | instskip(NEXT) | instid1(SALU_CYCLE_1)
	s_xor_b64 s[66:67], s[66:67], s[64:65]
	s_mul_i32 s50, s66, s5
	s_mul_hi_u32 s65, s66, s16
	s_mul_hi_u32 s24, s66, s5
	;; [unrolled: 1-line block ×3, first 2 shown]
	s_mul_i32 s16, s67, s16
	s_add_u32 s50, s65, s50
	s_addc_u32 s24, 0, s24
	s_mul_hi_u32 s68, s67, s5
	s_add_u32 s16, s50, s16
	s_mul_i32 s5, s67, s5
	s_addc_u32 s16, s24, s69
	s_addc_u32 s24, s68, 0
	s_add_u32 s5, s16, s5
	s_addc_u32 s16, 0, s24
	s_mul_hi_u32 s24, s33, s5
	s_mul_i32 s5, s33, s5
	s_mul_i32 s16, s33, s16
	v_sub_co_u32 v2, s5, s66, s5
	s_add_i32 s24, s24, s16
	s_cmp_lg_u32 s5, 0
	s_delay_alu instid0(VALU_DEP_1) | instskip(SKIP_2) | instid1(VALU_DEP_1)
	v_sub_co_u32 v3, s5, v2, s33
	s_subb_u32 s16, s67, s24
	s_cmp_lg_u32 s5, 0
	v_cmp_le_u32_e32 vcc_lo, s33, v3
	v_sub_co_u32 v4, s5, v3, s33
	s_subb_u32 s24, s16, 0
	s_cmp_lg_u32 s5, 0
	v_cndmask_b32_e64 v5, 0, -1, vcc_lo
	s_subb_u32 s5, s24, 0
	s_cmp_eq_u32 s24, 0
	v_mov_b32_e32 v7, s5
	s_cselect_b32 vcc_lo, -1, 0
	s_cmp_eq_u32 s16, 0
	v_cndmask_b32_e32 v5, -1, v5, vcc_lo
	v_cmp_le_u32_e32 vcc_lo, s33, v2
	s_cselect_b32 s5, -1, 0
	v_cndmask_b32_e64 v6, 0, -1, vcc_lo
	s_delay_alu instid0(VALU_DEP_3) | instskip(NEXT) | instid1(VALU_DEP_2)
	v_cmp_ne_u32_e32 vcc_lo, 0, v5
	v_cndmask_b32_e64 v5, -1, v6, s5
	v_cndmask_b32_e32 v3, v3, v4, vcc_lo
	v_cndmask_b32_e32 v6, s24, v7, vcc_lo
	s_delay_alu instid0(VALU_DEP_3) | instskip(NEXT) | instid1(VALU_DEP_3)
	v_cmp_ne_u32_e32 vcc_lo, 0, v5
	v_cndmask_b32_e32 v2, v2, v3, vcc_lo
	s_delay_alu instid0(VALU_DEP_3) | instskip(NEXT) | instid1(VALU_DEP_2)
	v_cndmask_b32_e32 v4, s16, v6, vcc_lo
	v_xor_b32_e32 v2, s64, v2
	s_delay_alu instid0(VALU_DEP_2) | instskip(NEXT) | instid1(VALU_DEP_2)
	v_xor_b32_e32 v3, s64, v4
	v_sub_co_u32 v2, vcc_lo, v2, s64
	s_delay_alu instid0(VALU_DEP_2)
	v_subrev_co_ci_u32_e32 v3, vcc_lo, s64, v3, vcc_lo
	s_cbranch_execnz .LBB55_129
.LBB55_128:                             ;   in Loop: Header=BB55_33 Depth=1
	v_cvt_f32_u32_e32 v2, s33
	s_sub_i32 s5, 0, s33
	s_delay_alu instid0(VALU_DEP_1) | instskip(SKIP_2) | instid1(VALU_DEP_1)
	v_rcp_iflag_f32_e32 v2, v2
	s_waitcnt_depctr 0xfff
	v_mul_f32_e32 v2, 0x4f7ffffe, v2
	v_cvt_u32_f32_e32 v2, v2
	s_delay_alu instid0(VALU_DEP_1) | instskip(NEXT) | instid1(VALU_DEP_1)
	v_mul_lo_u32 v3, s5, v2
	v_mul_hi_u32 v3, v2, v3
	s_delay_alu instid0(VALU_DEP_1) | instskip(NEXT) | instid1(VALU_DEP_1)
	v_add_nc_u32_e32 v2, v2, v3
	v_mul_hi_u32 v2, s23, v2
	s_delay_alu instid0(VALU_DEP_1) | instskip(NEXT) | instid1(VALU_DEP_1)
	v_mul_lo_u32 v2, v2, s33
	v_sub_nc_u32_e32 v2, s23, v2
	s_delay_alu instid0(VALU_DEP_1) | instskip(SKIP_1) | instid1(VALU_DEP_2)
	v_subrev_nc_u32_e32 v3, s33, v2
	v_cmp_le_u32_e32 vcc_lo, s33, v2
	v_cndmask_b32_e32 v2, v2, v3, vcc_lo
	s_delay_alu instid0(VALU_DEP_1) | instskip(SKIP_1) | instid1(VALU_DEP_2)
	v_subrev_nc_u32_e32 v3, s33, v2
	v_cmp_le_u32_e32 vcc_lo, s33, v2
	v_cndmask_b32_e32 v12, v2, v3, vcc_lo
	s_delay_alu instid0(VALU_DEP_1)
	v_dual_mov_b32 v2, v12 :: v_dual_mov_b32 v3, v13
.LBB55_129:                             ;   in Loop: Header=BB55_33 Depth=1
	s_delay_alu instid0(VALU_DEP_1) | instskip(NEXT) | instid1(VALU_DEP_2)
	v_sub_co_u32 v2, vcc_lo, s23, v2
	v_sub_co_ci_u32_e32 v3, vcc_lo, s17, v3, vcc_lo
	s_mov_b32 s5, 0
	s_mov_b32 s16, exec_lo
                                        ; implicit-def: $vgpr28
	s_delay_alu instid0(VALU_DEP_1)
	v_cmpx_gt_i64_e64 v[2:3], v[0:1]
	s_cbranch_execz .LBB55_138
; %bb.130:                              ;   in Loop: Header=BB55_33 Depth=1
	v_dual_mov_b32 v6, v14 :: v_dual_mov_b32 v5, v1
	v_mov_b32_e32 v4, v0
	s_mov_b32 s17, 0
                                        ; implicit-def: $sgpr23
	s_set_inst_prefetch_distance 0x1
	s_branch .LBB55_132
	.p2align	6
.LBB55_131:                             ;   in Loop: Header=BB55_132 Depth=2
	s_or_b32 exec_lo, exec_lo, s5
	s_waitcnt lgkmcnt(0)
	s_barrier
	buffer_gl0_inv
	ds_load_b64 v[27:28], v13 offset:3072
	v_add_co_u32 v4, vcc_lo, v4, s33
	v_add_co_ci_u32_e32 v5, vcc_lo, 0, v5, vcc_lo
	v_add_nc_u32_e32 v6, s86, v6
	s_waitcnt lgkmcnt(0)
	s_barrier
	s_delay_alu instid0(VALU_DEP_2) | instskip(SKIP_2) | instid1(VALU_DEP_1)
	v_cmp_ge_i64_e32 vcc_lo, v[4:5], v[2:3]
	buffer_gl0_inv
	v_cmp_neq_f32_e64 s5, 0, v27
	s_or_b32 s24, s5, vcc_lo
	s_delay_alu instid0(SALU_CYCLE_1) | instskip(NEXT) | instid1(SALU_CYCLE_1)
	s_and_b32 s24, exec_lo, s24
	s_or_b32 s17, s24, s17
	s_and_not1_b32 s23, s23, exec_lo
	s_and_b32 s5, s5, exec_lo
	s_delay_alu instid0(SALU_CYCLE_1)
	s_or_b32 s23, s23, s5
	s_and_not1_b32 exec_lo, exec_lo, s17
	s_cbranch_execz .LBB55_137
.LBB55_132:                             ;   Parent Loop BB55_33 Depth=1
                                        ; =>  This Inner Loop Header: Depth=2
	s_delay_alu instid0(VALU_DEP_1)
	v_cmp_gt_i64_e32 vcc_lo, s[14:15], v[4:5]
	v_mov_b32_e32 v27, 0
	s_and_saveexec_b32 s5, vcc_lo
	s_cbranch_execz .LBB55_134
; %bb.133:                              ;   in Loop: Header=BB55_132 Depth=2
	ds_load_b32 v27, v6
.LBB55_134:                             ;   in Loop: Header=BB55_132 Depth=2
	s_or_b32 exec_lo, exec_lo, s5
	s_and_saveexec_b32 s5, vcc_lo
	s_cbranch_execz .LBB55_131
; %bb.135:                              ;   in Loop: Header=BB55_132 Depth=2
	s_waitcnt lgkmcnt(0)
	v_cmp_lt_i32_e32 vcc_lo, -1, v27
	v_cndmask_b32_e64 v7, -1, 0x80000000, vcc_lo
	v_cmp_o_f32_e32 vcc_lo, v27, v27
	s_delay_alu instid0(VALU_DEP_2) | instskip(NEXT) | instid1(VALU_DEP_1)
	v_xor_b32_e32 v7, v7, v27
	v_cndmask_b32_e32 v7, -1, v7, vcc_lo
	s_delay_alu instid0(VALU_DEP_1) | instskip(NEXT) | instid1(VALU_DEP_1)
	v_and_b32_e32 v7, s96, v7
	v_cmp_eq_u32_e32 vcc_lo, s97, v7
	s_and_b32 exec_lo, exec_lo, vcc_lo
	s_cbranch_execz .LBB55_131
; %bb.136:                              ;   in Loop: Header=BB55_132 Depth=2
	ds_store_b64 v13, v[26:27] offset:3072
	s_branch .LBB55_131
.LBB55_137:                             ;   in Loop: Header=BB55_33 Depth=1
	s_set_inst_prefetch_distance 0x2
	s_or_b32 exec_lo, exec_lo, s17
	s_delay_alu instid0(SALU_CYCLE_1)
	s_and_b32 s5, s23, exec_lo
.LBB55_138:                             ;   in Loop: Header=BB55_33 Depth=1
	s_or_b32 exec_lo, exec_lo, s16
	s_mov_b32 s23, -1
	s_mov_b32 s16, 0
	s_mov_b32 s17, 0
.LBB55_139:                             ;   in Loop: Header=BB55_33 Depth=1
	s_and_not1_b32 s14, s93, exec_lo
	s_and_b32 s15, s16, exec_lo
	s_and_not1_b32 s16, s94, exec_lo
	s_or_b32 s93, s14, s15
	s_and_not1_b32 s14, s95, exec_lo
	s_and_b32 s15, s23, exec_lo
	s_and_b32 s17, s17, exec_lo
	s_or_b32 s95, s14, s15
	s_or_b32 s94, s16, s17
	s_and_saveexec_b32 s16, s5
	s_cbranch_execz .LBB55_32
; %bb.140:                              ;   in Loop: Header=BB55_33 Depth=1
	s_xor_b32 s5, s22, -1
	s_delay_alu instid0(SALU_CYCLE_1)
	s_and_not1_b32 vcc_lo, exec_lo, s5
	s_mov_b32 s5, 1
	s_cbranch_vccnz .LBB55_151
; %bb.141:                              ;   in Loop: Header=BB55_33 Depth=1
	v_cmp_gt_i64_e64 s5, s[38:39], s[12:13]
	s_mov_b32 s14, -1
                                        ; implicit-def: $sgpr15
                                        ; implicit-def: $sgpr17
	s_delay_alu instid0(VALU_DEP_1)
	s_and_b32 vcc_lo, exec_lo, s5
                                        ; implicit-def: $sgpr5
	s_cbranch_vccnz .LBB55_147
; %bb.142:                              ;   in Loop: Header=BB55_33 Depth=1
	ds_load_b64 v[2:3], v13 offset:5120
	s_waitcnt lgkmcnt(0)
	v_cmp_ne_u64_e32 vcc_lo, 0, v[2:3]
	s_cbranch_vccnz .LBB55_146
; %bb.143:                              ;   in Loop: Header=BB55_33 Depth=1
	s_and_saveexec_b32 s5, s0
	s_cbranch_execz .LBB55_145
; %bb.144:                              ;   in Loop: Header=BB55_33 Depth=1
	v_dual_mov_b32 v2, s12 :: v_dual_mov_b32 v3, s13
	ds_store_b64 v13, v[2:3] offset:5128
.LBB55_145:                             ;   in Loop: Header=BB55_33 Depth=1
	s_or_b32 exec_lo, exec_lo, s5
	s_waitcnt lgkmcnt(0)
	s_barrier
	buffer_gl0_inv
.LBB55_146:                             ;   in Loop: Header=BB55_33 Depth=1
	s_and_b32 s15, s97, s20
	s_or_b32 s17, s96, s18
	s_mov_b32 s14, 0
	s_mov_b32 s5, 8
.LBB55_147:                             ;   in Loop: Header=BB55_33 Depth=1
	s_and_not1_b32 vcc_lo, exec_lo, s14
	s_cbranch_vccnz .LBB55_149
; %bb.148:                              ;   in Loop: Header=BB55_33 Depth=1
	s_sub_u32 s38, s38, s12
	s_subb_u32 s39, s39, s13
	s_mov_b32 s14, -1
	s_mov_b32 s5, 0
	s_mov_b32 s15, s97
	;; [unrolled: 1-line block ×3, first 2 shown]
.LBB55_149:                             ;   in Loop: Header=BB55_33 Depth=1
	s_delay_alu instid0(SALU_CYCLE_1)
	s_mov_b32 s96, s17
	s_mov_b32 s97, s15
	s_and_b32 vcc_lo, exec_lo, s14
	s_mov_b32 s17, -1
	s_cbranch_vccnz .LBB55_152
.LBB55_150:                             ;   in Loop: Header=BB55_33 Depth=1
	s_mov_b32 s12, -1
                                        ; implicit-def: $sgpr14
                                        ; implicit-def: $sgpr21
                                        ; implicit-def: $sgpr15
	s_delay_alu instid0(SALU_CYCLE_1) | instskip(NEXT) | instid1(SALU_CYCLE_1)
	s_and_saveexec_b32 s6, s12
	s_xor_b32 s6, exec_lo, s6
	s_cbranch_execz .LBB55_31
	s_branch .LBB55_298
.LBB55_151:                             ;   in Loop: Header=BB55_33 Depth=1
	s_mov_b64 s[38:39], 1
	s_mov_b32 s17, -1
	s_branch .LBB55_150
.LBB55_152:                             ;   in Loop: Header=BB55_33 Depth=1
	s_cmp_eq_u64 s[10:11], 1
	s_mov_b32 s24, -1
	s_cselect_b32 s5, -1, 0
	s_cmp_eq_u64 s[38:39], 1
	s_cselect_b32 s12, -1, 0
	s_delay_alu instid0(SALU_CYCLE_1) | instskip(NEXT) | instid1(SALU_CYCLE_1)
	s_and_b32 s23, s5, s12
	s_and_b32 vcc_lo, exec_lo, s23
	s_cbranch_vccz .LBB55_167
; %bb.153:                              ;   in Loop: Header=BB55_33 Depth=1
	ds_load_b64 v[2:3], v13 offset:5120
	s_waitcnt lgkmcnt(0)
	s_barrier
	buffer_gl0_inv
	v_readfirstlane_b32 s12, v2
	v_readfirstlane_b32 s13, v3
	s_and_saveexec_b32 s5, s3
	s_cbranch_execz .LBB55_155
; %bb.154:                              ;   in Loop: Header=BB55_33 Depth=1
	ds_store_b32 v44, v13
.LBB55_155:                             ;   in Loop: Header=BB55_33 Depth=1
	s_or_b32 exec_lo, exec_lo, s5
	s_delay_alu instid0(VALU_DEP_1)
	v_cmp_gt_i64_e64 s15, s[12:13], 0
	s_lshl_b32 s5, 1, s19
	s_and_b32 s14, s97, s20
	s_or_b32 s96, s96, s18
	s_or_b32 s97, s14, s5
	s_waitcnt lgkmcnt(0)
	s_and_b32 vcc_lo, exec_lo, s15
	s_barrier
	buffer_gl0_inv
	s_cbranch_vccnz .LBB55_170
; %bb.156:                              ;   in Loop: Header=BB55_33 Depth=1
	s_mov_b32 s24, s51
	s_delay_alu instid0(SALU_CYCLE_1)
	s_cmp_lg_u64 s[24:25], 0
	s_cbranch_scc0 .LBB55_215
; %bb.157:                              ;   in Loop: Header=BB55_33 Depth=1
	v_cvt_f32_u32_e32 v2, s33
	s_sub_u32 s15, 0, s33
	s_subb_u32 s21, 0, 0
	s_delay_alu instid0(VALU_DEP_1) | instskip(NEXT) | instid1(VALU_DEP_1)
	v_fmac_f32_e32 v2, 0x4f800000, v51
	v_rcp_f32_e32 v2, v2
	s_waitcnt_depctr 0xfff
	v_mul_f32_e32 v2, 0x5f7ffffc, v2
	s_delay_alu instid0(VALU_DEP_1) | instskip(NEXT) | instid1(VALU_DEP_1)
	v_mul_f32_e32 v3, 0x2f800000, v2
	v_trunc_f32_e32 v3, v3
	s_delay_alu instid0(VALU_DEP_1) | instskip(SKIP_1) | instid1(VALU_DEP_2)
	v_fmac_f32_e32 v2, 0xcf800000, v3
	v_cvt_u32_f32_e32 v3, v3
	v_cvt_u32_f32_e32 v2, v2
	s_delay_alu instid0(VALU_DEP_2) | instskip(NEXT) | instid1(VALU_DEP_2)
	v_readfirstlane_b32 s5, v3
	v_readfirstlane_b32 s14, v2
	s_delay_alu instid0(VALU_DEP_2) | instskip(NEXT) | instid1(VALU_DEP_1)
	s_mul_i32 s22, s15, s5
	s_mul_hi_u32 s50, s15, s14
	s_mul_i32 s24, s21, s14
	s_add_i32 s22, s50, s22
	s_mul_i32 s64, s15, s14
	s_add_i32 s22, s22, s24
	s_mul_hi_u32 s50, s14, s64
	s_mul_hi_u32 s65, s5, s64
	s_mul_i32 s24, s5, s64
	s_mul_hi_u32 s64, s14, s22
	s_mul_i32 s14, s14, s22
	s_mul_hi_u32 s66, s5, s22
	s_add_u32 s14, s50, s14
	s_addc_u32 s50, 0, s64
	s_add_u32 s14, s14, s24
	s_mul_i32 s22, s5, s22
	s_addc_u32 s14, s50, s65
	s_addc_u32 s24, s66, 0
	s_add_u32 s14, s14, s22
	s_addc_u32 s22, 0, s24
	v_add_co_u32 v2, s14, v2, s14
	s_delay_alu instid0(VALU_DEP_1) | instskip(SKIP_1) | instid1(VALU_DEP_1)
	s_cmp_lg_u32 s14, 0
	s_addc_u32 s5, s5, s22
	v_readfirstlane_b32 s14, v2
	s_mul_i32 s22, s15, s5
	s_delay_alu instid0(VALU_DEP_1)
	s_mul_hi_u32 s24, s15, s14
	s_mul_i32 s21, s21, s14
	s_add_i32 s22, s24, s22
	s_mul_i32 s15, s15, s14
	s_add_i32 s22, s22, s21
	s_mul_hi_u32 s24, s5, s15
	s_mul_i32 s50, s5, s15
	s_mul_hi_u32 s15, s14, s15
	s_mul_hi_u32 s64, s14, s22
	s_mul_i32 s14, s14, s22
	s_mul_hi_u32 s21, s5, s22
	s_add_u32 s14, s15, s14
	s_addc_u32 s15, 0, s64
	s_add_u32 s14, s14, s50
	s_mul_i32 s22, s5, s22
	s_addc_u32 s14, s15, s24
	s_addc_u32 s15, s21, 0
	s_add_u32 s14, s14, s22
	s_addc_u32 s15, 0, s15
	v_add_co_u32 v2, s14, v2, s14
	s_delay_alu instid0(VALU_DEP_1) | instskip(SKIP_2) | instid1(VALU_DEP_1)
	s_cmp_lg_u32 s14, 0
	s_addc_u32 s5, s5, s15
	s_ashr_i32 s14, s25, 31
	v_readfirstlane_b32 s21, v2
	s_add_u32 s64, s80, s14
	s_mov_b32 s15, s14
	s_addc_u32 s65, s25, s14
	s_delay_alu instid0(SALU_CYCLE_1) | instskip(NEXT) | instid1(SALU_CYCLE_1)
	s_xor_b64 s[64:65], s[64:65], s[14:15]
	s_mul_i32 s22, s64, s5
	s_mul_hi_u32 s24, s64, s21
	s_mul_hi_u32 s15, s64, s5
	;; [unrolled: 1-line block ×3, first 2 shown]
	s_mul_i32 s21, s65, s21
	s_add_u32 s22, s24, s22
	s_addc_u32 s15, 0, s15
	s_mul_hi_u32 s50, s65, s5
	s_add_u32 s21, s22, s21
	s_mul_i32 s5, s65, s5
	s_addc_u32 s15, s15, s66
	s_addc_u32 s21, s50, 0
	s_add_u32 s5, s15, s5
	s_addc_u32 s15, 0, s21
	s_mul_hi_u32 s21, s33, s5
	s_mul_i32 s5, s33, s5
	s_mul_i32 s15, s33, s15
	v_sub_co_u32 v2, s5, s64, s5
	s_add_i32 s21, s21, s15
	s_cmp_lg_u32 s5, 0
	s_delay_alu instid0(VALU_DEP_1) | instskip(SKIP_2) | instid1(VALU_DEP_1)
	v_sub_co_u32 v3, s5, v2, s33
	s_subb_u32 s15, s65, s21
	s_cmp_lg_u32 s5, 0
	v_cmp_le_u32_e32 vcc_lo, s33, v3
	v_sub_co_u32 v4, s5, v3, s33
	s_subb_u32 s21, s15, 0
	s_cmp_lg_u32 s5, 0
	v_cndmask_b32_e64 v5, 0, -1, vcc_lo
	s_subb_u32 s5, s21, 0
	s_cmp_eq_u32 s21, 0
	v_mov_b32_e32 v7, s5
	s_cselect_b32 vcc_lo, -1, 0
	s_cmp_eq_u32 s15, 0
	v_cndmask_b32_e32 v5, -1, v5, vcc_lo
	v_cmp_le_u32_e32 vcc_lo, s33, v2
	s_cselect_b32 s5, -1, 0
	v_cndmask_b32_e64 v6, 0, -1, vcc_lo
	s_delay_alu instid0(VALU_DEP_3) | instskip(NEXT) | instid1(VALU_DEP_2)
	v_cmp_ne_u32_e32 vcc_lo, 0, v5
	v_cndmask_b32_e64 v5, -1, v6, s5
	v_cndmask_b32_e32 v3, v3, v4, vcc_lo
	v_cndmask_b32_e32 v6, s21, v7, vcc_lo
	s_delay_alu instid0(VALU_DEP_3) | instskip(NEXT) | instid1(VALU_DEP_3)
	v_cmp_ne_u32_e32 vcc_lo, 0, v5
	v_cndmask_b32_e32 v2, v2, v3, vcc_lo
	s_delay_alu instid0(VALU_DEP_3) | instskip(NEXT) | instid1(VALU_DEP_2)
	v_cndmask_b32_e32 v4, s15, v6, vcc_lo
	v_xor_b32_e32 v2, s14, v2
	s_delay_alu instid0(VALU_DEP_2) | instskip(NEXT) | instid1(VALU_DEP_2)
	v_xor_b32_e32 v3, s14, v4
	v_sub_co_u32 v2, vcc_lo, v2, s14
	s_delay_alu instid0(VALU_DEP_2)
	v_subrev_co_ci_u32_e32 v3, vcc_lo, s14, v3, vcc_lo
	s_cbranch_execnz .LBB55_159
.LBB55_158:                             ;   in Loop: Header=BB55_33 Depth=1
	v_cvt_f32_u32_e32 v2, s33
	s_sub_i32 s5, 0, s33
	s_delay_alu instid0(VALU_DEP_1) | instskip(SKIP_2) | instid1(VALU_DEP_1)
	v_rcp_iflag_f32_e32 v2, v2
	s_waitcnt_depctr 0xfff
	v_mul_f32_e32 v2, 0x4f7ffffe, v2
	v_cvt_u32_f32_e32 v2, v2
	s_delay_alu instid0(VALU_DEP_1) | instskip(NEXT) | instid1(VALU_DEP_1)
	v_mul_lo_u32 v3, s5, v2
	v_mul_hi_u32 v3, v2, v3
	s_delay_alu instid0(VALU_DEP_1) | instskip(NEXT) | instid1(VALU_DEP_1)
	v_add_nc_u32_e32 v2, v2, v3
	v_mul_hi_u32 v2, s80, v2
	s_delay_alu instid0(VALU_DEP_1) | instskip(NEXT) | instid1(VALU_DEP_1)
	v_mul_lo_u32 v2, v2, s33
	v_sub_nc_u32_e32 v2, s80, v2
	s_delay_alu instid0(VALU_DEP_1) | instskip(SKIP_1) | instid1(VALU_DEP_2)
	v_subrev_nc_u32_e32 v3, s33, v2
	v_cmp_le_u32_e32 vcc_lo, s33, v2
	v_cndmask_b32_e32 v2, v2, v3, vcc_lo
	s_delay_alu instid0(VALU_DEP_1) | instskip(SKIP_1) | instid1(VALU_DEP_2)
	v_subrev_nc_u32_e32 v3, s33, v2
	v_cmp_le_u32_e32 vcc_lo, s33, v2
	v_cndmask_b32_e32 v12, v2, v3, vcc_lo
	s_delay_alu instid0(VALU_DEP_1)
	v_dual_mov_b32 v2, v12 :: v_dual_mov_b32 v3, v13
.LBB55_159:                             ;   in Loop: Header=BB55_33 Depth=1
	s_delay_alu instid0(VALU_DEP_1) | instskip(NEXT) | instid1(VALU_DEP_2)
	v_sub_co_u32 v2, vcc_lo, s80, v2
	v_sub_co_ci_u32_e32 v3, vcc_lo, s25, v3, vcc_lo
	s_mov_b32 s24, 0
	s_mov_b32 s14, exec_lo
                                        ; implicit-def: $vgpr28
	s_delay_alu instid0(VALU_DEP_1)
	v_cmpx_gt_i64_e64 v[2:3], v[0:1]
	s_cbranch_execz .LBB55_172
; %bb.160:                              ;   in Loop: Header=BB55_33 Depth=1
	v_dual_mov_b32 v4, v10 :: v_dual_mov_b32 v5, v11
	v_dual_mov_b32 v7, v1 :: v_dual_mov_b32 v6, v0
	s_mov_b32 s15, 0
                                        ; implicit-def: $sgpr21
	s_set_inst_prefetch_distance 0x1
	s_branch .LBB55_162
	.p2align	6
.LBB55_161:                             ;   in Loop: Header=BB55_162 Depth=2
	s_or_b32 exec_lo, exec_lo, s5
	s_waitcnt vmcnt(0) lgkmcnt(0)
	s_barrier
	buffer_gl0_inv
	ds_load_b64 v[27:28], v13 offset:3072
	v_add_co_u32 v6, vcc_lo, v6, s33
	v_add_co_ci_u32_e32 v7, vcc_lo, 0, v7, vcc_lo
	s_waitcnt lgkmcnt(0)
	s_barrier
	buffer_gl0_inv
	v_cmp_ge_i64_e32 vcc_lo, v[6:7], v[2:3]
	v_cmp_neq_f32_e64 s5, 0, v27
	s_delay_alu instid0(VALU_DEP_1)
	s_or_b32 s22, s5, vcc_lo
	v_add_co_u32 v4, vcc_lo, v4, s52
	s_and_b32 s22, exec_lo, s22
	v_add_co_ci_u32_e32 v5, vcc_lo, s53, v5, vcc_lo
	s_or_b32 s15, s22, s15
	s_and_not1_b32 s21, s21, exec_lo
	s_and_b32 s5, s5, exec_lo
	s_delay_alu instid0(SALU_CYCLE_1)
	s_or_b32 s21, s21, s5
	s_and_not1_b32 exec_lo, exec_lo, s15
	s_cbranch_execz .LBB55_171
.LBB55_162:                             ;   Parent Loop BB55_33 Depth=1
                                        ; =>  This Inner Loop Header: Depth=2
	s_delay_alu instid0(VALU_DEP_1)
	v_cmp_gt_i64_e32 vcc_lo, s[36:37], v[6:7]
	v_mov_b32_e32 v27, 0
	s_and_saveexec_b32 s5, vcc_lo
	s_cbranch_execz .LBB55_164
; %bb.163:                              ;   in Loop: Header=BB55_162 Depth=2
	global_load_b32 v27, v[4:5], off
.LBB55_164:                             ;   in Loop: Header=BB55_162 Depth=2
	s_or_b32 exec_lo, exec_lo, s5
	s_and_saveexec_b32 s5, vcc_lo
	s_cbranch_execz .LBB55_161
; %bb.165:                              ;   in Loop: Header=BB55_162 Depth=2
	s_waitcnt vmcnt(0)
	v_cmp_lt_i32_e32 vcc_lo, -1, v27
	v_cndmask_b32_e64 v8, -1, 0x80000000, vcc_lo
	v_cmp_o_f32_e32 vcc_lo, v27, v27
	s_delay_alu instid0(VALU_DEP_2) | instskip(NEXT) | instid1(VALU_DEP_1)
	v_xor_b32_e32 v8, v8, v27
	v_cndmask_b32_e32 v8, -1, v8, vcc_lo
	s_delay_alu instid0(VALU_DEP_1) | instskip(NEXT) | instid1(VALU_DEP_1)
	v_and_b32_e32 v8, s96, v8
	v_cmp_eq_u32_e32 vcc_lo, s97, v8
	s_and_b32 exec_lo, exec_lo, vcc_lo
	s_cbranch_execz .LBB55_161
; %bb.166:                              ;   in Loop: Header=BB55_162 Depth=2
	ds_store_b64 v13, v[26:27] offset:3072
	s_branch .LBB55_161
.LBB55_167:                             ;   in Loop: Header=BB55_33 Depth=1
                                        ; implicit-def: $sgpr15
                                        ; implicit-def: $sgpr21
                                        ; implicit-def: $sgpr14
	s_branch .LBB55_186
.LBB55_168:                             ;   in Loop: Header=BB55_33 Depth=1
                                        ; implicit-def: $vgpr2_vgpr3
	s_branch .LBB55_113
.LBB55_169:                             ;   in Loop: Header=BB55_33 Depth=1
                                        ; implicit-def: $vgpr2_vgpr3
	s_branch .LBB55_128
.LBB55_170:                             ;   in Loop: Header=BB55_33 Depth=1
	s_mov_b32 s15, -1
	s_mov_b32 s24, 0
                                        ; implicit-def: $sgpr14
                                        ; implicit-def: $vgpr28
	s_mov_b32 s21, s15
	s_cbranch_execnz .LBB55_173
	s_branch .LBB55_186
.LBB55_171:                             ;   in Loop: Header=BB55_33 Depth=1
	s_set_inst_prefetch_distance 0x2
	s_or_b32 exec_lo, exec_lo, s15
	s_delay_alu instid0(SALU_CYCLE_1)
	s_and_b32 s24, s21, exec_lo
.LBB55_172:                             ;   in Loop: Header=BB55_33 Depth=1
	s_or_b32 exec_lo, exec_lo, s14
	s_mov_b32 s14, -1
	s_mov_b32 s15, 0
	s_delay_alu instid0(SALU_CYCLE_1)
	s_mov_b32 s21, s15
	s_branch .LBB55_186
.LBB55_173:                             ;   in Loop: Header=BB55_33 Depth=1
	s_add_u32 s21, s78, s12
	s_addc_u32 s15, s79, s13
	s_mov_b32 s14, s51
	s_delay_alu instid0(SALU_CYCLE_1)
	s_cmp_lg_u64 s[14:15], 0
	s_cbranch_scc0 .LBB55_216
; %bb.174:                              ;   in Loop: Header=BB55_33 Depth=1
	v_cvt_f32_u32_e32 v2, s33
	s_sub_u32 s22, 0, s33
	s_subb_u32 s24, 0, 0
	s_delay_alu instid0(VALU_DEP_1) | instskip(NEXT) | instid1(VALU_DEP_1)
	v_fmac_f32_e32 v2, 0x4f800000, v51
	v_rcp_f32_e32 v2, v2
	s_waitcnt_depctr 0xfff
	v_mul_f32_e32 v2, 0x5f7ffffc, v2
	s_delay_alu instid0(VALU_DEP_1) | instskip(NEXT) | instid1(VALU_DEP_1)
	v_mul_f32_e32 v3, 0x2f800000, v2
	v_trunc_f32_e32 v3, v3
	s_delay_alu instid0(VALU_DEP_1) | instskip(SKIP_1) | instid1(VALU_DEP_2)
	v_fmac_f32_e32 v2, 0xcf800000, v3
	v_cvt_u32_f32_e32 v3, v3
	v_cvt_u32_f32_e32 v2, v2
	s_delay_alu instid0(VALU_DEP_2) | instskip(NEXT) | instid1(VALU_DEP_2)
	v_readfirstlane_b32 s5, v3
	v_readfirstlane_b32 s14, v2
	s_delay_alu instid0(VALU_DEP_2) | instskip(NEXT) | instid1(VALU_DEP_1)
	s_mul_i32 s50, s22, s5
	s_mul_hi_u32 s65, s22, s14
	s_mul_i32 s64, s24, s14
	s_add_i32 s50, s65, s50
	s_mul_i32 s66, s22, s14
	s_add_i32 s50, s50, s64
	s_mul_hi_u32 s65, s14, s66
	s_mul_hi_u32 s67, s5, s66
	s_mul_i32 s64, s5, s66
	s_mul_hi_u32 s66, s14, s50
	s_mul_i32 s14, s14, s50
	s_mul_hi_u32 s68, s5, s50
	s_add_u32 s14, s65, s14
	s_addc_u32 s65, 0, s66
	s_add_u32 s14, s14, s64
	s_mul_i32 s50, s5, s50
	s_addc_u32 s14, s65, s67
	s_addc_u32 s64, s68, 0
	s_add_u32 s14, s14, s50
	s_addc_u32 s50, 0, s64
	v_add_co_u32 v2, s14, v2, s14
	s_delay_alu instid0(VALU_DEP_1) | instskip(SKIP_1) | instid1(VALU_DEP_1)
	s_cmp_lg_u32 s14, 0
	s_addc_u32 s5, s5, s50
	v_readfirstlane_b32 s14, v2
	s_mul_i32 s50, s22, s5
	s_delay_alu instid0(VALU_DEP_1)
	s_mul_hi_u32 s64, s22, s14
	s_mul_i32 s24, s24, s14
	s_add_i32 s50, s64, s50
	s_mul_i32 s22, s22, s14
	s_add_i32 s50, s50, s24
	s_mul_hi_u32 s64, s5, s22
	s_mul_i32 s65, s5, s22
	s_mul_hi_u32 s22, s14, s22
	s_mul_hi_u32 s66, s14, s50
	s_mul_i32 s14, s14, s50
	s_mul_hi_u32 s24, s5, s50
	s_add_u32 s14, s22, s14
	s_addc_u32 s22, 0, s66
	s_add_u32 s14, s14, s65
	s_mul_i32 s50, s5, s50
	s_addc_u32 s14, s22, s64
	s_addc_u32 s22, s24, 0
	s_add_u32 s14, s14, s50
	s_addc_u32 s22, 0, s22
	v_add_co_u32 v2, s14, v2, s14
	s_delay_alu instid0(VALU_DEP_1) | instskip(SKIP_2) | instid1(VALU_DEP_1)
	s_cmp_lg_u32 s14, 0
	s_addc_u32 s5, s5, s22
	s_ashr_i32 s64, s15, 31
	v_readfirstlane_b32 s14, v2
	s_add_u32 s66, s21, s64
	s_mov_b32 s65, s64
	s_addc_u32 s67, s15, s64
	s_delay_alu instid0(SALU_CYCLE_1) | instskip(NEXT) | instid1(SALU_CYCLE_1)
	s_xor_b64 s[66:67], s[66:67], s[64:65]
	s_mul_i32 s24, s66, s5
	s_mul_hi_u32 s50, s66, s14
	s_mul_hi_u32 s22, s66, s5
	;; [unrolled: 1-line block ×3, first 2 shown]
	s_mul_i32 s14, s67, s14
	s_add_u32 s24, s50, s24
	s_addc_u32 s22, 0, s22
	s_mul_hi_u32 s65, s67, s5
	s_add_u32 s14, s24, s14
	s_mul_i32 s5, s67, s5
	s_addc_u32 s14, s22, s68
	s_addc_u32 s22, s65, 0
	s_add_u32 s5, s14, s5
	s_addc_u32 s14, 0, s22
	s_mul_hi_u32 s22, s33, s5
	s_mul_i32 s5, s33, s5
	s_mul_i32 s14, s33, s14
	v_sub_co_u32 v2, s5, s66, s5
	s_add_i32 s22, s22, s14
	s_cmp_lg_u32 s5, 0
	s_delay_alu instid0(VALU_DEP_1) | instskip(SKIP_2) | instid1(VALU_DEP_1)
	v_sub_co_u32 v3, s5, v2, s33
	s_subb_u32 s14, s67, s22
	s_cmp_lg_u32 s5, 0
	v_cmp_le_u32_e32 vcc_lo, s33, v3
	v_sub_co_u32 v4, s5, v3, s33
	s_subb_u32 s22, s14, 0
	s_cmp_lg_u32 s5, 0
	v_cndmask_b32_e64 v5, 0, -1, vcc_lo
	s_subb_u32 s5, s22, 0
	s_cmp_eq_u32 s22, 0
	v_mov_b32_e32 v7, s5
	s_cselect_b32 vcc_lo, -1, 0
	s_cmp_eq_u32 s14, 0
	v_cndmask_b32_e32 v5, -1, v5, vcc_lo
	v_cmp_le_u32_e32 vcc_lo, s33, v2
	s_cselect_b32 s5, -1, 0
	v_cndmask_b32_e64 v6, 0, -1, vcc_lo
	s_delay_alu instid0(VALU_DEP_3) | instskip(NEXT) | instid1(VALU_DEP_2)
	v_cmp_ne_u32_e32 vcc_lo, 0, v5
	v_cndmask_b32_e64 v5, -1, v6, s5
	v_cndmask_b32_e32 v3, v3, v4, vcc_lo
	v_cndmask_b32_e32 v6, s22, v7, vcc_lo
	s_delay_alu instid0(VALU_DEP_3) | instskip(NEXT) | instid1(VALU_DEP_3)
	v_cmp_ne_u32_e32 vcc_lo, 0, v5
	v_cndmask_b32_e32 v2, v2, v3, vcc_lo
	s_delay_alu instid0(VALU_DEP_3) | instskip(NEXT) | instid1(VALU_DEP_2)
	v_cndmask_b32_e32 v4, s14, v6, vcc_lo
	v_xor_b32_e32 v2, s64, v2
	s_delay_alu instid0(VALU_DEP_2) | instskip(NEXT) | instid1(VALU_DEP_2)
	v_xor_b32_e32 v3, s64, v4
	v_sub_co_u32 v2, vcc_lo, v2, s64
	s_delay_alu instid0(VALU_DEP_2)
	v_subrev_co_ci_u32_e32 v3, vcc_lo, s64, v3, vcc_lo
	s_cbranch_execnz .LBB55_176
.LBB55_175:                             ;   in Loop: Header=BB55_33 Depth=1
	v_cvt_f32_u32_e32 v2, s33
	s_sub_i32 s5, 0, s33
	s_delay_alu instid0(VALU_DEP_1) | instskip(SKIP_2) | instid1(VALU_DEP_1)
	v_rcp_iflag_f32_e32 v2, v2
	s_waitcnt_depctr 0xfff
	v_mul_f32_e32 v2, 0x4f7ffffe, v2
	v_cvt_u32_f32_e32 v2, v2
	s_delay_alu instid0(VALU_DEP_1) | instskip(NEXT) | instid1(VALU_DEP_1)
	v_mul_lo_u32 v3, s5, v2
	v_mul_hi_u32 v3, v2, v3
	s_delay_alu instid0(VALU_DEP_1) | instskip(NEXT) | instid1(VALU_DEP_1)
	v_add_nc_u32_e32 v2, v2, v3
	v_mul_hi_u32 v2, s21, v2
	s_delay_alu instid0(VALU_DEP_1) | instskip(NEXT) | instid1(VALU_DEP_1)
	v_mul_lo_u32 v2, v2, s33
	v_sub_nc_u32_e32 v2, s21, v2
	s_delay_alu instid0(VALU_DEP_1) | instskip(SKIP_1) | instid1(VALU_DEP_2)
	v_subrev_nc_u32_e32 v3, s33, v2
	v_cmp_le_u32_e32 vcc_lo, s33, v2
	v_cndmask_b32_e32 v2, v2, v3, vcc_lo
	s_delay_alu instid0(VALU_DEP_1) | instskip(SKIP_1) | instid1(VALU_DEP_2)
	v_subrev_nc_u32_e32 v3, s33, v2
	v_cmp_le_u32_e32 vcc_lo, s33, v2
	v_cndmask_b32_e32 v12, v2, v3, vcc_lo
	s_delay_alu instid0(VALU_DEP_1)
	v_dual_mov_b32 v2, v12 :: v_dual_mov_b32 v3, v13
.LBB55_176:                             ;   in Loop: Header=BB55_33 Depth=1
	s_delay_alu instid0(VALU_DEP_1) | instskip(NEXT) | instid1(VALU_DEP_2)
	v_sub_co_u32 v2, vcc_lo, s21, v2
	v_sub_co_ci_u32_e32 v3, vcc_lo, s15, v3, vcc_lo
	s_mov_b32 s24, 0
	s_mov_b32 s14, exec_lo
                                        ; implicit-def: $vgpr28
	s_delay_alu instid0(VALU_DEP_1)
	v_cmpx_gt_i64_e64 v[2:3], v[0:1]
	s_cbranch_execz .LBB55_185
; %bb.177:                              ;   in Loop: Header=BB55_33 Depth=1
	v_dual_mov_b32 v6, v14 :: v_dual_mov_b32 v5, v1
	v_mov_b32_e32 v4, v0
	s_mov_b32 s15, 0
                                        ; implicit-def: $sgpr21
	s_set_inst_prefetch_distance 0x1
	s_branch .LBB55_179
	.p2align	6
.LBB55_178:                             ;   in Loop: Header=BB55_179 Depth=2
	s_or_b32 exec_lo, exec_lo, s5
	s_waitcnt lgkmcnt(0)
	s_barrier
	buffer_gl0_inv
	ds_load_b64 v[27:28], v13 offset:3072
	v_add_co_u32 v4, vcc_lo, v4, s33
	v_add_co_ci_u32_e32 v5, vcc_lo, 0, v5, vcc_lo
	v_add_nc_u32_e32 v6, s86, v6
	s_waitcnt lgkmcnt(0)
	s_barrier
	s_delay_alu instid0(VALU_DEP_2) | instskip(SKIP_2) | instid1(VALU_DEP_1)
	v_cmp_ge_i64_e32 vcc_lo, v[4:5], v[2:3]
	buffer_gl0_inv
	v_cmp_neq_f32_e64 s5, 0, v27
	s_or_b32 s22, s5, vcc_lo
	s_delay_alu instid0(SALU_CYCLE_1) | instskip(NEXT) | instid1(SALU_CYCLE_1)
	s_and_b32 s22, exec_lo, s22
	s_or_b32 s15, s22, s15
	s_and_not1_b32 s21, s21, exec_lo
	s_and_b32 s5, s5, exec_lo
	s_delay_alu instid0(SALU_CYCLE_1)
	s_or_b32 s21, s21, s5
	s_and_not1_b32 exec_lo, exec_lo, s15
	s_cbranch_execz .LBB55_184
.LBB55_179:                             ;   Parent Loop BB55_33 Depth=1
                                        ; =>  This Inner Loop Header: Depth=2
	s_delay_alu instid0(VALU_DEP_1)
	v_cmp_gt_i64_e32 vcc_lo, s[12:13], v[4:5]
	v_mov_b32_e32 v27, 0
	s_and_saveexec_b32 s5, vcc_lo
	s_cbranch_execz .LBB55_181
; %bb.180:                              ;   in Loop: Header=BB55_179 Depth=2
	ds_load_b32 v27, v6
.LBB55_181:                             ;   in Loop: Header=BB55_179 Depth=2
	s_or_b32 exec_lo, exec_lo, s5
	s_and_saveexec_b32 s5, vcc_lo
	s_cbranch_execz .LBB55_178
; %bb.182:                              ;   in Loop: Header=BB55_179 Depth=2
	s_waitcnt lgkmcnt(0)
	v_cmp_lt_i32_e32 vcc_lo, -1, v27
	v_cndmask_b32_e64 v7, -1, 0x80000000, vcc_lo
	v_cmp_o_f32_e32 vcc_lo, v27, v27
	s_delay_alu instid0(VALU_DEP_2) | instskip(NEXT) | instid1(VALU_DEP_1)
	v_xor_b32_e32 v7, v7, v27
	v_cndmask_b32_e32 v7, -1, v7, vcc_lo
	s_delay_alu instid0(VALU_DEP_1) | instskip(NEXT) | instid1(VALU_DEP_1)
	v_and_b32_e32 v7, s96, v7
	v_cmp_eq_u32_e32 vcc_lo, s97, v7
	s_and_b32 exec_lo, exec_lo, vcc_lo
	s_cbranch_execz .LBB55_178
; %bb.183:                              ;   in Loop: Header=BB55_179 Depth=2
	ds_store_b64 v13, v[26:27] offset:3072
	s_branch .LBB55_178
.LBB55_184:                             ;   in Loop: Header=BB55_33 Depth=1
	s_set_inst_prefetch_distance 0x2
	s_or_b32 exec_lo, exec_lo, s15
	s_delay_alu instid0(SALU_CYCLE_1)
	s_and_b32 s24, s21, exec_lo
.LBB55_185:                             ;   in Loop: Header=BB55_33 Depth=1
	s_or_b32 exec_lo, exec_lo, s14
	s_mov_b32 s21, -1
	s_mov_b32 s15, 0
	s_mov_b32 s14, 0
.LBB55_186:                             ;   in Loop: Header=BB55_33 Depth=1
	s_mov_b32 s12, 0
                                        ; implicit-def: $sgpr5
	s_and_saveexec_b32 s22, s24
	s_cbranch_execz .LBB55_297
; %bb.187:                              ;   in Loop: Header=BB55_33 Depth=1
	s_xor_b32 s5, s23, -1
	s_delay_alu instid0(SALU_CYCLE_1)
	s_and_not1_b32 vcc_lo, exec_lo, s5
	s_mov_b32 s5, 1
	s_cbranch_vccnz .LBB55_198
; %bb.188:                              ;   in Loop: Header=BB55_33 Depth=1
	v_cmp_gt_i64_e64 s5, s[38:39], s[10:11]
	s_mov_b32 s12, -1
                                        ; implicit-def: $sgpr13
                                        ; implicit-def: $sgpr23
	s_delay_alu instid0(VALU_DEP_1)
	s_and_b32 vcc_lo, exec_lo, s5
                                        ; implicit-def: $sgpr5
	s_cbranch_vccnz .LBB55_194
; %bb.189:                              ;   in Loop: Header=BB55_33 Depth=1
	ds_load_b64 v[2:3], v13 offset:5120
	s_waitcnt lgkmcnt(0)
	v_cmp_ne_u64_e32 vcc_lo, 0, v[2:3]
	s_cbranch_vccnz .LBB55_193
; %bb.190:                              ;   in Loop: Header=BB55_33 Depth=1
	s_and_saveexec_b32 s5, s0
	s_cbranch_execz .LBB55_192
; %bb.191:                              ;   in Loop: Header=BB55_33 Depth=1
	v_dual_mov_b32 v2, s10 :: v_dual_mov_b32 v3, s11
	ds_store_b64 v13, v[2:3] offset:5128
.LBB55_192:                             ;   in Loop: Header=BB55_33 Depth=1
	s_or_b32 exec_lo, exec_lo, s5
	s_waitcnt lgkmcnt(0)
	s_barrier
	buffer_gl0_inv
.LBB55_193:                             ;   in Loop: Header=BB55_33 Depth=1
	s_lshl_b32 s5, 1, s19
	s_and_b32 s12, s97, s20
	s_or_b32 s23, s96, s18
	s_or_b32 s13, s12, s5
	s_mov_b32 s12, 0
	s_mov_b32 s5, 8
.LBB55_194:                             ;   in Loop: Header=BB55_33 Depth=1
	s_and_not1_b32 vcc_lo, exec_lo, s12
	s_cbranch_vccnz .LBB55_196
; %bb.195:                              ;   in Loop: Header=BB55_33 Depth=1
	s_sub_u32 s38, s38, s10
	s_subb_u32 s39, s39, s11
	s_mov_b32 s12, -1
	s_mov_b32 s5, 0
	s_mov_b32 s13, s97
	;; [unrolled: 1-line block ×3, first 2 shown]
.LBB55_196:                             ;   in Loop: Header=BB55_33 Depth=1
	s_delay_alu instid0(SALU_CYCLE_1)
	s_mov_b32 s96, s23
	s_mov_b32 s97, s13
	s_and_not1_b32 vcc_lo, exec_lo, s12
	s_mov_b32 s10, -1
	s_cbranch_vccz .LBB55_199
.LBB55_197:                             ;   in Loop: Header=BB55_33 Depth=1
                                        ; implicit-def: $sgpr13
                                        ; implicit-def: $sgpr23
                                        ; implicit-def: $sgpr12
	s_branch .LBB55_296
.LBB55_198:                             ;   in Loop: Header=BB55_33 Depth=1
	s_mov_b64 s[38:39], 1
	s_and_not1_b32 vcc_lo, exec_lo, s12
	s_mov_b32 s10, -1
	s_cbranch_vccnz .LBB55_197
.LBB55_199:                             ;   in Loop: Header=BB55_33 Depth=1
	s_cmp_eq_u64 s[8:9], 1
	s_mov_b32 s24, -1
	s_cselect_b32 s5, -1, 0
	s_cmp_eq_u64 s[38:39], 1
	s_cselect_b32 s10, -1, 0
	s_delay_alu instid0(SALU_CYCLE_1) | instskip(NEXT) | instid1(SALU_CYCLE_1)
	s_and_b32 s64, s5, s10
	s_and_b32 vcc_lo, exec_lo, s64
	s_cbranch_vccz .LBB55_214
; %bb.200:                              ;   in Loop: Header=BB55_33 Depth=1
	ds_load_b64 v[2:3], v13 offset:5120
	s_waitcnt lgkmcnt(0)
	s_barrier
	buffer_gl0_inv
	v_readfirstlane_b32 s10, v2
	v_readfirstlane_b32 s11, v3
	s_and_saveexec_b32 s5, s3
	s_cbranch_execz .LBB55_202
; %bb.201:                              ;   in Loop: Header=BB55_33 Depth=1
	ds_store_b32 v44, v13
.LBB55_202:                             ;   in Loop: Header=BB55_33 Depth=1
	s_or_b32 exec_lo, exec_lo, s5
	s_delay_alu instid0(VALU_DEP_1)
	v_cmp_gt_i64_e64 s13, s[10:11], 0
	s_lshl_b32 s5, 2, s19
	s_and_b32 s12, s97, s20
	s_or_b32 s96, s96, s18
	s_or_b32 s97, s12, s5
	s_waitcnt lgkmcnt(0)
	s_and_b32 vcc_lo, exec_lo, s13
	s_barrier
	buffer_gl0_inv
	s_cbranch_vccnz .LBB55_217
; %bb.203:                              ;   in Loop: Header=BB55_33 Depth=1
	s_mov_b32 s24, s51
	s_delay_alu instid0(SALU_CYCLE_1)
	s_cmp_lg_u64 s[24:25], 0
	s_cbranch_scc0 .LBB55_262
; %bb.204:                              ;   in Loop: Header=BB55_33 Depth=1
	v_cvt_f32_u32_e32 v2, s33
	s_sub_u32 s13, 0, s33
	s_subb_u32 s23, 0, 0
	s_delay_alu instid0(VALU_DEP_1) | instskip(NEXT) | instid1(VALU_DEP_1)
	v_fmac_f32_e32 v2, 0x4f800000, v51
	v_rcp_f32_e32 v2, v2
	s_waitcnt_depctr 0xfff
	v_mul_f32_e32 v2, 0x5f7ffffc, v2
	s_delay_alu instid0(VALU_DEP_1) | instskip(NEXT) | instid1(VALU_DEP_1)
	v_mul_f32_e32 v3, 0x2f800000, v2
	v_trunc_f32_e32 v3, v3
	s_delay_alu instid0(VALU_DEP_1) | instskip(SKIP_1) | instid1(VALU_DEP_2)
	v_fmac_f32_e32 v2, 0xcf800000, v3
	v_cvt_u32_f32_e32 v3, v3
	v_cvt_u32_f32_e32 v2, v2
	s_delay_alu instid0(VALU_DEP_2) | instskip(NEXT) | instid1(VALU_DEP_2)
	v_readfirstlane_b32 s5, v3
	v_readfirstlane_b32 s12, v2
	s_delay_alu instid0(VALU_DEP_2) | instskip(NEXT) | instid1(VALU_DEP_1)
	s_mul_i32 s24, s13, s5
	s_mul_hi_u32 s65, s13, s12
	s_mul_i32 s50, s23, s12
	s_add_i32 s24, s65, s24
	s_mul_i32 s66, s13, s12
	s_add_i32 s24, s24, s50
	s_mul_hi_u32 s65, s12, s66
	s_mul_hi_u32 s67, s5, s66
	s_mul_i32 s50, s5, s66
	s_mul_hi_u32 s66, s12, s24
	s_mul_i32 s12, s12, s24
	s_mul_hi_u32 s68, s5, s24
	s_add_u32 s12, s65, s12
	s_addc_u32 s65, 0, s66
	s_add_u32 s12, s12, s50
	s_mul_i32 s24, s5, s24
	s_addc_u32 s12, s65, s67
	s_addc_u32 s50, s68, 0
	s_add_u32 s12, s12, s24
	s_addc_u32 s24, 0, s50
	v_add_co_u32 v2, s12, v2, s12
	s_delay_alu instid0(VALU_DEP_1) | instskip(SKIP_1) | instid1(VALU_DEP_1)
	s_cmp_lg_u32 s12, 0
	s_addc_u32 s5, s5, s24
	v_readfirstlane_b32 s12, v2
	s_mul_i32 s24, s13, s5
	s_delay_alu instid0(VALU_DEP_1)
	s_mul_hi_u32 s50, s13, s12
	s_mul_i32 s23, s23, s12
	s_add_i32 s24, s50, s24
	s_mul_i32 s13, s13, s12
	s_add_i32 s24, s24, s23
	s_mul_hi_u32 s50, s5, s13
	s_mul_i32 s65, s5, s13
	s_mul_hi_u32 s13, s12, s13
	s_mul_hi_u32 s66, s12, s24
	s_mul_i32 s12, s12, s24
	s_mul_hi_u32 s23, s5, s24
	s_add_u32 s12, s13, s12
	s_addc_u32 s13, 0, s66
	s_add_u32 s12, s12, s65
	s_mul_i32 s24, s5, s24
	s_addc_u32 s12, s13, s50
	s_addc_u32 s13, s23, 0
	s_add_u32 s12, s12, s24
	s_addc_u32 s13, 0, s13
	v_add_co_u32 v2, s12, v2, s12
	s_delay_alu instid0(VALU_DEP_1) | instskip(SKIP_2) | instid1(VALU_DEP_1)
	s_cmp_lg_u32 s12, 0
	s_addc_u32 s5, s5, s13
	s_ashr_i32 s12, s25, 31
	v_readfirstlane_b32 s23, v2
	s_add_u32 s66, s80, s12
	s_mov_b32 s13, s12
	s_addc_u32 s67, s25, s12
	s_delay_alu instid0(SALU_CYCLE_1) | instskip(NEXT) | instid1(SALU_CYCLE_1)
	s_xor_b64 s[66:67], s[66:67], s[12:13]
	s_mul_i32 s24, s66, s5
	s_mul_hi_u32 s50, s66, s23
	s_mul_hi_u32 s13, s66, s5
	s_mul_hi_u32 s68, s67, s23
	s_mul_i32 s23, s67, s23
	s_add_u32 s24, s50, s24
	s_addc_u32 s13, 0, s13
	s_mul_hi_u32 s65, s67, s5
	s_add_u32 s23, s24, s23
	s_mul_i32 s5, s67, s5
	s_addc_u32 s13, s13, s68
	s_addc_u32 s23, s65, 0
	s_add_u32 s5, s13, s5
	s_addc_u32 s13, 0, s23
	s_mul_hi_u32 s23, s33, s5
	s_mul_i32 s5, s33, s5
	s_mul_i32 s13, s33, s13
	v_sub_co_u32 v2, s5, s66, s5
	s_add_i32 s23, s23, s13
	s_cmp_lg_u32 s5, 0
	s_delay_alu instid0(VALU_DEP_1) | instskip(SKIP_2) | instid1(VALU_DEP_1)
	v_sub_co_u32 v3, s5, v2, s33
	s_subb_u32 s13, s67, s23
	s_cmp_lg_u32 s5, 0
	v_cmp_le_u32_e32 vcc_lo, s33, v3
	v_sub_co_u32 v4, s5, v3, s33
	s_subb_u32 s23, s13, 0
	s_cmp_lg_u32 s5, 0
	v_cndmask_b32_e64 v5, 0, -1, vcc_lo
	s_subb_u32 s5, s23, 0
	s_cmp_eq_u32 s23, 0
	v_mov_b32_e32 v7, s5
	s_cselect_b32 vcc_lo, -1, 0
	s_cmp_eq_u32 s13, 0
	v_cndmask_b32_e32 v5, -1, v5, vcc_lo
	v_cmp_le_u32_e32 vcc_lo, s33, v2
	s_cselect_b32 s5, -1, 0
	v_cndmask_b32_e64 v6, 0, -1, vcc_lo
	s_delay_alu instid0(VALU_DEP_3) | instskip(NEXT) | instid1(VALU_DEP_2)
	v_cmp_ne_u32_e32 vcc_lo, 0, v5
	v_cndmask_b32_e64 v5, -1, v6, s5
	v_cndmask_b32_e32 v3, v3, v4, vcc_lo
	v_cndmask_b32_e32 v6, s23, v7, vcc_lo
	s_delay_alu instid0(VALU_DEP_3) | instskip(NEXT) | instid1(VALU_DEP_3)
	v_cmp_ne_u32_e32 vcc_lo, 0, v5
	v_cndmask_b32_e32 v2, v2, v3, vcc_lo
	s_delay_alu instid0(VALU_DEP_3) | instskip(NEXT) | instid1(VALU_DEP_2)
	v_cndmask_b32_e32 v4, s13, v6, vcc_lo
	v_xor_b32_e32 v2, s12, v2
	s_delay_alu instid0(VALU_DEP_2) | instskip(NEXT) | instid1(VALU_DEP_2)
	v_xor_b32_e32 v3, s12, v4
	v_sub_co_u32 v2, vcc_lo, v2, s12
	s_delay_alu instid0(VALU_DEP_2)
	v_subrev_co_ci_u32_e32 v3, vcc_lo, s12, v3, vcc_lo
	s_cbranch_execnz .LBB55_206
.LBB55_205:                             ;   in Loop: Header=BB55_33 Depth=1
	v_cvt_f32_u32_e32 v2, s33
	s_sub_i32 s5, 0, s33
	s_delay_alu instid0(VALU_DEP_1) | instskip(SKIP_2) | instid1(VALU_DEP_1)
	v_rcp_iflag_f32_e32 v2, v2
	s_waitcnt_depctr 0xfff
	v_mul_f32_e32 v2, 0x4f7ffffe, v2
	v_cvt_u32_f32_e32 v2, v2
	s_delay_alu instid0(VALU_DEP_1) | instskip(NEXT) | instid1(VALU_DEP_1)
	v_mul_lo_u32 v3, s5, v2
	v_mul_hi_u32 v3, v2, v3
	s_delay_alu instid0(VALU_DEP_1) | instskip(NEXT) | instid1(VALU_DEP_1)
	v_add_nc_u32_e32 v2, v2, v3
	v_mul_hi_u32 v2, s80, v2
	s_delay_alu instid0(VALU_DEP_1) | instskip(NEXT) | instid1(VALU_DEP_1)
	v_mul_lo_u32 v2, v2, s33
	v_sub_nc_u32_e32 v2, s80, v2
	s_delay_alu instid0(VALU_DEP_1) | instskip(SKIP_1) | instid1(VALU_DEP_2)
	v_subrev_nc_u32_e32 v3, s33, v2
	v_cmp_le_u32_e32 vcc_lo, s33, v2
	v_cndmask_b32_e32 v2, v2, v3, vcc_lo
	s_delay_alu instid0(VALU_DEP_1) | instskip(SKIP_1) | instid1(VALU_DEP_2)
	v_subrev_nc_u32_e32 v3, s33, v2
	v_cmp_le_u32_e32 vcc_lo, s33, v2
	v_cndmask_b32_e32 v12, v2, v3, vcc_lo
	s_delay_alu instid0(VALU_DEP_1)
	v_dual_mov_b32 v2, v12 :: v_dual_mov_b32 v3, v13
.LBB55_206:                             ;   in Loop: Header=BB55_33 Depth=1
	s_delay_alu instid0(VALU_DEP_1) | instskip(NEXT) | instid1(VALU_DEP_2)
	v_sub_co_u32 v2, vcc_lo, s80, v2
	v_sub_co_ci_u32_e32 v3, vcc_lo, s25, v3, vcc_lo
	s_mov_b32 s24, 0
	s_mov_b32 s12, exec_lo
                                        ; implicit-def: $vgpr28
	s_delay_alu instid0(VALU_DEP_1)
	v_cmpx_gt_i64_e64 v[2:3], v[0:1]
	s_cbranch_execz .LBB55_219
; %bb.207:                              ;   in Loop: Header=BB55_33 Depth=1
	v_dual_mov_b32 v4, v10 :: v_dual_mov_b32 v5, v11
	v_dual_mov_b32 v7, v1 :: v_dual_mov_b32 v6, v0
	s_mov_b32 s13, 0
                                        ; implicit-def: $sgpr23
	s_set_inst_prefetch_distance 0x1
	s_branch .LBB55_209
	.p2align	6
.LBB55_208:                             ;   in Loop: Header=BB55_209 Depth=2
	s_or_b32 exec_lo, exec_lo, s5
	s_waitcnt vmcnt(0) lgkmcnt(0)
	s_barrier
	buffer_gl0_inv
	ds_load_b64 v[27:28], v13 offset:3072
	v_add_co_u32 v6, vcc_lo, v6, s33
	v_add_co_ci_u32_e32 v7, vcc_lo, 0, v7, vcc_lo
	s_waitcnt lgkmcnt(0)
	s_barrier
	buffer_gl0_inv
	v_cmp_ge_i64_e32 vcc_lo, v[6:7], v[2:3]
	v_cmp_neq_f32_e64 s5, 0, v27
	s_delay_alu instid0(VALU_DEP_1)
	s_or_b32 s24, s5, vcc_lo
	v_add_co_u32 v4, vcc_lo, v4, s52
	s_and_b32 s24, exec_lo, s24
	v_add_co_ci_u32_e32 v5, vcc_lo, s53, v5, vcc_lo
	s_or_b32 s13, s24, s13
	s_and_not1_b32 s23, s23, exec_lo
	s_and_b32 s5, s5, exec_lo
	s_delay_alu instid0(SALU_CYCLE_1)
	s_or_b32 s23, s23, s5
	s_and_not1_b32 exec_lo, exec_lo, s13
	s_cbranch_execz .LBB55_218
.LBB55_209:                             ;   Parent Loop BB55_33 Depth=1
                                        ; =>  This Inner Loop Header: Depth=2
	s_delay_alu instid0(VALU_DEP_1)
	v_cmp_gt_i64_e32 vcc_lo, s[36:37], v[6:7]
	v_mov_b32_e32 v27, 0
	s_and_saveexec_b32 s5, vcc_lo
	s_cbranch_execz .LBB55_211
; %bb.210:                              ;   in Loop: Header=BB55_209 Depth=2
	global_load_b32 v27, v[4:5], off
.LBB55_211:                             ;   in Loop: Header=BB55_209 Depth=2
	s_or_b32 exec_lo, exec_lo, s5
	s_and_saveexec_b32 s5, vcc_lo
	s_cbranch_execz .LBB55_208
; %bb.212:                              ;   in Loop: Header=BB55_209 Depth=2
	s_waitcnt vmcnt(0)
	v_cmp_lt_i32_e32 vcc_lo, -1, v27
	v_cndmask_b32_e64 v8, -1, 0x80000000, vcc_lo
	v_cmp_o_f32_e32 vcc_lo, v27, v27
	s_delay_alu instid0(VALU_DEP_2) | instskip(NEXT) | instid1(VALU_DEP_1)
	v_xor_b32_e32 v8, v8, v27
	v_cndmask_b32_e32 v8, -1, v8, vcc_lo
	s_delay_alu instid0(VALU_DEP_1) | instskip(NEXT) | instid1(VALU_DEP_1)
	v_and_b32_e32 v8, s96, v8
	v_cmp_eq_u32_e32 vcc_lo, s97, v8
	s_and_b32 exec_lo, exec_lo, vcc_lo
	s_cbranch_execz .LBB55_208
; %bb.213:                              ;   in Loop: Header=BB55_209 Depth=2
	ds_store_b64 v13, v[26:27] offset:3072
	s_branch .LBB55_208
.LBB55_214:                             ;   in Loop: Header=BB55_33 Depth=1
                                        ; implicit-def: $sgpr12
                                        ; implicit-def: $sgpr23
                                        ; implicit-def: $sgpr13
	s_branch .LBB55_233
.LBB55_215:                             ;   in Loop: Header=BB55_33 Depth=1
                                        ; implicit-def: $vgpr2_vgpr3
	s_branch .LBB55_158
.LBB55_216:                             ;   in Loop: Header=BB55_33 Depth=1
                                        ; implicit-def: $vgpr2_vgpr3
	s_branch .LBB55_175
.LBB55_217:                             ;   in Loop: Header=BB55_33 Depth=1
	s_mov_b32 s12, -1
	s_mov_b32 s24, 0
                                        ; implicit-def: $sgpr13
                                        ; implicit-def: $vgpr28
	s_mov_b32 s23, s12
	s_cbranch_execnz .LBB55_220
	s_branch .LBB55_233
.LBB55_218:                             ;   in Loop: Header=BB55_33 Depth=1
	s_set_inst_prefetch_distance 0x2
	s_or_b32 exec_lo, exec_lo, s13
	s_delay_alu instid0(SALU_CYCLE_1)
	s_and_b32 s24, s23, exec_lo
.LBB55_219:                             ;   in Loop: Header=BB55_33 Depth=1
	s_or_b32 exec_lo, exec_lo, s12
	s_mov_b32 s13, -1
	s_mov_b32 s12, 0
	s_delay_alu instid0(SALU_CYCLE_1)
	s_mov_b32 s23, s12
	s_branch .LBB55_233
.LBB55_220:                             ;   in Loop: Header=BB55_33 Depth=1
	s_add_u32 s23, s78, s10
	s_addc_u32 s13, s79, s11
	s_mov_b32 s12, s51
	s_delay_alu instid0(SALU_CYCLE_1)
	s_cmp_lg_u64 s[12:13], 0
	s_cbranch_scc0 .LBB55_263
; %bb.221:                              ;   in Loop: Header=BB55_33 Depth=1
	v_cvt_f32_u32_e32 v2, s33
	s_sub_u32 s24, 0, s33
	s_subb_u32 s50, 0, 0
	s_delay_alu instid0(VALU_DEP_1) | instskip(NEXT) | instid1(VALU_DEP_1)
	v_fmac_f32_e32 v2, 0x4f800000, v51
	v_rcp_f32_e32 v2, v2
	s_waitcnt_depctr 0xfff
	v_mul_f32_e32 v2, 0x5f7ffffc, v2
	s_delay_alu instid0(VALU_DEP_1) | instskip(NEXT) | instid1(VALU_DEP_1)
	v_mul_f32_e32 v3, 0x2f800000, v2
	v_trunc_f32_e32 v3, v3
	s_delay_alu instid0(VALU_DEP_1) | instskip(SKIP_1) | instid1(VALU_DEP_2)
	v_fmac_f32_e32 v2, 0xcf800000, v3
	v_cvt_u32_f32_e32 v3, v3
	v_cvt_u32_f32_e32 v2, v2
	s_delay_alu instid0(VALU_DEP_2) | instskip(NEXT) | instid1(VALU_DEP_2)
	v_readfirstlane_b32 s5, v3
	v_readfirstlane_b32 s12, v2
	s_delay_alu instid0(VALU_DEP_2) | instskip(NEXT) | instid1(VALU_DEP_1)
	s_mul_i32 s65, s24, s5
	s_mul_hi_u32 s67, s24, s12
	s_mul_i32 s66, s50, s12
	s_add_i32 s65, s67, s65
	s_mul_i32 s68, s24, s12
	s_add_i32 s65, s65, s66
	s_mul_hi_u32 s67, s12, s68
	s_mul_hi_u32 s69, s5, s68
	s_mul_i32 s66, s5, s68
	s_mul_hi_u32 s68, s12, s65
	s_mul_i32 s12, s12, s65
	s_mul_hi_u32 s70, s5, s65
	s_add_u32 s12, s67, s12
	s_addc_u32 s67, 0, s68
	s_add_u32 s12, s12, s66
	s_mul_i32 s65, s5, s65
	s_addc_u32 s12, s67, s69
	s_addc_u32 s66, s70, 0
	s_add_u32 s12, s12, s65
	s_addc_u32 s65, 0, s66
	v_add_co_u32 v2, s12, v2, s12
	s_delay_alu instid0(VALU_DEP_1) | instskip(SKIP_1) | instid1(VALU_DEP_1)
	s_cmp_lg_u32 s12, 0
	s_addc_u32 s5, s5, s65
	v_readfirstlane_b32 s12, v2
	s_mul_i32 s65, s24, s5
	s_delay_alu instid0(VALU_DEP_1)
	s_mul_hi_u32 s66, s24, s12
	s_mul_i32 s50, s50, s12
	s_add_i32 s65, s66, s65
	s_mul_i32 s24, s24, s12
	s_add_i32 s65, s65, s50
	s_mul_hi_u32 s66, s5, s24
	s_mul_i32 s67, s5, s24
	s_mul_hi_u32 s24, s12, s24
	s_mul_hi_u32 s68, s12, s65
	s_mul_i32 s12, s12, s65
	s_mul_hi_u32 s50, s5, s65
	s_add_u32 s12, s24, s12
	s_addc_u32 s24, 0, s68
	s_add_u32 s12, s12, s67
	s_mul_i32 s65, s5, s65
	s_addc_u32 s12, s24, s66
	s_addc_u32 s24, s50, 0
	s_add_u32 s12, s12, s65
	s_addc_u32 s24, 0, s24
	v_add_co_u32 v2, s12, v2, s12
	s_delay_alu instid0(VALU_DEP_1) | instskip(SKIP_2) | instid1(VALU_DEP_1)
	s_cmp_lg_u32 s12, 0
	s_addc_u32 s5, s5, s24
	s_ashr_i32 s66, s13, 31
	v_readfirstlane_b32 s12, v2
	s_add_u32 s68, s23, s66
	s_mov_b32 s67, s66
	s_addc_u32 s69, s13, s66
	s_delay_alu instid0(SALU_CYCLE_1) | instskip(NEXT) | instid1(SALU_CYCLE_1)
	s_xor_b64 s[68:69], s[68:69], s[66:67]
	s_mul_i32 s50, s68, s5
	s_mul_hi_u32 s65, s68, s12
	s_mul_hi_u32 s24, s68, s5
	s_mul_hi_u32 s70, s69, s12
	s_mul_i32 s12, s69, s12
	s_add_u32 s50, s65, s50
	s_addc_u32 s24, 0, s24
	s_mul_hi_u32 s67, s69, s5
	s_add_u32 s12, s50, s12
	s_mul_i32 s5, s69, s5
	s_addc_u32 s12, s24, s70
	s_addc_u32 s24, s67, 0
	s_add_u32 s5, s12, s5
	s_addc_u32 s12, 0, s24
	s_mul_hi_u32 s24, s33, s5
	s_mul_i32 s5, s33, s5
	s_mul_i32 s12, s33, s12
	v_sub_co_u32 v2, s5, s68, s5
	s_add_i32 s24, s24, s12
	s_cmp_lg_u32 s5, 0
	s_delay_alu instid0(VALU_DEP_1) | instskip(SKIP_2) | instid1(VALU_DEP_1)
	v_sub_co_u32 v3, s5, v2, s33
	s_subb_u32 s12, s69, s24
	s_cmp_lg_u32 s5, 0
	v_cmp_le_u32_e32 vcc_lo, s33, v3
	v_sub_co_u32 v4, s5, v3, s33
	s_subb_u32 s24, s12, 0
	s_cmp_lg_u32 s5, 0
	v_cndmask_b32_e64 v5, 0, -1, vcc_lo
	s_subb_u32 s5, s24, 0
	s_cmp_eq_u32 s24, 0
	v_mov_b32_e32 v7, s5
	s_cselect_b32 vcc_lo, -1, 0
	s_cmp_eq_u32 s12, 0
	v_cndmask_b32_e32 v5, -1, v5, vcc_lo
	v_cmp_le_u32_e32 vcc_lo, s33, v2
	s_cselect_b32 s5, -1, 0
	v_cndmask_b32_e64 v6, 0, -1, vcc_lo
	s_delay_alu instid0(VALU_DEP_3) | instskip(NEXT) | instid1(VALU_DEP_2)
	v_cmp_ne_u32_e32 vcc_lo, 0, v5
	v_cndmask_b32_e64 v5, -1, v6, s5
	v_cndmask_b32_e32 v3, v3, v4, vcc_lo
	v_cndmask_b32_e32 v6, s24, v7, vcc_lo
	s_delay_alu instid0(VALU_DEP_3) | instskip(NEXT) | instid1(VALU_DEP_3)
	v_cmp_ne_u32_e32 vcc_lo, 0, v5
	v_cndmask_b32_e32 v2, v2, v3, vcc_lo
	s_delay_alu instid0(VALU_DEP_3) | instskip(NEXT) | instid1(VALU_DEP_2)
	v_cndmask_b32_e32 v4, s12, v6, vcc_lo
	v_xor_b32_e32 v2, s66, v2
	s_delay_alu instid0(VALU_DEP_2) | instskip(NEXT) | instid1(VALU_DEP_2)
	v_xor_b32_e32 v3, s66, v4
	v_sub_co_u32 v2, vcc_lo, v2, s66
	s_delay_alu instid0(VALU_DEP_2)
	v_subrev_co_ci_u32_e32 v3, vcc_lo, s66, v3, vcc_lo
	s_cbranch_execnz .LBB55_223
.LBB55_222:                             ;   in Loop: Header=BB55_33 Depth=1
	v_cvt_f32_u32_e32 v2, s33
	s_sub_i32 s5, 0, s33
	s_delay_alu instid0(VALU_DEP_1) | instskip(SKIP_2) | instid1(VALU_DEP_1)
	v_rcp_iflag_f32_e32 v2, v2
	s_waitcnt_depctr 0xfff
	v_mul_f32_e32 v2, 0x4f7ffffe, v2
	v_cvt_u32_f32_e32 v2, v2
	s_delay_alu instid0(VALU_DEP_1) | instskip(NEXT) | instid1(VALU_DEP_1)
	v_mul_lo_u32 v3, s5, v2
	v_mul_hi_u32 v3, v2, v3
	s_delay_alu instid0(VALU_DEP_1) | instskip(NEXT) | instid1(VALU_DEP_1)
	v_add_nc_u32_e32 v2, v2, v3
	v_mul_hi_u32 v2, s23, v2
	s_delay_alu instid0(VALU_DEP_1) | instskip(NEXT) | instid1(VALU_DEP_1)
	v_mul_lo_u32 v2, v2, s33
	v_sub_nc_u32_e32 v2, s23, v2
	s_delay_alu instid0(VALU_DEP_1) | instskip(SKIP_1) | instid1(VALU_DEP_2)
	v_subrev_nc_u32_e32 v3, s33, v2
	v_cmp_le_u32_e32 vcc_lo, s33, v2
	v_cndmask_b32_e32 v2, v2, v3, vcc_lo
	s_delay_alu instid0(VALU_DEP_1) | instskip(SKIP_1) | instid1(VALU_DEP_2)
	v_subrev_nc_u32_e32 v3, s33, v2
	v_cmp_le_u32_e32 vcc_lo, s33, v2
	v_cndmask_b32_e32 v12, v2, v3, vcc_lo
	s_delay_alu instid0(VALU_DEP_1)
	v_dual_mov_b32 v2, v12 :: v_dual_mov_b32 v3, v13
.LBB55_223:                             ;   in Loop: Header=BB55_33 Depth=1
	s_delay_alu instid0(VALU_DEP_1) | instskip(NEXT) | instid1(VALU_DEP_2)
	v_sub_co_u32 v2, vcc_lo, s23, v2
	v_sub_co_ci_u32_e32 v3, vcc_lo, s13, v3, vcc_lo
	s_mov_b32 s24, 0
	s_mov_b32 s12, exec_lo
                                        ; implicit-def: $vgpr28
	s_delay_alu instid0(VALU_DEP_1)
	v_cmpx_gt_i64_e64 v[2:3], v[0:1]
	s_cbranch_execz .LBB55_232
; %bb.224:                              ;   in Loop: Header=BB55_33 Depth=1
	v_dual_mov_b32 v6, v14 :: v_dual_mov_b32 v5, v1
	v_mov_b32_e32 v4, v0
	s_mov_b32 s13, 0
                                        ; implicit-def: $sgpr23
	s_set_inst_prefetch_distance 0x1
	s_branch .LBB55_226
	.p2align	6
.LBB55_225:                             ;   in Loop: Header=BB55_226 Depth=2
	s_or_b32 exec_lo, exec_lo, s5
	s_waitcnt lgkmcnt(0)
	s_barrier
	buffer_gl0_inv
	ds_load_b64 v[27:28], v13 offset:3072
	v_add_co_u32 v4, vcc_lo, v4, s33
	v_add_co_ci_u32_e32 v5, vcc_lo, 0, v5, vcc_lo
	v_add_nc_u32_e32 v6, s86, v6
	s_waitcnt lgkmcnt(0)
	s_barrier
	s_delay_alu instid0(VALU_DEP_2) | instskip(SKIP_2) | instid1(VALU_DEP_1)
	v_cmp_ge_i64_e32 vcc_lo, v[4:5], v[2:3]
	buffer_gl0_inv
	v_cmp_neq_f32_e64 s5, 0, v27
	s_or_b32 s24, s5, vcc_lo
	s_delay_alu instid0(SALU_CYCLE_1) | instskip(NEXT) | instid1(SALU_CYCLE_1)
	s_and_b32 s24, exec_lo, s24
	s_or_b32 s13, s24, s13
	s_and_not1_b32 s23, s23, exec_lo
	s_and_b32 s5, s5, exec_lo
	s_delay_alu instid0(SALU_CYCLE_1)
	s_or_b32 s23, s23, s5
	s_and_not1_b32 exec_lo, exec_lo, s13
	s_cbranch_execz .LBB55_231
.LBB55_226:                             ;   Parent Loop BB55_33 Depth=1
                                        ; =>  This Inner Loop Header: Depth=2
	s_delay_alu instid0(VALU_DEP_1)
	v_cmp_gt_i64_e32 vcc_lo, s[10:11], v[4:5]
	v_mov_b32_e32 v27, 0
	s_and_saveexec_b32 s5, vcc_lo
	s_cbranch_execz .LBB55_228
; %bb.227:                              ;   in Loop: Header=BB55_226 Depth=2
	ds_load_b32 v27, v6
.LBB55_228:                             ;   in Loop: Header=BB55_226 Depth=2
	s_or_b32 exec_lo, exec_lo, s5
	s_and_saveexec_b32 s5, vcc_lo
	s_cbranch_execz .LBB55_225
; %bb.229:                              ;   in Loop: Header=BB55_226 Depth=2
	s_waitcnt lgkmcnt(0)
	v_cmp_lt_i32_e32 vcc_lo, -1, v27
	v_cndmask_b32_e64 v7, -1, 0x80000000, vcc_lo
	v_cmp_o_f32_e32 vcc_lo, v27, v27
	s_delay_alu instid0(VALU_DEP_2) | instskip(NEXT) | instid1(VALU_DEP_1)
	v_xor_b32_e32 v7, v7, v27
	v_cndmask_b32_e32 v7, -1, v7, vcc_lo
	s_delay_alu instid0(VALU_DEP_1) | instskip(NEXT) | instid1(VALU_DEP_1)
	v_and_b32_e32 v7, s96, v7
	v_cmp_eq_u32_e32 vcc_lo, s97, v7
	s_and_b32 exec_lo, exec_lo, vcc_lo
	s_cbranch_execz .LBB55_225
; %bb.230:                              ;   in Loop: Header=BB55_226 Depth=2
	ds_store_b64 v13, v[26:27] offset:3072
	s_branch .LBB55_225
.LBB55_231:                             ;   in Loop: Header=BB55_33 Depth=1
	s_set_inst_prefetch_distance 0x2
	s_or_b32 exec_lo, exec_lo, s13
	s_delay_alu instid0(SALU_CYCLE_1)
	s_and_b32 s24, s23, exec_lo
.LBB55_232:                             ;   in Loop: Header=BB55_33 Depth=1
	s_or_b32 exec_lo, exec_lo, s12
	s_mov_b32 s23, -1
	s_mov_b32 s12, 0
	s_mov_b32 s13, 0
.LBB55_233:                             ;   in Loop: Header=BB55_33 Depth=1
	s_mov_b32 s10, 0
                                        ; implicit-def: $sgpr5
	s_and_saveexec_b32 s50, s24
	s_cbranch_execz .LBB55_295
; %bb.234:                              ;   in Loop: Header=BB55_33 Depth=1
	s_xor_b32 s5, s64, -1
	s_delay_alu instid0(SALU_CYCLE_1)
	s_and_not1_b32 vcc_lo, exec_lo, s5
	s_mov_b32 s5, 1
	s_cbranch_vccnz .LBB55_245
; %bb.235:                              ;   in Loop: Header=BB55_33 Depth=1
	v_cmp_gt_i64_e64 s5, s[38:39], s[8:9]
	s_mov_b32 s10, -1
                                        ; implicit-def: $sgpr11
                                        ; implicit-def: $sgpr24
	s_delay_alu instid0(VALU_DEP_1)
	s_and_b32 vcc_lo, exec_lo, s5
                                        ; implicit-def: $sgpr5
	s_cbranch_vccnz .LBB55_241
; %bb.236:                              ;   in Loop: Header=BB55_33 Depth=1
	ds_load_b64 v[2:3], v13 offset:5120
	s_waitcnt lgkmcnt(0)
	v_cmp_ne_u64_e32 vcc_lo, 0, v[2:3]
	s_cbranch_vccnz .LBB55_240
; %bb.237:                              ;   in Loop: Header=BB55_33 Depth=1
	s_and_saveexec_b32 s5, s0
	s_cbranch_execz .LBB55_239
; %bb.238:                              ;   in Loop: Header=BB55_33 Depth=1
	v_dual_mov_b32 v2, s8 :: v_dual_mov_b32 v3, s9
	ds_store_b64 v13, v[2:3] offset:5128
.LBB55_239:                             ;   in Loop: Header=BB55_33 Depth=1
	s_or_b32 exec_lo, exec_lo, s5
	s_waitcnt lgkmcnt(0)
	s_barrier
	buffer_gl0_inv
.LBB55_240:                             ;   in Loop: Header=BB55_33 Depth=1
	s_lshl_b32 s5, 2, s19
	s_and_b32 s10, s97, s20
	s_or_b32 s24, s96, s18
	s_or_b32 s11, s10, s5
	s_mov_b32 s10, 0
	s_mov_b32 s5, 8
.LBB55_241:                             ;   in Loop: Header=BB55_33 Depth=1
	s_and_not1_b32 vcc_lo, exec_lo, s10
	s_cbranch_vccnz .LBB55_243
; %bb.242:                              ;   in Loop: Header=BB55_33 Depth=1
	s_sub_u32 s38, s38, s8
	s_subb_u32 s39, s39, s9
	s_mov_b32 s10, -1
	s_mov_b32 s5, 0
	s_mov_b32 s11, s97
	;; [unrolled: 1-line block ×3, first 2 shown]
.LBB55_243:                             ;   in Loop: Header=BB55_33 Depth=1
	s_delay_alu instid0(SALU_CYCLE_1)
	s_mov_b32 s96, s24
	s_mov_b32 s97, s11
	s_and_not1_b32 vcc_lo, exec_lo, s10
	s_mov_b32 s65, -1
	s_cbranch_vccz .LBB55_246
.LBB55_244:                             ;   in Loop: Header=BB55_33 Depth=1
                                        ; implicit-def: $sgpr10
                                        ; implicit-def: $sgpr20
                                        ; implicit-def: $sgpr11
	s_branch .LBB55_294
.LBB55_245:                             ;   in Loop: Header=BB55_33 Depth=1
	s_mov_b64 s[38:39], 1
	s_and_not1_b32 vcc_lo, exec_lo, s10
	s_mov_b32 s65, -1
	s_cbranch_vccnz .LBB55_244
.LBB55_246:                             ;   in Loop: Header=BB55_33 Depth=1
	s_cmp_eq_u64 s[6:7], 1
	s_mov_b32 s24, -1
	s_cselect_b32 s5, -1, 0
	s_cmp_eq_u64 s[38:39], 1
	s_cselect_b32 s8, -1, 0
	s_delay_alu instid0(SALU_CYCLE_1) | instskip(NEXT) | instid1(SALU_CYCLE_1)
	s_and_b32 s19, s5, s8
	s_and_b32 vcc_lo, exec_lo, s19
	s_cbranch_vccz .LBB55_261
; %bb.247:                              ;   in Loop: Header=BB55_33 Depth=1
	ds_load_b64 v[2:3], v13 offset:5120
	s_waitcnt lgkmcnt(0)
	s_barrier
	buffer_gl0_inv
	v_readfirstlane_b32 s8, v2
	v_readfirstlane_b32 s9, v3
	s_and_saveexec_b32 s5, s3
	s_cbranch_execz .LBB55_249
; %bb.248:                              ;   in Loop: Header=BB55_33 Depth=1
	ds_store_b32 v44, v13
.LBB55_249:                             ;   in Loop: Header=BB55_33 Depth=1
	s_or_b32 exec_lo, exec_lo, s5
	s_delay_alu instid0(VALU_DEP_1)
	v_cmp_gt_i64_e64 s5, s[8:9], 0
	s_or_b32 s97, s97, s18
	s_or_b32 s96, s96, s18
	s_waitcnt lgkmcnt(0)
	s_barrier
	buffer_gl0_inv
	s_and_b32 vcc_lo, exec_lo, s5
	s_cbranch_vccnz .LBB55_264
; %bb.250:                              ;   in Loop: Header=BB55_33 Depth=1
	s_mov_b32 s24, s51
	s_delay_alu instid0(SALU_CYCLE_1)
	s_cmp_lg_u64 s[24:25], 0
	s_cbranch_scc0 .LBB55_300
; %bb.251:                              ;   in Loop: Header=BB55_33 Depth=1
	v_cvt_f32_u32_e32 v2, s33
	s_sub_u32 s11, 0, s33
	s_subb_u32 s20, 0, 0
	s_delay_alu instid0(VALU_DEP_1) | instskip(NEXT) | instid1(VALU_DEP_1)
	v_fmac_f32_e32 v2, 0x4f800000, v51
	v_rcp_f32_e32 v2, v2
	s_waitcnt_depctr 0xfff
	v_mul_f32_e32 v2, 0x5f7ffffc, v2
	s_delay_alu instid0(VALU_DEP_1) | instskip(NEXT) | instid1(VALU_DEP_1)
	v_mul_f32_e32 v3, 0x2f800000, v2
	v_trunc_f32_e32 v3, v3
	s_delay_alu instid0(VALU_DEP_1) | instskip(SKIP_1) | instid1(VALU_DEP_2)
	v_fmac_f32_e32 v2, 0xcf800000, v3
	v_cvt_u32_f32_e32 v3, v3
	v_cvt_u32_f32_e32 v2, v2
	s_delay_alu instid0(VALU_DEP_2) | instskip(NEXT) | instid1(VALU_DEP_2)
	v_readfirstlane_b32 s5, v3
	v_readfirstlane_b32 s10, v2
	s_delay_alu instid0(VALU_DEP_2) | instskip(NEXT) | instid1(VALU_DEP_1)
	s_mul_i32 s24, s11, s5
	s_mul_hi_u32 s65, s11, s10
	s_mul_i32 s64, s20, s10
	s_add_i32 s24, s65, s24
	s_mul_i32 s66, s11, s10
	s_add_i32 s24, s24, s64
	s_mul_hi_u32 s65, s10, s66
	s_mul_hi_u32 s67, s5, s66
	s_mul_i32 s64, s5, s66
	s_mul_hi_u32 s66, s10, s24
	s_mul_i32 s10, s10, s24
	s_mul_hi_u32 s68, s5, s24
	s_add_u32 s10, s65, s10
	s_addc_u32 s65, 0, s66
	s_add_u32 s10, s10, s64
	s_mul_i32 s24, s5, s24
	s_addc_u32 s10, s65, s67
	s_addc_u32 s64, s68, 0
	s_add_u32 s10, s10, s24
	s_addc_u32 s24, 0, s64
	v_add_co_u32 v2, s10, v2, s10
	s_delay_alu instid0(VALU_DEP_1) | instskip(SKIP_1) | instid1(VALU_DEP_1)
	s_cmp_lg_u32 s10, 0
	s_addc_u32 s5, s5, s24
	v_readfirstlane_b32 s10, v2
	s_mul_i32 s24, s11, s5
	s_delay_alu instid0(VALU_DEP_1)
	s_mul_hi_u32 s64, s11, s10
	s_mul_i32 s20, s20, s10
	s_add_i32 s24, s64, s24
	s_mul_i32 s11, s11, s10
	s_add_i32 s24, s24, s20
	s_mul_hi_u32 s64, s5, s11
	s_mul_i32 s65, s5, s11
	s_mul_hi_u32 s11, s10, s11
	s_mul_hi_u32 s66, s10, s24
	s_mul_i32 s10, s10, s24
	s_mul_hi_u32 s20, s5, s24
	s_add_u32 s10, s11, s10
	s_addc_u32 s11, 0, s66
	s_add_u32 s10, s10, s65
	s_mul_i32 s24, s5, s24
	s_addc_u32 s10, s11, s64
	s_addc_u32 s11, s20, 0
	s_add_u32 s10, s10, s24
	s_addc_u32 s11, 0, s11
	v_add_co_u32 v2, s10, v2, s10
	s_delay_alu instid0(VALU_DEP_1) | instskip(SKIP_2) | instid1(VALU_DEP_1)
	s_cmp_lg_u32 s10, 0
	s_addc_u32 s5, s5, s11
	s_ashr_i32 s10, s25, 31
	v_readfirstlane_b32 s20, v2
	s_add_u32 s64, s80, s10
	s_mov_b32 s11, s10
	s_addc_u32 s65, s25, s10
	s_delay_alu instid0(SALU_CYCLE_1) | instskip(NEXT) | instid1(SALU_CYCLE_1)
	s_xor_b64 s[64:65], s[64:65], s[10:11]
	s_mul_i32 s24, s64, s5
	s_mul_hi_u32 s66, s64, s20
	s_mul_hi_u32 s11, s64, s5
	;; [unrolled: 1-line block ×3, first 2 shown]
	s_mul_i32 s20, s65, s20
	s_add_u32 s24, s66, s24
	s_addc_u32 s11, 0, s11
	s_mul_hi_u32 s67, s65, s5
	s_add_u32 s20, s24, s20
	s_mul_i32 s5, s65, s5
	s_addc_u32 s11, s11, s68
	s_addc_u32 s20, s67, 0
	s_add_u32 s5, s11, s5
	s_addc_u32 s11, 0, s20
	s_mul_hi_u32 s20, s33, s5
	s_mul_i32 s5, s33, s5
	s_mul_i32 s11, s33, s11
	v_sub_co_u32 v2, s5, s64, s5
	s_add_i32 s20, s20, s11
	s_cmp_lg_u32 s5, 0
	s_delay_alu instid0(VALU_DEP_1) | instskip(SKIP_2) | instid1(VALU_DEP_1)
	v_sub_co_u32 v3, s5, v2, s33
	s_subb_u32 s11, s65, s20
	s_cmp_lg_u32 s5, 0
	v_cmp_le_u32_e32 vcc_lo, s33, v3
	v_sub_co_u32 v4, s5, v3, s33
	s_subb_u32 s20, s11, 0
	s_cmp_lg_u32 s5, 0
	v_cndmask_b32_e64 v5, 0, -1, vcc_lo
	s_subb_u32 s5, s20, 0
	s_cmp_eq_u32 s20, 0
	v_mov_b32_e32 v7, s5
	s_cselect_b32 vcc_lo, -1, 0
	s_cmp_eq_u32 s11, 0
	v_cndmask_b32_e32 v5, -1, v5, vcc_lo
	v_cmp_le_u32_e32 vcc_lo, s33, v2
	s_cselect_b32 s5, -1, 0
	v_cndmask_b32_e64 v6, 0, -1, vcc_lo
	s_delay_alu instid0(VALU_DEP_3) | instskip(NEXT) | instid1(VALU_DEP_2)
	v_cmp_ne_u32_e32 vcc_lo, 0, v5
	v_cndmask_b32_e64 v5, -1, v6, s5
	v_cndmask_b32_e32 v3, v3, v4, vcc_lo
	v_cndmask_b32_e32 v6, s20, v7, vcc_lo
	s_delay_alu instid0(VALU_DEP_3) | instskip(NEXT) | instid1(VALU_DEP_3)
	v_cmp_ne_u32_e32 vcc_lo, 0, v5
	v_cndmask_b32_e32 v2, v2, v3, vcc_lo
	s_delay_alu instid0(VALU_DEP_3) | instskip(NEXT) | instid1(VALU_DEP_2)
	v_cndmask_b32_e32 v4, s11, v6, vcc_lo
	v_xor_b32_e32 v2, s10, v2
	s_delay_alu instid0(VALU_DEP_2) | instskip(NEXT) | instid1(VALU_DEP_2)
	v_xor_b32_e32 v3, s10, v4
	v_sub_co_u32 v2, vcc_lo, v2, s10
	s_delay_alu instid0(VALU_DEP_2)
	v_subrev_co_ci_u32_e32 v3, vcc_lo, s10, v3, vcc_lo
	s_cbranch_execnz .LBB55_253
.LBB55_252:                             ;   in Loop: Header=BB55_33 Depth=1
	v_cvt_f32_u32_e32 v2, s33
	s_sub_i32 s5, 0, s33
	s_delay_alu instid0(VALU_DEP_1) | instskip(SKIP_2) | instid1(VALU_DEP_1)
	v_rcp_iflag_f32_e32 v2, v2
	s_waitcnt_depctr 0xfff
	v_mul_f32_e32 v2, 0x4f7ffffe, v2
	v_cvt_u32_f32_e32 v2, v2
	s_delay_alu instid0(VALU_DEP_1) | instskip(NEXT) | instid1(VALU_DEP_1)
	v_mul_lo_u32 v3, s5, v2
	v_mul_hi_u32 v3, v2, v3
	s_delay_alu instid0(VALU_DEP_1) | instskip(NEXT) | instid1(VALU_DEP_1)
	v_add_nc_u32_e32 v2, v2, v3
	v_mul_hi_u32 v2, s80, v2
	s_delay_alu instid0(VALU_DEP_1) | instskip(NEXT) | instid1(VALU_DEP_1)
	v_mul_lo_u32 v2, v2, s33
	v_sub_nc_u32_e32 v2, s80, v2
	s_delay_alu instid0(VALU_DEP_1) | instskip(SKIP_1) | instid1(VALU_DEP_2)
	v_subrev_nc_u32_e32 v3, s33, v2
	v_cmp_le_u32_e32 vcc_lo, s33, v2
	v_cndmask_b32_e32 v2, v2, v3, vcc_lo
	s_delay_alu instid0(VALU_DEP_1) | instskip(SKIP_1) | instid1(VALU_DEP_2)
	v_subrev_nc_u32_e32 v3, s33, v2
	v_cmp_le_u32_e32 vcc_lo, s33, v2
	v_cndmask_b32_e32 v12, v2, v3, vcc_lo
	s_delay_alu instid0(VALU_DEP_1)
	v_dual_mov_b32 v2, v12 :: v_dual_mov_b32 v3, v13
.LBB55_253:                             ;   in Loop: Header=BB55_33 Depth=1
	s_delay_alu instid0(VALU_DEP_1) | instskip(NEXT) | instid1(VALU_DEP_2)
	v_sub_co_u32 v2, vcc_lo, s80, v2
	v_sub_co_ci_u32_e32 v3, vcc_lo, s25, v3, vcc_lo
	s_mov_b32 s24, 0
	s_mov_b32 s10, exec_lo
                                        ; implicit-def: $vgpr28
	s_delay_alu instid0(VALU_DEP_1)
	v_cmpx_gt_i64_e64 v[2:3], v[0:1]
	s_cbranch_execz .LBB55_266
; %bb.254:                              ;   in Loop: Header=BB55_33 Depth=1
	v_dual_mov_b32 v4, v10 :: v_dual_mov_b32 v5, v11
	v_dual_mov_b32 v7, v1 :: v_dual_mov_b32 v6, v0
	s_mov_b32 s11, 0
                                        ; implicit-def: $sgpr20
	s_set_inst_prefetch_distance 0x1
	s_branch .LBB55_256
	.p2align	6
.LBB55_255:                             ;   in Loop: Header=BB55_256 Depth=2
	s_or_b32 exec_lo, exec_lo, s5
	s_waitcnt vmcnt(0) lgkmcnt(0)
	s_barrier
	buffer_gl0_inv
	ds_load_b64 v[27:28], v13 offset:3072
	v_add_co_u32 v6, vcc_lo, v6, s33
	v_add_co_ci_u32_e32 v7, vcc_lo, 0, v7, vcc_lo
	s_waitcnt lgkmcnt(0)
	s_barrier
	buffer_gl0_inv
	v_cmp_ge_i64_e32 vcc_lo, v[6:7], v[2:3]
	v_cmp_neq_f32_e64 s5, 0, v27
	s_delay_alu instid0(VALU_DEP_1)
	s_or_b32 s24, s5, vcc_lo
	v_add_co_u32 v4, vcc_lo, v4, s52
	s_and_b32 s24, exec_lo, s24
	v_add_co_ci_u32_e32 v5, vcc_lo, s53, v5, vcc_lo
	s_or_b32 s11, s24, s11
	s_and_not1_b32 s20, s20, exec_lo
	s_and_b32 s5, s5, exec_lo
	s_delay_alu instid0(SALU_CYCLE_1)
	s_or_b32 s20, s20, s5
	s_and_not1_b32 exec_lo, exec_lo, s11
	s_cbranch_execz .LBB55_265
.LBB55_256:                             ;   Parent Loop BB55_33 Depth=1
                                        ; =>  This Inner Loop Header: Depth=2
	s_delay_alu instid0(VALU_DEP_1)
	v_cmp_gt_i64_e32 vcc_lo, s[36:37], v[6:7]
	v_mov_b32_e32 v27, 0
	s_and_saveexec_b32 s5, vcc_lo
	s_cbranch_execz .LBB55_258
; %bb.257:                              ;   in Loop: Header=BB55_256 Depth=2
	global_load_b32 v27, v[4:5], off
.LBB55_258:                             ;   in Loop: Header=BB55_256 Depth=2
	s_or_b32 exec_lo, exec_lo, s5
	s_and_saveexec_b32 s5, vcc_lo
	s_cbranch_execz .LBB55_255
; %bb.259:                              ;   in Loop: Header=BB55_256 Depth=2
	s_waitcnt vmcnt(0)
	v_cmp_lt_i32_e32 vcc_lo, -1, v27
	v_cndmask_b32_e64 v8, -1, 0x80000000, vcc_lo
	v_cmp_o_f32_e32 vcc_lo, v27, v27
	s_delay_alu instid0(VALU_DEP_2) | instskip(NEXT) | instid1(VALU_DEP_1)
	v_xor_b32_e32 v8, v8, v27
	v_cndmask_b32_e32 v8, -1, v8, vcc_lo
	s_delay_alu instid0(VALU_DEP_1) | instskip(NEXT) | instid1(VALU_DEP_1)
	v_and_b32_e32 v8, s96, v8
	v_cmp_eq_u32_e32 vcc_lo, s97, v8
	s_and_b32 exec_lo, exec_lo, vcc_lo
	s_cbranch_execz .LBB55_255
; %bb.260:                              ;   in Loop: Header=BB55_256 Depth=2
	ds_store_b64 v13, v[26:27] offset:3072
	s_branch .LBB55_255
.LBB55_261:                             ;   in Loop: Header=BB55_33 Depth=1
                                        ; implicit-def: $sgpr10
                                        ; implicit-def: $sgpr20
                                        ; implicit-def: $sgpr11
	s_branch .LBB55_280
.LBB55_262:                             ;   in Loop: Header=BB55_33 Depth=1
                                        ; implicit-def: $vgpr2_vgpr3
	s_branch .LBB55_205
.LBB55_263:                             ;   in Loop: Header=BB55_33 Depth=1
                                        ; implicit-def: $vgpr2_vgpr3
	s_branch .LBB55_222
.LBB55_264:                             ;   in Loop: Header=BB55_33 Depth=1
	s_mov_b32 s10, -1
	s_mov_b32 s24, 0
                                        ; implicit-def: $sgpr11
                                        ; implicit-def: $vgpr28
	s_mov_b32 s20, s10
	s_cbranch_execnz .LBB55_267
	s_branch .LBB55_280
.LBB55_265:                             ;   in Loop: Header=BB55_33 Depth=1
	s_set_inst_prefetch_distance 0x2
	s_or_b32 exec_lo, exec_lo, s11
	s_delay_alu instid0(SALU_CYCLE_1)
	s_and_b32 s24, s20, exec_lo
.LBB55_266:                             ;   in Loop: Header=BB55_33 Depth=1
	s_or_b32 exec_lo, exec_lo, s10
	s_mov_b32 s11, -1
	s_mov_b32 s10, 0
	s_delay_alu instid0(SALU_CYCLE_1)
	s_mov_b32 s20, s10
	s_branch .LBB55_280
.LBB55_267:                             ;   in Loop: Header=BB55_33 Depth=1
	s_add_u32 s20, s78, s8
	s_addc_u32 s11, s79, s9
	s_mov_b32 s10, s51
	s_delay_alu instid0(SALU_CYCLE_1)
	s_cmp_lg_u64 s[10:11], 0
	s_cbranch_scc0 .LBB55_301
; %bb.268:                              ;   in Loop: Header=BB55_33 Depth=1
	v_cvt_f32_u32_e32 v2, s33
	s_sub_u32 s24, 0, s33
	s_subb_u32 s64, 0, 0
	s_delay_alu instid0(VALU_DEP_1) | instskip(NEXT) | instid1(VALU_DEP_1)
	v_fmac_f32_e32 v2, 0x4f800000, v51
	v_rcp_f32_e32 v2, v2
	s_waitcnt_depctr 0xfff
	v_mul_f32_e32 v2, 0x5f7ffffc, v2
	s_delay_alu instid0(VALU_DEP_1) | instskip(NEXT) | instid1(VALU_DEP_1)
	v_mul_f32_e32 v3, 0x2f800000, v2
	v_trunc_f32_e32 v3, v3
	s_delay_alu instid0(VALU_DEP_1) | instskip(SKIP_1) | instid1(VALU_DEP_2)
	v_fmac_f32_e32 v2, 0xcf800000, v3
	v_cvt_u32_f32_e32 v3, v3
	v_cvt_u32_f32_e32 v2, v2
	s_delay_alu instid0(VALU_DEP_2) | instskip(NEXT) | instid1(VALU_DEP_2)
	v_readfirstlane_b32 s5, v3
	v_readfirstlane_b32 s10, v2
	s_delay_alu instid0(VALU_DEP_2) | instskip(NEXT) | instid1(VALU_DEP_1)
	s_mul_i32 s65, s24, s5
	s_mul_hi_u32 s67, s24, s10
	s_mul_i32 s66, s64, s10
	s_add_i32 s65, s67, s65
	s_mul_i32 s68, s24, s10
	s_add_i32 s65, s65, s66
	s_mul_hi_u32 s67, s10, s68
	s_mul_hi_u32 s69, s5, s68
	s_mul_i32 s66, s5, s68
	s_mul_hi_u32 s68, s10, s65
	s_mul_i32 s10, s10, s65
	s_mul_hi_u32 s70, s5, s65
	s_add_u32 s10, s67, s10
	s_addc_u32 s67, 0, s68
	s_add_u32 s10, s10, s66
	s_mul_i32 s65, s5, s65
	s_addc_u32 s10, s67, s69
	s_addc_u32 s66, s70, 0
	s_add_u32 s10, s10, s65
	s_addc_u32 s65, 0, s66
	v_add_co_u32 v2, s10, v2, s10
	s_delay_alu instid0(VALU_DEP_1) | instskip(SKIP_1) | instid1(VALU_DEP_1)
	s_cmp_lg_u32 s10, 0
	s_addc_u32 s5, s5, s65
	v_readfirstlane_b32 s10, v2
	s_mul_i32 s65, s24, s5
	s_delay_alu instid0(VALU_DEP_1)
	s_mul_hi_u32 s66, s24, s10
	s_mul_i32 s64, s64, s10
	s_add_i32 s65, s66, s65
	s_mul_i32 s24, s24, s10
	s_add_i32 s65, s65, s64
	s_mul_hi_u32 s66, s5, s24
	s_mul_i32 s67, s5, s24
	s_mul_hi_u32 s24, s10, s24
	s_mul_hi_u32 s68, s10, s65
	s_mul_i32 s10, s10, s65
	s_mul_hi_u32 s64, s5, s65
	s_add_u32 s10, s24, s10
	s_addc_u32 s24, 0, s68
	s_add_u32 s10, s10, s67
	s_mul_i32 s65, s5, s65
	s_addc_u32 s10, s24, s66
	s_addc_u32 s24, s64, 0
	s_add_u32 s10, s10, s65
	s_addc_u32 s24, 0, s24
	v_add_co_u32 v2, s10, v2, s10
	s_delay_alu instid0(VALU_DEP_1) | instskip(SKIP_2) | instid1(VALU_DEP_1)
	s_cmp_lg_u32 s10, 0
	s_addc_u32 s5, s5, s24
	s_ashr_i32 s64, s11, 31
	v_readfirstlane_b32 s10, v2
	s_add_u32 s66, s20, s64
	s_mov_b32 s65, s64
	s_addc_u32 s67, s11, s64
	s_delay_alu instid0(SALU_CYCLE_1) | instskip(NEXT) | instid1(SALU_CYCLE_1)
	s_xor_b64 s[66:67], s[66:67], s[64:65]
	s_mul_i32 s65, s66, s5
	s_mul_hi_u32 s68, s66, s10
	s_mul_hi_u32 s24, s66, s5
	;; [unrolled: 1-line block ×3, first 2 shown]
	s_mul_i32 s10, s67, s10
	s_add_u32 s65, s68, s65
	s_addc_u32 s24, 0, s24
	s_mul_hi_u32 s69, s67, s5
	s_add_u32 s10, s65, s10
	s_mul_i32 s5, s67, s5
	s_addc_u32 s10, s24, s70
	s_addc_u32 s24, s69, 0
	s_add_u32 s5, s10, s5
	s_addc_u32 s10, 0, s24
	s_mul_hi_u32 s24, s33, s5
	s_mul_i32 s5, s33, s5
	s_mul_i32 s10, s33, s10
	v_sub_co_u32 v2, s5, s66, s5
	s_add_i32 s24, s24, s10
	s_cmp_lg_u32 s5, 0
	s_delay_alu instid0(VALU_DEP_1) | instskip(SKIP_2) | instid1(VALU_DEP_1)
	v_sub_co_u32 v3, s5, v2, s33
	s_subb_u32 s10, s67, s24
	s_cmp_lg_u32 s5, 0
	v_cmp_le_u32_e32 vcc_lo, s33, v3
	v_sub_co_u32 v4, s5, v3, s33
	s_subb_u32 s24, s10, 0
	s_cmp_lg_u32 s5, 0
	v_cndmask_b32_e64 v5, 0, -1, vcc_lo
	s_subb_u32 s5, s24, 0
	s_cmp_eq_u32 s24, 0
	v_mov_b32_e32 v7, s5
	s_cselect_b32 vcc_lo, -1, 0
	s_cmp_eq_u32 s10, 0
	v_cndmask_b32_e32 v5, -1, v5, vcc_lo
	v_cmp_le_u32_e32 vcc_lo, s33, v2
	s_cselect_b32 s5, -1, 0
	v_cndmask_b32_e64 v6, 0, -1, vcc_lo
	s_delay_alu instid0(VALU_DEP_3) | instskip(NEXT) | instid1(VALU_DEP_2)
	v_cmp_ne_u32_e32 vcc_lo, 0, v5
	v_cndmask_b32_e64 v5, -1, v6, s5
	v_cndmask_b32_e32 v3, v3, v4, vcc_lo
	v_cndmask_b32_e32 v6, s24, v7, vcc_lo
	s_delay_alu instid0(VALU_DEP_3) | instskip(NEXT) | instid1(VALU_DEP_3)
	v_cmp_ne_u32_e32 vcc_lo, 0, v5
	v_cndmask_b32_e32 v2, v2, v3, vcc_lo
	s_delay_alu instid0(VALU_DEP_3) | instskip(NEXT) | instid1(VALU_DEP_2)
	v_cndmask_b32_e32 v4, s10, v6, vcc_lo
	v_xor_b32_e32 v2, s64, v2
	s_delay_alu instid0(VALU_DEP_2) | instskip(NEXT) | instid1(VALU_DEP_2)
	v_xor_b32_e32 v3, s64, v4
	v_sub_co_u32 v2, vcc_lo, v2, s64
	s_delay_alu instid0(VALU_DEP_2)
	v_subrev_co_ci_u32_e32 v3, vcc_lo, s64, v3, vcc_lo
	s_cbranch_execnz .LBB55_270
.LBB55_269:                             ;   in Loop: Header=BB55_33 Depth=1
	v_cvt_f32_u32_e32 v2, s33
	s_sub_i32 s5, 0, s33
	s_delay_alu instid0(VALU_DEP_1) | instskip(SKIP_2) | instid1(VALU_DEP_1)
	v_rcp_iflag_f32_e32 v2, v2
	s_waitcnt_depctr 0xfff
	v_mul_f32_e32 v2, 0x4f7ffffe, v2
	v_cvt_u32_f32_e32 v2, v2
	s_delay_alu instid0(VALU_DEP_1) | instskip(NEXT) | instid1(VALU_DEP_1)
	v_mul_lo_u32 v3, s5, v2
	v_mul_hi_u32 v3, v2, v3
	s_delay_alu instid0(VALU_DEP_1) | instskip(NEXT) | instid1(VALU_DEP_1)
	v_add_nc_u32_e32 v2, v2, v3
	v_mul_hi_u32 v2, s20, v2
	s_delay_alu instid0(VALU_DEP_1) | instskip(NEXT) | instid1(VALU_DEP_1)
	v_mul_lo_u32 v2, v2, s33
	v_sub_nc_u32_e32 v2, s20, v2
	s_delay_alu instid0(VALU_DEP_1) | instskip(SKIP_1) | instid1(VALU_DEP_2)
	v_subrev_nc_u32_e32 v3, s33, v2
	v_cmp_le_u32_e32 vcc_lo, s33, v2
	v_cndmask_b32_e32 v2, v2, v3, vcc_lo
	s_delay_alu instid0(VALU_DEP_1) | instskip(SKIP_1) | instid1(VALU_DEP_2)
	v_subrev_nc_u32_e32 v3, s33, v2
	v_cmp_le_u32_e32 vcc_lo, s33, v2
	v_cndmask_b32_e32 v12, v2, v3, vcc_lo
	s_delay_alu instid0(VALU_DEP_1)
	v_dual_mov_b32 v2, v12 :: v_dual_mov_b32 v3, v13
.LBB55_270:                             ;   in Loop: Header=BB55_33 Depth=1
	s_delay_alu instid0(VALU_DEP_1) | instskip(NEXT) | instid1(VALU_DEP_2)
	v_sub_co_u32 v2, vcc_lo, s20, v2
	v_sub_co_ci_u32_e32 v3, vcc_lo, s11, v3, vcc_lo
	s_mov_b32 s24, 0
	s_mov_b32 s10, exec_lo
                                        ; implicit-def: $vgpr28
	s_delay_alu instid0(VALU_DEP_1)
	v_cmpx_gt_i64_e64 v[2:3], v[0:1]
	s_cbranch_execz .LBB55_279
; %bb.271:                              ;   in Loop: Header=BB55_33 Depth=1
	v_dual_mov_b32 v6, v14 :: v_dual_mov_b32 v5, v1
	v_mov_b32_e32 v4, v0
	s_mov_b32 s11, 0
                                        ; implicit-def: $sgpr20
	s_set_inst_prefetch_distance 0x1
	s_branch .LBB55_273
	.p2align	6
.LBB55_272:                             ;   in Loop: Header=BB55_273 Depth=2
	s_or_b32 exec_lo, exec_lo, s5
	s_waitcnt lgkmcnt(0)
	s_barrier
	buffer_gl0_inv
	ds_load_b64 v[27:28], v13 offset:3072
	v_add_co_u32 v4, vcc_lo, v4, s33
	v_add_co_ci_u32_e32 v5, vcc_lo, 0, v5, vcc_lo
	v_add_nc_u32_e32 v6, s86, v6
	s_waitcnt lgkmcnt(0)
	s_barrier
	s_delay_alu instid0(VALU_DEP_2) | instskip(SKIP_2) | instid1(VALU_DEP_1)
	v_cmp_ge_i64_e32 vcc_lo, v[4:5], v[2:3]
	buffer_gl0_inv
	v_cmp_neq_f32_e64 s5, 0, v27
	s_or_b32 s24, s5, vcc_lo
	s_delay_alu instid0(SALU_CYCLE_1) | instskip(NEXT) | instid1(SALU_CYCLE_1)
	s_and_b32 s24, exec_lo, s24
	s_or_b32 s11, s24, s11
	s_and_not1_b32 s20, s20, exec_lo
	s_and_b32 s5, s5, exec_lo
	s_delay_alu instid0(SALU_CYCLE_1)
	s_or_b32 s20, s20, s5
	s_and_not1_b32 exec_lo, exec_lo, s11
	s_cbranch_execz .LBB55_278
.LBB55_273:                             ;   Parent Loop BB55_33 Depth=1
                                        ; =>  This Inner Loop Header: Depth=2
	s_delay_alu instid0(VALU_DEP_1)
	v_cmp_gt_i64_e32 vcc_lo, s[8:9], v[4:5]
	v_mov_b32_e32 v27, 0
	s_and_saveexec_b32 s5, vcc_lo
	s_cbranch_execz .LBB55_275
; %bb.274:                              ;   in Loop: Header=BB55_273 Depth=2
	ds_load_b32 v27, v6
.LBB55_275:                             ;   in Loop: Header=BB55_273 Depth=2
	s_or_b32 exec_lo, exec_lo, s5
	s_and_saveexec_b32 s5, vcc_lo
	s_cbranch_execz .LBB55_272
; %bb.276:                              ;   in Loop: Header=BB55_273 Depth=2
	s_waitcnt lgkmcnt(0)
	v_cmp_lt_i32_e32 vcc_lo, -1, v27
	v_cndmask_b32_e64 v7, -1, 0x80000000, vcc_lo
	v_cmp_o_f32_e32 vcc_lo, v27, v27
	s_delay_alu instid0(VALU_DEP_2) | instskip(NEXT) | instid1(VALU_DEP_1)
	v_xor_b32_e32 v7, v7, v27
	v_cndmask_b32_e32 v7, -1, v7, vcc_lo
	s_delay_alu instid0(VALU_DEP_1) | instskip(NEXT) | instid1(VALU_DEP_1)
	v_and_b32_e32 v7, s96, v7
	v_cmp_eq_u32_e32 vcc_lo, s97, v7
	s_and_b32 exec_lo, exec_lo, vcc_lo
	s_cbranch_execz .LBB55_272
; %bb.277:                              ;   in Loop: Header=BB55_273 Depth=2
	ds_store_b64 v13, v[26:27] offset:3072
	s_branch .LBB55_272
.LBB55_278:                             ;   in Loop: Header=BB55_33 Depth=1
	s_set_inst_prefetch_distance 0x2
	s_or_b32 exec_lo, exec_lo, s11
	s_delay_alu instid0(SALU_CYCLE_1)
	s_and_b32 s24, s20, exec_lo
.LBB55_279:                             ;   in Loop: Header=BB55_33 Depth=1
	s_or_b32 exec_lo, exec_lo, s10
	s_mov_b32 s20, -1
	s_mov_b32 s10, 0
	s_mov_b32 s11, 0
.LBB55_280:                             ;   in Loop: Header=BB55_33 Depth=1
	s_mov_b32 s65, 0
                                        ; implicit-def: $sgpr5
                                        ; implicit-def: $sgpr8_sgpr9
	s_and_saveexec_b32 s64, s24
	s_cbranch_execz .LBB55_293
; %bb.281:                              ;   in Loop: Header=BB55_33 Depth=1
	s_xor_b32 s5, s19, -1
	s_mov_b64 s[8:9], 1
	s_and_not1_b32 vcc_lo, exec_lo, s5
	s_mov_b32 s5, 1
	s_cbranch_vccnz .LBB55_292
; %bb.282:                              ;   in Loop: Header=BB55_33 Depth=1
	v_cmp_gt_i64_e64 s5, s[38:39], s[6:7]
	s_delay_alu instid0(VALU_DEP_1)
	s_and_b32 vcc_lo, exec_lo, s5
	s_cbranch_vccnz .LBB55_288
; %bb.283:                              ;   in Loop: Header=BB55_33 Depth=1
	ds_load_b64 v[2:3], v13 offset:5120
	s_waitcnt lgkmcnt(0)
	v_cmp_ne_u64_e32 vcc_lo, 0, v[2:3]
	s_cbranch_vccnz .LBB55_287
; %bb.284:                              ;   in Loop: Header=BB55_33 Depth=1
	s_and_saveexec_b32 s5, s0
	s_cbranch_execz .LBB55_286
; %bb.285:                              ;   in Loop: Header=BB55_33 Depth=1
	v_dual_mov_b32 v2, s6 :: v_dual_mov_b32 v3, s7
	ds_store_b64 v13, v[2:3] offset:5128
.LBB55_286:                             ;   in Loop: Header=BB55_33 Depth=1
	s_or_b32 exec_lo, exec_lo, s5
	s_waitcnt lgkmcnt(0)
	s_barrier
	buffer_gl0_inv
.LBB55_287:                             ;   in Loop: Header=BB55_33 Depth=1
	s_or_b32 s19, s97, s18
	s_or_b32 s18, s96, s18
	s_mov_b32 s8, 0
	s_mov_b32 s5, 8
	s_branch .LBB55_289
.LBB55_288:                             ;   in Loop: Header=BB55_33 Depth=1
	s_mov_b32 s8, -1
                                        ; implicit-def: $sgpr5
                                        ; implicit-def: $sgpr19
                                        ; implicit-def: $sgpr18
.LBB55_289:                             ;   in Loop: Header=BB55_33 Depth=1
	s_delay_alu instid0(SALU_CYCLE_1)
	s_and_not1_b32 vcc_lo, exec_lo, s8
	s_cbranch_vccnz .LBB55_291
; %bb.290:                              ;   in Loop: Header=BB55_33 Depth=1
	s_sub_u32 s38, s38, s6
	s_subb_u32 s39, s39, s7
	s_mov_b32 s5, 8
	s_mov_b32 s19, s97
	;; [unrolled: 1-line block ×3, first 2 shown]
.LBB55_291:                             ;   in Loop: Header=BB55_33 Depth=1
	s_mov_b64 s[8:9], s[38:39]
	s_mov_b32 s97, s19
	s_mov_b32 s96, s18
.LBB55_292:                             ;   in Loop: Header=BB55_33 Depth=1
	s_mov_b32 s65, exec_lo
.LBB55_293:                             ;   in Loop: Header=BB55_33 Depth=1
	s_or_b32 exec_lo, exec_lo, s64
	s_mov_b64 s[38:39], s[8:9]
.LBB55_294:                             ;   in Loop: Header=BB55_33 Depth=1
	s_and_not1_b32 s6, s12, exec_lo
	s_and_b32 s7, s10, exec_lo
	s_and_not1_b32 s8, s13, exec_lo
	s_or_b32 s12, s6, s7
	s_and_not1_b32 s6, s23, exec_lo
	s_and_b32 s7, s20, exec_lo
	s_and_b32 s9, s11, exec_lo
	s_or_b32 s23, s6, s7
	s_or_b32 s13, s8, s9
	s_and_b32 s10, s65, exec_lo
.LBB55_295:                             ;   in Loop: Header=BB55_33 Depth=1
	s_or_b32 exec_lo, exec_lo, s50
.LBB55_296:                             ;   in Loop: Header=BB55_33 Depth=1
	s_delay_alu instid0(SALU_CYCLE_1)
	s_and_not1_b32 s6, s15, exec_lo
	s_and_b32 s7, s12, exec_lo
	s_and_not1_b32 s8, s14, exec_lo
	s_or_b32 s15, s6, s7
	s_and_not1_b32 s6, s21, exec_lo
	s_and_b32 s7, s23, exec_lo
	s_and_b32 s9, s13, exec_lo
	s_or_b32 s21, s6, s7
	s_or_b32 s14, s8, s9
	s_and_b32 s12, s10, exec_lo
.LBB55_297:                             ;   in Loop: Header=BB55_33 Depth=1
	s_or_b32 exec_lo, exec_lo, s22
	s_and_saveexec_b32 s6, s12
	s_delay_alu instid0(SALU_CYCLE_1)
	s_xor_b32 s6, exec_lo, s6
	s_cbranch_execz .LBB55_31
.LBB55_298:                             ;   in Loop: Header=BB55_33 Depth=1
	s_and_b32 s5, s5, -9
	s_delay_alu instid0(SALU_CYCLE_1)
	s_cmp_eq_u32 s5, 0
	s_cbranch_scc1 .LBB55_29
; %bb.299:                              ;   in Loop: Header=BB55_33 Depth=1
	s_mov_b32 s5, -1
	s_mov_b32 s7, -1
                                        ; implicit-def: $sgpr96
                                        ; implicit-def: $sgpr90
                                        ; implicit-def: $sgpr92
	s_branch .LBB55_30
.LBB55_300:                             ;   in Loop: Header=BB55_33 Depth=1
                                        ; implicit-def: $vgpr2_vgpr3
	s_branch .LBB55_252
.LBB55_301:                             ;   in Loop: Header=BB55_33 Depth=1
                                        ; implicit-def: $vgpr2_vgpr3
	s_branch .LBB55_269
.LBB55_302:
	s_or_b32 exec_lo, exec_lo, s87
	s_xor_b32 s5, s91, -1
	s_xor_b32 s2, s88, -1
	;; [unrolled: 1-line block ×3, first 2 shown]
	s_mov_b32 s3, 0
	s_and_saveexec_b32 s6, s2
	s_delay_alu instid0(SALU_CYCLE_1)
	s_xor_b32 s2, exec_lo, s6
	s_cbranch_execz .LBB55_325
; %bb.303:
	s_and_saveexec_b32 s3, s5
	s_delay_alu instid0(SALU_CYCLE_1)
	s_xor_b32 s3, exec_lo, s3
	s_cbranch_execz .LBB55_323
; %bb.304:
	s_and_saveexec_b32 s5, s4
	s_delay_alu instid0(SALU_CYCLE_1)
	s_xor_b32 s4, exec_lo, s5
; %bb.305:
	v_cmp_lt_i32_e32 vcc_lo, -1, v2
	v_cndmask_b32_e64 v3, 0x80000000, -1, vcc_lo
	s_delay_alu instid0(VALU_DEP_1)
	v_xor_b32_e32 v28, v3, v2
; %bb.306:
	s_or_b32 exec_lo, exec_lo, s4
	s_and_saveexec_b32 s4, s0
	s_cbranch_execz .LBB55_308
; %bb.307:
	v_dual_mov_b32 v2, 0 :: v_dual_mov_b32 v3, s36
	ds_store_b32 v2, v3 offset:5140
.LBB55_308:
	s_or_b32 exec_lo, exec_lo, s4
	s_waitcnt lgkmcnt(0)
	s_barrier
	buffer_gl0_inv
	s_and_saveexec_b32 s4, s1
	s_cbranch_execz .LBB55_320
; %bb.309:
	v_mov_b32_e32 v2, 0
	v_cmp_u_f32_e32 vcc_lo, v28, v28
	s_mov_b32 s5, 0
                                        ; implicit-def: $sgpr7
                                        ; implicit-def: $sgpr8
                                        ; implicit-def: $sgpr9
	ds_load_b32 v4, v2 offset:5140
	s_xor_b32 s6, vcc_lo, -1
	s_waitcnt lgkmcnt(0)
	v_ashrrev_i32_e32 v5, 31, v4
	s_set_inst_prefetch_distance 0x1
	s_branch .LBB55_312
	.p2align	6
.LBB55_310:                             ;   in Loop: Header=BB55_312 Depth=1
	s_or_b32 exec_lo, exec_lo, s13
	s_delay_alu instid0(SALU_CYCLE_1)
	s_and_not1_b32 s1, s9, exec_lo
	s_and_b32 s9, s11, exec_lo
	s_and_not1_b32 s8, s8, exec_lo
	s_and_b32 s11, s12, exec_lo
	s_or_b32 s9, s1, s9
	s_or_b32 s8, s8, s11
.LBB55_311:                             ;   in Loop: Header=BB55_312 Depth=1
	s_or_b32 exec_lo, exec_lo, s10
	s_delay_alu instid0(SALU_CYCLE_1) | instskip(NEXT) | instid1(SALU_CYCLE_1)
	s_and_b32 s1, exec_lo, s8
	s_or_b32 s5, s1, s5
	s_and_not1_b32 s1, s7, exec_lo
	s_and_b32 s7, s9, exec_lo
	s_delay_alu instid0(SALU_CYCLE_1)
	s_or_b32 s7, s1, s7
	s_and_not1_b32 exec_lo, exec_lo, s5
	s_cbranch_execz .LBB55_315
.LBB55_312:                             ; =>This Inner Loop Header: Depth=1
	v_dual_mov_b32 v3, v1 :: v_dual_mov_b32 v2, v0
	s_or_b32 s9, s9, exec_lo
	s_or_b32 s8, s8, exec_lo
	s_mov_b32 s10, exec_lo
                                        ; implicit-def: $vgpr0_vgpr1
	s_delay_alu instid0(VALU_DEP_1)
	v_cmpx_lt_i64_e64 v[2:3], v[4:5]
	s_cbranch_execz .LBB55_311
; %bb.313:                              ;   in Loop: Header=BB55_312 Depth=1
	global_load_b32 v0, v[10:11], off
	s_mov_b32 s12, -1
	s_waitcnt vmcnt(0)
	v_cmp_o_f32_e32 vcc_lo, v0, v0
	v_cmp_neq_f32_e64 s1, v0, v28
                                        ; implicit-def: $vgpr0_vgpr1
	s_or_b32 s11, vcc_lo, s6
	s_delay_alu instid0(VALU_DEP_1) | instid1(SALU_CYCLE_1)
	s_and_b32 s1, s1, s11
	s_mov_b32 s11, 0
	s_and_saveexec_b32 s13, s1
	s_cbranch_execz .LBB55_310
; %bb.314:                              ;   in Loop: Header=BB55_312 Depth=1
	v_add_co_u32 v0, vcc_lo, v2, s33
	v_add_co_ci_u32_e32 v1, vcc_lo, 0, v3, vcc_lo
	v_add_co_u32 v10, s1, v10, s52
	s_mov_b32 s11, exec_lo
	s_delay_alu instid0(VALU_DEP_2)
	v_cmp_le_i64_e32 vcc_lo, s[36:37], v[0:1]
	v_add_co_ci_u32_e64 v11, s1, s53, v11, s1
	s_or_not1_b32 s12, vcc_lo, exec_lo
	s_branch .LBB55_310
.LBB55_315:
	s_set_inst_prefetch_distance 0x2
	s_or_b32 exec_lo, exec_lo, s5
	s_xor_b32 s1, s7, -1
	s_delay_alu instid0(SALU_CYCLE_1) | instskip(NEXT) | instid1(SALU_CYCLE_1)
	s_and_saveexec_b32 s5, s1
	s_xor_b32 s5, exec_lo, s5
	s_cbranch_execz .LBB55_320
; %bb.316:
	s_mov_b32 s5, exec_lo
	s_brev_b32 s1, -2
.LBB55_317:                             ; =>This Inner Loop Header: Depth=1
	s_ctz_i32_b32 s6, s5
	s_delay_alu instid0(SALU_CYCLE_1) | instskip(SKIP_1) | instid1(SALU_CYCLE_1)
	v_readlane_b32 s7, v2, s6
	s_lshl_b32 s6, 1, s6
	s_and_not1_b32 s5, s5, s6
	s_delay_alu instid0(VALU_DEP_1)
	s_min_i32 s1, s1, s7
	s_cmp_lg_u32 s5, 0
	s_cbranch_scc1 .LBB55_317
; %bb.318:
	v_mbcnt_lo_u32_b32 v0, exec_lo, 0
	s_mov_b32 s5, exec_lo
	s_delay_alu instid0(VALU_DEP_1)
	v_cmpx_eq_u32_e32 0, v0
	s_xor_b32 s5, exec_lo, s5
	s_cbranch_execz .LBB55_320
; %bb.319:
	v_dual_mov_b32 v0, 0 :: v_dual_mov_b32 v1, s1
	ds_min_i32 v0, v1 offset:5140
.LBB55_320:
	s_or_b32 exec_lo, exec_lo, s4
	s_waitcnt lgkmcnt(0)
	s_barrier
	buffer_gl0_inv
	s_and_saveexec_b32 s1, s0
	s_cbranch_execz .LBB55_322
; %bb.321:
	v_mov_b32_e32 v2, 0
	s_mul_i32 s0, s30, s29
	s_mul_hi_u32 s5, s30, s28
	s_mul_i32 s6, s31, s28
	s_add_i32 s0, s5, s0
	ds_load_b32 v0, v2 offset:5140
	s_mul_i32 s7, s46, s41
	s_mul_hi_u32 s8, s46, s40
	s_mul_i32 s4, s30, s28
	s_add_i32 s5, s0, s6
	s_mul_i32 s9, s47, s40
	s_add_i32 s0, s8, s7
	s_lshl_b64 s[4:5], s[4:5], 2
	s_add_i32 s7, s0, s9
	s_add_u32 s0, s48, s4
	s_addc_u32 s8, s49, s5
	s_lshl_b64 s[4:5], s[26:27], 2
	s_mul_i32 s6, s46, s40
	s_add_u32 s4, s0, s4
	s_addc_u32 s5, s8, s5
	s_lshl_b64 s[6:7], s[6:7], 3
	s_delay_alu instid0(SALU_CYCLE_1)
	s_add_u32 s0, s44, s6
	s_addc_u32 s8, s45, s7
	s_lshl_b64 s[6:7], s[34:35], 3
	s_waitcnt lgkmcnt(0)
	v_ashrrev_i32_e32 v1, 31, v0
	s_add_u32 s6, s0, s6
	s_addc_u32 s7, s8, s7
	s_clause 0x1
	global_store_b64 v2, v[0:1], s[6:7]
	global_store_b32 v2, v28, s[4:5]
.LBB55_322:
	s_or_b32 exec_lo, exec_lo, s1
.LBB55_323:
	s_or_saveexec_b32 s0, s3
	s_mov_b32 s1, 0
	s_xor_b32 exec_lo, exec_lo, s0
	s_cbranch_execnz .LBB55_331
.LBB55_324:
	s_or_b32 exec_lo, exec_lo, s0
	s_delay_alu instid0(SALU_CYCLE_1)
	s_and_b32 s3, s1, exec_lo
.LBB55_325:
	s_and_not1_saveexec_b32 s0, s2
	s_cbranch_execnz .LBB55_329
; %bb.326:
	s_or_b32 exec_lo, exec_lo, s0
	s_and_saveexec_b32 s0, s3
.LBB55_327:
	; divergent unreachable
.LBB55_328:
	s_nop 0
	s_sendmsg sendmsg(MSG_DEALLOC_VGPRS)
	s_endpgm
.LBB55_329:
	s_cbranch_execnz .LBB55_333
; %bb.330:
	s_or_b32 s3, s3, exec_lo
	s_or_b32 exec_lo, exec_lo, s0
	s_and_saveexec_b32 s0, s3
	s_cbranch_execnz .LBB55_327
	s_branch .LBB55_328
.LBB55_331:
	s_cbranch_execnz .LBB55_335
; %bb.332:
	s_mov_b32 s1, exec_lo
	s_branch .LBB55_324
.LBB55_333:
	s_trap 2
	s_sendmsg_rtn_b32 s0, sendmsg(MSG_RTN_GET_DOORBELL)
	s_mov_b32 ttmp2, m0
	s_waitcnt lgkmcnt(0)
	s_and_b32 s0, s0, 0x3ff
	s_delay_alu instid0(SALU_CYCLE_1) | instskip(NEXT) | instid1(SALU_CYCLE_1)
	s_bitset1_b32 s0, 10
	s_mov_b32 m0, s0
	s_sendmsg sendmsg(MSG_INTERRUPT)
	s_mov_b32 m0, ttmp2
.LBB55_334:                             ; =>This Inner Loop Header: Depth=1
	s_sethalt 5
	s_branch .LBB55_334
.LBB55_335:
	s_trap 2
	s_sendmsg_rtn_b32 s0, sendmsg(MSG_RTN_GET_DOORBELL)
	s_mov_b32 ttmp2, m0
	s_waitcnt lgkmcnt(0)
	s_and_b32 s0, s0, 0x3ff
	s_delay_alu instid0(SALU_CYCLE_1) | instskip(NEXT) | instid1(SALU_CYCLE_1)
	s_bitset1_b32 s0, 10
	s_mov_b32 m0, s0
	s_sendmsg sendmsg(MSG_INTERRUPT)
	s_mov_b32 m0, ttmp2
.LBB55_336:                             ; =>This Inner Loop Header: Depth=1
	s_sethalt 5
	s_branch .LBB55_336
	.section	.rodata,"a",@progbits
	.p2align	6, 0x0
	.amdhsa_kernel _ZN2at6native12_GLOBAL__N_114gatherKthValueIflLin1EEEvNS_4cuda6detail10TensorInfoIKT_T0_EES8_S8_S8_S8_NS5_IS6_S8_EENS5_IlS8_EE
		.amdhsa_group_segment_fixed_size 5144
		.amdhsa_private_segment_fixed_size 0
		.amdhsa_kernarg_size 1536
		.amdhsa_user_sgpr_count 13
		.amdhsa_user_sgpr_dispatch_ptr 0
		.amdhsa_user_sgpr_queue_ptr 0
		.amdhsa_user_sgpr_kernarg_segment_ptr 1
		.amdhsa_user_sgpr_dispatch_id 0
		.amdhsa_user_sgpr_private_segment_size 0
		.amdhsa_wavefront_size32 1
		.amdhsa_uses_dynamic_stack 0
		.amdhsa_enable_private_segment 0
		.amdhsa_system_sgpr_workgroup_id_x 1
		.amdhsa_system_sgpr_workgroup_id_y 1
		.amdhsa_system_sgpr_workgroup_id_z 1
		.amdhsa_system_sgpr_workgroup_info 0
		.amdhsa_system_vgpr_workitem_id 0
		.amdhsa_next_free_vgpr 52
		.amdhsa_next_free_sgpr 103
		.amdhsa_reserve_vcc 1
		.amdhsa_float_round_mode_32 0
		.amdhsa_float_round_mode_16_64 0
		.amdhsa_float_denorm_mode_32 3
		.amdhsa_float_denorm_mode_16_64 3
		.amdhsa_dx10_clamp 1
		.amdhsa_ieee_mode 1
		.amdhsa_fp16_overflow 0
		.amdhsa_workgroup_processor_mode 1
		.amdhsa_memory_ordered 1
		.amdhsa_forward_progress 0
		.amdhsa_shared_vgpr_count 0
		.amdhsa_exception_fp_ieee_invalid_op 0
		.amdhsa_exception_fp_denorm_src 0
		.amdhsa_exception_fp_ieee_div_zero 0
		.amdhsa_exception_fp_ieee_overflow 0
		.amdhsa_exception_fp_ieee_underflow 0
		.amdhsa_exception_fp_ieee_inexact 0
		.amdhsa_exception_int_div_zero 0
	.end_amdhsa_kernel
	.section	.text._ZN2at6native12_GLOBAL__N_114gatherKthValueIflLin1EEEvNS_4cuda6detail10TensorInfoIKT_T0_EES8_S8_S8_S8_NS5_IS6_S8_EENS5_IlS8_EE,"axG",@progbits,_ZN2at6native12_GLOBAL__N_114gatherKthValueIflLin1EEEvNS_4cuda6detail10TensorInfoIKT_T0_EES8_S8_S8_S8_NS5_IS6_S8_EENS5_IlS8_EE,comdat
.Lfunc_end55:
	.size	_ZN2at6native12_GLOBAL__N_114gatherKthValueIflLin1EEEvNS_4cuda6detail10TensorInfoIKT_T0_EES8_S8_S8_S8_NS5_IS6_S8_EENS5_IlS8_EE, .Lfunc_end55-_ZN2at6native12_GLOBAL__N_114gatherKthValueIflLin1EEEvNS_4cuda6detail10TensorInfoIKT_T0_EES8_S8_S8_S8_NS5_IS6_S8_EENS5_IlS8_EE
                                        ; -- End function
	.section	.AMDGPU.csdata,"",@progbits
; Kernel info:
; codeLenInByte = 20620
; NumSgprs: 105
; NumVgprs: 52
; ScratchSize: 0
; MemoryBound: 0
; FloatMode: 240
; IeeeMode: 1
; LDSByteSize: 5144 bytes/workgroup (compile time only)
; SGPRBlocks: 13
; VGPRBlocks: 6
; NumSGPRsForWavesPerEU: 105
; NumVGPRsForWavesPerEU: 52
; Occupancy: 16
; WaveLimiterHint : 1
; COMPUTE_PGM_RSRC2:SCRATCH_EN: 0
; COMPUTE_PGM_RSRC2:USER_SGPR: 13
; COMPUTE_PGM_RSRC2:TRAP_HANDLER: 0
; COMPUTE_PGM_RSRC2:TGID_X_EN: 1
; COMPUTE_PGM_RSRC2:TGID_Y_EN: 1
; COMPUTE_PGM_RSRC2:TGID_Z_EN: 1
; COMPUTE_PGM_RSRC2:TIDIG_COMP_CNT: 0
	.section	.text._ZN2at6native12_GLOBAL__N_114gatherKthValueIN3c104HalfEiLi1EEEvNS_4cuda6detail10TensorInfoIKT_T0_EESA_SA_SA_SA_NS7_IS8_SA_EENS7_IlSA_EE,"axG",@progbits,_ZN2at6native12_GLOBAL__N_114gatherKthValueIN3c104HalfEiLi1EEEvNS_4cuda6detail10TensorInfoIKT_T0_EESA_SA_SA_SA_NS7_IS8_SA_EENS7_IlSA_EE,comdat
	.globl	_ZN2at6native12_GLOBAL__N_114gatherKthValueIN3c104HalfEiLi1EEEvNS_4cuda6detail10TensorInfoIKT_T0_EESA_SA_SA_SA_NS7_IS8_SA_EENS7_IlSA_EE ; -- Begin function _ZN2at6native12_GLOBAL__N_114gatherKthValueIN3c104HalfEiLi1EEEvNS_4cuda6detail10TensorInfoIKT_T0_EESA_SA_SA_SA_NS7_IS8_SA_EENS7_IlSA_EE
	.p2align	8
	.type	_ZN2at6native12_GLOBAL__N_114gatherKthValueIN3c104HalfEiLi1EEEvNS_4cuda6detail10TensorInfoIKT_T0_EESA_SA_SA_SA_NS7_IS8_SA_EENS7_IlSA_EE,@function
_ZN2at6native12_GLOBAL__N_114gatherKthValueIN3c104HalfEiLi1EEEvNS_4cuda6detail10TensorInfoIKT_T0_EESA_SA_SA_SA_NS7_IS8_SA_EENS7_IlSA_EE: ; @_ZN2at6native12_GLOBAL__N_114gatherKthValueIN3c104HalfEiLi1EEEvNS_4cuda6detail10TensorInfoIKT_T0_EESA_SA_SA_SA_NS7_IS8_SA_EENS7_IlSA_EE
; %bb.0:
	s_clause 0x1
	s_load_b64 s[6:7], s[0:1], 0x298
	s_load_b128 s[36:39], s[0:1], 0xd8
	s_add_u32 s4, s0, 0x298
	s_addc_u32 s5, s1, 0
	s_waitcnt lgkmcnt(0)
	s_mul_i32 s2, s7, s15
	s_delay_alu instid0(SALU_CYCLE_1) | instskip(NEXT) | instid1(SALU_CYCLE_1)
	s_add_i32 s2, s2, s14
	s_mul_i32 s29, s2, s6
	s_delay_alu instid0(SALU_CYCLE_1) | instskip(NEXT) | instid1(SALU_CYCLE_1)
	s_add_i32 s29, s29, s13
	s_cmp_ge_i32 s29, s38
	s_cbranch_scc1 .LBB56_263
; %bb.1:
	s_clause 0x3
	s_load_b64 s[30:31], s[0:1], 0x1c0
	s_load_b64 s[34:35], s[0:1], 0xe8
	s_load_b32 s3, s[0:1], 0x6c
	s_load_b64 s[8:9], s[0:1], 0x0
	v_cmp_eq_u32_e64 s2, 0, v0
	s_mov_b32 s45, 0
	s_delay_alu instid0(VALU_DEP_1)
	s_and_saveexec_b32 s7, s2
	s_cbranch_execz .LBB56_3
; %bb.2:
	v_dual_mov_b32 v1, 0 :: v_dual_mov_b32 v2, s36
	s_delay_alu instid0(VALU_DEP_1)
	v_mov_b32_e32 v3, v1
	ds_store_b96 v1, v[1:3] offset:4096
.LBB56_3:
	s_or_b32 exec_lo, exec_lo, s7
	s_waitcnt lgkmcnt(0)
	s_barrier
	buffer_gl0_inv
	s_load_b32 s7, s[4:5], 0xc
	s_clause 0x1
	s_load_b32 s33, s[0:1], 0x22c
	s_load_b32 s38, s[0:1], 0x154
	s_mul_i32 s0, s3, s29
	v_mbcnt_lo_u32_b32 v15, -1, 0
	s_ashr_i32 s1, s0, 31
	v_cmp_gt_u32_e32 vcc_lo, 32, v0
	s_lshl_b64 s[10:11], s[0:1], 1
	v_mul_lo_u32 v5, v0, s39
	s_add_u32 s42, s8, s10
	s_addc_u32 s43, s9, s11
	v_cmp_gt_i32_e64 s1, 4, v15
	v_mov_b32_e32 v7, 0
	v_lshrrev_b32_e32 v3, 3, v0
	v_lshlrev_b32_e32 v17, 1, v0
	s_mov_b32 s10, s39
	s_and_b32 s47, vcc_lo, s1
	v_mov_b32_e32 v6, v7
	v_dual_mov_b32 v29, 0 :: v_dual_and_b32 v20, 0x7c, v3
	s_waitcnt lgkmcnt(0)
	s_and_b32 s44, s7, 0xffff
	s_bfe_u32 s1, s7, 0xb0005
	s_lshl_b32 s46, s44, 2
	s_add_i32 s49, s44, -1
	v_cvt_f32_u32_e32 v1, s46
	s_add_i32 s59, s49, s36
	s_cmpk_gt_i32 s36, 0x600
	v_cvt_f32_u32_e32 v2, s44
	s_cselect_b32 s50, -1, 0
	v_rcp_iflag_f32_e32 v1, v1
	s_cmp_gt_u32 s44, 31
	v_lshlrev_b32_e32 v16, 2, v0
	s_cselect_b32 s51, -1, 0
	s_cmp_lt_u32 s13, s6
	v_rcp_iflag_f32_e32 v2, v2
	s_cselect_b32 s3, 12, 18
	v_lshlrev_b64 v[8:9], 1, v[5:6]
	s_add_u32 s40, s4, s3
	s_addc_u32 s41, s5, 0
	s_waitcnt_depctr 0xfff
	v_mul_f32_e32 v1, 0x4f7ffffe, v1
	s_add_i32 s3, s1, -1
	s_bfe_u32 s52, s44, 0x30005
	s_cmp_gt_u32 s3, 6
	v_add_co_u32 v8, vcc_lo, s42, v8
	v_cvt_u32_f32_e32 v1, v1
	s_cselect_b32 s53, -1, 0
	s_and_b32 s54, s1, 0x7f8
	s_cmp_lg_u32 s52, 0
	v_lshlrev_b32_e32 v24, 2, v5
	v_readfirstlane_b32 s4, v1
	s_cselect_b32 s55, -1, 0
	s_sub_i32 s3, 0, s46
	v_mul_f32_e32 v1, 0x4f7ffffe, v2
	v_add_co_ci_u32_e32 v9, vcc_lo, s43, v9, vcc_lo
	s_mul_i32 s5, s3, s4
	v_mad_u64_u32 v[12:13], null, s39, v16, s[10:11]
	s_mul_hi_u32 s5, s4, s5
	v_cvt_u32_f32_e32 v1, v1
	s_add_i32 s56, s4, s5
	v_cmp_gt_u32_e64 s0, 2, v0
	s_mul_hi_u32 s5, s36, s56
	v_cmp_gt_u32_e64 s1, s36, v0
	s_mul_i32 s5, s5, s46
	v_cmp_gt_i32_e64 s3, s36, v0
	s_sub_i32 s5, s36, s5
	v_cmp_eq_u32_e64 s4, 0, v15
	s_sub_i32 s6, s5, s46
	s_cmp_ge_u32 s5, s46
	v_add_nc_u32_e32 v18, 0xc00, v17
	s_cselect_b32 s5, s6, s5
	v_readfirstlane_b32 s6, v1
	s_sub_i32 s7, s5, s46
	s_cmp_ge_u32 s5, s46
	v_lshlrev_b64 v[1:2], v15, -1
	s_cselect_b32 s9, s7, s5
	v_mov_b32_e32 v28, 0x8000
	s_sub_i32 s57, s36, s9
	s_sub_i32 s5, 0, s44
	v_add_nc_u32_e32 v19, s57, v0
	s_mul_i32 s5, s5, s6
	s_abs_i32 s7, s59
	s_mul_hi_u32 s5, s6, s5
	v_not_b32_e32 v21, v1
	v_mul_lo_u32 v2, v19, s39
	s_add_i32 s58, s6, s5
	v_lshlrev_b32_e32 v26, 3, v0
	s_mul_hi_u32 s5, s7, s58
	v_lshl_or_b32 v27, v15, 2, 0xc00
	s_mul_i32 s5, s5, s44
	s_mul_i32 s48, s39, s44
	s_sub_i32 s5, s7, s5
	v_ashrrev_i32_e32 v3, 31, v2
	s_ashr_i32 s7, s59, 31
	s_sub_i32 s6, s5, s44
	s_cmp_ge_u32 s5, s44
	s_mov_b32 s67, 14
	v_lshlrev_b64 v[1:2], 1, v[2:3]
	s_cselect_b32 s5, s6, s5
	v_or_b32_e32 v3, 3, v16
	s_sub_i32 s6, s5, s44
	s_cmp_ge_u32 s5, s44
	s_movk_i32 s63, 0x3c00
	v_add_co_u32 v10, vcc_lo, s42, v1
	v_add3_u32 v1, s44, s36, v0
	s_cselect_b32 s6, s6, s5
	v_add_co_ci_u32_e32 v11, vcc_lo, s43, v2, vcc_lo
	v_or_b32_e32 v2, 2, v16
	s_delay_alu instid0(VALU_DEP_3)
	v_subrev_nc_u32_e32 v1, s9, v1
	s_xor_b32 s8, s6, s7
	v_mul_lo_u32 v23, s39, v3
	s_sub_i32 s7, s7, s8
	v_mul_lo_u32 v22, s39, v2
	v_mul_lo_u32 v25, s39, v1
	s_add_i32 s59, s59, s7
	v_cmp_gt_i32_e64 s5, s57, v16
	v_cmp_gt_u32_e64 s6, s36, v19
	v_cmp_gt_i32_e64 s7, s36, v19
	v_cmp_gt_i32_e64 s8, s59, v0
	s_lshl_b32 s60, s48, 2
	s_lshl_b32 s61, s44, 3
	;; [unrolled: 1-line block ×3, first 2 shown]
	s_mov_b32 s70, 0
	s_mov_b32 s72, 0
	;; [unrolled: 1-line block ×3, first 2 shown]
                                        ; implicit-def: $sgpr64
                                        ; implicit-def: $sgpr66
                                        ; implicit-def: $sgpr65
                                        ; implicit-def: $sgpr69
                                        ; implicit-def: $sgpr71
                                        ; implicit-def: $sgpr68
	s_branch .LBB56_8
.LBB56_4:                               ;   in Loop: Header=BB56_8 Depth=1
	s_xor_b32 s70, s70, 1
	s_add_i32 s13, s67, -2
	s_cmp_eq_u32 s67, 0
	s_mov_b32 s9, 0
	s_cselect_b32 s11, -1, 0
	s_mov_b32 s67, s13
.LBB56_5:                               ;   in Loop: Header=BB56_8 Depth=1
	s_and_not1_b32 s13, s15, exec_lo
	s_and_b32 s9, s9, exec_lo
	s_and_not1_b32 s17, s17, exec_lo
	s_or_b32 s15, s13, s9
	s_and_not1_b32 s14, s14, exec_lo
	s_or_not1_b32 s13, s11, exec_lo
	s_mov_b32 s37, s22
.LBB56_6:                               ;   in Loop: Header=BB56_8 Depth=1
	s_or_b32 exec_lo, exec_lo, s10
	s_delay_alu instid0(SALU_CYCLE_1)
	s_and_not1_b32 s9, s68, exec_lo
	s_and_b32 s10, s15, exec_lo
	s_and_not1_b32 s11, s69, exec_lo
	s_or_b32 s68, s9, s10
	s_and_not1_b32 s9, s71, exec_lo
	s_and_b32 s10, s17, exec_lo
	s_and_b32 s14, s14, exec_lo
	s_or_b32 s71, s9, s10
	s_or_b32 s69, s11, s14
	s_or_not1_b32 s14, s13, exec_lo
.LBB56_7:                               ;   in Loop: Header=BB56_8 Depth=1
	s_or_b32 exec_lo, exec_lo, s12
	s_delay_alu instid0(SALU_CYCLE_1)
	s_and_b32 s9, exec_lo, s14
	v_mov_b32_e32 v1, s72
	s_or_b32 s45, s9, s45
	s_and_not1_b32 s9, s65, exec_lo
	s_and_b32 s10, s68, exec_lo
	s_and_not1_b32 s11, s64, exec_lo
	s_or_b32 s65, s9, s10
	s_and_not1_b32 s9, s66, exec_lo
	s_and_b32 s10, s71, exec_lo
	s_and_b32 s12, s69, exec_lo
	s_or_b32 s66, s9, s10
	s_or_b32 s64, s11, s12
	s_and_not1_b32 exec_lo, exec_lo, s45
	s_cbranch_execz .LBB56_239
.LBB56_8:                               ; =>This Loop Header: Depth=1
                                        ;     Child Loop BB56_13 Depth 2
                                        ;     Child Loop BB56_32 Depth 2
                                        ;     Child Loop BB56_56 Depth 2
                                        ;     Child Loop BB56_60 Depth 2
                                        ;     Child Loop BB56_45 Depth 2
                                        ;     Child Loop BB56_50 Depth 2
                                        ;     Child Loop BB56_69 Depth 2
                                        ;     Child Loop BB56_73 Depth 2
                                        ;     Child Loop BB56_94 Depth 2
                                        ;     Child Loop BB56_82 Depth 2
                                        ;     Child Loop BB56_133 Depth 2
                                        ;     Child Loop BB56_121 Depth 2
                                        ;     Child Loop BB56_172 Depth 2
                                        ;     Child Loop BB56_160 Depth 2
                                        ;     Child Loop BB56_211 Depth 2
                                        ;     Child Loop BB56_199 Depth 2
	ds_load_b64 v[1:2], v7 offset:4096
	s_waitcnt lgkmcnt(0)
	v_readfirstlane_b32 s74, v1
	s_delay_alu instid0(VALU_DEP_1)
	s_cmp_gt_i32 s74, 0
	s_cbranch_scc1 .LBB56_39
; %bb.9:                                ;   in Loop: Header=BB56_8 Depth=1
	s_and_b32 vcc_lo, exec_lo, s50
	s_cbranch_vccz .LBB56_21
; %bb.10:                               ;   in Loop: Header=BB56_8 Depth=1
	v_cmp_gt_i32_e32 vcc_lo, 0x601, v2
	s_mov_b32 s10, 0
	s_mov_b32 s9, 0
	s_cbranch_vccz .LBB56_26
; %bb.11:                               ;   in Loop: Header=BB56_8 Depth=1
	global_load_u16 v1, v7, s[40:41]
	global_load_u16 v4, v[8:9], off
	v_mov_b32_e32 v3, v0
	s_mov_b32 s11, 0
	s_waitcnt vmcnt(1)
	v_add_nc_u32_e32 v2, v0, v1
	s_delay_alu instid0(VALU_DEP_1)
	v_mul_lo_u32 v6, s39, v2
	v_mul_lo_u32 v2, s39, v1
	s_branch .LBB56_13
.LBB56_12:                              ;   in Loop: Header=BB56_13 Depth=2
	s_or_b32 exec_lo, exec_lo, s9
	v_cmp_le_i32_e32 vcc_lo, s36, v3
	v_add_nc_u32_e32 v6, v6, v2
	v_mov_b32_e32 v4, v13
	s_or_b32 s11, vcc_lo, s11
	s_delay_alu instid0(SALU_CYCLE_1)
	s_and_not1_b32 exec_lo, exec_lo, s11
	s_cbranch_execz .LBB56_22
.LBB56_13:                              ;   Parent Loop BB56_8 Depth=1
                                        ; =>  This Inner Loop Header: Depth=2
	s_waitcnt lgkmcnt(0)
	v_dual_mov_b32 v14, 0 :: v_dual_add_nc_u32 v3, v3, v1
	v_mov_b32_e32 v13, 0
	s_mov_b32 s9, exec_lo
	s_delay_alu instid0(VALU_DEP_2)
	v_cmpx_gt_u32_e64 s36, v3
	s_cbranch_execz .LBB56_15
; %bb.14:                               ;   in Loop: Header=BB56_13 Depth=2
	v_lshlrev_b64 v[30:31], 1, v[6:7]
	s_delay_alu instid0(VALU_DEP_1) | instskip(NEXT) | instid1(VALU_DEP_2)
	v_add_co_u32 v30, vcc_lo, s42, v30
	v_add_co_ci_u32_e32 v31, vcc_lo, s43, v31, vcc_lo
	global_load_u16 v13, v[30:31], off
.LBB56_15:                              ;   in Loop: Header=BB56_13 Depth=2
	s_or_b32 exec_lo, exec_lo, s9
	s_waitcnt vmcnt(0)
	v_cmp_lt_i16_e32 vcc_lo, -1, v4
	v_and_b32_e32 v30, 0xffff, v4
	v_cndmask_b32_e32 v31, 0xffff, v28, vcc_lo
	v_cmp_o_f16_e32 vcc_lo, v4, v4
	s_delay_alu instid0(VALU_DEP_2) | instskip(NEXT) | instid1(VALU_DEP_1)
	v_xor_b32_e32 v30, v31, v30
	v_cndmask_b32_e32 v30, 0xffff, v30, vcc_lo
	s_delay_alu instid0(VALU_DEP_1) | instskip(NEXT) | instid1(VALU_DEP_1)
	v_and_b32_e32 v30, s73, v30
	v_cmp_eq_u32_e32 vcc_lo, s72, v30
	s_cmp_lg_u32 vcc_lo, 0
	s_cselect_b32 s9, -1, 0
	s_delay_alu instid0(SALU_CYCLE_1) | instskip(NEXT) | instid1(SALU_CYCLE_1)
	s_and_b32 s9, s4, s9
	s_and_saveexec_b32 s12, s9
	s_cbranch_execz .LBB56_19
; %bb.16:                               ;   in Loop: Header=BB56_13 Depth=2
	s_mov_b32 s15, exec_lo
	s_bcnt1_i32_b32 s13, vcc_lo
	v_mbcnt_lo_u32_b32 v14, s15, 0
	s_mov_b32 s14, exec_lo
                                        ; implicit-def: $vgpr30
	s_delay_alu instid0(VALU_DEP_1)
	v_cmpx_eq_u32_e32 0, v14
	s_cbranch_execz .LBB56_18
; %bb.17:                               ;   in Loop: Header=BB56_13 Depth=2
	s_bcnt1_i32_b32 s9, s15
	s_delay_alu instid0(SALU_CYCLE_1) | instskip(NEXT) | instid1(SALU_CYCLE_1)
	s_mul_i32 s9, s13, s9
	v_mov_b32_e32 v30, s9
	ds_add_rtn_u32 v30, v7, v30 offset:4104
.LBB56_18:                              ;   in Loop: Header=BB56_13 Depth=2
	s_or_b32 exec_lo, exec_lo, s14
	s_waitcnt lgkmcnt(0)
	v_readfirstlane_b32 s9, v30
	s_delay_alu instid0(VALU_DEP_1)
	v_mad_u32_u24 v14, s13, v14, s9
.LBB56_19:                              ;   in Loop: Header=BB56_13 Depth=2
	s_or_b32 exec_lo, exec_lo, s12
	ds_bpermute_b32 v14, v7, v14
	s_and_saveexec_b32 s9, vcc_lo
	s_cbranch_execz .LBB56_12
; %bb.20:                               ;   in Loop: Header=BB56_13 Depth=2
	v_and_b32_e32 v30, vcc_lo, v21
	s_delay_alu instid0(VALU_DEP_1) | instskip(NEXT) | instid1(VALU_DEP_1)
	v_bcnt_u32_b32 v30, v30, 0
	v_lshlrev_b32_e32 v30, 1, v30
	s_waitcnt lgkmcnt(0)
	s_delay_alu instid0(VALU_DEP_1)
	v_lshl_add_u32 v14, v14, 1, v30
	ds_store_b16 v14, v4
	s_branch .LBB56_12
.LBB56_21:                              ;   in Loop: Header=BB56_8 Depth=1
	s_mov_b32 s10, -1
	s_mov_b32 s9, 0
	s_branch .LBB56_25
.LBB56_22:                              ;   in Loop: Header=BB56_8 Depth=1
	s_or_b32 exec_lo, exec_lo, s11
	s_waitcnt lgkmcnt(0)
	s_barrier
	buffer_gl0_inv
	s_and_saveexec_b32 s9, s2
	s_cbranch_execz .LBB56_24
; %bb.23:                               ;   in Loop: Header=BB56_8 Depth=1
	ds_load_b32 v1, v7 offset:4104
	s_waitcnt lgkmcnt(0)
	ds_store_b32 v7, v1 offset:4096
.LBB56_24:                              ;   in Loop: Header=BB56_8 Depth=1
	s_or_b32 exec_lo, exec_lo, s9
	s_waitcnt lgkmcnt(0)
	s_mov_b32 s9, -1
	s_barrier
.LBB56_25:                              ;   in Loop: Header=BB56_8 Depth=1
                                        ; implicit-def: $sgpr74
.LBB56_26:                              ;   in Loop: Header=BB56_8 Depth=1
	s_and_b32 vcc_lo, exec_lo, s10
	s_cbranch_vccz .LBB56_37
; %bb.27:                               ;   in Loop: Header=BB56_8 Depth=1
	v_mov_b32_e32 v1, 0
	s_and_saveexec_b32 s9, s1
	s_cbranch_execz .LBB56_29
; %bb.28:                               ;   in Loop: Header=BB56_8 Depth=1
	global_load_u16 v1, v[8:9], off
.LBB56_29:                              ;   in Loop: Header=BB56_8 Depth=1
	s_or_b32 exec_lo, exec_lo, s9
	s_and_saveexec_b32 s9, s3
	s_cbranch_execz .LBB56_34
; %bb.30:                               ;   in Loop: Header=BB56_8 Depth=1
	global_load_u16 v2, v7, s[40:41]
	v_mov_b32_e32 v14, v0
	s_mov_b32 s10, 0
	v_mov_b32_e32 v13, v17
	s_waitcnt vmcnt(0)
	v_add_nc_u32_e32 v3, v0, v2
	v_lshlrev_b32_e32 v4, 1, v2
	s_delay_alu instid0(VALU_DEP_2)
	v_mul_lo_u32 v6, s39, v3
	v_mul_lo_u32 v3, s39, v2
	s_branch .LBB56_32
	.p2align	6
.LBB56_31:                              ;   in Loop: Header=BB56_32 Depth=2
	s_or_b32 exec_lo, exec_lo, s11
	v_cmp_le_i32_e32 vcc_lo, s36, v14
	ds_store_b16 v13, v1
	v_add_nc_u32_e32 v13, v13, v4
	v_add_nc_u32_e32 v6, v6, v3
	s_waitcnt vmcnt(0)
	v_mov_b32_e32 v1, v30
	s_or_b32 s10, vcc_lo, s10
	s_delay_alu instid0(SALU_CYCLE_1)
	s_and_not1_b32 exec_lo, exec_lo, s10
	s_cbranch_execz .LBB56_34
.LBB56_32:                              ;   Parent Loop BB56_8 Depth=1
                                        ; =>  This Inner Loop Header: Depth=2
	v_add_nc_u32_e32 v14, v14, v2
	v_mov_b32_e32 v30, 0
	s_mov_b32 s11, exec_lo
	s_delay_alu instid0(VALU_DEP_2)
	v_cmpx_gt_u32_e64 s36, v14
	s_cbranch_execz .LBB56_31
; %bb.33:                               ;   in Loop: Header=BB56_32 Depth=2
	v_lshlrev_b64 v[30:31], 1, v[6:7]
	s_delay_alu instid0(VALU_DEP_1) | instskip(NEXT) | instid1(VALU_DEP_2)
	v_add_co_u32 v30, vcc_lo, s42, v30
	v_add_co_ci_u32_e32 v31, vcc_lo, s43, v31, vcc_lo
	global_load_u16 v30, v[30:31], off
	s_branch .LBB56_31
.LBB56_34:                              ;   in Loop: Header=BB56_8 Depth=1
	s_or_b32 exec_lo, exec_lo, s9
	s_waitcnt vmcnt(0) lgkmcnt(0)
	s_barrier
	buffer_gl0_inv
	s_and_saveexec_b32 s9, s2
	s_cbranch_execz .LBB56_36
; %bb.35:                               ;   in Loop: Header=BB56_8 Depth=1
	v_mov_b32_e32 v1, s36
	ds_store_b32 v7, v1 offset:4096
.LBB56_36:                              ;   in Loop: Header=BB56_8 Depth=1
	s_or_b32 exec_lo, exec_lo, s9
	s_mov_b32 s9, -1
	s_waitcnt lgkmcnt(0)
	s_barrier
                                        ; implicit-def: $sgpr74
.LBB56_37:                              ;   in Loop: Header=BB56_8 Depth=1
	s_and_b32 vcc_lo, exec_lo, s9
	s_cbranch_vccz .LBB56_39
; %bb.38:                               ;   in Loop: Header=BB56_8 Depth=1
	buffer_gl0_inv
	ds_load_b32 v1, v7 offset:4096
	s_waitcnt lgkmcnt(0)
	v_readfirstlane_b32 s74, v1
.LBB56_39:                              ;   in Loop: Header=BB56_8 Depth=1
	s_delay_alu instid0(VALU_DEP_1)
	s_cmp_lt_i32 s74, 1
	s_cbranch_scc0 .LBB56_43
; %bb.40:                               ;   in Loop: Header=BB56_8 Depth=1
	v_dual_mov_b32 v1, 0 :: v_dual_mov_b32 v2, 0
	v_dual_mov_b32 v3, 0 :: v_dual_mov_b32 v4, 0
	s_mov_b32 s76, 0
	s_and_saveexec_b32 s75, s5
	s_cbranch_execnz .LBB56_44
; %bb.41:                               ;   in Loop: Header=BB56_8 Depth=1
	s_or_b32 exec_lo, exec_lo, s75
	v_mov_b32_e32 v30, 0
	s_and_saveexec_b32 s9, s6
	s_cbranch_execnz .LBB56_47
.LBB56_42:                              ;   in Loop: Header=BB56_8 Depth=1
	s_or_b32 exec_lo, exec_lo, s9
	s_and_saveexec_b32 s13, s7
	s_cbranch_execnz .LBB56_48
	s_branch .LBB56_53
.LBB56_43:                              ;   in Loop: Header=BB56_8 Depth=1
                                        ; implicit-def: $vgpr4
	s_cbranch_execnz .LBB56_54
	s_branch .LBB56_63
.LBB56_44:                              ;   in Loop: Header=BB56_8 Depth=1
	v_mov_b32_e32 v6, v16
	s_and_b32 s77, s67, 0xfe
	s_mov_b32 s78, 0
	s_mov_b32 s79, 0
	;; [unrolled: 1-line block ×5, first 2 shown]
.LBB56_45:                              ;   Parent Loop BB56_8 Depth=1
                                        ; =>  This Inner Loop Header: Depth=2
	v_add_nc_u32_e32 v1, s78, v24
	v_add_nc_u32_e32 v3, s78, v12
	;; [unrolled: 1-line block ×4, first 2 shown]
	s_add_i32 s78, s78, s60
	v_ashrrev_i32_e32 v2, 31, v1
	v_ashrrev_i32_e32 v4, 31, v3
	;; [unrolled: 1-line block ×4, first 2 shown]
	s_delay_alu instid0(VALU_DEP_4) | instskip(NEXT) | instid1(VALU_DEP_4)
	v_lshlrev_b64 v[1:2], 1, v[1:2]
	v_lshlrev_b64 v[3:4], 1, v[3:4]
	s_delay_alu instid0(VALU_DEP_4) | instskip(NEXT) | instid1(VALU_DEP_4)
	v_lshlrev_b64 v[13:14], 1, v[13:14]
	v_lshlrev_b64 v[30:31], 1, v[30:31]
	s_delay_alu instid0(VALU_DEP_4)
	v_add_co_u32 v1, vcc_lo, s42, v1
	v_add_co_ci_u32_e32 v2, vcc_lo, s43, v2, vcc_lo
	v_add_co_u32 v3, vcc_lo, s42, v3
	v_add_co_ci_u32_e32 v4, vcc_lo, s43, v4, vcc_lo
	;; [unrolled: 2-line block ×4, first 2 shown]
	s_clause 0x3
	global_load_u16 v1, v[1:2], off
	global_load_u16 v2, v[3:4], off
	;; [unrolled: 1-line block ×4, first 2 shown]
	s_waitcnt vmcnt(3)
	v_cmp_lt_i16_e64 s9, -1, v1
	v_and_b32_e32 v13, 0xffff, v1
	s_waitcnt vmcnt(2)
	v_and_b32_e32 v30, 0xffff, v2
	s_waitcnt vmcnt(1)
	v_and_b32_e32 v32, 0xffff, v3
	v_cmp_o_f16_e64 s12, v1, v1
	v_cndmask_b32_e64 v14, 0xffff, v28, s9
	v_cmp_lt_i16_e64 s9, -1, v2
	s_waitcnt vmcnt(0)
	v_and_b32_e32 v34, 0xffff, v4
	v_cmp_o_f16_e64 s10, v3, v3
	v_cmp_o_f16_e64 s11, v4, v4
	v_xor_b32_e32 v13, v14, v13
	v_cndmask_b32_e64 v31, 0xffff, v28, s9
	v_cmp_lt_i16_e64 s9, -1, v3
	s_delay_alu instid0(VALU_DEP_3) | instskip(NEXT) | instid1(VALU_DEP_3)
	v_cndmask_b32_e64 v1, 0xffff, v13, s12
	v_xor_b32_e32 v14, v31, v30
	s_delay_alu instid0(VALU_DEP_3) | instskip(SKIP_1) | instid1(VALU_DEP_4)
	v_cndmask_b32_e64 v33, 0xffff, v28, s9
	v_cmp_lt_i16_e64 s9, -1, v4
	v_and_b32_e32 v13, s73, v1
	v_bfe_u32 v1, v1, s77, 2
	s_delay_alu instid0(VALU_DEP_3) | instskip(SKIP_2) | instid1(VALU_DEP_4)
	v_cndmask_b32_e64 v35, 0xffff, v28, s9
	v_cmp_o_f16_e64 s9, v2, v2
	v_xor_b32_e32 v2, v33, v32
	v_cmp_eq_u32_e64 s13, 0, v1
	v_cmp_eq_u32_e64 s17, 1, v1
	v_xor_b32_e32 v3, v35, v34
	v_cndmask_b32_e64 v4, 0xffff, v14, s9
	v_cndmask_b32_e64 v2, 0xffff, v2, s10
	v_cmp_eq_u32_e64 s9, s72, v13
	v_cmp_eq_u32_e64 s21, 2, v1
	v_cndmask_b32_e64 v3, 0xffff, v3, s11
	v_and_b32_e32 v14, s73, v4
	v_bfe_u32 v4, v4, s77, 2
	v_and_b32_e32 v30, s73, v2
	v_bfe_u32 v2, v2, s77, 2
	;; [unrolled: 2-line block ×3, first 2 shown]
	v_cmp_eq_u32_e64 s10, s72, v14
	v_cmp_eq_u32_e64 s14, 0, v4
	;; [unrolled: 1-line block ×4, first 2 shown]
	s_and_b32 s13, s9, s13
	v_cmp_eq_u32_e64 s12, s72, v31
	v_cmp_eq_u32_e64 s16, 0, v3
	;; [unrolled: 1-line block ×3, first 2 shown]
	v_cndmask_b32_e64 v1, 0, 1, s13
	s_and_b32 s13, s10, s14
	v_cmp_eq_u32_e64 s19, 1, v2
	v_cmp_eq_u32_e64 s23, 2, v2
	;; [unrolled: 1-line block ×3, first 2 shown]
	v_cndmask_b32_e64 v2, 0, 1, s13
	s_and_b32 s13, s11, s15
	v_cmp_eq_u32_e64 s18, 1, v4
	v_cmp_eq_u32_e64 s20, 1, v3
	;; [unrolled: 1-line block ×4, first 2 shown]
	v_cndmask_b32_e64 v3, 0, 1, s13
	s_and_b32 s13, s12, s16
	v_cmp_eq_u32_e64 s22, 2, v4
	v_cmp_eq_u32_e64 s26, 3, v4
	v_cndmask_b32_e64 v4, 0, 1, s13
	s_and_b32 s13, s9, s17
	s_delay_alu instid0(SALU_CYCLE_1) | instskip(SKIP_1) | instid1(SALU_CYCLE_1)
	v_cndmask_b32_e64 v13, 0, 1, s13
	s_and_b32 s13, s10, s18
	v_cndmask_b32_e64 v14, 0, 1, s13
	s_and_b32 s13, s11, s19
	s_delay_alu instid0(SALU_CYCLE_1) | instskip(SKIP_1) | instid1(VALU_DEP_2)
	v_cndmask_b32_e64 v30, 0, 1, s13
	s_and_b32 s13, s12, s20
	v_cmp_ne_u32_e64 s14, 0, v14
	v_cndmask_b32_e64 v31, 0, 1, s13
	s_and_b32 s13, s9, s21
	s_and_b32 s9, s9, s25
	v_cndmask_b32_e64 v32, 0, 1, s13
	s_and_b32 s13, s10, s22
	v_cndmask_b32_e64 v36, 0, 1, s9
	;; [unrolled: 2-line block ×7, first 2 shown]
	v_cndmask_b32_e64 v39, 0, 1, s9
	v_cmp_ne_u32_e64 s9, 0, v1
	v_cmp_ne_u32_e64 s13, 0, v13
	;; [unrolled: 1-line block ×8, first 2 shown]
	s_bcnt1_i32_b32 s9, s9
	s_bcnt1_i32_b32 s13, s13
	;; [unrolled: 1-line block ×3, first 2 shown]
	v_cmp_ne_u32_e64 s20, 0, v35
	v_cmp_ne_u32_e64 s22, 0, v37
	s_bcnt1_i32_b32 s10, s10
	s_bcnt1_i32_b32 s14, s14
	;; [unrolled: 1-line block ×3, first 2 shown]
	s_add_i32 s9, s9, s82
	s_add_i32 s13, s13, s81
	;; [unrolled: 1-line block ×3, first 2 shown]
	v_cmp_ne_u32_e64 s15, 0, v30
	v_cmp_ne_u32_e64 s23, 0, v38
	s_bcnt1_i32_b32 s11, s11
	s_bcnt1_i32_b32 s19, s19
	s_add_i32 s9, s9, s10
	s_add_i32 s10, s13, s14
	;; [unrolled: 1-line block ×3, first 2 shown]
	s_bcnt1_i32_b32 s21, s21
	v_cmp_ne_u32_e64 s12, 0, v4
	v_cmp_ne_u32_e64 s16, 0, v31
	;; [unrolled: 1-line block ×3, first 2 shown]
	s_bcnt1_i32_b32 s20, s20
	s_add_i32 s9, s9, s11
	s_add_i32 s11, s13, s19
	s_bcnt1_i32_b32 s22, s22
	s_add_i32 s21, s21, s79
	s_add_i32 s80, s11, s20
	s_delay_alu instid0(SALU_CYCLE_1)
	v_dual_mov_b32 v3, s80 :: v_dual_add_nc_u32 v6, s46, v6
	s_bcnt1_i32_b32 s15, s15
	s_bcnt1_i32_b32 s23, s23
	s_add_i32 s14, s21, s22
	s_bcnt1_i32_b32 s12, s12
	s_bcnt1_i32_b32 s16, s16
	s_bcnt1_i32_b32 s24, s24
	s_add_i32 s10, s10, s15
	s_add_i32 s13, s14, s23
	v_cmp_le_i32_e32 vcc_lo, s57, v6
	s_add_i32 s82, s9, s12
	s_add_i32 s81, s10, s16
	;; [unrolled: 1-line block ×3, first 2 shown]
	v_dual_mov_b32 v1, s82 :: v_dual_mov_b32 v2, s81
	v_mov_b32_e32 v4, s79
	s_or_b32 s76, vcc_lo, s76
	s_delay_alu instid0(SALU_CYCLE_1)
	s_and_not1_b32 exec_lo, exec_lo, s76
	s_cbranch_execnz .LBB56_45
; %bb.46:                               ;   in Loop: Header=BB56_8 Depth=1
	s_or_b32 exec_lo, exec_lo, s76
	s_delay_alu instid0(SALU_CYCLE_1)
	s_or_b32 exec_lo, exec_lo, s75
	v_mov_b32_e32 v30, 0
	s_and_saveexec_b32 s9, s6
	s_cbranch_execz .LBB56_42
.LBB56_47:                              ;   in Loop: Header=BB56_8 Depth=1
	global_load_u16 v30, v[10:11], off
	s_or_b32 exec_lo, exec_lo, s9
	s_and_saveexec_b32 s13, s7
	s_cbranch_execz .LBB56_53
.LBB56_48:                              ;   in Loop: Header=BB56_8 Depth=1
	v_dual_mov_b32 v13, v25 :: v_dual_mov_b32 v6, v19
	s_and_b32 s15, s67, 0xfe
	s_mov_b32 s14, 0
	s_branch .LBB56_50
.LBB56_49:                              ;   in Loop: Header=BB56_50 Depth=2
	s_or_b32 exec_lo, exec_lo, s9
	s_waitcnt vmcnt(0)
	v_cmp_lt_i16_e32 vcc_lo, -1, v30
	v_and_b32_e32 v31, 0xffff, v30
	v_add_nc_u32_e32 v13, s48, v13
	v_cndmask_b32_e32 v32, 0xffff, v28, vcc_lo
	v_cmp_o_f16_e32 vcc_lo, v30, v30
	s_delay_alu instid0(VALU_DEP_2) | instskip(NEXT) | instid1(VALU_DEP_1)
	v_xor_b32_e32 v31, v32, v31
	v_cndmask_b32_e32 v30, 0xffff, v31, vcc_lo
	s_delay_alu instid0(VALU_DEP_1) | instskip(SKIP_1) | instid1(VALU_DEP_2)
	v_and_b32_e32 v31, s73, v30
	v_bfe_u32 v30, v30, s15, 2
	v_cmp_eq_u32_e32 vcc_lo, s72, v31
	s_delay_alu instid0(VALU_DEP_2) | instskip(SKIP_3) | instid1(VALU_DEP_4)
	v_cmp_eq_u32_e64 s9, 0, v30
	v_cmp_eq_u32_e64 s10, 1, v30
	;; [unrolled: 1-line block ×4, first 2 shown]
	s_and_b32 s9, vcc_lo, s9
	s_delay_alu instid0(SALU_CYCLE_1) | instskip(SKIP_1) | instid1(SALU_CYCLE_1)
	v_cndmask_b32_e64 v30, 0, 1, s9
	s_and_b32 s9, vcc_lo, s10
	v_cndmask_b32_e64 v31, 0, 1, s9
	s_and_b32 s9, vcc_lo, s11
	s_delay_alu instid0(SALU_CYCLE_1)
	v_cndmask_b32_e64 v32, 0, 1, s9
	s_and_b32 s9, vcc_lo, s12
	v_cmp_ne_u32_e32 vcc_lo, 0, v30
	v_mov_b32_e32 v30, v14
	v_cndmask_b32_e64 v33, 0, 1, s9
	v_cmp_ne_u32_e64 s9, 0, v31
	v_cmp_ne_u32_e64 s10, 0, v32
	v_cmp_le_i32_e64 s12, s36, v6
	s_bcnt1_i32_b32 s16, vcc_lo
	v_cmp_ne_u32_e64 s11, 0, v33
	s_bcnt1_i32_b32 s9, s9
	s_bcnt1_i32_b32 s10, s10
	v_add_nc_u32_e32 v1, s16, v1
	v_add_nc_u32_e32 v2, s9, v2
	s_bcnt1_i32_b32 s11, s11
	v_add_nc_u32_e32 v3, s10, v3
	v_add_nc_u32_e32 v4, s11, v4
	s_or_b32 s14, s12, s14
	s_delay_alu instid0(SALU_CYCLE_1)
	s_and_not1_b32 exec_lo, exec_lo, s14
	s_cbranch_execz .LBB56_52
.LBB56_50:                              ;   Parent Loop BB56_8 Depth=1
                                        ; =>  This Inner Loop Header: Depth=2
	s_delay_alu instid0(VALU_DEP_1) | instskip(SKIP_2) | instid1(VALU_DEP_2)
	v_add_nc_u32_e32 v6, s44, v6
	v_mov_b32_e32 v14, 0
	s_mov_b32 s9, exec_lo
	v_cmpx_gt_u32_e64 s36, v6
	s_cbranch_execz .LBB56_49
; %bb.51:                               ;   in Loop: Header=BB56_50 Depth=2
	v_ashrrev_i32_e32 v14, 31, v13
	s_delay_alu instid0(VALU_DEP_1) | instskip(NEXT) | instid1(VALU_DEP_1)
	v_lshlrev_b64 v[31:32], 1, v[13:14]
	v_add_co_u32 v31, vcc_lo, s42, v31
	s_delay_alu instid0(VALU_DEP_2)
	v_add_co_ci_u32_e32 v32, vcc_lo, s43, v32, vcc_lo
	global_load_u16 v14, v[31:32], off
	s_branch .LBB56_49
.LBB56_52:                              ;   in Loop: Header=BB56_8 Depth=1
	s_or_b32 exec_lo, exec_lo, s14
.LBB56_53:                              ;   in Loop: Header=BB56_8 Depth=1
	s_delay_alu instid0(SALU_CYCLE_1)
	s_or_b32 exec_lo, exec_lo, s13
	s_branch .LBB56_63
.LBB56_54:                              ;   in Loop: Header=BB56_8 Depth=1
	s_mul_hi_u32 s9, s74, s56
	v_dual_mov_b32 v1, 0 :: v_dual_mov_b32 v2, 0
	s_mul_i32 s9, s9, s46
	v_dual_mov_b32 v3, 0 :: v_dual_mov_b32 v4, 0
	s_sub_i32 s9, s74, s9
	s_mov_b32 s25, 0
	s_sub_i32 s10, s9, s46
	s_cmp_ge_u32 s9, s46
	s_mov_b32 s24, exec_lo
	s_cselect_b32 s9, s10, s9
	s_delay_alu instid0(SALU_CYCLE_1) | instskip(SKIP_2) | instid1(SALU_CYCLE_1)
	s_sub_i32 s10, s9, s46
	s_cmp_ge_u32 s9, s46
	s_cselect_b32 s9, s10, s9
	s_sub_i32 s23, s74, s9
	s_delay_alu instid0(SALU_CYCLE_1)
	v_cmpx_gt_u32_e64 s23, v16
	s_cbranch_execz .LBB56_58
; %bb.55:                               ;   in Loop: Header=BB56_8 Depth=1
	v_dual_mov_b32 v6, v26 :: v_dual_mov_b32 v13, v16
	s_and_b32 s26, s67, 0xfe
	s_mov_b32 s27, 0
	s_mov_b32 s28, 0
	s_mov_b32 s75, 0
	s_mov_b32 s76, 0
.LBB56_56:                              ;   Parent Loop BB56_8 Depth=1
                                        ; =>  This Inner Loop Header: Depth=2
	ds_load_b64 v[1:2], v6
	s_waitcnt lgkmcnt(0)
	v_cmp_lt_i16_e64 s9, -1, v1
	v_lshrrev_b32_e32 v3, 16, v1
	v_lshrrev_b32_e32 v32, 16, v2
	v_and_b32_e32 v4, 0xffff, v1
	s_waitcnt vmcnt(0)
	v_and_b32_e32 v30, 0xffff, v2
	v_cndmask_b32_e64 v14, 0xffff, v28, s9
	v_cmp_lt_i16_e64 s9, -1, v2
	v_cmp_lt_i16_e64 s10, -1, v32
	s_delay_alu instid0(VALU_DEP_3) | instskip(NEXT) | instid1(VALU_DEP_3)
	v_xor_b32_e32 v4, v14, v4
	v_cndmask_b32_e64 v31, 0xffff, v28, s9
	v_cmp_lt_i16_e64 s9, -1, v3
	s_delay_alu instid0(VALU_DEP_2) | instskip(NEXT) | instid1(VALU_DEP_2)
	v_xor_b32_e32 v30, v31, v30
	v_cndmask_b32_e64 v14, 0xffff, v28, s9
	v_cmp_o_f16_e64 s9, v2, v2
	v_cndmask_b32_e64 v2, 0xffff, v28, s10
	v_cmp_o_f16_e64 s10, v1, v1
	s_delay_alu instid0(VALU_DEP_2) | instskip(NEXT) | instid1(VALU_DEP_2)
	v_xor_b32_e32 v2, v2, v32
	v_cndmask_b32_e64 v1, 0xffff, v4, s10
	v_xor_b32_e32 v4, v14, v3
	v_cmp_o_f16_e64 s10, v3, v3
	v_cndmask_b32_e64 v14, 0xffff, v30, s9
	v_cmp_o_f16_e64 s9, v32, v32
	s_delay_alu instid0(VALU_DEP_3)
	v_cndmask_b32_e64 v3, 0xffff, v4, s10
	v_and_b32_e32 v4, s73, v1
	v_bfe_u32 v1, v1, s26, 2
	v_and_b32_e32 v30, s73, v14
	v_bfe_u32 v14, v14, s26, 2
	v_cndmask_b32_e64 v2, 0xffff, v2, s9
	v_cmp_eq_u32_e64 s9, s72, v4
	v_cmp_eq_u32_e64 s11, 0, v1
	;; [unrolled: 1-line block ×4, first 2 shown]
	v_and_b32_e32 v4, s73, v3
	v_and_b32_e32 v30, s73, v2
	v_bfe_u32 v3, v3, s26, 2
	v_bfe_u32 v2, v2, s26, 2
	v_cmp_eq_u32_e64 s13, 1, v1
	v_cmp_eq_u32_e64 s15, 2, v1
	s_and_b32 s11, s9, s11
	v_cmp_eq_u32_e64 s14, 1, v14
	v_cmp_eq_u32_e64 s16, 2, v14
	;; [unrolled: 1-line block ×3, first 2 shown]
	v_cndmask_b32_e64 v1, 0, 1, s11
	s_and_b32 s11, s10, s12
	v_cmp_eq_u32_e64 s18, 3, v14
	v_cmp_eq_u32_e64 s19, s72, v4
	;; [unrolled: 1-line block ×5, first 2 shown]
	v_cndmask_b32_e64 v4, 0, 1, s11
	v_cmp_eq_u32_e64 s11, 1, v3
	s_and_b32 s13, s9, s13
	s_and_b32 s15, s9, s15
	v_cndmask_b32_e64 v14, 0, 1, s13
	s_and_b32 s13, s10, s14
	v_cndmask_b32_e64 v31, 0, 1, s15
	s_and_b32 s15, s10, s16
	s_and_b32 s9, s9, s17
	v_cmp_eq_u32_e64 s12, 1, v2
	v_cndmask_b32_e64 v30, 0, 1, s13
	v_cmp_eq_u32_e64 s13, 2, v3
	v_cmp_eq_u32_e64 s14, 2, v2
	v_cndmask_b32_e64 v32, 0, 1, s15
	v_cmp_eq_u32_e64 s15, 3, v3
	v_cmp_eq_u32_e64 s16, 3, v2
	v_cndmask_b32_e64 v2, 0, 1, s9
	s_and_b32 s9, s10, s18
	s_and_b32 s10, s19, s21
	;; [unrolled: 1-line block ×4, first 2 shown]
	v_cndmask_b32_e64 v3, 0, 1, s9
	v_cmp_ne_u32_e64 s9, 0, v1
	v_cndmask_b32_e64 v1, 0, 1, s10
	v_cmp_ne_u32_e64 s10, 0, v4
	;; [unrolled: 2-line block ×3, first 2 shown]
	v_cndmask_b32_e64 v14, 0, 1, s11
	s_and_b32 s12, s20, s12
	s_and_b32 s13, s19, s13
	;; [unrolled: 1-line block ×5, first 2 shown]
	v_cmp_ne_u32_e64 s11, 0, v30
	v_cndmask_b32_e64 v30, 0, 1, s12
	v_cmp_ne_u32_e64 s12, 0, v31
	v_cndmask_b32_e64 v31, 0, 1, s13
	v_cmp_ne_u32_e64 s13, 0, v32
	v_cndmask_b32_e64 v32, 0, 1, s14
	v_cmp_ne_u32_e64 s14, 0, v2
	v_cndmask_b32_e64 v2, 0, 1, s15
	v_cmp_ne_u32_e64 s15, 0, v3
	v_cndmask_b32_e64 v3, 0, 1, s16
	v_cmp_ne_u32_e64 s16, 0, v14
	s_bcnt1_i32_b32 s17, s17
	s_bcnt1_i32_b32 s20, s11
	v_cmp_ne_u32_e64 s11, 0, v30
	s_bcnt1_i32_b32 s18, s9
	v_cmp_ne_u32_e64 s9, 0, v1
	;; [unrolled: 2-line block ×4, first 2 shown]
	s_add_i32 s17, s17, s75
	s_bcnt1_i32_b32 s16, s16
	s_bcnt1_i32_b32 s19, s10
	s_add_i32 s16, s17, s16
	v_cmp_ne_u32_e64 s10, 0, v4
	s_bcnt1_i32_b32 s22, s13
	v_cmp_ne_u32_e64 s13, 0, v32
	s_bcnt1_i32_b32 s78, s15
	;; [unrolled: 2-line block ×3, first 2 shown]
	s_add_i32 s16, s16, s20
	s_add_i32 s18, s18, s76
	;; [unrolled: 1-line block ×4, first 2 shown]
	s_bcnt1_i32_b32 s9, s9
	s_bcnt1_i32_b32 s12, s12
	;; [unrolled: 1-line block ×3, first 2 shown]
	s_add_i32 s75, s16, s11
	s_delay_alu instid0(SALU_CYCLE_1)
	v_dual_mov_b32 v2, s75 :: v_dual_add_nc_u32 v13, s46, v13
	s_add_i32 s9, s18, s9
	s_add_i32 s12, s21, s12
	s_add_i32 s14, s27, s14
	s_bcnt1_i32_b32 s10, s10
	s_bcnt1_i32_b32 s13, s13
	;; [unrolled: 1-line block ×3, first 2 shown]
	s_add_i32 s9, s9, s19
	s_add_i32 s12, s12, s22
	s_add_i32 s14, s14, s78
	v_cmp_le_i32_e32 vcc_lo, s23, v13
	s_add_i32 s76, s9, s10
	s_add_i32 s28, s12, s13
	;; [unrolled: 1-line block ×3, first 2 shown]
	v_dual_mov_b32 v1, s76 :: v_dual_add_nc_u32 v6, s61, v6
	v_dual_mov_b32 v3, s28 :: v_dual_mov_b32 v4, s27
	s_or_b32 s25, vcc_lo, s25
	s_delay_alu instid0(SALU_CYCLE_1)
	s_and_not1_b32 exec_lo, exec_lo, s25
	s_cbranch_execnz .LBB56_56
; %bb.57:                               ;   in Loop: Header=BB56_8 Depth=1
	s_or_b32 exec_lo, exec_lo, s25
.LBB56_58:                              ;   in Loop: Header=BB56_8 Depth=1
	s_delay_alu instid0(SALU_CYCLE_1) | instskip(SKIP_2) | instid1(VALU_DEP_1)
	s_or_b32 exec_lo, exec_lo, s24
	v_add_nc_u32_e32 v6, s23, v0
	s_mov_b32 s14, exec_lo
	v_cmpx_gt_i32_e64 s74, v6
	s_cbranch_execz .LBB56_62
; %bb.59:                               ;   in Loop: Header=BB56_8 Depth=1
	v_lshlrev_b32_e32 v13, 1, v6
	s_and_b32 s16, s67, 0xfe
	s_mov_b32 s15, 0
.LBB56_60:                              ;   Parent Loop BB56_8 Depth=1
                                        ; =>  This Inner Loop Header: Depth=2
	ds_load_u16 v14, v13
	v_add_nc_u32_e32 v6, s44, v6
	v_add_nc_u32_e32 v13, s62, v13
	s_delay_alu instid0(VALU_DEP_2) | instskip(SKIP_4) | instid1(VALU_DEP_2)
	v_cmp_le_i32_e32 vcc_lo, s74, v6
	s_waitcnt lgkmcnt(0)
	v_cmp_lt_i16_e64 s9, -1, v14
	s_waitcnt vmcnt(0)
	v_and_b32_e32 v30, 0xffff, v14
	v_cndmask_b32_e64 v31, 0xffff, v28, s9
	v_cmp_o_f16_e64 s9, v14, v14
	s_delay_alu instid0(VALU_DEP_2) | instskip(NEXT) | instid1(VALU_DEP_1)
	v_xor_b32_e32 v30, v31, v30
	v_cndmask_b32_e64 v14, 0xffff, v30, s9
	s_delay_alu instid0(VALU_DEP_1) | instskip(SKIP_1) | instid1(VALU_DEP_2)
	v_and_b32_e32 v30, s73, v14
	v_bfe_u32 v14, v14, s16, 2
	v_cmp_eq_u32_e64 s9, s72, v30
	s_delay_alu instid0(VALU_DEP_2) | instskip(SKIP_3) | instid1(VALU_DEP_4)
	v_cmp_eq_u32_e64 s10, 0, v14
	v_cmp_eq_u32_e64 s11, 1, v14
	;; [unrolled: 1-line block ×4, first 2 shown]
	s_and_b32 s10, s9, s10
	s_delay_alu instid0(SALU_CYCLE_1) | instskip(SKIP_1) | instid1(SALU_CYCLE_1)
	v_cndmask_b32_e64 v14, 0, 1, s10
	s_and_b32 s10, s9, s11
	v_cndmask_b32_e64 v30, 0, 1, s10
	s_and_b32 s10, s9, s12
	s_and_b32 s9, s9, s13
	v_cndmask_b32_e64 v31, 0, 1, s10
	v_cndmask_b32_e64 v32, 0, 1, s9
	v_cmp_ne_u32_e64 s9, 0, v14
	v_cmp_ne_u32_e64 s10, 0, v30
	s_delay_alu instid0(VALU_DEP_4) | instskip(NEXT) | instid1(VALU_DEP_4)
	v_cmp_ne_u32_e64 s11, 0, v31
	v_cmp_ne_u32_e64 s12, 0, v32
	s_delay_alu instid0(VALU_DEP_4) | instskip(NEXT) | instid1(VALU_DEP_3)
	s_bcnt1_i32_b32 s9, s9
	s_bcnt1_i32_b32 s10, s10
	v_add_nc_u32_e32 v1, s9, v1
	s_bcnt1_i32_b32 s11, s11
	s_bcnt1_i32_b32 s12, s12
	v_add_nc_u32_e32 v2, s10, v2
	v_add_nc_u32_e32 v3, s11, v3
	;; [unrolled: 1-line block ×3, first 2 shown]
	s_or_b32 s15, vcc_lo, s15
	s_delay_alu instid0(SALU_CYCLE_1)
	s_and_not1_b32 exec_lo, exec_lo, s15
	s_cbranch_execnz .LBB56_60
; %bb.61:                               ;   in Loop: Header=BB56_8 Depth=1
	s_or_b32 exec_lo, exec_lo, s15
.LBB56_62:                              ;   in Loop: Header=BB56_8 Depth=1
	s_delay_alu instid0(SALU_CYCLE_1)
	s_or_b32 exec_lo, exec_lo, s14
.LBB56_63:                              ;   in Loop: Header=BB56_8 Depth=1
	s_lshl_b32 s9, s70, 7
	s_and_saveexec_b32 s10, s4
	s_cbranch_execz .LBB56_65
; %bb.64:                               ;   in Loop: Header=BB56_8 Depth=1
	v_or_b32_e32 v6, s9, v20
	s_delay_alu instid0(VALU_DEP_1)
	v_lshlrev_b32_e32 v6, 2, v6
	ds_store_b128 v6, v[1:4] offset:3072
.LBB56_65:                              ;   in Loop: Header=BB56_8 Depth=1
	s_or_b32 exec_lo, exec_lo, s10
	s_waitcnt vmcnt(0) lgkmcnt(0)
	s_barrier
	buffer_gl0_inv
	s_and_saveexec_b32 s10, s47
	s_cbranch_execz .LBB56_75
; %bb.66:                               ;   in Loop: Header=BB56_8 Depth=1
	v_mov_b32_e32 v1, 0
	s_and_not1_b32 vcc_lo, exec_lo, s51
	s_cbranch_vccnz .LBB56_74
; %bb.67:                               ;   in Loop: Header=BB56_8 Depth=1
	v_mov_b32_e32 v1, 0
	s_and_not1_b32 vcc_lo, exec_lo, s53
	s_mov_b32 s11, 0
	s_cbranch_vccnz .LBB56_71
; %bb.68:                               ;   in Loop: Header=BB56_8 Depth=1
	v_lshl_add_u32 v2, s70, 9, v27
	v_mov_b32_e32 v1, 0
	.p2align	6
.LBB56_69:                              ;   Parent Loop BB56_8 Depth=1
                                        ; =>  This Inner Loop Header: Depth=2
	ds_load_2addr_b32 v[3:4], v2 offset1:4
	ds_load_2addr_b32 v[13:14], v2 offset0:8 offset1:12
	ds_load_2addr_b32 v[30:31], v2 offset0:16 offset1:20
	;; [unrolled: 1-line block ×3, first 2 shown]
	v_add_nc_u32_e32 v2, 0x80, v2
	s_add_i32 s11, s11, 8
	s_delay_alu instid0(SALU_CYCLE_1) | instskip(SKIP_3) | instid1(VALU_DEP_1)
	s_cmp_eq_u32 s54, s11
	s_waitcnt lgkmcnt(3)
	v_add3_u32 v1, v3, v1, v4
	s_waitcnt lgkmcnt(2)
	v_add3_u32 v1, v13, v1, v14
	s_waitcnt lgkmcnt(1)
	s_delay_alu instid0(VALU_DEP_1) | instskip(SKIP_1) | instid1(VALU_DEP_1)
	v_add3_u32 v1, v30, v1, v31
	s_waitcnt lgkmcnt(0)
	v_add3_u32 v1, v32, v1, v33
	s_cbranch_scc0 .LBB56_69
; %bb.70:                               ;   in Loop: Header=BB56_8 Depth=1
	s_mov_b32 s11, s54
.LBB56_71:                              ;   in Loop: Header=BB56_8 Depth=1
	s_and_not1_b32 vcc_lo, exec_lo, s55
	s_cbranch_vccnz .LBB56_74
; %bb.72:                               ;   in Loop: Header=BB56_8 Depth=1
	s_lshl_b32 s12, s70, 9
	s_lshl_b32 s11, s11, 4
	s_delay_alu instid0(SALU_CYCLE_1)
	v_add3_u32 v2, s12, s11, v27
	s_mov_b32 s11, s52
.LBB56_73:                              ;   Parent Loop BB56_8 Depth=1
                                        ; =>  This Inner Loop Header: Depth=2
	ds_load_b32 v3, v2
	v_add_nc_u32_e32 v2, 16, v2
	s_add_i32 s11, s11, -1
	s_delay_alu instid0(SALU_CYCLE_1)
	s_cmp_lg_u32 s11, 0
	s_waitcnt lgkmcnt(0)
	v_add_nc_u32_e32 v1, v3, v1
	s_cbranch_scc1 .LBB56_73
.LBB56_74:                              ;   in Loop: Header=BB56_8 Depth=1
	v_add_lshl_u32 v2, s9, v15, 2
	ds_store_b32 v2, v1 offset:3072
.LBB56_75:                              ;   in Loop: Header=BB56_8 Depth=1
	s_or_b32 exec_lo, exec_lo, s10
	s_lshl_b32 s9, s9, 2
	s_waitcnt lgkmcnt(0)
	v_mov_b32_e32 v1, s9
	s_barrier
	buffer_gl0_inv
	s_and_b32 s18, s67, 0xfe
	s_mov_b32 s14, -1
	ds_load_b128 v[1:4], v1 offset:3072
	s_lshl_b32 s11, 3, s18
	s_delay_alu instid0(SALU_CYCLE_1) | instskip(SKIP_4) | instid1(VALU_DEP_3)
	s_not_b32 s19, s11
	s_waitcnt lgkmcnt(0)
	v_readfirstlane_b32 s13, v1
	v_readfirstlane_b32 s21, v2
	;; [unrolled: 1-line block ×3, first 2 shown]
	s_cmp_eq_u32 s13, 1
	s_cselect_b32 s9, -1, 0
	s_cmp_eq_u32 s37, 1
	s_cselect_b32 s10, -1, 0
	s_delay_alu instid0(SALU_CYCLE_1)
	s_and_b32 s15, s9, s10
	v_readfirstlane_b32 s10, v4
	s_and_b32 vcc_lo, exec_lo, s15
	s_cbranch_vccz .LBB56_87
; %bb.76:                               ;   in Loop: Header=BB56_8 Depth=1
	ds_load_b32 v1, v7 offset:4096
	s_waitcnt lgkmcnt(0)
	s_barrier
	buffer_gl0_inv
	v_readfirstlane_b32 s12, v1
	s_and_saveexec_b32 s9, s0
	s_cbranch_execz .LBB56_78
; %bb.77:                               ;   in Loop: Header=BB56_8 Depth=1
	ds_store_b16 v18, v7
.LBB56_78:                              ;   in Loop: Header=BB56_8 Depth=1
	s_or_b32 exec_lo, exec_lo, s9
	s_and_b32 s72, s72, s19
	s_or_b32 s73, s73, s11
	s_cmp_lt_i32 s12, 1
	s_waitcnt lgkmcnt(0)
	s_barrier
	buffer_gl0_inv
	s_cbranch_scc0 .LBB56_88
; %bb.79:                               ;   in Loop: Header=BB56_8 Depth=1
	s_mov_b32 s9, 0
                                        ; implicit-def: $vgpr29
	s_and_saveexec_b32 s17, s8
	s_cbranch_execz .LBB56_90
; %bb.80:                               ;   in Loop: Header=BB56_8 Depth=1
	v_mov_b32_e32 v1, v5
	v_mov_b32_e32 v3, v0
	s_mov_b32 s20, 0
                                        ; implicit-def: $sgpr22
	s_branch .LBB56_82
.LBB56_81:                              ;   in Loop: Header=BB56_82 Depth=2
	s_or_b32 exec_lo, exec_lo, s9
	s_waitcnt vmcnt(0) lgkmcnt(0)
	s_barrier
	buffer_gl0_inv
	ds_load_b32 v2, v7 offset:3072
	v_add_nc_u32_e32 v3, s44, v3
	v_add_nc_u32_e32 v1, s48, v1
	s_waitcnt lgkmcnt(0)
	s_barrier
	buffer_gl0_inv
	v_cmp_le_i32_e32 vcc_lo, s59, v3
	v_cmp_neq_f16_e64 s9, 0, v2
	s_delay_alu instid0(VALU_DEP_1) | instskip(NEXT) | instid1(SALU_CYCLE_1)
	s_or_b32 s23, vcc_lo, s9
	s_and_b32 s23, exec_lo, s23
	s_delay_alu instid0(SALU_CYCLE_1) | instskip(SKIP_2) | instid1(SALU_CYCLE_1)
	s_or_b32 s20, s23, s20
	s_and_not1_b32 s22, s22, exec_lo
	s_and_b32 s9, s9, exec_lo
	s_or_b32 s22, s22, s9
	s_and_not1_b32 exec_lo, exec_lo, s20
	s_cbranch_execz .LBB56_89
.LBB56_82:                              ;   Parent Loop BB56_8 Depth=1
                                        ; =>  This Inner Loop Header: Depth=2
	s_delay_alu instid0(VALU_DEP_1)
	v_cmp_gt_i32_e32 vcc_lo, s36, v3
	v_mov_b32_e32 v2, 0
	s_and_saveexec_b32 s23, vcc_lo
	s_cbranch_execz .LBB56_84
; %bb.83:                               ;   in Loop: Header=BB56_82 Depth=2
	v_ashrrev_i32_e32 v2, 31, v1
	s_delay_alu instid0(VALU_DEP_1) | instskip(NEXT) | instid1(VALU_DEP_1)
	v_lshlrev_b64 v[13:14], 1, v[1:2]
	v_add_co_u32 v13, s9, s42, v13
	s_delay_alu instid0(VALU_DEP_1)
	v_add_co_ci_u32_e64 v14, s9, s43, v14, s9
	global_load_u16 v2, v[13:14], off
.LBB56_84:                              ;   in Loop: Header=BB56_82 Depth=2
	s_or_b32 exec_lo, exec_lo, s23
	s_and_saveexec_b32 s9, vcc_lo
	s_cbranch_execz .LBB56_81
; %bb.85:                               ;   in Loop: Header=BB56_82 Depth=2
	s_waitcnt vmcnt(0)
	v_cmp_lt_i16_e32 vcc_lo, -1, v2
	v_and_b32_e32 v4, 0xffff, v2
	v_cndmask_b32_e32 v6, 0xffff, v28, vcc_lo
	v_cmp_o_f16_e32 vcc_lo, v2, v2
	s_delay_alu instid0(VALU_DEP_2) | instskip(NEXT) | instid1(VALU_DEP_1)
	v_xor_b32_e32 v4, v6, v4
	v_cndmask_b32_e32 v4, 0xffff, v4, vcc_lo
	s_delay_alu instid0(VALU_DEP_1) | instskip(NEXT) | instid1(VALU_DEP_1)
	v_and_b32_e32 v4, s73, v4
	v_cmp_eq_u32_e32 vcc_lo, s72, v4
	s_and_b32 exec_lo, exec_lo, vcc_lo
	s_cbranch_execz .LBB56_81
; %bb.86:                               ;   in Loop: Header=BB56_82 Depth=2
	v_perm_b32 v2, v2, s63, 0x5040100
	ds_store_b32 v7, v2 offset:3072
	s_branch .LBB56_81
.LBB56_87:                              ;   in Loop: Header=BB56_8 Depth=1
	s_mov_b32 s9, -1
                                        ; implicit-def: $sgpr17
                                        ; implicit-def: $sgpr22
                                        ; implicit-def: $sgpr20
	s_branch .LBB56_101
.LBB56_88:                              ;   in Loop: Header=BB56_8 Depth=1
	s_mov_b32 s17, -1
	s_mov_b32 s9, 0
                                        ; implicit-def: $sgpr20
                                        ; implicit-def: $vgpr29
	s_mov_b32 s22, s17
	s_cbranch_execnz .LBB56_91
	s_branch .LBB56_101
.LBB56_89:                              ;   in Loop: Header=BB56_8 Depth=1
	s_or_b32 exec_lo, exec_lo, s20
	v_lshrrev_b32_e32 v29, 16, v2
	s_and_b32 s9, s22, exec_lo
.LBB56_90:                              ;   in Loop: Header=BB56_8 Depth=1
	s_or_b32 exec_lo, exec_lo, s17
	s_mov_b32 s20, -1
	s_mov_b32 s17, 0
	s_delay_alu instid0(SALU_CYCLE_1)
	s_mov_b32 s22, s17
	s_branch .LBB56_101
.LBB56_91:                              ;   in Loop: Header=BB56_8 Depth=1
	s_add_i32 s20, s12, s49
                                        ; implicit-def: $vgpr29
	s_delay_alu instid0(SALU_CYCLE_1) | instskip(NEXT) | instid1(SALU_CYCLE_1)
	s_abs_i32 s9, s20
	s_mul_hi_u32 s17, s9, s58
	s_delay_alu instid0(SALU_CYCLE_1) | instskip(NEXT) | instid1(SALU_CYCLE_1)
	s_mul_i32 s17, s17, s44
	s_sub_i32 s9, s9, s17
	s_ashr_i32 s17, s20, 31
	s_sub_i32 s22, s9, s44
	s_cmp_ge_u32 s9, s44
	s_cselect_b32 s9, s22, s9
	s_delay_alu instid0(SALU_CYCLE_1) | instskip(SKIP_2) | instid1(SALU_CYCLE_1)
	s_sub_i32 s22, s9, s44
	s_cmp_ge_u32 s9, s44
	s_cselect_b32 s9, s22, s9
	s_xor_b32 s9, s9, s17
	s_delay_alu instid0(SALU_CYCLE_1)
	s_sub_i32 s9, s17, s9
	s_mov_b32 s17, exec_lo
	s_add_i32 s20, s20, s9
	s_mov_b32 s9, 0
	v_cmpx_gt_i32_e64 s20, v0
	s_cbranch_execz .LBB56_100
; %bb.92:                               ;   in Loop: Header=BB56_8 Depth=1
	v_dual_mov_b32 v1, v17 :: v_dual_mov_b32 v2, v0
	s_mov_b32 s22, 0
                                        ; implicit-def: $sgpr23
	s_set_inst_prefetch_distance 0x1
	s_branch .LBB56_94
	.p2align	6
.LBB56_93:                              ;   in Loop: Header=BB56_94 Depth=2
	s_or_b32 exec_lo, exec_lo, s9
	s_waitcnt lgkmcnt(0)
	s_barrier
	buffer_gl0_inv
	ds_load_b32 v3, v7 offset:3072
	v_add_nc_u32_e32 v2, s44, v2
	v_add_nc_u32_e32 v1, s62, v1
	s_waitcnt lgkmcnt(0)
	s_barrier
	buffer_gl0_inv
	v_cmp_le_i32_e32 vcc_lo, s20, v2
	v_cmp_neq_f16_e64 s9, 0, v3
	s_delay_alu instid0(VALU_DEP_1) | instskip(NEXT) | instid1(SALU_CYCLE_1)
	s_or_b32 s24, vcc_lo, s9
	s_and_b32 s24, exec_lo, s24
	s_delay_alu instid0(SALU_CYCLE_1) | instskip(SKIP_2) | instid1(SALU_CYCLE_1)
	s_or_b32 s22, s24, s22
	s_and_not1_b32 s23, s23, exec_lo
	s_and_b32 s9, s9, exec_lo
	s_or_b32 s23, s23, s9
	s_and_not1_b32 exec_lo, exec_lo, s22
	s_cbranch_execz .LBB56_99
.LBB56_94:                              ;   Parent Loop BB56_8 Depth=1
                                        ; =>  This Inner Loop Header: Depth=2
	s_delay_alu instid0(VALU_DEP_1)
	v_cmp_gt_i32_e32 vcc_lo, s12, v2
	v_mov_b32_e32 v3, 0
	s_and_saveexec_b32 s9, vcc_lo
	s_cbranch_execz .LBB56_96
; %bb.95:                               ;   in Loop: Header=BB56_94 Depth=2
	ds_load_u16 v3, v1
.LBB56_96:                              ;   in Loop: Header=BB56_94 Depth=2
	s_or_b32 exec_lo, exec_lo, s9
	s_and_saveexec_b32 s9, vcc_lo
	s_cbranch_execz .LBB56_93
; %bb.97:                               ;   in Loop: Header=BB56_94 Depth=2
	s_waitcnt lgkmcnt(0)
	v_cmp_lt_i16_e32 vcc_lo, -1, v3
	v_and_b32_e32 v4, 0xffff, v3
	v_cndmask_b32_e32 v6, 0xffff, v28, vcc_lo
	v_cmp_o_f16_e32 vcc_lo, v3, v3
	s_delay_alu instid0(VALU_DEP_2) | instskip(NEXT) | instid1(VALU_DEP_1)
	v_xor_b32_e32 v4, v6, v4
	v_cndmask_b32_e32 v4, 0xffff, v4, vcc_lo
	s_delay_alu instid0(VALU_DEP_1) | instskip(NEXT) | instid1(VALU_DEP_1)
	v_and_b32_e32 v4, s73, v4
	v_cmp_eq_u32_e32 vcc_lo, s72, v4
	s_and_b32 exec_lo, exec_lo, vcc_lo
	s_cbranch_execz .LBB56_93
; %bb.98:                               ;   in Loop: Header=BB56_94 Depth=2
	v_perm_b32 v3, v3, s63, 0x5040100
	ds_store_b32 v7, v3 offset:3072
	s_branch .LBB56_93
.LBB56_99:                              ;   in Loop: Header=BB56_8 Depth=1
	s_set_inst_prefetch_distance 0x2
	s_or_b32 exec_lo, exec_lo, s22
	v_lshrrev_b32_e32 v29, 16, v3
	s_and_b32 s9, s23, exec_lo
.LBB56_100:                             ;   in Loop: Header=BB56_8 Depth=1
	s_or_b32 exec_lo, exec_lo, s17
	s_mov_b32 s22, -1
	s_mov_b32 s17, 0
	s_mov_b32 s20, 0
.LBB56_101:                             ;   in Loop: Header=BB56_8 Depth=1
	s_and_not1_b32 s12, s68, exec_lo
	s_and_b32 s17, s17, exec_lo
	s_and_b32 s20, s20, exec_lo
	s_or_b32 s68, s12, s17
	s_and_not1_b32 s12, s71, exec_lo
	s_and_b32 s17, s22, exec_lo
	s_and_not1_b32 s22, s69, exec_lo
	s_or_b32 s71, s12, s17
	s_or_b32 s69, s22, s20
	s_and_saveexec_b32 s12, s9
	s_cbranch_execz .LBB56_7
; %bb.102:                              ;   in Loop: Header=BB56_8 Depth=1
	s_xor_b32 s9, s15, -1
	s_mov_b32 s14, 0
	s_and_not1_b32 vcc_lo, exec_lo, s9
	s_mov_b32 s22, 1
	s_cbranch_vccnz .LBB56_113
; %bb.103:                              ;   in Loop: Header=BB56_8 Depth=1
	s_cmp_gt_i32 s37, s13
	s_mov_b32 s14, -1
                                        ; implicit-def: $sgpr9
                                        ; implicit-def: $sgpr15
                                        ; implicit-def: $sgpr17
	s_cbranch_scc1 .LBB56_109
; %bb.104:                              ;   in Loop: Header=BB56_8 Depth=1
	ds_load_b32 v1, v7 offset:4096
	s_waitcnt lgkmcnt(0)
	v_cmp_ne_u32_e32 vcc_lo, 0, v1
	s_cbranch_vccnz .LBB56_108
; %bb.105:                              ;   in Loop: Header=BB56_8 Depth=1
	s_and_saveexec_b32 s9, s2
	s_cbranch_execz .LBB56_107
; %bb.106:                              ;   in Loop: Header=BB56_8 Depth=1
	v_mov_b32_e32 v1, s13
	ds_store_b32 v7, v1 offset:4100
.LBB56_107:                             ;   in Loop: Header=BB56_8 Depth=1
	s_or_b32 exec_lo, exec_lo, s9
	s_waitcnt lgkmcnt(0)
	s_barrier
	buffer_gl0_inv
.LBB56_108:                             ;   in Loop: Header=BB56_8 Depth=1
	s_and_b32 s15, s72, s19
	s_or_b32 s17, s73, s11
	s_mov_b32 s14, 0
	s_mov_b32 s9, 8
.LBB56_109:                             ;   in Loop: Header=BB56_8 Depth=1
	s_and_not1_b32 vcc_lo, exec_lo, s14
	s_cbranch_vccnz .LBB56_111
; %bb.110:                              ;   in Loop: Header=BB56_8 Depth=1
	s_sub_i32 s37, s37, s13
	s_mov_b32 s14, -1
	s_mov_b32 s9, 0
	s_mov_b32 s15, s72
	;; [unrolled: 1-line block ×3, first 2 shown]
.LBB56_111:                             ;   in Loop: Header=BB56_8 Depth=1
	s_delay_alu instid0(SALU_CYCLE_1)
	s_mov_b32 s73, s17
	s_mov_b32 s72, s15
	;; [unrolled: 1-line block ×3, first 2 shown]
	s_and_b32 vcc_lo, exec_lo, s14
	s_mov_b32 s13, -1
	s_cbranch_vccnz .LBB56_114
.LBB56_112:                             ;   in Loop: Header=BB56_8 Depth=1
	s_mov_b32 s25, -1
                                        ; implicit-def: $sgpr14
                                        ; implicit-def: $sgpr17
                                        ; implicit-def: $sgpr15
	s_delay_alu instid0(SALU_CYCLE_1) | instskip(NEXT) | instid1(SALU_CYCLE_1)
	s_and_saveexec_b32 s10, s25
	s_xor_b32 s10, exec_lo, s10
	s_cbranch_execz .LBB56_6
	s_branch .LBB56_237
.LBB56_113:                             ;   in Loop: Header=BB56_8 Depth=1
	s_mov_b32 s9, 1
	s_and_b32 vcc_lo, exec_lo, s14
	s_mov_b32 s13, -1
	s_cbranch_vccz .LBB56_112
.LBB56_114:                             ;   in Loop: Header=BB56_8 Depth=1
	s_cmp_eq_u32 s21, 1
	s_mov_b32 s24, -1
	s_cselect_b32 s9, -1, 0
	s_cmp_eq_u32 s22, 1
	s_cselect_b32 s14, -1, 0
	s_delay_alu instid0(SALU_CYCLE_1) | instskip(NEXT) | instid1(SALU_CYCLE_1)
	s_and_b32 s23, s9, s14
	s_and_b32 vcc_lo, exec_lo, s23
	s_cbranch_vccz .LBB56_126
; %bb.115:                              ;   in Loop: Header=BB56_8 Depth=1
	ds_load_b32 v1, v7 offset:4096
	s_waitcnt lgkmcnt(0)
	s_barrier
	buffer_gl0_inv
	v_readfirstlane_b32 s20, v1
	s_and_saveexec_b32 s9, s0
	s_cbranch_execz .LBB56_117
; %bb.116:                              ;   in Loop: Header=BB56_8 Depth=1
	ds_store_b16 v18, v7
.LBB56_117:                             ;   in Loop: Header=BB56_8 Depth=1
	s_or_b32 exec_lo, exec_lo, s9
	s_lshl_b32 s9, 1, s18
	s_and_b32 s14, s72, s19
	s_or_b32 s73, s73, s11
	s_or_b32 s72, s14, s9
	s_cmp_gt_i32 s20, 0
	s_waitcnt lgkmcnt(0)
	s_barrier
	buffer_gl0_inv
	s_cbranch_scc1 .LBB56_127
; %bb.118:                              ;   in Loop: Header=BB56_8 Depth=1
	s_mov_b32 s24, 0
                                        ; implicit-def: $vgpr29
	s_and_saveexec_b32 s14, s8
	s_cbranch_execz .LBB56_129
; %bb.119:                              ;   in Loop: Header=BB56_8 Depth=1
	v_mov_b32_e32 v1, v5
	v_mov_b32_e32 v3, v0
	s_mov_b32 s15, 0
                                        ; implicit-def: $sgpr17
	s_branch .LBB56_121
.LBB56_120:                             ;   in Loop: Header=BB56_121 Depth=2
	s_or_b32 exec_lo, exec_lo, s9
	s_waitcnt vmcnt(0) lgkmcnt(0)
	s_barrier
	buffer_gl0_inv
	ds_load_b32 v2, v7 offset:3072
	v_add_nc_u32_e32 v3, s44, v3
	v_add_nc_u32_e32 v1, s48, v1
	s_waitcnt lgkmcnt(0)
	s_barrier
	buffer_gl0_inv
	v_cmp_le_i32_e32 vcc_lo, s59, v3
	v_cmp_neq_f16_e64 s9, 0, v2
	s_delay_alu instid0(VALU_DEP_1) | instskip(NEXT) | instid1(SALU_CYCLE_1)
	s_or_b32 s24, vcc_lo, s9
	s_and_b32 s24, exec_lo, s24
	s_delay_alu instid0(SALU_CYCLE_1) | instskip(SKIP_2) | instid1(SALU_CYCLE_1)
	s_or_b32 s15, s24, s15
	s_and_not1_b32 s17, s17, exec_lo
	s_and_b32 s9, s9, exec_lo
	s_or_b32 s17, s17, s9
	s_and_not1_b32 exec_lo, exec_lo, s15
	s_cbranch_execz .LBB56_128
.LBB56_121:                             ;   Parent Loop BB56_8 Depth=1
                                        ; =>  This Inner Loop Header: Depth=2
	s_delay_alu instid0(VALU_DEP_1)
	v_cmp_gt_i32_e32 vcc_lo, s36, v3
	v_mov_b32_e32 v2, 0
	s_and_saveexec_b32 s24, vcc_lo
	s_cbranch_execz .LBB56_123
; %bb.122:                              ;   in Loop: Header=BB56_121 Depth=2
	v_ashrrev_i32_e32 v2, 31, v1
	s_delay_alu instid0(VALU_DEP_1) | instskip(NEXT) | instid1(VALU_DEP_1)
	v_lshlrev_b64 v[13:14], 1, v[1:2]
	v_add_co_u32 v13, s9, s42, v13
	s_delay_alu instid0(VALU_DEP_1)
	v_add_co_ci_u32_e64 v14, s9, s43, v14, s9
	global_load_u16 v2, v[13:14], off
.LBB56_123:                             ;   in Loop: Header=BB56_121 Depth=2
	s_or_b32 exec_lo, exec_lo, s24
	s_and_saveexec_b32 s9, vcc_lo
	s_cbranch_execz .LBB56_120
; %bb.124:                              ;   in Loop: Header=BB56_121 Depth=2
	s_waitcnt vmcnt(0)
	v_cmp_lt_i16_e32 vcc_lo, -1, v2
	v_and_b32_e32 v4, 0xffff, v2
	v_cndmask_b32_e32 v6, 0xffff, v28, vcc_lo
	v_cmp_o_f16_e32 vcc_lo, v2, v2
	s_delay_alu instid0(VALU_DEP_2) | instskip(NEXT) | instid1(VALU_DEP_1)
	v_xor_b32_e32 v4, v6, v4
	v_cndmask_b32_e32 v4, 0xffff, v4, vcc_lo
	s_delay_alu instid0(VALU_DEP_1) | instskip(NEXT) | instid1(VALU_DEP_1)
	v_and_b32_e32 v4, s73, v4
	v_cmp_eq_u32_e32 vcc_lo, s72, v4
	s_and_b32 exec_lo, exec_lo, vcc_lo
	s_cbranch_execz .LBB56_120
; %bb.125:                              ;   in Loop: Header=BB56_121 Depth=2
	v_perm_b32 v2, v2, s63, 0x5040100
	ds_store_b32 v7, v2 offset:3072
	s_branch .LBB56_120
.LBB56_126:                             ;   in Loop: Header=BB56_8 Depth=1
                                        ; implicit-def: $sgpr15
                                        ; implicit-def: $sgpr17
                                        ; implicit-def: $sgpr14
	s_branch .LBB56_140
.LBB56_127:                             ;   in Loop: Header=BB56_8 Depth=1
	s_mov_b32 s15, -1
	s_mov_b32 s24, 0
                                        ; implicit-def: $sgpr14
                                        ; implicit-def: $vgpr29
	s_mov_b32 s17, s15
	s_cbranch_execnz .LBB56_130
	s_branch .LBB56_140
.LBB56_128:                             ;   in Loop: Header=BB56_8 Depth=1
	s_or_b32 exec_lo, exec_lo, s15
	v_lshrrev_b32_e32 v29, 16, v2
	s_and_b32 s24, s17, exec_lo
.LBB56_129:                             ;   in Loop: Header=BB56_8 Depth=1
	s_or_b32 exec_lo, exec_lo, s14
	s_mov_b32 s14, -1
	s_mov_b32 s15, 0
	s_delay_alu instid0(SALU_CYCLE_1)
	s_mov_b32 s17, s15
	s_branch .LBB56_140
.LBB56_130:                             ;   in Loop: Header=BB56_8 Depth=1
	s_add_i32 s15, s20, s49
	s_mov_b32 s24, 0
	s_abs_i32 s9, s15
                                        ; implicit-def: $vgpr29
	s_delay_alu instid0(SALU_CYCLE_1) | instskip(NEXT) | instid1(SALU_CYCLE_1)
	s_mul_hi_u32 s14, s9, s58
	s_mul_i32 s14, s14, s44
	s_delay_alu instid0(SALU_CYCLE_1) | instskip(SKIP_4) | instid1(SALU_CYCLE_1)
	s_sub_i32 s9, s9, s14
	s_ashr_i32 s14, s15, 31
	s_sub_i32 s17, s9, s44
	s_cmp_ge_u32 s9, s44
	s_cselect_b32 s9, s17, s9
	s_sub_i32 s17, s9, s44
	s_cmp_ge_u32 s9, s44
	s_cselect_b32 s9, s17, s9
	s_delay_alu instid0(SALU_CYCLE_1) | instskip(NEXT) | instid1(SALU_CYCLE_1)
	s_xor_b32 s9, s9, s14
	s_sub_i32 s9, s14, s9
	s_mov_b32 s14, exec_lo
	s_add_i32 s15, s15, s9
	s_delay_alu instid0(SALU_CYCLE_1)
	v_cmpx_gt_i32_e64 s15, v0
	s_cbranch_execz .LBB56_139
; %bb.131:                              ;   in Loop: Header=BB56_8 Depth=1
	v_dual_mov_b32 v1, v17 :: v_dual_mov_b32 v2, v0
	s_mov_b32 s17, 0
                                        ; implicit-def: $sgpr24
	s_set_inst_prefetch_distance 0x1
	s_branch .LBB56_133
	.p2align	6
.LBB56_132:                             ;   in Loop: Header=BB56_133 Depth=2
	s_or_b32 exec_lo, exec_lo, s9
	s_waitcnt lgkmcnt(0)
	s_barrier
	buffer_gl0_inv
	ds_load_b32 v3, v7 offset:3072
	v_add_nc_u32_e32 v2, s44, v2
	v_add_nc_u32_e32 v1, s62, v1
	s_waitcnt lgkmcnt(0)
	s_barrier
	buffer_gl0_inv
	v_cmp_le_i32_e32 vcc_lo, s15, v2
	v_cmp_neq_f16_e64 s9, 0, v3
	s_delay_alu instid0(VALU_DEP_1) | instskip(NEXT) | instid1(SALU_CYCLE_1)
	s_or_b32 s25, vcc_lo, s9
	s_and_b32 s25, exec_lo, s25
	s_delay_alu instid0(SALU_CYCLE_1) | instskip(SKIP_2) | instid1(SALU_CYCLE_1)
	s_or_b32 s17, s25, s17
	s_and_not1_b32 s24, s24, exec_lo
	s_and_b32 s9, s9, exec_lo
	s_or_b32 s24, s24, s9
	s_and_not1_b32 exec_lo, exec_lo, s17
	s_cbranch_execz .LBB56_138
.LBB56_133:                             ;   Parent Loop BB56_8 Depth=1
                                        ; =>  This Inner Loop Header: Depth=2
	s_delay_alu instid0(VALU_DEP_1)
	v_cmp_gt_i32_e32 vcc_lo, s20, v2
	v_mov_b32_e32 v3, 0
	s_and_saveexec_b32 s9, vcc_lo
	s_cbranch_execz .LBB56_135
; %bb.134:                              ;   in Loop: Header=BB56_133 Depth=2
	ds_load_u16 v3, v1
.LBB56_135:                             ;   in Loop: Header=BB56_133 Depth=2
	s_or_b32 exec_lo, exec_lo, s9
	s_and_saveexec_b32 s9, vcc_lo
	s_cbranch_execz .LBB56_132
; %bb.136:                              ;   in Loop: Header=BB56_133 Depth=2
	s_waitcnt lgkmcnt(0)
	v_cmp_lt_i16_e32 vcc_lo, -1, v3
	v_and_b32_e32 v4, 0xffff, v3
	v_cndmask_b32_e32 v6, 0xffff, v28, vcc_lo
	v_cmp_o_f16_e32 vcc_lo, v3, v3
	s_delay_alu instid0(VALU_DEP_2) | instskip(NEXT) | instid1(VALU_DEP_1)
	v_xor_b32_e32 v4, v6, v4
	v_cndmask_b32_e32 v4, 0xffff, v4, vcc_lo
	s_delay_alu instid0(VALU_DEP_1) | instskip(NEXT) | instid1(VALU_DEP_1)
	v_and_b32_e32 v4, s73, v4
	v_cmp_eq_u32_e32 vcc_lo, s72, v4
	s_and_b32 exec_lo, exec_lo, vcc_lo
	s_cbranch_execz .LBB56_132
; %bb.137:                              ;   in Loop: Header=BB56_133 Depth=2
	v_perm_b32 v3, v3, s63, 0x5040100
	ds_store_b32 v7, v3 offset:3072
	s_branch .LBB56_132
.LBB56_138:                             ;   in Loop: Header=BB56_8 Depth=1
	s_set_inst_prefetch_distance 0x2
	s_or_b32 exec_lo, exec_lo, s17
	v_lshrrev_b32_e32 v29, 16, v3
	s_and_b32 s24, s24, exec_lo
.LBB56_139:                             ;   in Loop: Header=BB56_8 Depth=1
	s_or_b32 exec_lo, exec_lo, s14
	s_mov_b32 s17, -1
	s_mov_b32 s15, 0
	s_mov_b32 s14, 0
.LBB56_140:                             ;   in Loop: Header=BB56_8 Depth=1
	s_mov_b32 s25, 0
                                        ; implicit-def: $sgpr9
	s_and_saveexec_b32 s20, s24
	s_cbranch_execz .LBB56_236
; %bb.141:                              ;   in Loop: Header=BB56_8 Depth=1
	s_xor_b32 s9, s23, -1
	s_mov_b32 s23, 0
	s_and_not1_b32 vcc_lo, exec_lo, s9
	s_mov_b32 s26, 1
	s_cbranch_vccnz .LBB56_152
; %bb.142:                              ;   in Loop: Header=BB56_8 Depth=1
	s_cmp_gt_i32 s22, s21
	s_mov_b32 s23, -1
                                        ; implicit-def: $sgpr9
                                        ; implicit-def: $sgpr24
                                        ; implicit-def: $sgpr25
	s_cbranch_scc1 .LBB56_148
; %bb.143:                              ;   in Loop: Header=BB56_8 Depth=1
	ds_load_b32 v1, v7 offset:4096
	s_waitcnt lgkmcnt(0)
	v_cmp_ne_u32_e32 vcc_lo, 0, v1
	s_cbranch_vccnz .LBB56_147
; %bb.144:                              ;   in Loop: Header=BB56_8 Depth=1
	s_and_saveexec_b32 s9, s2
	s_cbranch_execz .LBB56_146
; %bb.145:                              ;   in Loop: Header=BB56_8 Depth=1
	v_mov_b32_e32 v1, s21
	ds_store_b32 v7, v1 offset:4100
.LBB56_146:                             ;   in Loop: Header=BB56_8 Depth=1
	s_or_b32 exec_lo, exec_lo, s9
	s_waitcnt lgkmcnt(0)
	s_barrier
	buffer_gl0_inv
.LBB56_147:                             ;   in Loop: Header=BB56_8 Depth=1
	s_lshl_b32 s9, 1, s18
	s_and_b32 s23, s72, s19
	s_or_b32 s25, s73, s11
	s_or_b32 s24, s23, s9
	s_mov_b32 s23, 0
	s_mov_b32 s9, 8
.LBB56_148:                             ;   in Loop: Header=BB56_8 Depth=1
	s_and_not1_b32 vcc_lo, exec_lo, s23
	s_cbranch_vccnz .LBB56_150
; %bb.149:                              ;   in Loop: Header=BB56_8 Depth=1
	s_sub_i32 s22, s22, s21
	s_mov_b32 s23, -1
	s_mov_b32 s9, 0
	s_mov_b32 s24, s72
	;; [unrolled: 1-line block ×3, first 2 shown]
.LBB56_150:                             ;   in Loop: Header=BB56_8 Depth=1
	s_delay_alu instid0(SALU_CYCLE_1)
	s_mov_b32 s73, s25
	s_mov_b32 s72, s24
	;; [unrolled: 1-line block ×3, first 2 shown]
	s_and_not1_b32 vcc_lo, exec_lo, s23
	s_mov_b32 s28, -1
	s_cbranch_vccz .LBB56_153
.LBB56_151:                             ;   in Loop: Header=BB56_8 Depth=1
                                        ; implicit-def: $sgpr22
                                        ; implicit-def: $sgpr23
                                        ; implicit-def: $sgpr21
	s_branch .LBB56_235
.LBB56_152:                             ;   in Loop: Header=BB56_8 Depth=1
	s_mov_b32 s9, 1
	s_and_not1_b32 vcc_lo, exec_lo, s23
	s_mov_b32 s28, -1
	s_cbranch_vccnz .LBB56_151
.LBB56_153:                             ;   in Loop: Header=BB56_8 Depth=1
	s_cmp_eq_u32 s16, 1
	s_mov_b32 s27, -1
	s_cselect_b32 s9, -1, 0
	s_cmp_eq_u32 s26, 1
	s_cselect_b32 s21, -1, 0
	s_delay_alu instid0(SALU_CYCLE_1) | instskip(NEXT) | instid1(SALU_CYCLE_1)
	s_and_b32 s25, s9, s21
	s_and_b32 vcc_lo, exec_lo, s25
	s_cbranch_vccz .LBB56_165
; %bb.154:                              ;   in Loop: Header=BB56_8 Depth=1
	ds_load_b32 v1, v7 offset:4096
	s_waitcnt lgkmcnt(0)
	s_barrier
	buffer_gl0_inv
	v_readfirstlane_b32 s24, v1
	s_and_saveexec_b32 s9, s0
	s_cbranch_execz .LBB56_156
; %bb.155:                              ;   in Loop: Header=BB56_8 Depth=1
	ds_store_b16 v18, v7
.LBB56_156:                             ;   in Loop: Header=BB56_8 Depth=1
	s_or_b32 exec_lo, exec_lo, s9
	s_lshl_b32 s9, 2, s18
	s_and_b32 s21, s72, s19
	s_or_b32 s73, s73, s11
	s_or_b32 s72, s21, s9
	s_cmp_gt_i32 s24, 0
	s_waitcnt lgkmcnt(0)
	s_barrier
	buffer_gl0_inv
	s_cbranch_scc1 .LBB56_166
; %bb.157:                              ;   in Loop: Header=BB56_8 Depth=1
	s_mov_b32 s27, 0
                                        ; implicit-def: $vgpr29
	s_and_saveexec_b32 s21, s8
	s_cbranch_execz .LBB56_168
; %bb.158:                              ;   in Loop: Header=BB56_8 Depth=1
	v_mov_b32_e32 v1, v5
	v_mov_b32_e32 v3, v0
	s_mov_b32 s22, 0
                                        ; implicit-def: $sgpr23
	s_branch .LBB56_160
.LBB56_159:                             ;   in Loop: Header=BB56_160 Depth=2
	s_or_b32 exec_lo, exec_lo, s9
	s_waitcnt vmcnt(0) lgkmcnt(0)
	s_barrier
	buffer_gl0_inv
	ds_load_b32 v2, v7 offset:3072
	v_add_nc_u32_e32 v3, s44, v3
	v_add_nc_u32_e32 v1, s48, v1
	s_waitcnt lgkmcnt(0)
	s_barrier
	buffer_gl0_inv
	v_cmp_le_i32_e32 vcc_lo, s59, v3
	v_cmp_neq_f16_e64 s9, 0, v2
	s_delay_alu instid0(VALU_DEP_1) | instskip(NEXT) | instid1(SALU_CYCLE_1)
	s_or_b32 s27, vcc_lo, s9
	s_and_b32 s27, exec_lo, s27
	s_delay_alu instid0(SALU_CYCLE_1) | instskip(SKIP_2) | instid1(SALU_CYCLE_1)
	s_or_b32 s22, s27, s22
	s_and_not1_b32 s23, s23, exec_lo
	s_and_b32 s9, s9, exec_lo
	s_or_b32 s23, s23, s9
	s_and_not1_b32 exec_lo, exec_lo, s22
	s_cbranch_execz .LBB56_167
.LBB56_160:                             ;   Parent Loop BB56_8 Depth=1
                                        ; =>  This Inner Loop Header: Depth=2
	s_delay_alu instid0(VALU_DEP_1)
	v_cmp_gt_i32_e32 vcc_lo, s36, v3
	v_mov_b32_e32 v2, 0
	s_and_saveexec_b32 s27, vcc_lo
	s_cbranch_execz .LBB56_162
; %bb.161:                              ;   in Loop: Header=BB56_160 Depth=2
	v_ashrrev_i32_e32 v2, 31, v1
	s_delay_alu instid0(VALU_DEP_1) | instskip(NEXT) | instid1(VALU_DEP_1)
	v_lshlrev_b64 v[13:14], 1, v[1:2]
	v_add_co_u32 v13, s9, s42, v13
	s_delay_alu instid0(VALU_DEP_1)
	v_add_co_ci_u32_e64 v14, s9, s43, v14, s9
	global_load_u16 v2, v[13:14], off
.LBB56_162:                             ;   in Loop: Header=BB56_160 Depth=2
	s_or_b32 exec_lo, exec_lo, s27
	s_and_saveexec_b32 s9, vcc_lo
	s_cbranch_execz .LBB56_159
; %bb.163:                              ;   in Loop: Header=BB56_160 Depth=2
	s_waitcnt vmcnt(0)
	v_cmp_lt_i16_e32 vcc_lo, -1, v2
	v_and_b32_e32 v4, 0xffff, v2
	v_cndmask_b32_e32 v6, 0xffff, v28, vcc_lo
	v_cmp_o_f16_e32 vcc_lo, v2, v2
	s_delay_alu instid0(VALU_DEP_2) | instskip(NEXT) | instid1(VALU_DEP_1)
	v_xor_b32_e32 v4, v6, v4
	v_cndmask_b32_e32 v4, 0xffff, v4, vcc_lo
	s_delay_alu instid0(VALU_DEP_1) | instskip(NEXT) | instid1(VALU_DEP_1)
	v_and_b32_e32 v4, s73, v4
	v_cmp_eq_u32_e32 vcc_lo, s72, v4
	s_and_b32 exec_lo, exec_lo, vcc_lo
	s_cbranch_execz .LBB56_159
; %bb.164:                              ;   in Loop: Header=BB56_160 Depth=2
	v_perm_b32 v2, v2, s63, 0x5040100
	ds_store_b32 v7, v2 offset:3072
	s_branch .LBB56_159
.LBB56_165:                             ;   in Loop: Header=BB56_8 Depth=1
                                        ; implicit-def: $sgpr21
                                        ; implicit-def: $sgpr23
                                        ; implicit-def: $sgpr22
	s_branch .LBB56_179
.LBB56_166:                             ;   in Loop: Header=BB56_8 Depth=1
	s_mov_b32 s21, -1
	s_mov_b32 s27, 0
                                        ; implicit-def: $sgpr22
                                        ; implicit-def: $vgpr29
	s_mov_b32 s23, s21
	s_cbranch_execnz .LBB56_169
	s_branch .LBB56_179
.LBB56_167:                             ;   in Loop: Header=BB56_8 Depth=1
	s_or_b32 exec_lo, exec_lo, s22
	v_lshrrev_b32_e32 v29, 16, v2
	s_and_b32 s27, s23, exec_lo
.LBB56_168:                             ;   in Loop: Header=BB56_8 Depth=1
	s_or_b32 exec_lo, exec_lo, s21
	s_mov_b32 s22, -1
	s_mov_b32 s21, 0
	s_delay_alu instid0(SALU_CYCLE_1)
	s_mov_b32 s23, s21
	s_branch .LBB56_179
.LBB56_169:                             ;   in Loop: Header=BB56_8 Depth=1
	s_add_i32 s22, s24, s49
	s_mov_b32 s27, 0
	s_abs_i32 s9, s22
                                        ; implicit-def: $vgpr29
	s_delay_alu instid0(SALU_CYCLE_1) | instskip(NEXT) | instid1(SALU_CYCLE_1)
	s_mul_hi_u32 s21, s9, s58
	s_mul_i32 s21, s21, s44
	s_delay_alu instid0(SALU_CYCLE_1) | instskip(SKIP_4) | instid1(SALU_CYCLE_1)
	s_sub_i32 s9, s9, s21
	s_ashr_i32 s21, s22, 31
	s_sub_i32 s23, s9, s44
	s_cmp_ge_u32 s9, s44
	s_cselect_b32 s9, s23, s9
	s_sub_i32 s23, s9, s44
	s_cmp_ge_u32 s9, s44
	s_cselect_b32 s9, s23, s9
	s_delay_alu instid0(SALU_CYCLE_1) | instskip(NEXT) | instid1(SALU_CYCLE_1)
	s_xor_b32 s9, s9, s21
	s_sub_i32 s9, s21, s9
	s_mov_b32 s21, exec_lo
	s_add_i32 s22, s22, s9
	s_delay_alu instid0(SALU_CYCLE_1)
	v_cmpx_gt_i32_e64 s22, v0
	s_cbranch_execz .LBB56_178
; %bb.170:                              ;   in Loop: Header=BB56_8 Depth=1
	v_dual_mov_b32 v1, v17 :: v_dual_mov_b32 v2, v0
	s_mov_b32 s23, 0
                                        ; implicit-def: $sgpr27
	s_set_inst_prefetch_distance 0x1
	s_branch .LBB56_172
	.p2align	6
.LBB56_171:                             ;   in Loop: Header=BB56_172 Depth=2
	s_or_b32 exec_lo, exec_lo, s9
	s_waitcnt lgkmcnt(0)
	s_barrier
	buffer_gl0_inv
	ds_load_b32 v3, v7 offset:3072
	v_add_nc_u32_e32 v2, s44, v2
	v_add_nc_u32_e32 v1, s62, v1
	s_waitcnt lgkmcnt(0)
	s_barrier
	buffer_gl0_inv
	v_cmp_le_i32_e32 vcc_lo, s22, v2
	v_cmp_neq_f16_e64 s9, 0, v3
	s_delay_alu instid0(VALU_DEP_1) | instskip(NEXT) | instid1(SALU_CYCLE_1)
	s_or_b32 s28, vcc_lo, s9
	s_and_b32 s28, exec_lo, s28
	s_delay_alu instid0(SALU_CYCLE_1) | instskip(SKIP_2) | instid1(SALU_CYCLE_1)
	s_or_b32 s23, s28, s23
	s_and_not1_b32 s27, s27, exec_lo
	s_and_b32 s9, s9, exec_lo
	s_or_b32 s27, s27, s9
	s_and_not1_b32 exec_lo, exec_lo, s23
	s_cbranch_execz .LBB56_177
.LBB56_172:                             ;   Parent Loop BB56_8 Depth=1
                                        ; =>  This Inner Loop Header: Depth=2
	s_delay_alu instid0(VALU_DEP_1)
	v_cmp_gt_i32_e32 vcc_lo, s24, v2
	v_mov_b32_e32 v3, 0
	s_and_saveexec_b32 s9, vcc_lo
	s_cbranch_execz .LBB56_174
; %bb.173:                              ;   in Loop: Header=BB56_172 Depth=2
	ds_load_u16 v3, v1
.LBB56_174:                             ;   in Loop: Header=BB56_172 Depth=2
	s_or_b32 exec_lo, exec_lo, s9
	s_and_saveexec_b32 s9, vcc_lo
	s_cbranch_execz .LBB56_171
; %bb.175:                              ;   in Loop: Header=BB56_172 Depth=2
	s_waitcnt lgkmcnt(0)
	v_cmp_lt_i16_e32 vcc_lo, -1, v3
	v_and_b32_e32 v4, 0xffff, v3
	v_cndmask_b32_e32 v6, 0xffff, v28, vcc_lo
	v_cmp_o_f16_e32 vcc_lo, v3, v3
	s_delay_alu instid0(VALU_DEP_2) | instskip(NEXT) | instid1(VALU_DEP_1)
	v_xor_b32_e32 v4, v6, v4
	v_cndmask_b32_e32 v4, 0xffff, v4, vcc_lo
	s_delay_alu instid0(VALU_DEP_1) | instskip(NEXT) | instid1(VALU_DEP_1)
	v_and_b32_e32 v4, s73, v4
	v_cmp_eq_u32_e32 vcc_lo, s72, v4
	s_and_b32 exec_lo, exec_lo, vcc_lo
	s_cbranch_execz .LBB56_171
; %bb.176:                              ;   in Loop: Header=BB56_172 Depth=2
	v_perm_b32 v3, v3, s63, 0x5040100
	ds_store_b32 v7, v3 offset:3072
	s_branch .LBB56_171
.LBB56_177:                             ;   in Loop: Header=BB56_8 Depth=1
	s_set_inst_prefetch_distance 0x2
	s_or_b32 exec_lo, exec_lo, s23
	v_lshrrev_b32_e32 v29, 16, v3
	s_and_b32 s27, s27, exec_lo
.LBB56_178:                             ;   in Loop: Header=BB56_8 Depth=1
	s_or_b32 exec_lo, exec_lo, s21
	s_mov_b32 s23, -1
	s_mov_b32 s21, 0
	s_mov_b32 s22, 0
.LBB56_179:                             ;   in Loop: Header=BB56_8 Depth=1
	s_mov_b32 s28, 0
                                        ; implicit-def: $sgpr9
	s_and_saveexec_b32 s24, s27
	s_cbranch_execz .LBB56_234
; %bb.180:                              ;   in Loop: Header=BB56_8 Depth=1
	s_xor_b32 s9, s25, -1
	s_mov_b32 s27, 0
	s_and_not1_b32 vcc_lo, exec_lo, s9
	s_mov_b32 s25, 1
	s_cbranch_vccnz .LBB56_191
; %bb.181:                              ;   in Loop: Header=BB56_8 Depth=1
	s_cmp_gt_i32 s26, s16
	s_mov_b32 s27, -1
                                        ; implicit-def: $sgpr9
                                        ; implicit-def: $sgpr25
                                        ; implicit-def: $sgpr28
	s_cbranch_scc1 .LBB56_187
; %bb.182:                              ;   in Loop: Header=BB56_8 Depth=1
	ds_load_b32 v1, v7 offset:4096
	s_waitcnt lgkmcnt(0)
	v_cmp_ne_u32_e32 vcc_lo, 0, v1
	s_cbranch_vccnz .LBB56_186
; %bb.183:                              ;   in Loop: Header=BB56_8 Depth=1
	s_and_saveexec_b32 s9, s2
	s_cbranch_execz .LBB56_185
; %bb.184:                              ;   in Loop: Header=BB56_8 Depth=1
	v_mov_b32_e32 v1, s16
	ds_store_b32 v7, v1 offset:4100
.LBB56_185:                             ;   in Loop: Header=BB56_8 Depth=1
	s_or_b32 exec_lo, exec_lo, s9
	s_waitcnt lgkmcnt(0)
	s_barrier
	buffer_gl0_inv
.LBB56_186:                             ;   in Loop: Header=BB56_8 Depth=1
	s_lshl_b32 s9, 2, s18
	s_and_b32 s18, s72, s19
	s_or_b32 s28, s73, s11
	s_or_b32 s25, s18, s9
	s_mov_b32 s27, 0
	s_mov_b32 s9, 8
.LBB56_187:                             ;   in Loop: Header=BB56_8 Depth=1
	s_and_not1_b32 vcc_lo, exec_lo, s27
	s_cbranch_vccnz .LBB56_189
; %bb.188:                              ;   in Loop: Header=BB56_8 Depth=1
	s_sub_i32 s26, s26, s16
	s_mov_b32 s27, -1
	s_mov_b32 s9, 0
	s_mov_b32 s25, s72
	;; [unrolled: 1-line block ×3, first 2 shown]
.LBB56_189:                             ;   in Loop: Header=BB56_8 Depth=1
	s_delay_alu instid0(SALU_CYCLE_1)
	s_mov_b32 s73, s28
	s_mov_b32 s72, s25
	;; [unrolled: 1-line block ×3, first 2 shown]
	s_and_not1_b32 vcc_lo, exec_lo, s27
	s_mov_b32 s37, -1
	s_cbranch_vccz .LBB56_192
.LBB56_190:                             ;   in Loop: Header=BB56_8 Depth=1
                                        ; implicit-def: $sgpr19
                                        ; implicit-def: $sgpr27
                                        ; implicit-def: $sgpr26
	s_branch .LBB56_233
.LBB56_191:                             ;   in Loop: Header=BB56_8 Depth=1
	s_mov_b32 s9, 1
	s_and_not1_b32 vcc_lo, exec_lo, s27
	s_mov_b32 s37, -1
	s_cbranch_vccnz .LBB56_190
.LBB56_192:                             ;   in Loop: Header=BB56_8 Depth=1
	s_cmp_eq_u32 s10, 1
	s_mov_b32 s28, -1
	s_cselect_b32 s9, -1, 0
	s_cmp_eq_u32 s25, 1
	s_cselect_b32 s16, -1, 0
	s_delay_alu instid0(SALU_CYCLE_1) | instskip(NEXT) | instid1(SALU_CYCLE_1)
	s_and_b32 s16, s9, s16
	s_and_b32 vcc_lo, exec_lo, s16
	s_cbranch_vccz .LBB56_204
; %bb.193:                              ;   in Loop: Header=BB56_8 Depth=1
	ds_load_b32 v1, v7 offset:4096
	s_waitcnt lgkmcnt(0)
	s_barrier
	buffer_gl0_inv
	v_readfirstlane_b32 s18, v1
	s_and_saveexec_b32 s9, s0
	s_cbranch_execz .LBB56_195
; %bb.194:                              ;   in Loop: Header=BB56_8 Depth=1
	ds_store_b16 v18, v7
.LBB56_195:                             ;   in Loop: Header=BB56_8 Depth=1
	s_or_b32 exec_lo, exec_lo, s9
	s_or_b32 s72, s72, s11
	s_or_b32 s73, s73, s11
	s_cmp_gt_i32 s18, 0
	s_waitcnt lgkmcnt(0)
	s_barrier
	buffer_gl0_inv
	s_cbranch_scc1 .LBB56_205
; %bb.196:                              ;   in Loop: Header=BB56_8 Depth=1
	s_mov_b32 s28, 0
                                        ; implicit-def: $vgpr29
	s_and_saveexec_b32 s19, s8
	s_cbranch_execz .LBB56_207
; %bb.197:                              ;   in Loop: Header=BB56_8 Depth=1
	v_mov_b32_e32 v1, v5
	v_mov_b32_e32 v3, v0
	s_mov_b32 s26, 0
                                        ; implicit-def: $sgpr27
	s_branch .LBB56_199
.LBB56_198:                             ;   in Loop: Header=BB56_199 Depth=2
	s_or_b32 exec_lo, exec_lo, s9
	s_waitcnt vmcnt(0) lgkmcnt(0)
	s_barrier
	buffer_gl0_inv
	ds_load_b32 v2, v7 offset:3072
	v_add_nc_u32_e32 v3, s44, v3
	v_add_nc_u32_e32 v1, s48, v1
	s_waitcnt lgkmcnt(0)
	s_barrier
	buffer_gl0_inv
	v_cmp_le_i32_e32 vcc_lo, s59, v3
	v_cmp_neq_f16_e64 s9, 0, v2
	s_delay_alu instid0(VALU_DEP_1) | instskip(NEXT) | instid1(SALU_CYCLE_1)
	s_or_b32 s28, vcc_lo, s9
	s_and_b32 s28, exec_lo, s28
	s_delay_alu instid0(SALU_CYCLE_1) | instskip(SKIP_2) | instid1(SALU_CYCLE_1)
	s_or_b32 s26, s28, s26
	s_and_not1_b32 s27, s27, exec_lo
	s_and_b32 s9, s9, exec_lo
	s_or_b32 s27, s27, s9
	s_and_not1_b32 exec_lo, exec_lo, s26
	s_cbranch_execz .LBB56_206
.LBB56_199:                             ;   Parent Loop BB56_8 Depth=1
                                        ; =>  This Inner Loop Header: Depth=2
	s_delay_alu instid0(VALU_DEP_1)
	v_cmp_gt_i32_e32 vcc_lo, s36, v3
	v_mov_b32_e32 v2, 0
	s_and_saveexec_b32 s28, vcc_lo
	s_cbranch_execz .LBB56_201
; %bb.200:                              ;   in Loop: Header=BB56_199 Depth=2
	v_ashrrev_i32_e32 v2, 31, v1
	s_delay_alu instid0(VALU_DEP_1) | instskip(NEXT) | instid1(VALU_DEP_1)
	v_lshlrev_b64 v[13:14], 1, v[1:2]
	v_add_co_u32 v13, s9, s42, v13
	s_delay_alu instid0(VALU_DEP_1)
	v_add_co_ci_u32_e64 v14, s9, s43, v14, s9
	global_load_u16 v2, v[13:14], off
.LBB56_201:                             ;   in Loop: Header=BB56_199 Depth=2
	s_or_b32 exec_lo, exec_lo, s28
	s_and_saveexec_b32 s9, vcc_lo
	s_cbranch_execz .LBB56_198
; %bb.202:                              ;   in Loop: Header=BB56_199 Depth=2
	s_waitcnt vmcnt(0)
	v_cmp_lt_i16_e32 vcc_lo, -1, v2
	v_and_b32_e32 v4, 0xffff, v2
	v_cndmask_b32_e32 v6, 0xffff, v28, vcc_lo
	v_cmp_o_f16_e32 vcc_lo, v2, v2
	s_delay_alu instid0(VALU_DEP_2) | instskip(NEXT) | instid1(VALU_DEP_1)
	v_xor_b32_e32 v4, v6, v4
	v_cndmask_b32_e32 v4, 0xffff, v4, vcc_lo
	s_delay_alu instid0(VALU_DEP_1) | instskip(NEXT) | instid1(VALU_DEP_1)
	v_and_b32_e32 v4, s73, v4
	v_cmp_eq_u32_e32 vcc_lo, s72, v4
	s_and_b32 exec_lo, exec_lo, vcc_lo
	s_cbranch_execz .LBB56_198
; %bb.203:                              ;   in Loop: Header=BB56_199 Depth=2
	v_perm_b32 v2, v2, s63, 0x5040100
	ds_store_b32 v7, v2 offset:3072
	s_branch .LBB56_198
.LBB56_204:                             ;   in Loop: Header=BB56_8 Depth=1
                                        ; implicit-def: $sgpr19
                                        ; implicit-def: $sgpr27
                                        ; implicit-def: $sgpr26
	s_branch .LBB56_218
.LBB56_205:                             ;   in Loop: Header=BB56_8 Depth=1
	s_mov_b32 s19, -1
	s_mov_b32 s28, 0
                                        ; implicit-def: $sgpr26
                                        ; implicit-def: $vgpr29
	s_mov_b32 s27, s19
	s_cbranch_execnz .LBB56_208
	s_branch .LBB56_218
.LBB56_206:                             ;   in Loop: Header=BB56_8 Depth=1
	s_or_b32 exec_lo, exec_lo, s26
	v_lshrrev_b32_e32 v29, 16, v2
	s_and_b32 s28, s27, exec_lo
.LBB56_207:                             ;   in Loop: Header=BB56_8 Depth=1
	s_or_b32 exec_lo, exec_lo, s19
	s_mov_b32 s26, -1
	s_mov_b32 s19, 0
	s_delay_alu instid0(SALU_CYCLE_1)
	s_mov_b32 s27, s19
	s_branch .LBB56_218
.LBB56_208:                             ;   in Loop: Header=BB56_8 Depth=1
	s_add_i32 s26, s18, s49
	s_mov_b32 s28, 0
	s_abs_i32 s9, s26
                                        ; implicit-def: $vgpr29
	s_delay_alu instid0(SALU_CYCLE_1) | instskip(NEXT) | instid1(SALU_CYCLE_1)
	s_mul_hi_u32 s19, s9, s58
	s_mul_i32 s19, s19, s44
	s_delay_alu instid0(SALU_CYCLE_1) | instskip(SKIP_4) | instid1(SALU_CYCLE_1)
	s_sub_i32 s9, s9, s19
	s_ashr_i32 s19, s26, 31
	s_sub_i32 s27, s9, s44
	s_cmp_ge_u32 s9, s44
	s_cselect_b32 s9, s27, s9
	s_sub_i32 s27, s9, s44
	s_cmp_ge_u32 s9, s44
	s_cselect_b32 s9, s27, s9
	s_delay_alu instid0(SALU_CYCLE_1) | instskip(NEXT) | instid1(SALU_CYCLE_1)
	s_xor_b32 s9, s9, s19
	s_sub_i32 s9, s19, s9
	s_mov_b32 s19, exec_lo
	s_add_i32 s26, s26, s9
	s_delay_alu instid0(SALU_CYCLE_1)
	v_cmpx_gt_i32_e64 s26, v0
	s_cbranch_execz .LBB56_217
; %bb.209:                              ;   in Loop: Header=BB56_8 Depth=1
	v_dual_mov_b32 v1, v17 :: v_dual_mov_b32 v2, v0
	s_mov_b32 s27, 0
                                        ; implicit-def: $sgpr28
	s_set_inst_prefetch_distance 0x1
	s_branch .LBB56_211
	.p2align	6
.LBB56_210:                             ;   in Loop: Header=BB56_211 Depth=2
	s_or_b32 exec_lo, exec_lo, s9
	s_waitcnt lgkmcnt(0)
	s_barrier
	buffer_gl0_inv
	ds_load_b32 v3, v7 offset:3072
	v_add_nc_u32_e32 v2, s44, v2
	v_add_nc_u32_e32 v1, s62, v1
	s_waitcnt lgkmcnt(0)
	s_barrier
	buffer_gl0_inv
	v_cmp_le_i32_e32 vcc_lo, s26, v2
	v_cmp_neq_f16_e64 s9, 0, v3
	s_delay_alu instid0(VALU_DEP_1) | instskip(NEXT) | instid1(SALU_CYCLE_1)
	s_or_b32 s37, vcc_lo, s9
	s_and_b32 s37, exec_lo, s37
	s_delay_alu instid0(SALU_CYCLE_1) | instskip(SKIP_2) | instid1(SALU_CYCLE_1)
	s_or_b32 s27, s37, s27
	s_and_not1_b32 s28, s28, exec_lo
	s_and_b32 s9, s9, exec_lo
	s_or_b32 s28, s28, s9
	s_and_not1_b32 exec_lo, exec_lo, s27
	s_cbranch_execz .LBB56_216
.LBB56_211:                             ;   Parent Loop BB56_8 Depth=1
                                        ; =>  This Inner Loop Header: Depth=2
	s_delay_alu instid0(VALU_DEP_1)
	v_cmp_gt_i32_e32 vcc_lo, s18, v2
	v_mov_b32_e32 v3, 0
	s_and_saveexec_b32 s9, vcc_lo
	s_cbranch_execz .LBB56_213
; %bb.212:                              ;   in Loop: Header=BB56_211 Depth=2
	ds_load_u16 v3, v1
.LBB56_213:                             ;   in Loop: Header=BB56_211 Depth=2
	s_or_b32 exec_lo, exec_lo, s9
	s_and_saveexec_b32 s9, vcc_lo
	s_cbranch_execz .LBB56_210
; %bb.214:                              ;   in Loop: Header=BB56_211 Depth=2
	s_waitcnt lgkmcnt(0)
	v_cmp_lt_i16_e32 vcc_lo, -1, v3
	v_and_b32_e32 v4, 0xffff, v3
	v_cndmask_b32_e32 v6, 0xffff, v28, vcc_lo
	v_cmp_o_f16_e32 vcc_lo, v3, v3
	s_delay_alu instid0(VALU_DEP_2) | instskip(NEXT) | instid1(VALU_DEP_1)
	v_xor_b32_e32 v4, v6, v4
	v_cndmask_b32_e32 v4, 0xffff, v4, vcc_lo
	s_delay_alu instid0(VALU_DEP_1) | instskip(NEXT) | instid1(VALU_DEP_1)
	v_and_b32_e32 v4, s73, v4
	v_cmp_eq_u32_e32 vcc_lo, s72, v4
	s_and_b32 exec_lo, exec_lo, vcc_lo
	s_cbranch_execz .LBB56_210
; %bb.215:                              ;   in Loop: Header=BB56_211 Depth=2
	v_perm_b32 v3, v3, s63, 0x5040100
	ds_store_b32 v7, v3 offset:3072
	s_branch .LBB56_210
.LBB56_216:                             ;   in Loop: Header=BB56_8 Depth=1
	s_set_inst_prefetch_distance 0x2
	s_or_b32 exec_lo, exec_lo, s27
	v_lshrrev_b32_e32 v29, 16, v3
	s_and_b32 s28, s28, exec_lo
.LBB56_217:                             ;   in Loop: Header=BB56_8 Depth=1
	s_or_b32 exec_lo, exec_lo, s19
	s_mov_b32 s27, -1
	s_mov_b32 s19, 0
	s_mov_b32 s26, 0
.LBB56_218:                             ;   in Loop: Header=BB56_8 Depth=1
	s_mov_b32 s37, 0
                                        ; implicit-def: $sgpr9
	s_and_saveexec_b32 s18, s28
	s_cbranch_execz .LBB56_232
; %bb.219:                              ;   in Loop: Header=BB56_8 Depth=1
	s_xor_b32 s9, s16, -1
	s_delay_alu instid0(SALU_CYCLE_1)
	s_and_not1_b32 vcc_lo, exec_lo, s9
	s_mov_b32 s9, 1
	s_cbranch_vccnz .LBB56_226
; %bb.220:                              ;   in Loop: Header=BB56_8 Depth=1
	s_cmp_gt_i32 s25, s10
	s_cbranch_scc1 .LBB56_227
; %bb.221:                              ;   in Loop: Header=BB56_8 Depth=1
	ds_load_b32 v1, v7 offset:4096
	s_waitcnt lgkmcnt(0)
	v_cmp_ne_u32_e32 vcc_lo, 0, v1
	s_cbranch_vccnz .LBB56_225
; %bb.222:                              ;   in Loop: Header=BB56_8 Depth=1
	s_and_saveexec_b32 s9, s2
	s_cbranch_execz .LBB56_224
; %bb.223:                              ;   in Loop: Header=BB56_8 Depth=1
	v_mov_b32_e32 v1, s10
	ds_store_b32 v7, v1 offset:4100
.LBB56_224:                             ;   in Loop: Header=BB56_8 Depth=1
	s_or_b32 exec_lo, exec_lo, s9
	s_waitcnt lgkmcnt(0)
	s_barrier
	buffer_gl0_inv
.LBB56_225:                             ;   in Loop: Header=BB56_8 Depth=1
	s_or_b32 s16, s72, s11
	s_or_b32 s11, s73, s11
	s_mov_b32 s28, 0
	s_mov_b32 s9, 8
	s_branch .LBB56_228
.LBB56_226:                             ;   in Loop: Header=BB56_8 Depth=1
	s_mov_b32 s25, 1
	s_branch .LBB56_231
.LBB56_227:                             ;   in Loop: Header=BB56_8 Depth=1
	s_mov_b32 s28, -1
                                        ; implicit-def: $sgpr9
                                        ; implicit-def: $sgpr16
                                        ; implicit-def: $sgpr11
.LBB56_228:                             ;   in Loop: Header=BB56_8 Depth=1
	s_delay_alu instid0(SALU_CYCLE_1)
	s_and_not1_b32 vcc_lo, exec_lo, s28
	s_cbranch_vccnz .LBB56_230
; %bb.229:                              ;   in Loop: Header=BB56_8 Depth=1
	s_sub_i32 s25, s25, s10
	s_mov_b32 s9, 8
	s_mov_b32 s16, s72
	;; [unrolled: 1-line block ×3, first 2 shown]
.LBB56_230:                             ;   in Loop: Header=BB56_8 Depth=1
	s_mov_b32 s72, s16
	s_mov_b32 s73, s11
.LBB56_231:                             ;   in Loop: Header=BB56_8 Depth=1
	s_mov_b32 s37, exec_lo
.LBB56_232:                             ;   in Loop: Header=BB56_8 Depth=1
	s_or_b32 exec_lo, exec_lo, s18
.LBB56_233:                             ;   in Loop: Header=BB56_8 Depth=1
	s_delay_alu instid0(SALU_CYCLE_1)
	s_and_not1_b32 s10, s21, exec_lo
	s_and_b32 s11, s19, exec_lo
	s_and_not1_b32 s16, s22, exec_lo
	s_or_b32 s21, s10, s11
	s_and_not1_b32 s10, s23, exec_lo
	s_and_b32 s11, s27, exec_lo
	s_and_b32 s18, s26, exec_lo
	s_or_b32 s23, s10, s11
	s_or_b32 s22, s16, s18
	s_and_b32 s28, s37, exec_lo
	s_mov_b32 s26, s25
.LBB56_234:                             ;   in Loop: Header=BB56_8 Depth=1
	s_or_b32 exec_lo, exec_lo, s24
.LBB56_235:                             ;   in Loop: Header=BB56_8 Depth=1
	s_delay_alu instid0(SALU_CYCLE_1)
	s_and_not1_b32 s10, s15, exec_lo
	s_and_b32 s11, s21, exec_lo
	s_and_not1_b32 s14, s14, exec_lo
	s_or_b32 s15, s10, s11
	s_and_not1_b32 s10, s17, exec_lo
	s_and_b32 s11, s23, exec_lo
	s_and_b32 s16, s22, exec_lo
	s_or_b32 s17, s10, s11
	s_or_b32 s14, s14, s16
	s_and_b32 s25, s28, exec_lo
	s_mov_b32 s22, s26
.LBB56_236:                             ;   in Loop: Header=BB56_8 Depth=1
	s_or_b32 exec_lo, exec_lo, s20
	s_and_saveexec_b32 s10, s25
	s_delay_alu instid0(SALU_CYCLE_1)
	s_xor_b32 s10, exec_lo, s10
	s_cbranch_execz .LBB56_6
.LBB56_237:                             ;   in Loop: Header=BB56_8 Depth=1
	s_and_b32 s9, s9, -9
	s_delay_alu instid0(SALU_CYCLE_1)
	s_cmp_eq_u32 s9, 0
	s_cbranch_scc1 .LBB56_4
; %bb.238:                              ;   in Loop: Header=BB56_8 Depth=1
	s_mov_b32 s9, -1
	s_mov_b32 s11, -1
                                        ; implicit-def: $sgpr73
                                        ; implicit-def: $sgpr22
                                        ; implicit-def: $sgpr67
                                        ; implicit-def: $sgpr70
	s_branch .LBB56_5
.LBB56_239:
	s_or_b32 exec_lo, exec_lo, s45
	s_xor_b32 s3, s66, -1
	s_xor_b32 s1, s64, -1
	;; [unrolled: 1-line block ×3, first 2 shown]
	s_mov_b32 s0, 0
	s_and_saveexec_b32 s5, s1
	s_delay_alu instid0(SALU_CYCLE_1)
	s_xor_b32 s1, exec_lo, s5
	s_cbranch_execz .LBB56_260
; %bb.240:
	s_and_saveexec_b32 s0, s3
	s_delay_alu instid0(SALU_CYCLE_1)
	s_xor_b32 s3, exec_lo, s0
	s_cbranch_execz .LBB56_258
; %bb.241:
	s_and_saveexec_b32 s0, s4
	s_delay_alu instid0(SALU_CYCLE_1)
	s_xor_b32 s0, exec_lo, s0
; %bb.242:
	v_and_b32_e32 v2, 0x8000, v1
	v_mov_b32_e32 v3, 0xffff
	s_delay_alu instid0(VALU_DEP_2) | instskip(NEXT) | instid1(VALU_DEP_2)
	v_cmp_eq_u32_e32 vcc_lo, 0, v2
	v_cndmask_b32_e32 v2, 0x8000, v3, vcc_lo
	s_delay_alu instid0(VALU_DEP_1)
	v_xor_b32_e32 v29, v2, v1
; %bb.243:
	s_or_b32 exec_lo, exec_lo, s0
	s_and_saveexec_b32 s0, s2
	s_cbranch_execz .LBB56_245
; %bb.244:
	v_dual_mov_b32 v1, 0 :: v_dual_mov_b32 v2, s36
	ds_store_b32 v1, v2 offset:4108
.LBB56_245:
	s_or_b32 exec_lo, exec_lo, s0
	v_mov_b32_e32 v1, 0
	s_waitcnt lgkmcnt(0)
	s_barrier
	buffer_gl0_inv
	s_mov_b32 s4, exec_lo
	ds_load_b32 v1, v1 offset:4108
	s_waitcnt lgkmcnt(0)
	v_min_i32_e32 v1, s36, v1
	s_delay_alu instid0(VALU_DEP_1)
	v_cmpx_lt_i32_e64 v0, v1
	s_cbranch_execz .LBB56_255
; %bb.246:
	v_cmp_u_f16_e32 vcc_lo, v29, v29
	s_mov_b32 s5, 0
                                        ; implicit-def: $sgpr6
                                        ; implicit-def: $sgpr9
                                        ; implicit-def: $sgpr8
	s_xor_b32 s7, vcc_lo, -1
	s_set_inst_prefetch_distance 0x1
	s_branch .LBB56_248
	.p2align	6
.LBB56_247:                             ;   in Loop: Header=BB56_248 Depth=1
	s_or_b32 exec_lo, exec_lo, s0
	s_delay_alu instid0(SALU_CYCLE_1) | instskip(NEXT) | instid1(SALU_CYCLE_1)
	s_and_b32 s0, exec_lo, s9
	s_or_b32 s5, s0, s5
	s_and_not1_b32 s0, s6, exec_lo
	s_and_b32 s6, s8, exec_lo
	s_delay_alu instid0(SALU_CYCLE_1)
	s_or_b32 s6, s0, s6
	s_and_not1_b32 exec_lo, exec_lo, s5
	s_cbranch_execz .LBB56_250
.LBB56_248:                             ; =>This Inner Loop Header: Depth=1
	v_ashrrev_i32_e32 v6, 31, v5
	s_or_b32 s8, s8, exec_lo
	s_or_b32 s9, s9, exec_lo
	s_delay_alu instid0(VALU_DEP_1) | instskip(NEXT) | instid1(VALU_DEP_1)
	v_lshlrev_b64 v[2:3], 1, v[5:6]
	v_add_co_u32 v2, vcc_lo, s42, v2
	s_delay_alu instid0(VALU_DEP_2)
	v_add_co_ci_u32_e32 v3, vcc_lo, s43, v3, vcc_lo
	global_load_u16 v2, v[2:3], off
	s_waitcnt vmcnt(0)
	v_cmp_o_f16_e32 vcc_lo, v2, v2
	v_cmp_neq_f16_e64 s0, v2, v29
	v_mov_b32_e32 v2, v0
                                        ; implicit-def: $vgpr0
	s_or_b32 s10, s7, vcc_lo
	s_delay_alu instid0(VALU_DEP_2) | instid1(SALU_CYCLE_1)
	s_and_b32 s10, s0, s10
	s_delay_alu instid0(SALU_CYCLE_1)
	s_and_saveexec_b32 s0, s10
	s_cbranch_execz .LBB56_247
; %bb.249:                              ;   in Loop: Header=BB56_248 Depth=1
	v_add_nc_u32_e32 v0, s44, v2
	s_and_not1_b32 s9, s9, exec_lo
	v_add_nc_u32_e32 v5, s48, v5
	s_and_not1_b32 s8, s8, exec_lo
	s_delay_alu instid0(VALU_DEP_2) | instskip(SKIP_1) | instid1(SALU_CYCLE_1)
	v_cmp_ge_i32_e32 vcc_lo, v0, v1
	s_and_b32 s10, vcc_lo, exec_lo
	s_or_b32 s9, s9, s10
	s_branch .LBB56_247
.LBB56_250:
	s_set_inst_prefetch_distance 0x2
	s_or_b32 exec_lo, exec_lo, s5
	s_and_saveexec_b32 s0, s6
	s_delay_alu instid0(SALU_CYCLE_1)
	s_xor_b32 s0, exec_lo, s0
	s_cbranch_execz .LBB56_255
; %bb.251:
	s_mov_b32 s5, exec_lo
	s_brev_b32 s0, -2
.LBB56_252:                             ; =>This Inner Loop Header: Depth=1
	s_ctz_i32_b32 s6, s5
	s_delay_alu instid0(SALU_CYCLE_1) | instskip(SKIP_1) | instid1(SALU_CYCLE_1)
	v_readlane_b32 s7, v2, s6
	s_lshl_b32 s6, 1, s6
	s_and_not1_b32 s5, s5, s6
	s_delay_alu instid0(VALU_DEP_1)
	s_min_i32 s0, s0, s7
	s_cmp_lg_u32 s5, 0
	s_cbranch_scc1 .LBB56_252
; %bb.253:
	v_mbcnt_lo_u32_b32 v0, exec_lo, 0
	s_mov_b32 s5, exec_lo
	s_delay_alu instid0(VALU_DEP_1)
	v_cmpx_eq_u32_e32 0, v0
	s_xor_b32 s5, exec_lo, s5
	s_cbranch_execz .LBB56_255
; %bb.254:
	v_dual_mov_b32 v0, 0 :: v_dual_mov_b32 v1, s0
	ds_min_i32 v0, v1 offset:4108
.LBB56_255:
	s_or_b32 exec_lo, exec_lo, s4
	s_waitcnt lgkmcnt(0)
	s_barrier
	buffer_gl0_inv
	s_and_saveexec_b32 s0, s2
	s_cbranch_execz .LBB56_257
; %bb.256:
	v_mov_b32_e32 v2, 0
	s_mul_i32 s4, s38, s29
	s_mul_i32 s6, s33, s29
	s_ashr_i32 s5, s4, 31
	s_delay_alu instid0(SALU_CYCLE_1) | instskip(SKIP_4) | instid1(SALU_CYCLE_1)
	s_lshl_b64 s[4:5], s[4:5], 1
	ds_load_b32 v0, v2 offset:4108
	s_add_u32 s4, s34, s4
	s_addc_u32 s5, s35, s5
	s_ashr_i32 s7, s6, 31
	s_lshl_b64 s[6:7], s[6:7], 3
	s_delay_alu instid0(SALU_CYCLE_1)
	s_add_u32 s6, s30, s6
	s_addc_u32 s7, s31, s7
	s_waitcnt lgkmcnt(0)
	v_ashrrev_i32_e32 v1, 31, v0
	s_clause 0x1
	global_store_b64 v2, v[0:1], s[6:7]
	global_store_b16 v2, v29, s[4:5]
.LBB56_257:
	s_or_b32 exec_lo, exec_lo, s0
.LBB56_258:
	s_or_saveexec_b32 s0, s3
	s_mov_b32 s2, 0
	s_xor_b32 exec_lo, exec_lo, s0
	s_cbranch_execnz .LBB56_266
.LBB56_259:
	s_or_b32 exec_lo, exec_lo, s0
	s_delay_alu instid0(SALU_CYCLE_1)
	s_and_b32 s0, s2, exec_lo
.LBB56_260:
	s_and_not1_saveexec_b32 s1, s1
	s_cbranch_execnz .LBB56_264
; %bb.261:
	s_or_b32 exec_lo, exec_lo, s1
	s_and_saveexec_b32 s1, s0
.LBB56_262:
	; divergent unreachable
.LBB56_263:
	s_nop 0
	s_sendmsg sendmsg(MSG_DEALLOC_VGPRS)
	s_endpgm
.LBB56_264:
	s_cbranch_execnz .LBB56_268
; %bb.265:
	s_or_b32 s0, s0, exec_lo
	s_or_b32 exec_lo, exec_lo, s1
	s_and_saveexec_b32 s1, s0
	s_cbranch_execnz .LBB56_262
	s_branch .LBB56_263
.LBB56_266:
	s_cbranch_execnz .LBB56_270
; %bb.267:
	s_mov_b32 s2, exec_lo
	s_branch .LBB56_259
.LBB56_268:
	s_trap 2
	s_sendmsg_rtn_b32 s0, sendmsg(MSG_RTN_GET_DOORBELL)
	s_mov_b32 ttmp2, m0
	s_waitcnt lgkmcnt(0)
	s_and_b32 s0, s0, 0x3ff
	s_delay_alu instid0(SALU_CYCLE_1) | instskip(NEXT) | instid1(SALU_CYCLE_1)
	s_bitset1_b32 s0, 10
	s_mov_b32 m0, s0
	s_sendmsg sendmsg(MSG_INTERRUPT)
	s_mov_b32 m0, ttmp2
.LBB56_269:                             ; =>This Inner Loop Header: Depth=1
	s_sethalt 5
	s_branch .LBB56_269
.LBB56_270:
	s_trap 2
	s_sendmsg_rtn_b32 s0, sendmsg(MSG_RTN_GET_DOORBELL)
	s_mov_b32 ttmp2, m0
	s_waitcnt lgkmcnt(0)
	s_and_b32 s0, s0, 0x3ff
	s_delay_alu instid0(SALU_CYCLE_1) | instskip(NEXT) | instid1(SALU_CYCLE_1)
	s_bitset1_b32 s0, 10
	s_mov_b32 m0, s0
	s_sendmsg sendmsg(MSG_INTERRUPT)
	s_mov_b32 m0, ttmp2
.LBB56_271:                             ; =>This Inner Loop Header: Depth=1
	s_sethalt 5
	s_branch .LBB56_271
	.section	.rodata,"a",@progbits
	.p2align	6, 0x0
	.amdhsa_kernel _ZN2at6native12_GLOBAL__N_114gatherKthValueIN3c104HalfEiLi1EEEvNS_4cuda6detail10TensorInfoIKT_T0_EESA_SA_SA_SA_NS7_IS8_SA_EENS7_IlSA_EE
		.amdhsa_group_segment_fixed_size 4112
		.amdhsa_private_segment_fixed_size 0
		.amdhsa_kernarg_size 920
		.amdhsa_user_sgpr_count 13
		.amdhsa_user_sgpr_dispatch_ptr 0
		.amdhsa_user_sgpr_queue_ptr 0
		.amdhsa_user_sgpr_kernarg_segment_ptr 1
		.amdhsa_user_sgpr_dispatch_id 0
		.amdhsa_user_sgpr_private_segment_size 0
		.amdhsa_wavefront_size32 1
		.amdhsa_uses_dynamic_stack 0
		.amdhsa_enable_private_segment 0
		.amdhsa_system_sgpr_workgroup_id_x 1
		.amdhsa_system_sgpr_workgroup_id_y 1
		.amdhsa_system_sgpr_workgroup_id_z 1
		.amdhsa_system_sgpr_workgroup_info 0
		.amdhsa_system_vgpr_workitem_id 0
		.amdhsa_next_free_vgpr 40
		.amdhsa_next_free_sgpr 83
		.amdhsa_reserve_vcc 1
		.amdhsa_float_round_mode_32 0
		.amdhsa_float_round_mode_16_64 0
		.amdhsa_float_denorm_mode_32 3
		.amdhsa_float_denorm_mode_16_64 3
		.amdhsa_dx10_clamp 1
		.amdhsa_ieee_mode 1
		.amdhsa_fp16_overflow 0
		.amdhsa_workgroup_processor_mode 1
		.amdhsa_memory_ordered 1
		.amdhsa_forward_progress 0
		.amdhsa_shared_vgpr_count 0
		.amdhsa_exception_fp_ieee_invalid_op 0
		.amdhsa_exception_fp_denorm_src 0
		.amdhsa_exception_fp_ieee_div_zero 0
		.amdhsa_exception_fp_ieee_overflow 0
		.amdhsa_exception_fp_ieee_underflow 0
		.amdhsa_exception_fp_ieee_inexact 0
		.amdhsa_exception_int_div_zero 0
	.end_amdhsa_kernel
	.section	.text._ZN2at6native12_GLOBAL__N_114gatherKthValueIN3c104HalfEiLi1EEEvNS_4cuda6detail10TensorInfoIKT_T0_EESA_SA_SA_SA_NS7_IS8_SA_EENS7_IlSA_EE,"axG",@progbits,_ZN2at6native12_GLOBAL__N_114gatherKthValueIN3c104HalfEiLi1EEEvNS_4cuda6detail10TensorInfoIKT_T0_EESA_SA_SA_SA_NS7_IS8_SA_EENS7_IlSA_EE,comdat
.Lfunc_end56:
	.size	_ZN2at6native12_GLOBAL__N_114gatherKthValueIN3c104HalfEiLi1EEEvNS_4cuda6detail10TensorInfoIKT_T0_EESA_SA_SA_SA_NS7_IS8_SA_EENS7_IlSA_EE, .Lfunc_end56-_ZN2at6native12_GLOBAL__N_114gatherKthValueIN3c104HalfEiLi1EEEvNS_4cuda6detail10TensorInfoIKT_T0_EESA_SA_SA_SA_NS7_IS8_SA_EENS7_IlSA_EE
                                        ; -- End function
	.section	.AMDGPU.csdata,"",@progbits
; Kernel info:
; codeLenInByte = 10432
; NumSgprs: 85
; NumVgprs: 40
; ScratchSize: 0
; MemoryBound: 0
; FloatMode: 240
; IeeeMode: 1
; LDSByteSize: 4112 bytes/workgroup (compile time only)
; SGPRBlocks: 10
; VGPRBlocks: 4
; NumSGPRsForWavesPerEU: 85
; NumVGPRsForWavesPerEU: 40
; Occupancy: 16
; WaveLimiterHint : 1
; COMPUTE_PGM_RSRC2:SCRATCH_EN: 0
; COMPUTE_PGM_RSRC2:USER_SGPR: 13
; COMPUTE_PGM_RSRC2:TRAP_HANDLER: 0
; COMPUTE_PGM_RSRC2:TGID_X_EN: 1
; COMPUTE_PGM_RSRC2:TGID_Y_EN: 1
; COMPUTE_PGM_RSRC2:TGID_Z_EN: 1
; COMPUTE_PGM_RSRC2:TIDIG_COMP_CNT: 0
	.section	.text._ZN2at6native12_GLOBAL__N_114gatherKthValueIN3c104HalfEiLi2EEEvNS_4cuda6detail10TensorInfoIKT_T0_EESA_SA_SA_SA_NS7_IS8_SA_EENS7_IlSA_EE,"axG",@progbits,_ZN2at6native12_GLOBAL__N_114gatherKthValueIN3c104HalfEiLi2EEEvNS_4cuda6detail10TensorInfoIKT_T0_EESA_SA_SA_SA_NS7_IS8_SA_EENS7_IlSA_EE,comdat
	.globl	_ZN2at6native12_GLOBAL__N_114gatherKthValueIN3c104HalfEiLi2EEEvNS_4cuda6detail10TensorInfoIKT_T0_EESA_SA_SA_SA_NS7_IS8_SA_EENS7_IlSA_EE ; -- Begin function _ZN2at6native12_GLOBAL__N_114gatherKthValueIN3c104HalfEiLi2EEEvNS_4cuda6detail10TensorInfoIKT_T0_EESA_SA_SA_SA_NS7_IS8_SA_EENS7_IlSA_EE
	.p2align	8
	.type	_ZN2at6native12_GLOBAL__N_114gatherKthValueIN3c104HalfEiLi2EEEvNS_4cuda6detail10TensorInfoIKT_T0_EESA_SA_SA_SA_NS7_IS8_SA_EENS7_IlSA_EE,@function
_ZN2at6native12_GLOBAL__N_114gatherKthValueIN3c104HalfEiLi2EEEvNS_4cuda6detail10TensorInfoIKT_T0_EESA_SA_SA_SA_NS7_IS8_SA_EENS7_IlSA_EE: ; @_ZN2at6native12_GLOBAL__N_114gatherKthValueIN3c104HalfEiLi2EEEvNS_4cuda6detail10TensorInfoIKT_T0_EESA_SA_SA_SA_NS7_IS8_SA_EENS7_IlSA_EE
; %bb.0:
	s_clause 0x1
	s_load_b64 s[4:5], s[0:1], 0x298
	s_load_b128 s[36:39], s[0:1], 0xd8
	s_add_u32 s2, s0, 0x298
	s_addc_u32 s3, s1, 0
	s_waitcnt lgkmcnt(0)
	s_mul_i32 s5, s5, s15
	s_delay_alu instid0(SALU_CYCLE_1) | instskip(NEXT) | instid1(SALU_CYCLE_1)
	s_add_i32 s5, s5, s14
	s_mul_i32 s29, s5, s4
	s_delay_alu instid0(SALU_CYCLE_1) | instskip(NEXT) | instid1(SALU_CYCLE_1)
	s_add_i32 s29, s29, s13
	s_cmp_ge_i32 s29, s38
	s_cbranch_scc1 .LBB57_263
; %bb.1:
	s_clause 0x8
	s_load_b32 s5, s[0:1], 0xc
	s_load_b32 s38, s[0:1], 0xf4
	;; [unrolled: 1-line block ×3, first 2 shown]
	s_load_b64 s[42:43], s[0:1], 0x154
	s_load_b64 s[34:35], s[0:1], 0xe8
	;; [unrolled: 1-line block ×6, first 2 shown]
	v_cmp_eq_u32_e64 s0, 0, v0
	s_abs_i32 s47, s29
	s_ashr_i32 s48, s29, 31
	s_mov_b32 s57, 0
	s_waitcnt lgkmcnt(0)
	s_abs_i32 s10, s5
	s_abs_i32 s49, s38
	;; [unrolled: 1-line block ×3, first 2 shown]
	v_cvt_f32_u32_e32 v1, s10
	v_cvt_f32_u32_e32 v2, s49
	;; [unrolled: 1-line block ×3, first 2 shown]
	s_sub_i32 s11, 0, s10
	s_sub_i32 s16, 0, s49
	v_rcp_iflag_f32_e32 v1, v1
	v_rcp_iflag_f32_e32 v2, v2
	;; [unrolled: 1-line block ×3, first 2 shown]
	s_sub_i32 s17, 0, s46
	s_ashr_i32 s1, s5, 31
	s_waitcnt_depctr 0xfff
	v_dual_mul_f32 v1, 0x4f7ffffe, v1 :: v_dual_mul_f32 v2, 0x4f7ffffe, v2
	v_mul_f32_e32 v3, 0x4f7ffffe, v3
	s_delay_alu instid0(VALU_DEP_2) | instskip(NEXT) | instid1(VALU_DEP_3)
	v_cvt_u32_f32_e32 v1, v1
	v_cvt_u32_f32_e32 v2, v2
	s_delay_alu instid0(VALU_DEP_3) | instskip(NEXT) | instid1(VALU_DEP_3)
	v_cvt_u32_f32_e32 v3, v3
	v_readfirstlane_b32 s12, v1
	s_delay_alu instid0(VALU_DEP_3) | instskip(NEXT) | instid1(VALU_DEP_3)
	v_readfirstlane_b32 s14, v2
	v_readfirstlane_b32 s15, v3
	s_delay_alu instid0(VALU_DEP_3) | instskip(NEXT) | instid1(VALU_DEP_2)
	s_mul_i32 s11, s11, s12
	s_mul_i32 s16, s16, s14
	s_delay_alu instid0(VALU_DEP_1)
	s_mul_i32 s17, s17, s15
	s_mul_hi_u32 s11, s12, s11
	s_mul_hi_u32 s16, s14, s16
	;; [unrolled: 1-line block ×3, first 2 shown]
	s_add_i32 s12, s12, s11
	s_add_i32 s14, s14, s16
	;; [unrolled: 1-line block ×3, first 2 shown]
	s_mul_hi_u32 s11, s47, s12
	s_mul_hi_u32 s52, s47, s14
	s_mul_hi_u32 s50, s47, s15
	s_and_saveexec_b32 s12, s0
	s_cbranch_execz .LBB57_3
; %bb.2:
	v_dual_mov_b32 v1, 0 :: v_dual_mov_b32 v2, s36
	s_delay_alu instid0(VALU_DEP_1)
	v_mov_b32_e32 v3, v1
	ds_store_b96 v1, v[1:3] offset:4096
.LBB57_3:
	s_or_b32 exec_lo, exec_lo, s12
	s_mul_i32 s12, s11, s10
	s_ashr_i32 s53, s38, 31
	s_sub_i32 s12, s47, s12
	s_ashr_i32 s51, s33, 31
	s_xor_b32 s1, s48, s1
	s_add_i32 s14, s11, 1
	s_sub_i32 s15, s12, s10
	s_cmp_ge_u32 s12, s10
	s_waitcnt lgkmcnt(0)
	s_cselect_b32 s11, s14, s11
	s_cselect_b32 s12, s15, s12
	s_add_i32 s14, s11, 1
	s_cmp_ge_u32 s12, s10
	s_barrier
	s_cselect_b32 s10, s14, s11
	buffer_gl0_inv
	s_load_b32 s11, s[2:3], 0xc
	s_xor_b32 s10, s10, s1
	v_mbcnt_lo_u32_b32 v15, -1, 0
	s_sub_i32 s1, s10, s1
	v_cmp_gt_u32_e32 vcc_lo, 32, v0
	s_mul_i32 s5, s1, s5
	s_mul_i32 s1, s1, s8
	s_sub_i32 s5, s29, s5
	v_mov_b32_e32 v7, 0
	s_mul_i32 s5, s5, s9
	v_mul_lo_u32 v5, v0, s39
	s_add_i32 s8, s1, s5
	v_cmp_gt_i32_e64 s1, 4, v15
	s_ashr_i32 s9, s8, 31
	v_dual_mov_b32 v6, v7 :: v_dual_lshlrev_b32 v17, 1, v0
	s_lshl_b64 s[8:9], s[8:9], 1
	s_mov_b32 s10, s39
	s_add_u32 s54, s6, s8
	s_addc_u32 s55, s7, s9
	s_waitcnt lgkmcnt(0)
	s_and_b32 s56, s11, 0xffff
	s_bfe_u32 s5, s11, 0xb0005
	s_lshl_b32 s58, s56, 2
	s_add_i32 s60, s56, -1
	v_cvt_f32_u32_e32 v1, s58
	s_and_b32 s61, vcc_lo, s1
	s_add_i32 s71, s60, s36
	s_cmpk_gt_i32 s36, 0x600
	v_cmp_gt_u32_e64 s1, 2, v0
	v_rcp_iflag_f32_e32 v1, v1
	s_cselect_b32 s62, -1, 0
	s_cmp_gt_u32 s56, 31
	v_lshlrev_b32_e32 v16, 2, v0
	s_cselect_b32 s63, -1, 0
	s_cmp_lt_u32 s13, s4
	v_add_nc_u32_e32 v18, 0xc00, v17
	s_cselect_b32 s4, 12, 18
	v_lshlrev_b32_e32 v26, 3, v0
	s_add_u32 s44, s2, s4
	s_waitcnt_depctr 0xfff
	v_mul_f32_e32 v1, 0x4f7ffffe, v1
	s_addc_u32 s45, s3, 0
	s_add_i32 s2, s5, -1
	s_bfe_u32 s64, s56, 0x30005
	s_cmp_gt_u32 s2, 6
	v_cvt_u32_f32_e32 v1, v1
	s_cselect_b32 s65, -1, 0
	s_and_b32 s66, s5, 0x7f8
	s_cmp_lg_u32 s64, 0
	v_mad_u64_u32 v[12:13], null, s39, v16, s[10:11]
	v_readfirstlane_b32 s2, v1
	s_cselect_b32 s67, -1, 0
	s_sub_i32 s3, 0, s58
	v_cvt_f32_u32_e32 v1, s56
	v_lshl_or_b32 v27, v15, 2, 0xc00
	s_mul_i32 s3, s3, s2
	s_mul_i32 s59, s39, s56
	s_mul_hi_u32 s3, s2, s3
	v_rcp_iflag_f32_e32 v3, v1
	s_add_i32 s68, s2, s3
	v_lshlrev_b64 v[1:2], 1, v[5:6]
	s_mul_hi_u32 s3, s36, s68
	v_lshlrev_b32_e32 v24, 2, v5
	s_mul_i32 s3, s3, s58
	v_cmp_eq_u32_e64 s2, 0, v15
	s_sub_i32 s3, s36, s3
	v_add_co_u32 v8, vcc_lo, s54, v1
	s_sub_i32 s4, s3, s58
	s_cmp_ge_u32 s3, s58
	s_waitcnt_depctr 0xfff
	v_mul_f32_e32 v3, 0x4f7ffffe, v3
	s_cselect_b32 s4, s4, s3
	v_add_co_ci_u32_e32 v9, vcc_lo, s55, v2, vcc_lo
	s_sub_i32 s5, s4, s58
	s_cmp_ge_u32 s4, s58
	v_cvt_u32_f32_e32 v1, v3
	s_cselect_b32 s9, s5, s4
	v_mov_b32_e32 v28, 0x8000
	s_sub_i32 s69, s36, s9
	s_sub_i32 s6, 0, s56
	v_add_nc_u32_e32 v19, s69, v0
	v_readfirstlane_b32 s5, v1
	v_lshrrev_b32_e32 v2, 3, v0
	s_abs_i32 s7, s71
	v_lshlrev_b64 v[3:4], v15, -1
	v_mul_lo_u32 v1, v19, s39
	s_mul_i32 s6, s6, s5
	v_dual_mov_b32 v29, 0 :: v_dual_and_b32 v20, 0x7c, v2
	s_mul_hi_u32 s6, s5, s6
	s_delay_alu instid0(VALU_DEP_3) | instskip(SKIP_2) | instid1(VALU_DEP_4)
	v_not_b32_e32 v21, v3
	s_add_i32 s70, s5, s6
	v_or_b32_e32 v3, 3, v16
	v_ashrrev_i32_e32 v2, 31, v1
	s_mul_hi_u32 s5, s7, s70
	v_cmp_gt_u32_e64 s3, s36, v0
	s_mul_i32 s5, s5, s56
	v_mul_lo_u32 v23, s39, v3
	v_lshlrev_b64 v[1:2], 1, v[1:2]
	s_sub_i32 s5, s7, s5
	s_ashr_i32 s7, s71, 31
	s_sub_i32 s6, s5, s56
	s_cmp_ge_u32 s5, s56
	v_cmp_gt_i32_e64 s4, s36, v0
	s_cselect_b32 s5, s6, s5
	v_add_co_u32 v10, vcc_lo, s54, v1
	v_add3_u32 v1, s56, s36, v0
	s_sub_i32 s6, s5, s56
	s_cmp_ge_u32 s5, s56
	v_add_co_ci_u32_e32 v11, vcc_lo, s55, v2, vcc_lo
	s_cselect_b32 s6, s6, s5
	v_or_b32_e32 v2, 2, v16
	v_subrev_nc_u32_e32 v1, s9, v1
	s_xor_b32 s8, s6, s7
	v_cmp_gt_i32_e64 s5, s69, v16
	s_sub_i32 s7, s7, s8
	v_mul_lo_u32 v22, s39, v2
	v_mul_lo_u32 v25, s39, v1
	s_add_i32 s71, s71, s7
	v_cmp_gt_u32_e64 s6, s36, v19
	v_cmp_gt_i32_e64 s7, s36, v19
	v_cmp_gt_i32_e64 s8, s71, v0
	s_lshl_b32 s72, s59, 2
	s_lshl_b32 s73, s56, 3
	;; [unrolled: 1-line block ×3, first 2 shown]
	s_mov_b32 s79, 14
	s_movk_i32 s75, 0x3c00
	s_mov_b32 s82, 0
	s_mov_b32 s84, 0
	;; [unrolled: 1-line block ×3, first 2 shown]
                                        ; implicit-def: $sgpr76
                                        ; implicit-def: $sgpr78
                                        ; implicit-def: $sgpr77
                                        ; implicit-def: $sgpr81
                                        ; implicit-def: $sgpr83
                                        ; implicit-def: $sgpr80
	s_branch .LBB57_8
.LBB57_4:                               ;   in Loop: Header=BB57_8 Depth=1
	s_xor_b32 s82, s82, 1
	s_add_i32 s13, s79, -2
	s_cmp_eq_u32 s79, 0
	s_mov_b32 s9, 0
	s_cselect_b32 s11, -1, 0
	s_mov_b32 s79, s13
.LBB57_5:                               ;   in Loop: Header=BB57_8 Depth=1
	s_and_not1_b32 s13, s15, exec_lo
	s_and_b32 s9, s9, exec_lo
	s_and_not1_b32 s17, s17, exec_lo
	s_or_b32 s15, s13, s9
	s_and_not1_b32 s14, s14, exec_lo
	s_or_not1_b32 s13, s11, exec_lo
	s_mov_b32 s37, s22
.LBB57_6:                               ;   in Loop: Header=BB57_8 Depth=1
	s_or_b32 exec_lo, exec_lo, s10
	s_delay_alu instid0(SALU_CYCLE_1)
	s_and_not1_b32 s9, s80, exec_lo
	s_and_b32 s10, s15, exec_lo
	s_and_not1_b32 s11, s81, exec_lo
	s_or_b32 s80, s9, s10
	s_and_not1_b32 s9, s83, exec_lo
	s_and_b32 s10, s17, exec_lo
	s_and_b32 s14, s14, exec_lo
	s_or_b32 s83, s9, s10
	s_or_b32 s81, s11, s14
	s_or_not1_b32 s14, s13, exec_lo
.LBB57_7:                               ;   in Loop: Header=BB57_8 Depth=1
	s_or_b32 exec_lo, exec_lo, s12
	s_delay_alu instid0(SALU_CYCLE_1)
	s_and_b32 s9, exec_lo, s14
	v_mov_b32_e32 v1, s84
	s_or_b32 s57, s9, s57
	s_and_not1_b32 s9, s77, exec_lo
	s_and_b32 s10, s80, exec_lo
	s_and_not1_b32 s11, s76, exec_lo
	s_or_b32 s77, s9, s10
	s_and_not1_b32 s9, s78, exec_lo
	s_and_b32 s10, s83, exec_lo
	s_and_b32 s12, s81, exec_lo
	s_or_b32 s78, s9, s10
	s_or_b32 s76, s11, s12
	s_and_not1_b32 exec_lo, exec_lo, s57
	s_cbranch_execz .LBB57_239
.LBB57_8:                               ; =>This Loop Header: Depth=1
                                        ;     Child Loop BB57_13 Depth 2
                                        ;     Child Loop BB57_32 Depth 2
	;; [unrolled: 1-line block ×16, first 2 shown]
	ds_load_b64 v[1:2], v7 offset:4096
	s_waitcnt lgkmcnt(0)
	v_readfirstlane_b32 s86, v1
	s_delay_alu instid0(VALU_DEP_1)
	s_cmp_gt_i32 s86, 0
	s_cbranch_scc1 .LBB57_39
; %bb.9:                                ;   in Loop: Header=BB57_8 Depth=1
	s_and_b32 vcc_lo, exec_lo, s62
	s_cbranch_vccz .LBB57_21
; %bb.10:                               ;   in Loop: Header=BB57_8 Depth=1
	v_cmp_gt_i32_e32 vcc_lo, 0x601, v2
	s_mov_b32 s10, 0
	s_mov_b32 s9, 0
	s_cbranch_vccz .LBB57_26
; %bb.11:                               ;   in Loop: Header=BB57_8 Depth=1
	global_load_u16 v1, v7, s[44:45]
	global_load_u16 v4, v[8:9], off
	v_mov_b32_e32 v3, v0
	s_mov_b32 s11, 0
	s_waitcnt vmcnt(1)
	v_add_nc_u32_e32 v2, v0, v1
	s_delay_alu instid0(VALU_DEP_1)
	v_mul_lo_u32 v6, s39, v2
	v_mul_lo_u32 v2, s39, v1
	s_branch .LBB57_13
.LBB57_12:                              ;   in Loop: Header=BB57_13 Depth=2
	s_or_b32 exec_lo, exec_lo, s9
	v_cmp_le_i32_e32 vcc_lo, s36, v3
	v_add_nc_u32_e32 v6, v6, v2
	v_mov_b32_e32 v4, v13
	s_or_b32 s11, vcc_lo, s11
	s_delay_alu instid0(SALU_CYCLE_1)
	s_and_not1_b32 exec_lo, exec_lo, s11
	s_cbranch_execz .LBB57_22
.LBB57_13:                              ;   Parent Loop BB57_8 Depth=1
                                        ; =>  This Inner Loop Header: Depth=2
	s_waitcnt lgkmcnt(0)
	v_dual_mov_b32 v14, 0 :: v_dual_add_nc_u32 v3, v3, v1
	v_mov_b32_e32 v13, 0
	s_mov_b32 s9, exec_lo
	s_delay_alu instid0(VALU_DEP_2)
	v_cmpx_gt_u32_e64 s36, v3
	s_cbranch_execz .LBB57_15
; %bb.14:                               ;   in Loop: Header=BB57_13 Depth=2
	v_lshlrev_b64 v[30:31], 1, v[6:7]
	s_delay_alu instid0(VALU_DEP_1) | instskip(NEXT) | instid1(VALU_DEP_2)
	v_add_co_u32 v30, vcc_lo, s54, v30
	v_add_co_ci_u32_e32 v31, vcc_lo, s55, v31, vcc_lo
	global_load_u16 v13, v[30:31], off
.LBB57_15:                              ;   in Loop: Header=BB57_13 Depth=2
	s_or_b32 exec_lo, exec_lo, s9
	s_waitcnt vmcnt(0)
	v_cmp_lt_i16_e32 vcc_lo, -1, v4
	v_and_b32_e32 v30, 0xffff, v4
	v_cndmask_b32_e32 v31, 0xffff, v28, vcc_lo
	v_cmp_o_f16_e32 vcc_lo, v4, v4
	s_delay_alu instid0(VALU_DEP_2) | instskip(NEXT) | instid1(VALU_DEP_1)
	v_xor_b32_e32 v30, v31, v30
	v_cndmask_b32_e32 v30, 0xffff, v30, vcc_lo
	s_delay_alu instid0(VALU_DEP_1) | instskip(NEXT) | instid1(VALU_DEP_1)
	v_and_b32_e32 v30, s85, v30
	v_cmp_eq_u32_e32 vcc_lo, s84, v30
	s_cmp_lg_u32 vcc_lo, 0
	s_cselect_b32 s9, -1, 0
	s_delay_alu instid0(SALU_CYCLE_1) | instskip(NEXT) | instid1(SALU_CYCLE_1)
	s_and_b32 s9, s2, s9
	s_and_saveexec_b32 s12, s9
	s_cbranch_execz .LBB57_19
; %bb.16:                               ;   in Loop: Header=BB57_13 Depth=2
	s_mov_b32 s15, exec_lo
	s_bcnt1_i32_b32 s13, vcc_lo
	v_mbcnt_lo_u32_b32 v14, s15, 0
	s_mov_b32 s14, exec_lo
                                        ; implicit-def: $vgpr30
	s_delay_alu instid0(VALU_DEP_1)
	v_cmpx_eq_u32_e32 0, v14
	s_cbranch_execz .LBB57_18
; %bb.17:                               ;   in Loop: Header=BB57_13 Depth=2
	s_bcnt1_i32_b32 s9, s15
	s_delay_alu instid0(SALU_CYCLE_1) | instskip(NEXT) | instid1(SALU_CYCLE_1)
	s_mul_i32 s9, s13, s9
	v_mov_b32_e32 v30, s9
	ds_add_rtn_u32 v30, v7, v30 offset:4104
.LBB57_18:                              ;   in Loop: Header=BB57_13 Depth=2
	s_or_b32 exec_lo, exec_lo, s14
	s_waitcnt lgkmcnt(0)
	v_readfirstlane_b32 s9, v30
	s_delay_alu instid0(VALU_DEP_1)
	v_mad_u32_u24 v14, s13, v14, s9
.LBB57_19:                              ;   in Loop: Header=BB57_13 Depth=2
	s_or_b32 exec_lo, exec_lo, s12
	ds_bpermute_b32 v14, v7, v14
	s_and_saveexec_b32 s9, vcc_lo
	s_cbranch_execz .LBB57_12
; %bb.20:                               ;   in Loop: Header=BB57_13 Depth=2
	v_and_b32_e32 v30, vcc_lo, v21
	s_delay_alu instid0(VALU_DEP_1) | instskip(NEXT) | instid1(VALU_DEP_1)
	v_bcnt_u32_b32 v30, v30, 0
	v_lshlrev_b32_e32 v30, 1, v30
	s_waitcnt lgkmcnt(0)
	s_delay_alu instid0(VALU_DEP_1)
	v_lshl_add_u32 v14, v14, 1, v30
	ds_store_b16 v14, v4
	s_branch .LBB57_12
.LBB57_21:                              ;   in Loop: Header=BB57_8 Depth=1
	s_mov_b32 s10, -1
	s_mov_b32 s9, 0
	s_branch .LBB57_25
.LBB57_22:                              ;   in Loop: Header=BB57_8 Depth=1
	s_or_b32 exec_lo, exec_lo, s11
	s_waitcnt lgkmcnt(0)
	s_barrier
	buffer_gl0_inv
	s_and_saveexec_b32 s9, s0
	s_cbranch_execz .LBB57_24
; %bb.23:                               ;   in Loop: Header=BB57_8 Depth=1
	ds_load_b32 v1, v7 offset:4104
	s_waitcnt lgkmcnt(0)
	ds_store_b32 v7, v1 offset:4096
.LBB57_24:                              ;   in Loop: Header=BB57_8 Depth=1
	s_or_b32 exec_lo, exec_lo, s9
	s_waitcnt lgkmcnt(0)
	s_mov_b32 s9, -1
	s_barrier
.LBB57_25:                              ;   in Loop: Header=BB57_8 Depth=1
                                        ; implicit-def: $sgpr86
.LBB57_26:                              ;   in Loop: Header=BB57_8 Depth=1
	s_and_b32 vcc_lo, exec_lo, s10
	s_cbranch_vccz .LBB57_37
; %bb.27:                               ;   in Loop: Header=BB57_8 Depth=1
	v_mov_b32_e32 v1, 0
	s_and_saveexec_b32 s9, s3
	s_cbranch_execz .LBB57_29
; %bb.28:                               ;   in Loop: Header=BB57_8 Depth=1
	global_load_u16 v1, v[8:9], off
.LBB57_29:                              ;   in Loop: Header=BB57_8 Depth=1
	s_or_b32 exec_lo, exec_lo, s9
	s_and_saveexec_b32 s9, s4
	s_cbranch_execz .LBB57_34
; %bb.30:                               ;   in Loop: Header=BB57_8 Depth=1
	global_load_u16 v2, v7, s[44:45]
	v_mov_b32_e32 v14, v0
	s_mov_b32 s10, 0
	v_mov_b32_e32 v13, v17
	s_waitcnt vmcnt(0)
	v_add_nc_u32_e32 v3, v0, v2
	v_lshlrev_b32_e32 v4, 1, v2
	s_delay_alu instid0(VALU_DEP_2)
	v_mul_lo_u32 v6, s39, v3
	v_mul_lo_u32 v3, s39, v2
	s_branch .LBB57_32
	.p2align	6
.LBB57_31:                              ;   in Loop: Header=BB57_32 Depth=2
	s_or_b32 exec_lo, exec_lo, s11
	v_cmp_le_i32_e32 vcc_lo, s36, v14
	ds_store_b16 v13, v1
	v_add_nc_u32_e32 v13, v13, v4
	v_add_nc_u32_e32 v6, v6, v3
	s_waitcnt vmcnt(0)
	v_mov_b32_e32 v1, v30
	s_or_b32 s10, vcc_lo, s10
	s_delay_alu instid0(SALU_CYCLE_1)
	s_and_not1_b32 exec_lo, exec_lo, s10
	s_cbranch_execz .LBB57_34
.LBB57_32:                              ;   Parent Loop BB57_8 Depth=1
                                        ; =>  This Inner Loop Header: Depth=2
	v_add_nc_u32_e32 v14, v14, v2
	v_mov_b32_e32 v30, 0
	s_mov_b32 s11, exec_lo
	s_delay_alu instid0(VALU_DEP_2)
	v_cmpx_gt_u32_e64 s36, v14
	s_cbranch_execz .LBB57_31
; %bb.33:                               ;   in Loop: Header=BB57_32 Depth=2
	v_lshlrev_b64 v[30:31], 1, v[6:7]
	s_delay_alu instid0(VALU_DEP_1) | instskip(NEXT) | instid1(VALU_DEP_2)
	v_add_co_u32 v30, vcc_lo, s54, v30
	v_add_co_ci_u32_e32 v31, vcc_lo, s55, v31, vcc_lo
	global_load_u16 v30, v[30:31], off
	s_branch .LBB57_31
.LBB57_34:                              ;   in Loop: Header=BB57_8 Depth=1
	s_or_b32 exec_lo, exec_lo, s9
	s_waitcnt vmcnt(0) lgkmcnt(0)
	s_barrier
	buffer_gl0_inv
	s_and_saveexec_b32 s9, s0
	s_cbranch_execz .LBB57_36
; %bb.35:                               ;   in Loop: Header=BB57_8 Depth=1
	v_mov_b32_e32 v1, s36
	ds_store_b32 v7, v1 offset:4096
.LBB57_36:                              ;   in Loop: Header=BB57_8 Depth=1
	s_or_b32 exec_lo, exec_lo, s9
	s_mov_b32 s9, -1
	s_waitcnt lgkmcnt(0)
	s_barrier
                                        ; implicit-def: $sgpr86
.LBB57_37:                              ;   in Loop: Header=BB57_8 Depth=1
	s_and_b32 vcc_lo, exec_lo, s9
	s_cbranch_vccz .LBB57_39
; %bb.38:                               ;   in Loop: Header=BB57_8 Depth=1
	buffer_gl0_inv
	ds_load_b32 v1, v7 offset:4096
	s_waitcnt lgkmcnt(0)
	v_readfirstlane_b32 s86, v1
.LBB57_39:                              ;   in Loop: Header=BB57_8 Depth=1
	s_delay_alu instid0(VALU_DEP_1)
	s_cmp_lt_i32 s86, 1
	s_cbranch_scc0 .LBB57_43
; %bb.40:                               ;   in Loop: Header=BB57_8 Depth=1
	v_dual_mov_b32 v1, 0 :: v_dual_mov_b32 v2, 0
	v_dual_mov_b32 v3, 0 :: v_dual_mov_b32 v4, 0
	s_mov_b32 s88, 0
	s_and_saveexec_b32 s87, s5
	s_cbranch_execnz .LBB57_44
; %bb.41:                               ;   in Loop: Header=BB57_8 Depth=1
	s_or_b32 exec_lo, exec_lo, s87
	v_mov_b32_e32 v30, 0
	s_and_saveexec_b32 s9, s6
	s_cbranch_execnz .LBB57_47
.LBB57_42:                              ;   in Loop: Header=BB57_8 Depth=1
	s_or_b32 exec_lo, exec_lo, s9
	s_and_saveexec_b32 s13, s7
	s_cbranch_execnz .LBB57_48
	s_branch .LBB57_53
.LBB57_43:                              ;   in Loop: Header=BB57_8 Depth=1
                                        ; implicit-def: $vgpr4
	s_cbranch_execnz .LBB57_54
	s_branch .LBB57_63
.LBB57_44:                              ;   in Loop: Header=BB57_8 Depth=1
	v_mov_b32_e32 v6, v16
	s_and_b32 s89, s79, 0xfe
	s_mov_b32 s90, 0
	s_mov_b32 s91, 0
	;; [unrolled: 1-line block ×5, first 2 shown]
.LBB57_45:                              ;   Parent Loop BB57_8 Depth=1
                                        ; =>  This Inner Loop Header: Depth=2
	v_add_nc_u32_e32 v1, s90, v24
	v_add_nc_u32_e32 v3, s90, v12
	;; [unrolled: 1-line block ×4, first 2 shown]
	s_add_i32 s90, s90, s72
	v_ashrrev_i32_e32 v2, 31, v1
	v_ashrrev_i32_e32 v4, 31, v3
	;; [unrolled: 1-line block ×4, first 2 shown]
	s_delay_alu instid0(VALU_DEP_4) | instskip(NEXT) | instid1(VALU_DEP_4)
	v_lshlrev_b64 v[1:2], 1, v[1:2]
	v_lshlrev_b64 v[3:4], 1, v[3:4]
	s_delay_alu instid0(VALU_DEP_4) | instskip(NEXT) | instid1(VALU_DEP_4)
	v_lshlrev_b64 v[13:14], 1, v[13:14]
	v_lshlrev_b64 v[30:31], 1, v[30:31]
	s_delay_alu instid0(VALU_DEP_4)
	v_add_co_u32 v1, vcc_lo, s54, v1
	v_add_co_ci_u32_e32 v2, vcc_lo, s55, v2, vcc_lo
	v_add_co_u32 v3, vcc_lo, s54, v3
	v_add_co_ci_u32_e32 v4, vcc_lo, s55, v4, vcc_lo
	;; [unrolled: 2-line block ×4, first 2 shown]
	s_clause 0x3
	global_load_u16 v1, v[1:2], off
	global_load_u16 v2, v[3:4], off
	;; [unrolled: 1-line block ×4, first 2 shown]
	s_waitcnt vmcnt(3)
	v_cmp_lt_i16_e64 s9, -1, v1
	v_and_b32_e32 v13, 0xffff, v1
	s_waitcnt vmcnt(2)
	v_and_b32_e32 v30, 0xffff, v2
	s_waitcnt vmcnt(1)
	v_and_b32_e32 v32, 0xffff, v3
	v_cmp_o_f16_e64 s12, v1, v1
	v_cndmask_b32_e64 v14, 0xffff, v28, s9
	v_cmp_lt_i16_e64 s9, -1, v2
	s_waitcnt vmcnt(0)
	v_and_b32_e32 v34, 0xffff, v4
	v_cmp_o_f16_e64 s10, v3, v3
	v_cmp_o_f16_e64 s11, v4, v4
	v_xor_b32_e32 v13, v14, v13
	v_cndmask_b32_e64 v31, 0xffff, v28, s9
	v_cmp_lt_i16_e64 s9, -1, v3
	s_delay_alu instid0(VALU_DEP_3) | instskip(NEXT) | instid1(VALU_DEP_3)
	v_cndmask_b32_e64 v1, 0xffff, v13, s12
	v_xor_b32_e32 v14, v31, v30
	s_delay_alu instid0(VALU_DEP_3) | instskip(SKIP_1) | instid1(VALU_DEP_4)
	v_cndmask_b32_e64 v33, 0xffff, v28, s9
	v_cmp_lt_i16_e64 s9, -1, v4
	v_and_b32_e32 v13, s85, v1
	v_bfe_u32 v1, v1, s89, 2
	s_delay_alu instid0(VALU_DEP_3) | instskip(SKIP_2) | instid1(VALU_DEP_4)
	v_cndmask_b32_e64 v35, 0xffff, v28, s9
	v_cmp_o_f16_e64 s9, v2, v2
	v_xor_b32_e32 v2, v33, v32
	v_cmp_eq_u32_e64 s13, 0, v1
	v_cmp_eq_u32_e64 s17, 1, v1
	v_xor_b32_e32 v3, v35, v34
	v_cndmask_b32_e64 v4, 0xffff, v14, s9
	v_cndmask_b32_e64 v2, 0xffff, v2, s10
	v_cmp_eq_u32_e64 s9, s84, v13
	v_cmp_eq_u32_e64 s21, 2, v1
	v_cndmask_b32_e64 v3, 0xffff, v3, s11
	v_and_b32_e32 v14, s85, v4
	v_bfe_u32 v4, v4, s89, 2
	v_and_b32_e32 v30, s85, v2
	v_bfe_u32 v2, v2, s89, 2
	;; [unrolled: 2-line block ×3, first 2 shown]
	v_cmp_eq_u32_e64 s10, s84, v14
	v_cmp_eq_u32_e64 s14, 0, v4
	;; [unrolled: 1-line block ×4, first 2 shown]
	s_and_b32 s13, s9, s13
	v_cmp_eq_u32_e64 s12, s84, v31
	v_cmp_eq_u32_e64 s16, 0, v3
	;; [unrolled: 1-line block ×3, first 2 shown]
	v_cndmask_b32_e64 v1, 0, 1, s13
	s_and_b32 s13, s10, s14
	v_cmp_eq_u32_e64 s19, 1, v2
	v_cmp_eq_u32_e64 s23, 2, v2
	;; [unrolled: 1-line block ×3, first 2 shown]
	v_cndmask_b32_e64 v2, 0, 1, s13
	s_and_b32 s13, s11, s15
	v_cmp_eq_u32_e64 s18, 1, v4
	v_cmp_eq_u32_e64 s20, 1, v3
	;; [unrolled: 1-line block ×4, first 2 shown]
	v_cndmask_b32_e64 v3, 0, 1, s13
	s_and_b32 s13, s12, s16
	v_cmp_eq_u32_e64 s22, 2, v4
	v_cmp_eq_u32_e64 s26, 3, v4
	v_cndmask_b32_e64 v4, 0, 1, s13
	s_and_b32 s13, s9, s17
	s_delay_alu instid0(SALU_CYCLE_1) | instskip(SKIP_1) | instid1(SALU_CYCLE_1)
	v_cndmask_b32_e64 v13, 0, 1, s13
	s_and_b32 s13, s10, s18
	v_cndmask_b32_e64 v14, 0, 1, s13
	s_and_b32 s13, s11, s19
	s_delay_alu instid0(SALU_CYCLE_1) | instskip(SKIP_1) | instid1(VALU_DEP_2)
	v_cndmask_b32_e64 v30, 0, 1, s13
	s_and_b32 s13, s12, s20
	v_cmp_ne_u32_e64 s14, 0, v14
	v_cndmask_b32_e64 v31, 0, 1, s13
	s_and_b32 s13, s9, s21
	s_and_b32 s9, s9, s25
	v_cndmask_b32_e64 v32, 0, 1, s13
	s_and_b32 s13, s10, s22
	v_cndmask_b32_e64 v36, 0, 1, s9
	;; [unrolled: 2-line block ×7, first 2 shown]
	v_cndmask_b32_e64 v39, 0, 1, s9
	v_cmp_ne_u32_e64 s9, 0, v1
	v_cmp_ne_u32_e64 s13, 0, v13
	;; [unrolled: 1-line block ×8, first 2 shown]
	s_bcnt1_i32_b32 s9, s9
	s_bcnt1_i32_b32 s13, s13
	;; [unrolled: 1-line block ×3, first 2 shown]
	v_cmp_ne_u32_e64 s20, 0, v35
	v_cmp_ne_u32_e64 s22, 0, v37
	s_bcnt1_i32_b32 s10, s10
	s_bcnt1_i32_b32 s14, s14
	;; [unrolled: 1-line block ×3, first 2 shown]
	s_add_i32 s9, s9, s94
	s_add_i32 s13, s13, s93
	;; [unrolled: 1-line block ×3, first 2 shown]
	v_cmp_ne_u32_e64 s15, 0, v30
	v_cmp_ne_u32_e64 s23, 0, v38
	s_bcnt1_i32_b32 s11, s11
	s_bcnt1_i32_b32 s19, s19
	s_add_i32 s9, s9, s10
	s_add_i32 s10, s13, s14
	;; [unrolled: 1-line block ×3, first 2 shown]
	s_bcnt1_i32_b32 s21, s21
	v_cmp_ne_u32_e64 s12, 0, v4
	v_cmp_ne_u32_e64 s16, 0, v31
	v_cmp_ne_u32_e64 s24, 0, v39
	s_bcnt1_i32_b32 s20, s20
	s_add_i32 s9, s9, s11
	s_add_i32 s11, s13, s19
	s_bcnt1_i32_b32 s22, s22
	s_add_i32 s21, s21, s91
	s_add_i32 s92, s11, s20
	s_delay_alu instid0(SALU_CYCLE_1)
	v_dual_mov_b32 v3, s92 :: v_dual_add_nc_u32 v6, s58, v6
	s_bcnt1_i32_b32 s15, s15
	s_bcnt1_i32_b32 s23, s23
	s_add_i32 s14, s21, s22
	s_bcnt1_i32_b32 s12, s12
	s_bcnt1_i32_b32 s16, s16
	;; [unrolled: 1-line block ×3, first 2 shown]
	s_add_i32 s10, s10, s15
	s_add_i32 s13, s14, s23
	v_cmp_le_i32_e32 vcc_lo, s69, v6
	s_add_i32 s94, s9, s12
	s_add_i32 s93, s10, s16
	;; [unrolled: 1-line block ×3, first 2 shown]
	v_dual_mov_b32 v1, s94 :: v_dual_mov_b32 v2, s93
	v_mov_b32_e32 v4, s91
	s_or_b32 s88, vcc_lo, s88
	s_delay_alu instid0(SALU_CYCLE_1)
	s_and_not1_b32 exec_lo, exec_lo, s88
	s_cbranch_execnz .LBB57_45
; %bb.46:                               ;   in Loop: Header=BB57_8 Depth=1
	s_or_b32 exec_lo, exec_lo, s88
	s_delay_alu instid0(SALU_CYCLE_1)
	s_or_b32 exec_lo, exec_lo, s87
	v_mov_b32_e32 v30, 0
	s_and_saveexec_b32 s9, s6
	s_cbranch_execz .LBB57_42
.LBB57_47:                              ;   in Loop: Header=BB57_8 Depth=1
	global_load_u16 v30, v[10:11], off
	s_or_b32 exec_lo, exec_lo, s9
	s_and_saveexec_b32 s13, s7
	s_cbranch_execz .LBB57_53
.LBB57_48:                              ;   in Loop: Header=BB57_8 Depth=1
	v_dual_mov_b32 v13, v25 :: v_dual_mov_b32 v6, v19
	s_and_b32 s15, s79, 0xfe
	s_mov_b32 s14, 0
	s_branch .LBB57_50
.LBB57_49:                              ;   in Loop: Header=BB57_50 Depth=2
	s_or_b32 exec_lo, exec_lo, s9
	s_waitcnt vmcnt(0)
	v_cmp_lt_i16_e32 vcc_lo, -1, v30
	v_and_b32_e32 v31, 0xffff, v30
	v_add_nc_u32_e32 v13, s59, v13
	v_cndmask_b32_e32 v32, 0xffff, v28, vcc_lo
	v_cmp_o_f16_e32 vcc_lo, v30, v30
	s_delay_alu instid0(VALU_DEP_2) | instskip(NEXT) | instid1(VALU_DEP_1)
	v_xor_b32_e32 v31, v32, v31
	v_cndmask_b32_e32 v30, 0xffff, v31, vcc_lo
	s_delay_alu instid0(VALU_DEP_1) | instskip(SKIP_1) | instid1(VALU_DEP_2)
	v_and_b32_e32 v31, s85, v30
	v_bfe_u32 v30, v30, s15, 2
	v_cmp_eq_u32_e32 vcc_lo, s84, v31
	s_delay_alu instid0(VALU_DEP_2) | instskip(SKIP_3) | instid1(VALU_DEP_4)
	v_cmp_eq_u32_e64 s9, 0, v30
	v_cmp_eq_u32_e64 s10, 1, v30
	;; [unrolled: 1-line block ×4, first 2 shown]
	s_and_b32 s9, vcc_lo, s9
	s_delay_alu instid0(SALU_CYCLE_1) | instskip(SKIP_1) | instid1(SALU_CYCLE_1)
	v_cndmask_b32_e64 v30, 0, 1, s9
	s_and_b32 s9, vcc_lo, s10
	v_cndmask_b32_e64 v31, 0, 1, s9
	s_and_b32 s9, vcc_lo, s11
	s_delay_alu instid0(SALU_CYCLE_1)
	v_cndmask_b32_e64 v32, 0, 1, s9
	s_and_b32 s9, vcc_lo, s12
	v_cmp_ne_u32_e32 vcc_lo, 0, v30
	v_mov_b32_e32 v30, v14
	v_cndmask_b32_e64 v33, 0, 1, s9
	v_cmp_ne_u32_e64 s9, 0, v31
	v_cmp_ne_u32_e64 s10, 0, v32
	v_cmp_le_i32_e64 s12, s36, v6
	s_bcnt1_i32_b32 s16, vcc_lo
	v_cmp_ne_u32_e64 s11, 0, v33
	s_bcnt1_i32_b32 s9, s9
	s_bcnt1_i32_b32 s10, s10
	v_add_nc_u32_e32 v1, s16, v1
	v_add_nc_u32_e32 v2, s9, v2
	s_bcnt1_i32_b32 s11, s11
	v_add_nc_u32_e32 v3, s10, v3
	v_add_nc_u32_e32 v4, s11, v4
	s_or_b32 s14, s12, s14
	s_delay_alu instid0(SALU_CYCLE_1)
	s_and_not1_b32 exec_lo, exec_lo, s14
	s_cbranch_execz .LBB57_52
.LBB57_50:                              ;   Parent Loop BB57_8 Depth=1
                                        ; =>  This Inner Loop Header: Depth=2
	s_delay_alu instid0(VALU_DEP_1) | instskip(SKIP_2) | instid1(VALU_DEP_2)
	v_add_nc_u32_e32 v6, s56, v6
	v_mov_b32_e32 v14, 0
	s_mov_b32 s9, exec_lo
	v_cmpx_gt_u32_e64 s36, v6
	s_cbranch_execz .LBB57_49
; %bb.51:                               ;   in Loop: Header=BB57_50 Depth=2
	v_ashrrev_i32_e32 v14, 31, v13
	s_delay_alu instid0(VALU_DEP_1) | instskip(NEXT) | instid1(VALU_DEP_1)
	v_lshlrev_b64 v[31:32], 1, v[13:14]
	v_add_co_u32 v31, vcc_lo, s54, v31
	s_delay_alu instid0(VALU_DEP_2)
	v_add_co_ci_u32_e32 v32, vcc_lo, s55, v32, vcc_lo
	global_load_u16 v14, v[31:32], off
	s_branch .LBB57_49
.LBB57_52:                              ;   in Loop: Header=BB57_8 Depth=1
	s_or_b32 exec_lo, exec_lo, s14
.LBB57_53:                              ;   in Loop: Header=BB57_8 Depth=1
	s_delay_alu instid0(SALU_CYCLE_1)
	s_or_b32 exec_lo, exec_lo, s13
	s_branch .LBB57_63
.LBB57_54:                              ;   in Loop: Header=BB57_8 Depth=1
	s_mul_hi_u32 s9, s86, s68
	v_dual_mov_b32 v1, 0 :: v_dual_mov_b32 v2, 0
	s_mul_i32 s9, s9, s58
	v_dual_mov_b32 v3, 0 :: v_dual_mov_b32 v4, 0
	s_sub_i32 s9, s86, s9
	s_mov_b32 s25, 0
	s_sub_i32 s10, s9, s58
	s_cmp_ge_u32 s9, s58
	s_mov_b32 s24, exec_lo
	s_cselect_b32 s9, s10, s9
	s_delay_alu instid0(SALU_CYCLE_1) | instskip(SKIP_2) | instid1(SALU_CYCLE_1)
	s_sub_i32 s10, s9, s58
	s_cmp_ge_u32 s9, s58
	s_cselect_b32 s9, s10, s9
	s_sub_i32 s23, s86, s9
	s_delay_alu instid0(SALU_CYCLE_1)
	v_cmpx_gt_u32_e64 s23, v16
	s_cbranch_execz .LBB57_58
; %bb.55:                               ;   in Loop: Header=BB57_8 Depth=1
	v_dual_mov_b32 v6, v26 :: v_dual_mov_b32 v13, v16
	s_and_b32 s26, s79, 0xfe
	s_mov_b32 s27, 0
	s_mov_b32 s28, 0
	;; [unrolled: 1-line block ×4, first 2 shown]
.LBB57_56:                              ;   Parent Loop BB57_8 Depth=1
                                        ; =>  This Inner Loop Header: Depth=2
	ds_load_b64 v[1:2], v6
	s_waitcnt lgkmcnt(0)
	v_cmp_lt_i16_e64 s9, -1, v1
	v_lshrrev_b32_e32 v3, 16, v1
	v_lshrrev_b32_e32 v32, 16, v2
	v_and_b32_e32 v4, 0xffff, v1
	s_waitcnt vmcnt(0)
	v_and_b32_e32 v30, 0xffff, v2
	v_cndmask_b32_e64 v14, 0xffff, v28, s9
	v_cmp_lt_i16_e64 s9, -1, v2
	v_cmp_lt_i16_e64 s10, -1, v32
	s_delay_alu instid0(VALU_DEP_3) | instskip(NEXT) | instid1(VALU_DEP_3)
	v_xor_b32_e32 v4, v14, v4
	v_cndmask_b32_e64 v31, 0xffff, v28, s9
	v_cmp_lt_i16_e64 s9, -1, v3
	s_delay_alu instid0(VALU_DEP_2) | instskip(NEXT) | instid1(VALU_DEP_2)
	v_xor_b32_e32 v30, v31, v30
	v_cndmask_b32_e64 v14, 0xffff, v28, s9
	v_cmp_o_f16_e64 s9, v2, v2
	v_cndmask_b32_e64 v2, 0xffff, v28, s10
	v_cmp_o_f16_e64 s10, v1, v1
	s_delay_alu instid0(VALU_DEP_2) | instskip(NEXT) | instid1(VALU_DEP_2)
	v_xor_b32_e32 v2, v2, v32
	v_cndmask_b32_e64 v1, 0xffff, v4, s10
	v_xor_b32_e32 v4, v14, v3
	v_cmp_o_f16_e64 s10, v3, v3
	v_cndmask_b32_e64 v14, 0xffff, v30, s9
	v_cmp_o_f16_e64 s9, v32, v32
	s_delay_alu instid0(VALU_DEP_3)
	v_cndmask_b32_e64 v3, 0xffff, v4, s10
	v_and_b32_e32 v4, s85, v1
	v_bfe_u32 v1, v1, s26, 2
	v_and_b32_e32 v30, s85, v14
	v_bfe_u32 v14, v14, s26, 2
	v_cndmask_b32_e64 v2, 0xffff, v2, s9
	v_cmp_eq_u32_e64 s9, s84, v4
	v_cmp_eq_u32_e64 s11, 0, v1
	;; [unrolled: 1-line block ×4, first 2 shown]
	v_and_b32_e32 v4, s85, v3
	v_and_b32_e32 v30, s85, v2
	v_bfe_u32 v3, v3, s26, 2
	v_bfe_u32 v2, v2, s26, 2
	v_cmp_eq_u32_e64 s13, 1, v1
	v_cmp_eq_u32_e64 s15, 2, v1
	s_and_b32 s11, s9, s11
	v_cmp_eq_u32_e64 s14, 1, v14
	v_cmp_eq_u32_e64 s16, 2, v14
	;; [unrolled: 1-line block ×3, first 2 shown]
	v_cndmask_b32_e64 v1, 0, 1, s11
	s_and_b32 s11, s10, s12
	v_cmp_eq_u32_e64 s18, 3, v14
	v_cmp_eq_u32_e64 s19, s84, v4
	;; [unrolled: 1-line block ×5, first 2 shown]
	v_cndmask_b32_e64 v4, 0, 1, s11
	v_cmp_eq_u32_e64 s11, 1, v3
	s_and_b32 s13, s9, s13
	s_and_b32 s15, s9, s15
	v_cndmask_b32_e64 v14, 0, 1, s13
	s_and_b32 s13, s10, s14
	v_cndmask_b32_e64 v31, 0, 1, s15
	s_and_b32 s15, s10, s16
	s_and_b32 s9, s9, s17
	v_cmp_eq_u32_e64 s12, 1, v2
	v_cndmask_b32_e64 v30, 0, 1, s13
	v_cmp_eq_u32_e64 s13, 2, v3
	v_cmp_eq_u32_e64 s14, 2, v2
	v_cndmask_b32_e64 v32, 0, 1, s15
	v_cmp_eq_u32_e64 s15, 3, v3
	v_cmp_eq_u32_e64 s16, 3, v2
	v_cndmask_b32_e64 v2, 0, 1, s9
	s_and_b32 s9, s10, s18
	s_and_b32 s10, s19, s21
	;; [unrolled: 1-line block ×4, first 2 shown]
	v_cndmask_b32_e64 v3, 0, 1, s9
	v_cmp_ne_u32_e64 s9, 0, v1
	v_cndmask_b32_e64 v1, 0, 1, s10
	v_cmp_ne_u32_e64 s10, 0, v4
	;; [unrolled: 2-line block ×3, first 2 shown]
	v_cndmask_b32_e64 v14, 0, 1, s11
	s_and_b32 s12, s20, s12
	s_and_b32 s13, s19, s13
	;; [unrolled: 1-line block ×5, first 2 shown]
	v_cmp_ne_u32_e64 s11, 0, v30
	v_cndmask_b32_e64 v30, 0, 1, s12
	v_cmp_ne_u32_e64 s12, 0, v31
	v_cndmask_b32_e64 v31, 0, 1, s13
	;; [unrolled: 2-line block ×5, first 2 shown]
	v_cmp_ne_u32_e64 s16, 0, v14
	s_bcnt1_i32_b32 s17, s17
	s_bcnt1_i32_b32 s20, s11
	v_cmp_ne_u32_e64 s11, 0, v30
	s_bcnt1_i32_b32 s18, s9
	v_cmp_ne_u32_e64 s9, 0, v1
	;; [unrolled: 2-line block ×4, first 2 shown]
	s_add_i32 s17, s17, s87
	s_bcnt1_i32_b32 s16, s16
	s_bcnt1_i32_b32 s19, s10
	s_add_i32 s16, s17, s16
	v_cmp_ne_u32_e64 s10, 0, v4
	s_bcnt1_i32_b32 s22, s13
	v_cmp_ne_u32_e64 s13, 0, v32
	s_bcnt1_i32_b32 s90, s15
	;; [unrolled: 2-line block ×3, first 2 shown]
	s_add_i32 s16, s16, s20
	s_add_i32 s18, s18, s88
	s_add_i32 s21, s21, s28
	s_add_i32 s27, s89, s27
	s_bcnt1_i32_b32 s9, s9
	s_bcnt1_i32_b32 s12, s12
	;; [unrolled: 1-line block ×3, first 2 shown]
	s_add_i32 s87, s16, s11
	s_delay_alu instid0(SALU_CYCLE_1)
	v_dual_mov_b32 v2, s87 :: v_dual_add_nc_u32 v13, s58, v13
	s_add_i32 s9, s18, s9
	s_add_i32 s12, s21, s12
	;; [unrolled: 1-line block ×3, first 2 shown]
	s_bcnt1_i32_b32 s10, s10
	s_bcnt1_i32_b32 s13, s13
	;; [unrolled: 1-line block ×3, first 2 shown]
	s_add_i32 s9, s9, s19
	s_add_i32 s12, s12, s22
	;; [unrolled: 1-line block ×3, first 2 shown]
	v_cmp_le_i32_e32 vcc_lo, s23, v13
	s_add_i32 s88, s9, s10
	s_add_i32 s28, s12, s13
	;; [unrolled: 1-line block ×3, first 2 shown]
	v_dual_mov_b32 v1, s88 :: v_dual_add_nc_u32 v6, s73, v6
	v_dual_mov_b32 v3, s28 :: v_dual_mov_b32 v4, s27
	s_or_b32 s25, vcc_lo, s25
	s_delay_alu instid0(SALU_CYCLE_1)
	s_and_not1_b32 exec_lo, exec_lo, s25
	s_cbranch_execnz .LBB57_56
; %bb.57:                               ;   in Loop: Header=BB57_8 Depth=1
	s_or_b32 exec_lo, exec_lo, s25
.LBB57_58:                              ;   in Loop: Header=BB57_8 Depth=1
	s_delay_alu instid0(SALU_CYCLE_1) | instskip(SKIP_2) | instid1(VALU_DEP_1)
	s_or_b32 exec_lo, exec_lo, s24
	v_add_nc_u32_e32 v6, s23, v0
	s_mov_b32 s14, exec_lo
	v_cmpx_gt_i32_e64 s86, v6
	s_cbranch_execz .LBB57_62
; %bb.59:                               ;   in Loop: Header=BB57_8 Depth=1
	v_lshlrev_b32_e32 v13, 1, v6
	s_and_b32 s16, s79, 0xfe
	s_mov_b32 s15, 0
.LBB57_60:                              ;   Parent Loop BB57_8 Depth=1
                                        ; =>  This Inner Loop Header: Depth=2
	ds_load_u16 v14, v13
	v_add_nc_u32_e32 v6, s56, v6
	v_add_nc_u32_e32 v13, s74, v13
	s_delay_alu instid0(VALU_DEP_2) | instskip(SKIP_4) | instid1(VALU_DEP_2)
	v_cmp_le_i32_e32 vcc_lo, s86, v6
	s_waitcnt lgkmcnt(0)
	v_cmp_lt_i16_e64 s9, -1, v14
	s_waitcnt vmcnt(0)
	v_and_b32_e32 v30, 0xffff, v14
	v_cndmask_b32_e64 v31, 0xffff, v28, s9
	v_cmp_o_f16_e64 s9, v14, v14
	s_delay_alu instid0(VALU_DEP_2) | instskip(NEXT) | instid1(VALU_DEP_1)
	v_xor_b32_e32 v30, v31, v30
	v_cndmask_b32_e64 v14, 0xffff, v30, s9
	s_delay_alu instid0(VALU_DEP_1) | instskip(SKIP_1) | instid1(VALU_DEP_2)
	v_and_b32_e32 v30, s85, v14
	v_bfe_u32 v14, v14, s16, 2
	v_cmp_eq_u32_e64 s9, s84, v30
	s_delay_alu instid0(VALU_DEP_2) | instskip(SKIP_3) | instid1(VALU_DEP_4)
	v_cmp_eq_u32_e64 s10, 0, v14
	v_cmp_eq_u32_e64 s11, 1, v14
	;; [unrolled: 1-line block ×4, first 2 shown]
	s_and_b32 s10, s9, s10
	s_delay_alu instid0(SALU_CYCLE_1) | instskip(SKIP_1) | instid1(SALU_CYCLE_1)
	v_cndmask_b32_e64 v14, 0, 1, s10
	s_and_b32 s10, s9, s11
	v_cndmask_b32_e64 v30, 0, 1, s10
	s_and_b32 s10, s9, s12
	s_and_b32 s9, s9, s13
	v_cndmask_b32_e64 v31, 0, 1, s10
	v_cndmask_b32_e64 v32, 0, 1, s9
	v_cmp_ne_u32_e64 s9, 0, v14
	v_cmp_ne_u32_e64 s10, 0, v30
	s_delay_alu instid0(VALU_DEP_4) | instskip(NEXT) | instid1(VALU_DEP_4)
	v_cmp_ne_u32_e64 s11, 0, v31
	v_cmp_ne_u32_e64 s12, 0, v32
	s_delay_alu instid0(VALU_DEP_4) | instskip(NEXT) | instid1(VALU_DEP_3)
	s_bcnt1_i32_b32 s9, s9
	s_bcnt1_i32_b32 s10, s10
	v_add_nc_u32_e32 v1, s9, v1
	s_bcnt1_i32_b32 s11, s11
	s_bcnt1_i32_b32 s12, s12
	v_add_nc_u32_e32 v2, s10, v2
	v_add_nc_u32_e32 v3, s11, v3
	;; [unrolled: 1-line block ×3, first 2 shown]
	s_or_b32 s15, vcc_lo, s15
	s_delay_alu instid0(SALU_CYCLE_1)
	s_and_not1_b32 exec_lo, exec_lo, s15
	s_cbranch_execnz .LBB57_60
; %bb.61:                               ;   in Loop: Header=BB57_8 Depth=1
	s_or_b32 exec_lo, exec_lo, s15
.LBB57_62:                              ;   in Loop: Header=BB57_8 Depth=1
	s_delay_alu instid0(SALU_CYCLE_1)
	s_or_b32 exec_lo, exec_lo, s14
.LBB57_63:                              ;   in Loop: Header=BB57_8 Depth=1
	s_lshl_b32 s9, s82, 7
	s_and_saveexec_b32 s10, s2
	s_cbranch_execz .LBB57_65
; %bb.64:                               ;   in Loop: Header=BB57_8 Depth=1
	v_or_b32_e32 v6, s9, v20
	s_delay_alu instid0(VALU_DEP_1)
	v_lshlrev_b32_e32 v6, 2, v6
	ds_store_b128 v6, v[1:4] offset:3072
.LBB57_65:                              ;   in Loop: Header=BB57_8 Depth=1
	s_or_b32 exec_lo, exec_lo, s10
	s_waitcnt vmcnt(0) lgkmcnt(0)
	s_barrier
	buffer_gl0_inv
	s_and_saveexec_b32 s10, s61
	s_cbranch_execz .LBB57_75
; %bb.66:                               ;   in Loop: Header=BB57_8 Depth=1
	v_mov_b32_e32 v1, 0
	s_and_not1_b32 vcc_lo, exec_lo, s63
	s_cbranch_vccnz .LBB57_74
; %bb.67:                               ;   in Loop: Header=BB57_8 Depth=1
	v_mov_b32_e32 v1, 0
	s_and_not1_b32 vcc_lo, exec_lo, s65
	s_mov_b32 s11, 0
	s_cbranch_vccnz .LBB57_71
; %bb.68:                               ;   in Loop: Header=BB57_8 Depth=1
	v_lshl_add_u32 v2, s82, 9, v27
	v_mov_b32_e32 v1, 0
	.p2align	6
.LBB57_69:                              ;   Parent Loop BB57_8 Depth=1
                                        ; =>  This Inner Loop Header: Depth=2
	ds_load_2addr_b32 v[3:4], v2 offset1:4
	ds_load_2addr_b32 v[13:14], v2 offset0:8 offset1:12
	ds_load_2addr_b32 v[30:31], v2 offset0:16 offset1:20
	;; [unrolled: 1-line block ×3, first 2 shown]
	v_add_nc_u32_e32 v2, 0x80, v2
	s_add_i32 s11, s11, 8
	s_delay_alu instid0(SALU_CYCLE_1) | instskip(SKIP_3) | instid1(VALU_DEP_1)
	s_cmp_eq_u32 s66, s11
	s_waitcnt lgkmcnt(3)
	v_add3_u32 v1, v3, v1, v4
	s_waitcnt lgkmcnt(2)
	v_add3_u32 v1, v13, v1, v14
	s_waitcnt lgkmcnt(1)
	s_delay_alu instid0(VALU_DEP_1) | instskip(SKIP_1) | instid1(VALU_DEP_1)
	v_add3_u32 v1, v30, v1, v31
	s_waitcnt lgkmcnt(0)
	v_add3_u32 v1, v32, v1, v33
	s_cbranch_scc0 .LBB57_69
; %bb.70:                               ;   in Loop: Header=BB57_8 Depth=1
	s_mov_b32 s11, s66
.LBB57_71:                              ;   in Loop: Header=BB57_8 Depth=1
	s_and_not1_b32 vcc_lo, exec_lo, s67
	s_cbranch_vccnz .LBB57_74
; %bb.72:                               ;   in Loop: Header=BB57_8 Depth=1
	s_lshl_b32 s12, s82, 9
	s_lshl_b32 s11, s11, 4
	s_delay_alu instid0(SALU_CYCLE_1)
	v_add3_u32 v2, s12, s11, v27
	s_mov_b32 s11, s64
.LBB57_73:                              ;   Parent Loop BB57_8 Depth=1
                                        ; =>  This Inner Loop Header: Depth=2
	ds_load_b32 v3, v2
	v_add_nc_u32_e32 v2, 16, v2
	s_add_i32 s11, s11, -1
	s_delay_alu instid0(SALU_CYCLE_1)
	s_cmp_lg_u32 s11, 0
	s_waitcnt lgkmcnt(0)
	v_add_nc_u32_e32 v1, v3, v1
	s_cbranch_scc1 .LBB57_73
.LBB57_74:                              ;   in Loop: Header=BB57_8 Depth=1
	v_add_lshl_u32 v2, s9, v15, 2
	ds_store_b32 v2, v1 offset:3072
.LBB57_75:                              ;   in Loop: Header=BB57_8 Depth=1
	s_or_b32 exec_lo, exec_lo, s10
	s_lshl_b32 s9, s9, 2
	s_waitcnt lgkmcnt(0)
	v_mov_b32_e32 v1, s9
	s_barrier
	buffer_gl0_inv
	s_and_b32 s18, s79, 0xfe
	s_mov_b32 s14, -1
	ds_load_b128 v[1:4], v1 offset:3072
	s_lshl_b32 s11, 3, s18
	s_delay_alu instid0(SALU_CYCLE_1) | instskip(SKIP_4) | instid1(VALU_DEP_3)
	s_not_b32 s19, s11
	s_waitcnt lgkmcnt(0)
	v_readfirstlane_b32 s13, v1
	v_readfirstlane_b32 s21, v2
	;; [unrolled: 1-line block ×3, first 2 shown]
	s_cmp_eq_u32 s13, 1
	s_cselect_b32 s9, -1, 0
	s_cmp_eq_u32 s37, 1
	s_cselect_b32 s10, -1, 0
	s_delay_alu instid0(SALU_CYCLE_1)
	s_and_b32 s15, s9, s10
	v_readfirstlane_b32 s10, v4
	s_and_b32 vcc_lo, exec_lo, s15
	s_cbranch_vccz .LBB57_87
; %bb.76:                               ;   in Loop: Header=BB57_8 Depth=1
	ds_load_b32 v1, v7 offset:4096
	s_waitcnt lgkmcnt(0)
	s_barrier
	buffer_gl0_inv
	v_readfirstlane_b32 s12, v1
	s_and_saveexec_b32 s9, s1
	s_cbranch_execz .LBB57_78
; %bb.77:                               ;   in Loop: Header=BB57_8 Depth=1
	ds_store_b16 v18, v7
.LBB57_78:                              ;   in Loop: Header=BB57_8 Depth=1
	s_or_b32 exec_lo, exec_lo, s9
	s_and_b32 s84, s84, s19
	s_or_b32 s85, s85, s11
	s_cmp_lt_i32 s12, 1
	s_waitcnt lgkmcnt(0)
	s_barrier
	buffer_gl0_inv
	s_cbranch_scc0 .LBB57_88
; %bb.79:                               ;   in Loop: Header=BB57_8 Depth=1
	s_mov_b32 s9, 0
                                        ; implicit-def: $vgpr29
	s_and_saveexec_b32 s17, s8
	s_cbranch_execz .LBB57_90
; %bb.80:                               ;   in Loop: Header=BB57_8 Depth=1
	v_mov_b32_e32 v1, v5
	v_mov_b32_e32 v3, v0
	s_mov_b32 s20, 0
                                        ; implicit-def: $sgpr22
	s_branch .LBB57_82
.LBB57_81:                              ;   in Loop: Header=BB57_82 Depth=2
	s_or_b32 exec_lo, exec_lo, s9
	s_waitcnt vmcnt(0) lgkmcnt(0)
	s_barrier
	buffer_gl0_inv
	ds_load_b32 v2, v7 offset:3072
	v_add_nc_u32_e32 v3, s56, v3
	v_add_nc_u32_e32 v1, s59, v1
	s_waitcnt lgkmcnt(0)
	s_barrier
	buffer_gl0_inv
	v_cmp_le_i32_e32 vcc_lo, s71, v3
	v_cmp_neq_f16_e64 s9, 0, v2
	s_delay_alu instid0(VALU_DEP_1) | instskip(NEXT) | instid1(SALU_CYCLE_1)
	s_or_b32 s23, vcc_lo, s9
	s_and_b32 s23, exec_lo, s23
	s_delay_alu instid0(SALU_CYCLE_1) | instskip(SKIP_2) | instid1(SALU_CYCLE_1)
	s_or_b32 s20, s23, s20
	s_and_not1_b32 s22, s22, exec_lo
	s_and_b32 s9, s9, exec_lo
	s_or_b32 s22, s22, s9
	s_and_not1_b32 exec_lo, exec_lo, s20
	s_cbranch_execz .LBB57_89
.LBB57_82:                              ;   Parent Loop BB57_8 Depth=1
                                        ; =>  This Inner Loop Header: Depth=2
	s_delay_alu instid0(VALU_DEP_1)
	v_cmp_gt_i32_e32 vcc_lo, s36, v3
	v_mov_b32_e32 v2, 0
	s_and_saveexec_b32 s23, vcc_lo
	s_cbranch_execz .LBB57_84
; %bb.83:                               ;   in Loop: Header=BB57_82 Depth=2
	v_ashrrev_i32_e32 v2, 31, v1
	s_delay_alu instid0(VALU_DEP_1) | instskip(NEXT) | instid1(VALU_DEP_1)
	v_lshlrev_b64 v[13:14], 1, v[1:2]
	v_add_co_u32 v13, s9, s54, v13
	s_delay_alu instid0(VALU_DEP_1)
	v_add_co_ci_u32_e64 v14, s9, s55, v14, s9
	global_load_u16 v2, v[13:14], off
.LBB57_84:                              ;   in Loop: Header=BB57_82 Depth=2
	s_or_b32 exec_lo, exec_lo, s23
	s_and_saveexec_b32 s9, vcc_lo
	s_cbranch_execz .LBB57_81
; %bb.85:                               ;   in Loop: Header=BB57_82 Depth=2
	s_waitcnt vmcnt(0)
	v_cmp_lt_i16_e32 vcc_lo, -1, v2
	v_and_b32_e32 v4, 0xffff, v2
	v_cndmask_b32_e32 v6, 0xffff, v28, vcc_lo
	v_cmp_o_f16_e32 vcc_lo, v2, v2
	s_delay_alu instid0(VALU_DEP_2) | instskip(NEXT) | instid1(VALU_DEP_1)
	v_xor_b32_e32 v4, v6, v4
	v_cndmask_b32_e32 v4, 0xffff, v4, vcc_lo
	s_delay_alu instid0(VALU_DEP_1) | instskip(NEXT) | instid1(VALU_DEP_1)
	v_and_b32_e32 v4, s85, v4
	v_cmp_eq_u32_e32 vcc_lo, s84, v4
	s_and_b32 exec_lo, exec_lo, vcc_lo
	s_cbranch_execz .LBB57_81
; %bb.86:                               ;   in Loop: Header=BB57_82 Depth=2
	v_perm_b32 v2, v2, s75, 0x5040100
	ds_store_b32 v7, v2 offset:3072
	s_branch .LBB57_81
.LBB57_87:                              ;   in Loop: Header=BB57_8 Depth=1
	s_mov_b32 s9, -1
                                        ; implicit-def: $sgpr17
                                        ; implicit-def: $sgpr22
                                        ; implicit-def: $sgpr20
	s_branch .LBB57_101
.LBB57_88:                              ;   in Loop: Header=BB57_8 Depth=1
	s_mov_b32 s17, -1
	s_mov_b32 s9, 0
                                        ; implicit-def: $sgpr20
                                        ; implicit-def: $vgpr29
	s_mov_b32 s22, s17
	s_cbranch_execnz .LBB57_91
	s_branch .LBB57_101
.LBB57_89:                              ;   in Loop: Header=BB57_8 Depth=1
	s_or_b32 exec_lo, exec_lo, s20
	v_lshrrev_b32_e32 v29, 16, v2
	s_and_b32 s9, s22, exec_lo
.LBB57_90:                              ;   in Loop: Header=BB57_8 Depth=1
	s_or_b32 exec_lo, exec_lo, s17
	s_mov_b32 s20, -1
	s_mov_b32 s17, 0
	s_delay_alu instid0(SALU_CYCLE_1)
	s_mov_b32 s22, s17
	s_branch .LBB57_101
.LBB57_91:                              ;   in Loop: Header=BB57_8 Depth=1
	s_add_i32 s20, s12, s60
                                        ; implicit-def: $vgpr29
	s_delay_alu instid0(SALU_CYCLE_1) | instskip(NEXT) | instid1(SALU_CYCLE_1)
	s_abs_i32 s9, s20
	s_mul_hi_u32 s17, s9, s70
	s_delay_alu instid0(SALU_CYCLE_1) | instskip(NEXT) | instid1(SALU_CYCLE_1)
	s_mul_i32 s17, s17, s56
	s_sub_i32 s9, s9, s17
	s_ashr_i32 s17, s20, 31
	s_sub_i32 s22, s9, s56
	s_cmp_ge_u32 s9, s56
	s_cselect_b32 s9, s22, s9
	s_delay_alu instid0(SALU_CYCLE_1) | instskip(SKIP_2) | instid1(SALU_CYCLE_1)
	s_sub_i32 s22, s9, s56
	s_cmp_ge_u32 s9, s56
	s_cselect_b32 s9, s22, s9
	s_xor_b32 s9, s9, s17
	s_delay_alu instid0(SALU_CYCLE_1)
	s_sub_i32 s9, s17, s9
	s_mov_b32 s17, exec_lo
	s_add_i32 s20, s20, s9
	s_mov_b32 s9, 0
	v_cmpx_gt_i32_e64 s20, v0
	s_cbranch_execz .LBB57_100
; %bb.92:                               ;   in Loop: Header=BB57_8 Depth=1
	v_dual_mov_b32 v1, v17 :: v_dual_mov_b32 v2, v0
	s_mov_b32 s22, 0
                                        ; implicit-def: $sgpr23
	s_set_inst_prefetch_distance 0x1
	s_branch .LBB57_94
	.p2align	6
.LBB57_93:                              ;   in Loop: Header=BB57_94 Depth=2
	s_or_b32 exec_lo, exec_lo, s9
	s_waitcnt lgkmcnt(0)
	s_barrier
	buffer_gl0_inv
	ds_load_b32 v3, v7 offset:3072
	v_add_nc_u32_e32 v2, s56, v2
	v_add_nc_u32_e32 v1, s74, v1
	s_waitcnt lgkmcnt(0)
	s_barrier
	buffer_gl0_inv
	v_cmp_le_i32_e32 vcc_lo, s20, v2
	v_cmp_neq_f16_e64 s9, 0, v3
	s_delay_alu instid0(VALU_DEP_1) | instskip(NEXT) | instid1(SALU_CYCLE_1)
	s_or_b32 s24, vcc_lo, s9
	s_and_b32 s24, exec_lo, s24
	s_delay_alu instid0(SALU_CYCLE_1) | instskip(SKIP_2) | instid1(SALU_CYCLE_1)
	s_or_b32 s22, s24, s22
	s_and_not1_b32 s23, s23, exec_lo
	s_and_b32 s9, s9, exec_lo
	s_or_b32 s23, s23, s9
	s_and_not1_b32 exec_lo, exec_lo, s22
	s_cbranch_execz .LBB57_99
.LBB57_94:                              ;   Parent Loop BB57_8 Depth=1
                                        ; =>  This Inner Loop Header: Depth=2
	s_delay_alu instid0(VALU_DEP_1)
	v_cmp_gt_i32_e32 vcc_lo, s12, v2
	v_mov_b32_e32 v3, 0
	s_and_saveexec_b32 s9, vcc_lo
	s_cbranch_execz .LBB57_96
; %bb.95:                               ;   in Loop: Header=BB57_94 Depth=2
	ds_load_u16 v3, v1
.LBB57_96:                              ;   in Loop: Header=BB57_94 Depth=2
	s_or_b32 exec_lo, exec_lo, s9
	s_and_saveexec_b32 s9, vcc_lo
	s_cbranch_execz .LBB57_93
; %bb.97:                               ;   in Loop: Header=BB57_94 Depth=2
	s_waitcnt lgkmcnt(0)
	v_cmp_lt_i16_e32 vcc_lo, -1, v3
	v_and_b32_e32 v4, 0xffff, v3
	v_cndmask_b32_e32 v6, 0xffff, v28, vcc_lo
	v_cmp_o_f16_e32 vcc_lo, v3, v3
	s_delay_alu instid0(VALU_DEP_2) | instskip(NEXT) | instid1(VALU_DEP_1)
	v_xor_b32_e32 v4, v6, v4
	v_cndmask_b32_e32 v4, 0xffff, v4, vcc_lo
	s_delay_alu instid0(VALU_DEP_1) | instskip(NEXT) | instid1(VALU_DEP_1)
	v_and_b32_e32 v4, s85, v4
	v_cmp_eq_u32_e32 vcc_lo, s84, v4
	s_and_b32 exec_lo, exec_lo, vcc_lo
	s_cbranch_execz .LBB57_93
; %bb.98:                               ;   in Loop: Header=BB57_94 Depth=2
	v_perm_b32 v3, v3, s75, 0x5040100
	ds_store_b32 v7, v3 offset:3072
	s_branch .LBB57_93
.LBB57_99:                              ;   in Loop: Header=BB57_8 Depth=1
	s_set_inst_prefetch_distance 0x2
	s_or_b32 exec_lo, exec_lo, s22
	v_lshrrev_b32_e32 v29, 16, v3
	s_and_b32 s9, s23, exec_lo
.LBB57_100:                             ;   in Loop: Header=BB57_8 Depth=1
	s_or_b32 exec_lo, exec_lo, s17
	s_mov_b32 s22, -1
	s_mov_b32 s17, 0
	s_mov_b32 s20, 0
.LBB57_101:                             ;   in Loop: Header=BB57_8 Depth=1
	s_and_not1_b32 s12, s80, exec_lo
	s_and_b32 s17, s17, exec_lo
	s_and_b32 s20, s20, exec_lo
	s_or_b32 s80, s12, s17
	s_and_not1_b32 s12, s83, exec_lo
	s_and_b32 s17, s22, exec_lo
	s_and_not1_b32 s22, s81, exec_lo
	s_or_b32 s83, s12, s17
	s_or_b32 s81, s22, s20
	s_and_saveexec_b32 s12, s9
	s_cbranch_execz .LBB57_7
; %bb.102:                              ;   in Loop: Header=BB57_8 Depth=1
	s_xor_b32 s9, s15, -1
	s_mov_b32 s14, 0
	s_and_not1_b32 vcc_lo, exec_lo, s9
	s_mov_b32 s22, 1
	s_cbranch_vccnz .LBB57_113
; %bb.103:                              ;   in Loop: Header=BB57_8 Depth=1
	s_cmp_gt_i32 s37, s13
	s_mov_b32 s14, -1
                                        ; implicit-def: $sgpr9
                                        ; implicit-def: $sgpr15
                                        ; implicit-def: $sgpr17
	s_cbranch_scc1 .LBB57_109
; %bb.104:                              ;   in Loop: Header=BB57_8 Depth=1
	ds_load_b32 v1, v7 offset:4096
	s_waitcnt lgkmcnt(0)
	v_cmp_ne_u32_e32 vcc_lo, 0, v1
	s_cbranch_vccnz .LBB57_108
; %bb.105:                              ;   in Loop: Header=BB57_8 Depth=1
	s_and_saveexec_b32 s9, s0
	s_cbranch_execz .LBB57_107
; %bb.106:                              ;   in Loop: Header=BB57_8 Depth=1
	v_mov_b32_e32 v1, s13
	ds_store_b32 v7, v1 offset:4100
.LBB57_107:                             ;   in Loop: Header=BB57_8 Depth=1
	s_or_b32 exec_lo, exec_lo, s9
	s_waitcnt lgkmcnt(0)
	s_barrier
	buffer_gl0_inv
.LBB57_108:                             ;   in Loop: Header=BB57_8 Depth=1
	s_and_b32 s15, s84, s19
	s_or_b32 s17, s85, s11
	s_mov_b32 s14, 0
	s_mov_b32 s9, 8
.LBB57_109:                             ;   in Loop: Header=BB57_8 Depth=1
	s_and_not1_b32 vcc_lo, exec_lo, s14
	s_cbranch_vccnz .LBB57_111
; %bb.110:                              ;   in Loop: Header=BB57_8 Depth=1
	s_sub_i32 s37, s37, s13
	s_mov_b32 s14, -1
	s_mov_b32 s9, 0
	s_mov_b32 s15, s84
	;; [unrolled: 1-line block ×3, first 2 shown]
.LBB57_111:                             ;   in Loop: Header=BB57_8 Depth=1
	s_delay_alu instid0(SALU_CYCLE_1)
	s_mov_b32 s85, s17
	s_mov_b32 s84, s15
	;; [unrolled: 1-line block ×3, first 2 shown]
	s_and_b32 vcc_lo, exec_lo, s14
	s_mov_b32 s13, -1
	s_cbranch_vccnz .LBB57_114
.LBB57_112:                             ;   in Loop: Header=BB57_8 Depth=1
	s_mov_b32 s25, -1
                                        ; implicit-def: $sgpr14
                                        ; implicit-def: $sgpr17
                                        ; implicit-def: $sgpr15
	s_delay_alu instid0(SALU_CYCLE_1) | instskip(NEXT) | instid1(SALU_CYCLE_1)
	s_and_saveexec_b32 s10, s25
	s_xor_b32 s10, exec_lo, s10
	s_cbranch_execz .LBB57_6
	s_branch .LBB57_237
.LBB57_113:                             ;   in Loop: Header=BB57_8 Depth=1
	s_mov_b32 s9, 1
	s_and_b32 vcc_lo, exec_lo, s14
	s_mov_b32 s13, -1
	s_cbranch_vccz .LBB57_112
.LBB57_114:                             ;   in Loop: Header=BB57_8 Depth=1
	s_cmp_eq_u32 s21, 1
	s_mov_b32 s24, -1
	s_cselect_b32 s9, -1, 0
	s_cmp_eq_u32 s22, 1
	s_cselect_b32 s14, -1, 0
	s_delay_alu instid0(SALU_CYCLE_1) | instskip(NEXT) | instid1(SALU_CYCLE_1)
	s_and_b32 s23, s9, s14
	s_and_b32 vcc_lo, exec_lo, s23
	s_cbranch_vccz .LBB57_126
; %bb.115:                              ;   in Loop: Header=BB57_8 Depth=1
	ds_load_b32 v1, v7 offset:4096
	s_waitcnt lgkmcnt(0)
	s_barrier
	buffer_gl0_inv
	v_readfirstlane_b32 s20, v1
	s_and_saveexec_b32 s9, s1
	s_cbranch_execz .LBB57_117
; %bb.116:                              ;   in Loop: Header=BB57_8 Depth=1
	ds_store_b16 v18, v7
.LBB57_117:                             ;   in Loop: Header=BB57_8 Depth=1
	s_or_b32 exec_lo, exec_lo, s9
	s_lshl_b32 s9, 1, s18
	s_and_b32 s14, s84, s19
	s_or_b32 s85, s85, s11
	s_or_b32 s84, s14, s9
	s_cmp_gt_i32 s20, 0
	s_waitcnt lgkmcnt(0)
	s_barrier
	buffer_gl0_inv
	s_cbranch_scc1 .LBB57_127
; %bb.118:                              ;   in Loop: Header=BB57_8 Depth=1
	s_mov_b32 s24, 0
                                        ; implicit-def: $vgpr29
	s_and_saveexec_b32 s14, s8
	s_cbranch_execz .LBB57_129
; %bb.119:                              ;   in Loop: Header=BB57_8 Depth=1
	v_mov_b32_e32 v1, v5
	v_mov_b32_e32 v3, v0
	s_mov_b32 s15, 0
                                        ; implicit-def: $sgpr17
	s_branch .LBB57_121
.LBB57_120:                             ;   in Loop: Header=BB57_121 Depth=2
	s_or_b32 exec_lo, exec_lo, s9
	s_waitcnt vmcnt(0) lgkmcnt(0)
	s_barrier
	buffer_gl0_inv
	ds_load_b32 v2, v7 offset:3072
	v_add_nc_u32_e32 v3, s56, v3
	v_add_nc_u32_e32 v1, s59, v1
	s_waitcnt lgkmcnt(0)
	s_barrier
	buffer_gl0_inv
	v_cmp_le_i32_e32 vcc_lo, s71, v3
	v_cmp_neq_f16_e64 s9, 0, v2
	s_delay_alu instid0(VALU_DEP_1) | instskip(NEXT) | instid1(SALU_CYCLE_1)
	s_or_b32 s24, vcc_lo, s9
	s_and_b32 s24, exec_lo, s24
	s_delay_alu instid0(SALU_CYCLE_1) | instskip(SKIP_2) | instid1(SALU_CYCLE_1)
	s_or_b32 s15, s24, s15
	s_and_not1_b32 s17, s17, exec_lo
	s_and_b32 s9, s9, exec_lo
	s_or_b32 s17, s17, s9
	s_and_not1_b32 exec_lo, exec_lo, s15
	s_cbranch_execz .LBB57_128
.LBB57_121:                             ;   Parent Loop BB57_8 Depth=1
                                        ; =>  This Inner Loop Header: Depth=2
	s_delay_alu instid0(VALU_DEP_1)
	v_cmp_gt_i32_e32 vcc_lo, s36, v3
	v_mov_b32_e32 v2, 0
	s_and_saveexec_b32 s24, vcc_lo
	s_cbranch_execz .LBB57_123
; %bb.122:                              ;   in Loop: Header=BB57_121 Depth=2
	v_ashrrev_i32_e32 v2, 31, v1
	s_delay_alu instid0(VALU_DEP_1) | instskip(NEXT) | instid1(VALU_DEP_1)
	v_lshlrev_b64 v[13:14], 1, v[1:2]
	v_add_co_u32 v13, s9, s54, v13
	s_delay_alu instid0(VALU_DEP_1)
	v_add_co_ci_u32_e64 v14, s9, s55, v14, s9
	global_load_u16 v2, v[13:14], off
.LBB57_123:                             ;   in Loop: Header=BB57_121 Depth=2
	s_or_b32 exec_lo, exec_lo, s24
	s_and_saveexec_b32 s9, vcc_lo
	s_cbranch_execz .LBB57_120
; %bb.124:                              ;   in Loop: Header=BB57_121 Depth=2
	s_waitcnt vmcnt(0)
	v_cmp_lt_i16_e32 vcc_lo, -1, v2
	v_and_b32_e32 v4, 0xffff, v2
	v_cndmask_b32_e32 v6, 0xffff, v28, vcc_lo
	v_cmp_o_f16_e32 vcc_lo, v2, v2
	s_delay_alu instid0(VALU_DEP_2) | instskip(NEXT) | instid1(VALU_DEP_1)
	v_xor_b32_e32 v4, v6, v4
	v_cndmask_b32_e32 v4, 0xffff, v4, vcc_lo
	s_delay_alu instid0(VALU_DEP_1) | instskip(NEXT) | instid1(VALU_DEP_1)
	v_and_b32_e32 v4, s85, v4
	v_cmp_eq_u32_e32 vcc_lo, s84, v4
	s_and_b32 exec_lo, exec_lo, vcc_lo
	s_cbranch_execz .LBB57_120
; %bb.125:                              ;   in Loop: Header=BB57_121 Depth=2
	v_perm_b32 v2, v2, s75, 0x5040100
	ds_store_b32 v7, v2 offset:3072
	s_branch .LBB57_120
.LBB57_126:                             ;   in Loop: Header=BB57_8 Depth=1
                                        ; implicit-def: $sgpr15
                                        ; implicit-def: $sgpr17
                                        ; implicit-def: $sgpr14
	s_branch .LBB57_140
.LBB57_127:                             ;   in Loop: Header=BB57_8 Depth=1
	s_mov_b32 s15, -1
	s_mov_b32 s24, 0
                                        ; implicit-def: $sgpr14
                                        ; implicit-def: $vgpr29
	s_mov_b32 s17, s15
	s_cbranch_execnz .LBB57_130
	s_branch .LBB57_140
.LBB57_128:                             ;   in Loop: Header=BB57_8 Depth=1
	s_or_b32 exec_lo, exec_lo, s15
	v_lshrrev_b32_e32 v29, 16, v2
	s_and_b32 s24, s17, exec_lo
.LBB57_129:                             ;   in Loop: Header=BB57_8 Depth=1
	s_or_b32 exec_lo, exec_lo, s14
	s_mov_b32 s14, -1
	s_mov_b32 s15, 0
	s_delay_alu instid0(SALU_CYCLE_1)
	s_mov_b32 s17, s15
	s_branch .LBB57_140
.LBB57_130:                             ;   in Loop: Header=BB57_8 Depth=1
	s_add_i32 s15, s20, s60
	s_mov_b32 s24, 0
	s_abs_i32 s9, s15
                                        ; implicit-def: $vgpr29
	s_delay_alu instid0(SALU_CYCLE_1) | instskip(NEXT) | instid1(SALU_CYCLE_1)
	s_mul_hi_u32 s14, s9, s70
	s_mul_i32 s14, s14, s56
	s_delay_alu instid0(SALU_CYCLE_1) | instskip(SKIP_4) | instid1(SALU_CYCLE_1)
	s_sub_i32 s9, s9, s14
	s_ashr_i32 s14, s15, 31
	s_sub_i32 s17, s9, s56
	s_cmp_ge_u32 s9, s56
	s_cselect_b32 s9, s17, s9
	s_sub_i32 s17, s9, s56
	s_cmp_ge_u32 s9, s56
	s_cselect_b32 s9, s17, s9
	s_delay_alu instid0(SALU_CYCLE_1) | instskip(NEXT) | instid1(SALU_CYCLE_1)
	s_xor_b32 s9, s9, s14
	s_sub_i32 s9, s14, s9
	s_mov_b32 s14, exec_lo
	s_add_i32 s15, s15, s9
	s_delay_alu instid0(SALU_CYCLE_1)
	v_cmpx_gt_i32_e64 s15, v0
	s_cbranch_execz .LBB57_139
; %bb.131:                              ;   in Loop: Header=BB57_8 Depth=1
	v_dual_mov_b32 v1, v17 :: v_dual_mov_b32 v2, v0
	s_mov_b32 s17, 0
                                        ; implicit-def: $sgpr24
	s_set_inst_prefetch_distance 0x1
	s_branch .LBB57_133
	.p2align	6
.LBB57_132:                             ;   in Loop: Header=BB57_133 Depth=2
	s_or_b32 exec_lo, exec_lo, s9
	s_waitcnt lgkmcnt(0)
	s_barrier
	buffer_gl0_inv
	ds_load_b32 v3, v7 offset:3072
	v_add_nc_u32_e32 v2, s56, v2
	v_add_nc_u32_e32 v1, s74, v1
	s_waitcnt lgkmcnt(0)
	s_barrier
	buffer_gl0_inv
	v_cmp_le_i32_e32 vcc_lo, s15, v2
	v_cmp_neq_f16_e64 s9, 0, v3
	s_delay_alu instid0(VALU_DEP_1) | instskip(NEXT) | instid1(SALU_CYCLE_1)
	s_or_b32 s25, vcc_lo, s9
	s_and_b32 s25, exec_lo, s25
	s_delay_alu instid0(SALU_CYCLE_1) | instskip(SKIP_2) | instid1(SALU_CYCLE_1)
	s_or_b32 s17, s25, s17
	s_and_not1_b32 s24, s24, exec_lo
	s_and_b32 s9, s9, exec_lo
	s_or_b32 s24, s24, s9
	s_and_not1_b32 exec_lo, exec_lo, s17
	s_cbranch_execz .LBB57_138
.LBB57_133:                             ;   Parent Loop BB57_8 Depth=1
                                        ; =>  This Inner Loop Header: Depth=2
	s_delay_alu instid0(VALU_DEP_1)
	v_cmp_gt_i32_e32 vcc_lo, s20, v2
	v_mov_b32_e32 v3, 0
	s_and_saveexec_b32 s9, vcc_lo
	s_cbranch_execz .LBB57_135
; %bb.134:                              ;   in Loop: Header=BB57_133 Depth=2
	ds_load_u16 v3, v1
.LBB57_135:                             ;   in Loop: Header=BB57_133 Depth=2
	s_or_b32 exec_lo, exec_lo, s9
	s_and_saveexec_b32 s9, vcc_lo
	s_cbranch_execz .LBB57_132
; %bb.136:                              ;   in Loop: Header=BB57_133 Depth=2
	s_waitcnt lgkmcnt(0)
	v_cmp_lt_i16_e32 vcc_lo, -1, v3
	v_and_b32_e32 v4, 0xffff, v3
	v_cndmask_b32_e32 v6, 0xffff, v28, vcc_lo
	v_cmp_o_f16_e32 vcc_lo, v3, v3
	s_delay_alu instid0(VALU_DEP_2) | instskip(NEXT) | instid1(VALU_DEP_1)
	v_xor_b32_e32 v4, v6, v4
	v_cndmask_b32_e32 v4, 0xffff, v4, vcc_lo
	s_delay_alu instid0(VALU_DEP_1) | instskip(NEXT) | instid1(VALU_DEP_1)
	v_and_b32_e32 v4, s85, v4
	v_cmp_eq_u32_e32 vcc_lo, s84, v4
	s_and_b32 exec_lo, exec_lo, vcc_lo
	s_cbranch_execz .LBB57_132
; %bb.137:                              ;   in Loop: Header=BB57_133 Depth=2
	v_perm_b32 v3, v3, s75, 0x5040100
	ds_store_b32 v7, v3 offset:3072
	s_branch .LBB57_132
.LBB57_138:                             ;   in Loop: Header=BB57_8 Depth=1
	s_set_inst_prefetch_distance 0x2
	s_or_b32 exec_lo, exec_lo, s17
	v_lshrrev_b32_e32 v29, 16, v3
	s_and_b32 s24, s24, exec_lo
.LBB57_139:                             ;   in Loop: Header=BB57_8 Depth=1
	s_or_b32 exec_lo, exec_lo, s14
	s_mov_b32 s17, -1
	s_mov_b32 s15, 0
	s_mov_b32 s14, 0
.LBB57_140:                             ;   in Loop: Header=BB57_8 Depth=1
	s_mov_b32 s25, 0
                                        ; implicit-def: $sgpr9
	s_and_saveexec_b32 s20, s24
	s_cbranch_execz .LBB57_236
; %bb.141:                              ;   in Loop: Header=BB57_8 Depth=1
	s_xor_b32 s9, s23, -1
	s_mov_b32 s23, 0
	s_and_not1_b32 vcc_lo, exec_lo, s9
	s_mov_b32 s26, 1
	s_cbranch_vccnz .LBB57_152
; %bb.142:                              ;   in Loop: Header=BB57_8 Depth=1
	s_cmp_gt_i32 s22, s21
	s_mov_b32 s23, -1
                                        ; implicit-def: $sgpr9
                                        ; implicit-def: $sgpr24
                                        ; implicit-def: $sgpr25
	s_cbranch_scc1 .LBB57_148
; %bb.143:                              ;   in Loop: Header=BB57_8 Depth=1
	ds_load_b32 v1, v7 offset:4096
	s_waitcnt lgkmcnt(0)
	v_cmp_ne_u32_e32 vcc_lo, 0, v1
	s_cbranch_vccnz .LBB57_147
; %bb.144:                              ;   in Loop: Header=BB57_8 Depth=1
	s_and_saveexec_b32 s9, s0
	s_cbranch_execz .LBB57_146
; %bb.145:                              ;   in Loop: Header=BB57_8 Depth=1
	v_mov_b32_e32 v1, s21
	ds_store_b32 v7, v1 offset:4100
.LBB57_146:                             ;   in Loop: Header=BB57_8 Depth=1
	s_or_b32 exec_lo, exec_lo, s9
	s_waitcnt lgkmcnt(0)
	s_barrier
	buffer_gl0_inv
.LBB57_147:                             ;   in Loop: Header=BB57_8 Depth=1
	s_lshl_b32 s9, 1, s18
	s_and_b32 s23, s84, s19
	s_or_b32 s25, s85, s11
	s_or_b32 s24, s23, s9
	s_mov_b32 s23, 0
	s_mov_b32 s9, 8
.LBB57_148:                             ;   in Loop: Header=BB57_8 Depth=1
	s_and_not1_b32 vcc_lo, exec_lo, s23
	s_cbranch_vccnz .LBB57_150
; %bb.149:                              ;   in Loop: Header=BB57_8 Depth=1
	s_sub_i32 s22, s22, s21
	s_mov_b32 s23, -1
	s_mov_b32 s9, 0
	s_mov_b32 s24, s84
	;; [unrolled: 1-line block ×3, first 2 shown]
.LBB57_150:                             ;   in Loop: Header=BB57_8 Depth=1
	s_delay_alu instid0(SALU_CYCLE_1)
	s_mov_b32 s85, s25
	s_mov_b32 s84, s24
	;; [unrolled: 1-line block ×3, first 2 shown]
	s_and_not1_b32 vcc_lo, exec_lo, s23
	s_mov_b32 s28, -1
	s_cbranch_vccz .LBB57_153
.LBB57_151:                             ;   in Loop: Header=BB57_8 Depth=1
                                        ; implicit-def: $sgpr22
                                        ; implicit-def: $sgpr23
                                        ; implicit-def: $sgpr21
	s_branch .LBB57_235
.LBB57_152:                             ;   in Loop: Header=BB57_8 Depth=1
	s_mov_b32 s9, 1
	s_and_not1_b32 vcc_lo, exec_lo, s23
	s_mov_b32 s28, -1
	s_cbranch_vccnz .LBB57_151
.LBB57_153:                             ;   in Loop: Header=BB57_8 Depth=1
	s_cmp_eq_u32 s16, 1
	s_mov_b32 s27, -1
	s_cselect_b32 s9, -1, 0
	s_cmp_eq_u32 s26, 1
	s_cselect_b32 s21, -1, 0
	s_delay_alu instid0(SALU_CYCLE_1) | instskip(NEXT) | instid1(SALU_CYCLE_1)
	s_and_b32 s25, s9, s21
	s_and_b32 vcc_lo, exec_lo, s25
	s_cbranch_vccz .LBB57_165
; %bb.154:                              ;   in Loop: Header=BB57_8 Depth=1
	ds_load_b32 v1, v7 offset:4096
	s_waitcnt lgkmcnt(0)
	s_barrier
	buffer_gl0_inv
	v_readfirstlane_b32 s24, v1
	s_and_saveexec_b32 s9, s1
	s_cbranch_execz .LBB57_156
; %bb.155:                              ;   in Loop: Header=BB57_8 Depth=1
	ds_store_b16 v18, v7
.LBB57_156:                             ;   in Loop: Header=BB57_8 Depth=1
	s_or_b32 exec_lo, exec_lo, s9
	s_lshl_b32 s9, 2, s18
	s_and_b32 s21, s84, s19
	s_or_b32 s85, s85, s11
	s_or_b32 s84, s21, s9
	s_cmp_gt_i32 s24, 0
	s_waitcnt lgkmcnt(0)
	s_barrier
	buffer_gl0_inv
	s_cbranch_scc1 .LBB57_166
; %bb.157:                              ;   in Loop: Header=BB57_8 Depth=1
	s_mov_b32 s27, 0
                                        ; implicit-def: $vgpr29
	s_and_saveexec_b32 s21, s8
	s_cbranch_execz .LBB57_168
; %bb.158:                              ;   in Loop: Header=BB57_8 Depth=1
	v_mov_b32_e32 v1, v5
	v_mov_b32_e32 v3, v0
	s_mov_b32 s22, 0
                                        ; implicit-def: $sgpr23
	s_branch .LBB57_160
.LBB57_159:                             ;   in Loop: Header=BB57_160 Depth=2
	s_or_b32 exec_lo, exec_lo, s9
	s_waitcnt vmcnt(0) lgkmcnt(0)
	s_barrier
	buffer_gl0_inv
	ds_load_b32 v2, v7 offset:3072
	v_add_nc_u32_e32 v3, s56, v3
	v_add_nc_u32_e32 v1, s59, v1
	s_waitcnt lgkmcnt(0)
	s_barrier
	buffer_gl0_inv
	v_cmp_le_i32_e32 vcc_lo, s71, v3
	v_cmp_neq_f16_e64 s9, 0, v2
	s_delay_alu instid0(VALU_DEP_1) | instskip(NEXT) | instid1(SALU_CYCLE_1)
	s_or_b32 s27, vcc_lo, s9
	s_and_b32 s27, exec_lo, s27
	s_delay_alu instid0(SALU_CYCLE_1) | instskip(SKIP_2) | instid1(SALU_CYCLE_1)
	s_or_b32 s22, s27, s22
	s_and_not1_b32 s23, s23, exec_lo
	s_and_b32 s9, s9, exec_lo
	s_or_b32 s23, s23, s9
	s_and_not1_b32 exec_lo, exec_lo, s22
	s_cbranch_execz .LBB57_167
.LBB57_160:                             ;   Parent Loop BB57_8 Depth=1
                                        ; =>  This Inner Loop Header: Depth=2
	s_delay_alu instid0(VALU_DEP_1)
	v_cmp_gt_i32_e32 vcc_lo, s36, v3
	v_mov_b32_e32 v2, 0
	s_and_saveexec_b32 s27, vcc_lo
	s_cbranch_execz .LBB57_162
; %bb.161:                              ;   in Loop: Header=BB57_160 Depth=2
	v_ashrrev_i32_e32 v2, 31, v1
	s_delay_alu instid0(VALU_DEP_1) | instskip(NEXT) | instid1(VALU_DEP_1)
	v_lshlrev_b64 v[13:14], 1, v[1:2]
	v_add_co_u32 v13, s9, s54, v13
	s_delay_alu instid0(VALU_DEP_1)
	v_add_co_ci_u32_e64 v14, s9, s55, v14, s9
	global_load_u16 v2, v[13:14], off
.LBB57_162:                             ;   in Loop: Header=BB57_160 Depth=2
	s_or_b32 exec_lo, exec_lo, s27
	s_and_saveexec_b32 s9, vcc_lo
	s_cbranch_execz .LBB57_159
; %bb.163:                              ;   in Loop: Header=BB57_160 Depth=2
	s_waitcnt vmcnt(0)
	v_cmp_lt_i16_e32 vcc_lo, -1, v2
	v_and_b32_e32 v4, 0xffff, v2
	v_cndmask_b32_e32 v6, 0xffff, v28, vcc_lo
	v_cmp_o_f16_e32 vcc_lo, v2, v2
	s_delay_alu instid0(VALU_DEP_2) | instskip(NEXT) | instid1(VALU_DEP_1)
	v_xor_b32_e32 v4, v6, v4
	v_cndmask_b32_e32 v4, 0xffff, v4, vcc_lo
	s_delay_alu instid0(VALU_DEP_1) | instskip(NEXT) | instid1(VALU_DEP_1)
	v_and_b32_e32 v4, s85, v4
	v_cmp_eq_u32_e32 vcc_lo, s84, v4
	s_and_b32 exec_lo, exec_lo, vcc_lo
	s_cbranch_execz .LBB57_159
; %bb.164:                              ;   in Loop: Header=BB57_160 Depth=2
	v_perm_b32 v2, v2, s75, 0x5040100
	ds_store_b32 v7, v2 offset:3072
	s_branch .LBB57_159
.LBB57_165:                             ;   in Loop: Header=BB57_8 Depth=1
                                        ; implicit-def: $sgpr21
                                        ; implicit-def: $sgpr23
                                        ; implicit-def: $sgpr22
	s_branch .LBB57_179
.LBB57_166:                             ;   in Loop: Header=BB57_8 Depth=1
	s_mov_b32 s21, -1
	s_mov_b32 s27, 0
                                        ; implicit-def: $sgpr22
                                        ; implicit-def: $vgpr29
	s_mov_b32 s23, s21
	s_cbranch_execnz .LBB57_169
	s_branch .LBB57_179
.LBB57_167:                             ;   in Loop: Header=BB57_8 Depth=1
	s_or_b32 exec_lo, exec_lo, s22
	v_lshrrev_b32_e32 v29, 16, v2
	s_and_b32 s27, s23, exec_lo
.LBB57_168:                             ;   in Loop: Header=BB57_8 Depth=1
	s_or_b32 exec_lo, exec_lo, s21
	s_mov_b32 s22, -1
	s_mov_b32 s21, 0
	s_delay_alu instid0(SALU_CYCLE_1)
	s_mov_b32 s23, s21
	s_branch .LBB57_179
.LBB57_169:                             ;   in Loop: Header=BB57_8 Depth=1
	s_add_i32 s22, s24, s60
	s_mov_b32 s27, 0
	s_abs_i32 s9, s22
                                        ; implicit-def: $vgpr29
	s_delay_alu instid0(SALU_CYCLE_1) | instskip(NEXT) | instid1(SALU_CYCLE_1)
	s_mul_hi_u32 s21, s9, s70
	s_mul_i32 s21, s21, s56
	s_delay_alu instid0(SALU_CYCLE_1) | instskip(SKIP_4) | instid1(SALU_CYCLE_1)
	s_sub_i32 s9, s9, s21
	s_ashr_i32 s21, s22, 31
	s_sub_i32 s23, s9, s56
	s_cmp_ge_u32 s9, s56
	s_cselect_b32 s9, s23, s9
	s_sub_i32 s23, s9, s56
	s_cmp_ge_u32 s9, s56
	s_cselect_b32 s9, s23, s9
	s_delay_alu instid0(SALU_CYCLE_1) | instskip(NEXT) | instid1(SALU_CYCLE_1)
	s_xor_b32 s9, s9, s21
	s_sub_i32 s9, s21, s9
	s_mov_b32 s21, exec_lo
	s_add_i32 s22, s22, s9
	s_delay_alu instid0(SALU_CYCLE_1)
	v_cmpx_gt_i32_e64 s22, v0
	s_cbranch_execz .LBB57_178
; %bb.170:                              ;   in Loop: Header=BB57_8 Depth=1
	v_dual_mov_b32 v1, v17 :: v_dual_mov_b32 v2, v0
	s_mov_b32 s23, 0
                                        ; implicit-def: $sgpr27
	s_set_inst_prefetch_distance 0x1
	s_branch .LBB57_172
	.p2align	6
.LBB57_171:                             ;   in Loop: Header=BB57_172 Depth=2
	s_or_b32 exec_lo, exec_lo, s9
	s_waitcnt lgkmcnt(0)
	s_barrier
	buffer_gl0_inv
	ds_load_b32 v3, v7 offset:3072
	v_add_nc_u32_e32 v2, s56, v2
	v_add_nc_u32_e32 v1, s74, v1
	s_waitcnt lgkmcnt(0)
	s_barrier
	buffer_gl0_inv
	v_cmp_le_i32_e32 vcc_lo, s22, v2
	v_cmp_neq_f16_e64 s9, 0, v3
	s_delay_alu instid0(VALU_DEP_1) | instskip(NEXT) | instid1(SALU_CYCLE_1)
	s_or_b32 s28, vcc_lo, s9
	s_and_b32 s28, exec_lo, s28
	s_delay_alu instid0(SALU_CYCLE_1) | instskip(SKIP_2) | instid1(SALU_CYCLE_1)
	s_or_b32 s23, s28, s23
	s_and_not1_b32 s27, s27, exec_lo
	s_and_b32 s9, s9, exec_lo
	s_or_b32 s27, s27, s9
	s_and_not1_b32 exec_lo, exec_lo, s23
	s_cbranch_execz .LBB57_177
.LBB57_172:                             ;   Parent Loop BB57_8 Depth=1
                                        ; =>  This Inner Loop Header: Depth=2
	s_delay_alu instid0(VALU_DEP_1)
	v_cmp_gt_i32_e32 vcc_lo, s24, v2
	v_mov_b32_e32 v3, 0
	s_and_saveexec_b32 s9, vcc_lo
	s_cbranch_execz .LBB57_174
; %bb.173:                              ;   in Loop: Header=BB57_172 Depth=2
	ds_load_u16 v3, v1
.LBB57_174:                             ;   in Loop: Header=BB57_172 Depth=2
	s_or_b32 exec_lo, exec_lo, s9
	s_and_saveexec_b32 s9, vcc_lo
	s_cbranch_execz .LBB57_171
; %bb.175:                              ;   in Loop: Header=BB57_172 Depth=2
	s_waitcnt lgkmcnt(0)
	v_cmp_lt_i16_e32 vcc_lo, -1, v3
	v_and_b32_e32 v4, 0xffff, v3
	v_cndmask_b32_e32 v6, 0xffff, v28, vcc_lo
	v_cmp_o_f16_e32 vcc_lo, v3, v3
	s_delay_alu instid0(VALU_DEP_2) | instskip(NEXT) | instid1(VALU_DEP_1)
	v_xor_b32_e32 v4, v6, v4
	v_cndmask_b32_e32 v4, 0xffff, v4, vcc_lo
	s_delay_alu instid0(VALU_DEP_1) | instskip(NEXT) | instid1(VALU_DEP_1)
	v_and_b32_e32 v4, s85, v4
	v_cmp_eq_u32_e32 vcc_lo, s84, v4
	s_and_b32 exec_lo, exec_lo, vcc_lo
	s_cbranch_execz .LBB57_171
; %bb.176:                              ;   in Loop: Header=BB57_172 Depth=2
	v_perm_b32 v3, v3, s75, 0x5040100
	ds_store_b32 v7, v3 offset:3072
	s_branch .LBB57_171
.LBB57_177:                             ;   in Loop: Header=BB57_8 Depth=1
	s_set_inst_prefetch_distance 0x2
	s_or_b32 exec_lo, exec_lo, s23
	v_lshrrev_b32_e32 v29, 16, v3
	s_and_b32 s27, s27, exec_lo
.LBB57_178:                             ;   in Loop: Header=BB57_8 Depth=1
	s_or_b32 exec_lo, exec_lo, s21
	s_mov_b32 s23, -1
	s_mov_b32 s21, 0
	s_mov_b32 s22, 0
.LBB57_179:                             ;   in Loop: Header=BB57_8 Depth=1
	s_mov_b32 s28, 0
                                        ; implicit-def: $sgpr9
	s_and_saveexec_b32 s24, s27
	s_cbranch_execz .LBB57_234
; %bb.180:                              ;   in Loop: Header=BB57_8 Depth=1
	s_xor_b32 s9, s25, -1
	s_mov_b32 s27, 0
	s_and_not1_b32 vcc_lo, exec_lo, s9
	s_mov_b32 s25, 1
	s_cbranch_vccnz .LBB57_191
; %bb.181:                              ;   in Loop: Header=BB57_8 Depth=1
	s_cmp_gt_i32 s26, s16
	s_mov_b32 s27, -1
                                        ; implicit-def: $sgpr9
                                        ; implicit-def: $sgpr25
                                        ; implicit-def: $sgpr28
	s_cbranch_scc1 .LBB57_187
; %bb.182:                              ;   in Loop: Header=BB57_8 Depth=1
	ds_load_b32 v1, v7 offset:4096
	s_waitcnt lgkmcnt(0)
	v_cmp_ne_u32_e32 vcc_lo, 0, v1
	s_cbranch_vccnz .LBB57_186
; %bb.183:                              ;   in Loop: Header=BB57_8 Depth=1
	s_and_saveexec_b32 s9, s0
	s_cbranch_execz .LBB57_185
; %bb.184:                              ;   in Loop: Header=BB57_8 Depth=1
	v_mov_b32_e32 v1, s16
	ds_store_b32 v7, v1 offset:4100
.LBB57_185:                             ;   in Loop: Header=BB57_8 Depth=1
	s_or_b32 exec_lo, exec_lo, s9
	s_waitcnt lgkmcnt(0)
	s_barrier
	buffer_gl0_inv
.LBB57_186:                             ;   in Loop: Header=BB57_8 Depth=1
	s_lshl_b32 s9, 2, s18
	s_and_b32 s18, s84, s19
	s_or_b32 s28, s85, s11
	s_or_b32 s25, s18, s9
	s_mov_b32 s27, 0
	s_mov_b32 s9, 8
.LBB57_187:                             ;   in Loop: Header=BB57_8 Depth=1
	s_and_not1_b32 vcc_lo, exec_lo, s27
	s_cbranch_vccnz .LBB57_189
; %bb.188:                              ;   in Loop: Header=BB57_8 Depth=1
	s_sub_i32 s26, s26, s16
	s_mov_b32 s27, -1
	s_mov_b32 s9, 0
	s_mov_b32 s25, s84
	;; [unrolled: 1-line block ×3, first 2 shown]
.LBB57_189:                             ;   in Loop: Header=BB57_8 Depth=1
	s_delay_alu instid0(SALU_CYCLE_1)
	s_mov_b32 s85, s28
	s_mov_b32 s84, s25
	s_mov_b32 s25, s26
	s_and_not1_b32 vcc_lo, exec_lo, s27
	s_mov_b32 s37, -1
	s_cbranch_vccz .LBB57_192
.LBB57_190:                             ;   in Loop: Header=BB57_8 Depth=1
                                        ; implicit-def: $sgpr19
                                        ; implicit-def: $sgpr27
                                        ; implicit-def: $sgpr26
	s_branch .LBB57_233
.LBB57_191:                             ;   in Loop: Header=BB57_8 Depth=1
	s_mov_b32 s9, 1
	s_and_not1_b32 vcc_lo, exec_lo, s27
	s_mov_b32 s37, -1
	s_cbranch_vccnz .LBB57_190
.LBB57_192:                             ;   in Loop: Header=BB57_8 Depth=1
	s_cmp_eq_u32 s10, 1
	s_mov_b32 s28, -1
	s_cselect_b32 s9, -1, 0
	s_cmp_eq_u32 s25, 1
	s_cselect_b32 s16, -1, 0
	s_delay_alu instid0(SALU_CYCLE_1) | instskip(NEXT) | instid1(SALU_CYCLE_1)
	s_and_b32 s16, s9, s16
	s_and_b32 vcc_lo, exec_lo, s16
	s_cbranch_vccz .LBB57_204
; %bb.193:                              ;   in Loop: Header=BB57_8 Depth=1
	ds_load_b32 v1, v7 offset:4096
	s_waitcnt lgkmcnt(0)
	s_barrier
	buffer_gl0_inv
	v_readfirstlane_b32 s18, v1
	s_and_saveexec_b32 s9, s1
	s_cbranch_execz .LBB57_195
; %bb.194:                              ;   in Loop: Header=BB57_8 Depth=1
	ds_store_b16 v18, v7
.LBB57_195:                             ;   in Loop: Header=BB57_8 Depth=1
	s_or_b32 exec_lo, exec_lo, s9
	s_or_b32 s84, s84, s11
	s_or_b32 s85, s85, s11
	s_cmp_gt_i32 s18, 0
	s_waitcnt lgkmcnt(0)
	s_barrier
	buffer_gl0_inv
	s_cbranch_scc1 .LBB57_205
; %bb.196:                              ;   in Loop: Header=BB57_8 Depth=1
	s_mov_b32 s28, 0
                                        ; implicit-def: $vgpr29
	s_and_saveexec_b32 s19, s8
	s_cbranch_execz .LBB57_207
; %bb.197:                              ;   in Loop: Header=BB57_8 Depth=1
	v_mov_b32_e32 v1, v5
	v_mov_b32_e32 v3, v0
	s_mov_b32 s26, 0
                                        ; implicit-def: $sgpr27
	s_branch .LBB57_199
.LBB57_198:                             ;   in Loop: Header=BB57_199 Depth=2
	s_or_b32 exec_lo, exec_lo, s9
	s_waitcnt vmcnt(0) lgkmcnt(0)
	s_barrier
	buffer_gl0_inv
	ds_load_b32 v2, v7 offset:3072
	v_add_nc_u32_e32 v3, s56, v3
	v_add_nc_u32_e32 v1, s59, v1
	s_waitcnt lgkmcnt(0)
	s_barrier
	buffer_gl0_inv
	v_cmp_le_i32_e32 vcc_lo, s71, v3
	v_cmp_neq_f16_e64 s9, 0, v2
	s_delay_alu instid0(VALU_DEP_1) | instskip(NEXT) | instid1(SALU_CYCLE_1)
	s_or_b32 s28, vcc_lo, s9
	s_and_b32 s28, exec_lo, s28
	s_delay_alu instid0(SALU_CYCLE_1) | instskip(SKIP_2) | instid1(SALU_CYCLE_1)
	s_or_b32 s26, s28, s26
	s_and_not1_b32 s27, s27, exec_lo
	s_and_b32 s9, s9, exec_lo
	s_or_b32 s27, s27, s9
	s_and_not1_b32 exec_lo, exec_lo, s26
	s_cbranch_execz .LBB57_206
.LBB57_199:                             ;   Parent Loop BB57_8 Depth=1
                                        ; =>  This Inner Loop Header: Depth=2
	s_delay_alu instid0(VALU_DEP_1)
	v_cmp_gt_i32_e32 vcc_lo, s36, v3
	v_mov_b32_e32 v2, 0
	s_and_saveexec_b32 s28, vcc_lo
	s_cbranch_execz .LBB57_201
; %bb.200:                              ;   in Loop: Header=BB57_199 Depth=2
	v_ashrrev_i32_e32 v2, 31, v1
	s_delay_alu instid0(VALU_DEP_1) | instskip(NEXT) | instid1(VALU_DEP_1)
	v_lshlrev_b64 v[13:14], 1, v[1:2]
	v_add_co_u32 v13, s9, s54, v13
	s_delay_alu instid0(VALU_DEP_1)
	v_add_co_ci_u32_e64 v14, s9, s55, v14, s9
	global_load_u16 v2, v[13:14], off
.LBB57_201:                             ;   in Loop: Header=BB57_199 Depth=2
	s_or_b32 exec_lo, exec_lo, s28
	s_and_saveexec_b32 s9, vcc_lo
	s_cbranch_execz .LBB57_198
; %bb.202:                              ;   in Loop: Header=BB57_199 Depth=2
	s_waitcnt vmcnt(0)
	v_cmp_lt_i16_e32 vcc_lo, -1, v2
	v_and_b32_e32 v4, 0xffff, v2
	v_cndmask_b32_e32 v6, 0xffff, v28, vcc_lo
	v_cmp_o_f16_e32 vcc_lo, v2, v2
	s_delay_alu instid0(VALU_DEP_2) | instskip(NEXT) | instid1(VALU_DEP_1)
	v_xor_b32_e32 v4, v6, v4
	v_cndmask_b32_e32 v4, 0xffff, v4, vcc_lo
	s_delay_alu instid0(VALU_DEP_1) | instskip(NEXT) | instid1(VALU_DEP_1)
	v_and_b32_e32 v4, s85, v4
	v_cmp_eq_u32_e32 vcc_lo, s84, v4
	s_and_b32 exec_lo, exec_lo, vcc_lo
	s_cbranch_execz .LBB57_198
; %bb.203:                              ;   in Loop: Header=BB57_199 Depth=2
	v_perm_b32 v2, v2, s75, 0x5040100
	ds_store_b32 v7, v2 offset:3072
	s_branch .LBB57_198
.LBB57_204:                             ;   in Loop: Header=BB57_8 Depth=1
                                        ; implicit-def: $sgpr19
                                        ; implicit-def: $sgpr27
                                        ; implicit-def: $sgpr26
	s_branch .LBB57_218
.LBB57_205:                             ;   in Loop: Header=BB57_8 Depth=1
	s_mov_b32 s19, -1
	s_mov_b32 s28, 0
                                        ; implicit-def: $sgpr26
                                        ; implicit-def: $vgpr29
	s_mov_b32 s27, s19
	s_cbranch_execnz .LBB57_208
	s_branch .LBB57_218
.LBB57_206:                             ;   in Loop: Header=BB57_8 Depth=1
	s_or_b32 exec_lo, exec_lo, s26
	v_lshrrev_b32_e32 v29, 16, v2
	s_and_b32 s28, s27, exec_lo
.LBB57_207:                             ;   in Loop: Header=BB57_8 Depth=1
	s_or_b32 exec_lo, exec_lo, s19
	s_mov_b32 s26, -1
	s_mov_b32 s19, 0
	s_delay_alu instid0(SALU_CYCLE_1)
	s_mov_b32 s27, s19
	s_branch .LBB57_218
.LBB57_208:                             ;   in Loop: Header=BB57_8 Depth=1
	s_add_i32 s26, s18, s60
	s_mov_b32 s28, 0
	s_abs_i32 s9, s26
                                        ; implicit-def: $vgpr29
	s_delay_alu instid0(SALU_CYCLE_1) | instskip(NEXT) | instid1(SALU_CYCLE_1)
	s_mul_hi_u32 s19, s9, s70
	s_mul_i32 s19, s19, s56
	s_delay_alu instid0(SALU_CYCLE_1) | instskip(SKIP_4) | instid1(SALU_CYCLE_1)
	s_sub_i32 s9, s9, s19
	s_ashr_i32 s19, s26, 31
	s_sub_i32 s27, s9, s56
	s_cmp_ge_u32 s9, s56
	s_cselect_b32 s9, s27, s9
	s_sub_i32 s27, s9, s56
	s_cmp_ge_u32 s9, s56
	s_cselect_b32 s9, s27, s9
	s_delay_alu instid0(SALU_CYCLE_1) | instskip(NEXT) | instid1(SALU_CYCLE_1)
	s_xor_b32 s9, s9, s19
	s_sub_i32 s9, s19, s9
	s_mov_b32 s19, exec_lo
	s_add_i32 s26, s26, s9
	s_delay_alu instid0(SALU_CYCLE_1)
	v_cmpx_gt_i32_e64 s26, v0
	s_cbranch_execz .LBB57_217
; %bb.209:                              ;   in Loop: Header=BB57_8 Depth=1
	v_dual_mov_b32 v1, v17 :: v_dual_mov_b32 v2, v0
	s_mov_b32 s27, 0
                                        ; implicit-def: $sgpr28
	s_set_inst_prefetch_distance 0x1
	s_branch .LBB57_211
	.p2align	6
.LBB57_210:                             ;   in Loop: Header=BB57_211 Depth=2
	s_or_b32 exec_lo, exec_lo, s9
	s_waitcnt lgkmcnt(0)
	s_barrier
	buffer_gl0_inv
	ds_load_b32 v3, v7 offset:3072
	v_add_nc_u32_e32 v2, s56, v2
	v_add_nc_u32_e32 v1, s74, v1
	s_waitcnt lgkmcnt(0)
	s_barrier
	buffer_gl0_inv
	v_cmp_le_i32_e32 vcc_lo, s26, v2
	v_cmp_neq_f16_e64 s9, 0, v3
	s_delay_alu instid0(VALU_DEP_1) | instskip(NEXT) | instid1(SALU_CYCLE_1)
	s_or_b32 s37, vcc_lo, s9
	s_and_b32 s37, exec_lo, s37
	s_delay_alu instid0(SALU_CYCLE_1) | instskip(SKIP_2) | instid1(SALU_CYCLE_1)
	s_or_b32 s27, s37, s27
	s_and_not1_b32 s28, s28, exec_lo
	s_and_b32 s9, s9, exec_lo
	s_or_b32 s28, s28, s9
	s_and_not1_b32 exec_lo, exec_lo, s27
	s_cbranch_execz .LBB57_216
.LBB57_211:                             ;   Parent Loop BB57_8 Depth=1
                                        ; =>  This Inner Loop Header: Depth=2
	s_delay_alu instid0(VALU_DEP_1)
	v_cmp_gt_i32_e32 vcc_lo, s18, v2
	v_mov_b32_e32 v3, 0
	s_and_saveexec_b32 s9, vcc_lo
	s_cbranch_execz .LBB57_213
; %bb.212:                              ;   in Loop: Header=BB57_211 Depth=2
	ds_load_u16 v3, v1
.LBB57_213:                             ;   in Loop: Header=BB57_211 Depth=2
	s_or_b32 exec_lo, exec_lo, s9
	s_and_saveexec_b32 s9, vcc_lo
	s_cbranch_execz .LBB57_210
; %bb.214:                              ;   in Loop: Header=BB57_211 Depth=2
	s_waitcnt lgkmcnt(0)
	v_cmp_lt_i16_e32 vcc_lo, -1, v3
	v_and_b32_e32 v4, 0xffff, v3
	v_cndmask_b32_e32 v6, 0xffff, v28, vcc_lo
	v_cmp_o_f16_e32 vcc_lo, v3, v3
	s_delay_alu instid0(VALU_DEP_2) | instskip(NEXT) | instid1(VALU_DEP_1)
	v_xor_b32_e32 v4, v6, v4
	v_cndmask_b32_e32 v4, 0xffff, v4, vcc_lo
	s_delay_alu instid0(VALU_DEP_1) | instskip(NEXT) | instid1(VALU_DEP_1)
	v_and_b32_e32 v4, s85, v4
	v_cmp_eq_u32_e32 vcc_lo, s84, v4
	s_and_b32 exec_lo, exec_lo, vcc_lo
	s_cbranch_execz .LBB57_210
; %bb.215:                              ;   in Loop: Header=BB57_211 Depth=2
	v_perm_b32 v3, v3, s75, 0x5040100
	ds_store_b32 v7, v3 offset:3072
	s_branch .LBB57_210
.LBB57_216:                             ;   in Loop: Header=BB57_8 Depth=1
	s_set_inst_prefetch_distance 0x2
	s_or_b32 exec_lo, exec_lo, s27
	v_lshrrev_b32_e32 v29, 16, v3
	s_and_b32 s28, s28, exec_lo
.LBB57_217:                             ;   in Loop: Header=BB57_8 Depth=1
	s_or_b32 exec_lo, exec_lo, s19
	s_mov_b32 s27, -1
	s_mov_b32 s19, 0
	s_mov_b32 s26, 0
.LBB57_218:                             ;   in Loop: Header=BB57_8 Depth=1
	s_mov_b32 s37, 0
                                        ; implicit-def: $sgpr9
	s_and_saveexec_b32 s18, s28
	s_cbranch_execz .LBB57_232
; %bb.219:                              ;   in Loop: Header=BB57_8 Depth=1
	s_xor_b32 s9, s16, -1
	s_delay_alu instid0(SALU_CYCLE_1)
	s_and_not1_b32 vcc_lo, exec_lo, s9
	s_mov_b32 s9, 1
	s_cbranch_vccnz .LBB57_226
; %bb.220:                              ;   in Loop: Header=BB57_8 Depth=1
	s_cmp_gt_i32 s25, s10
	s_cbranch_scc1 .LBB57_227
; %bb.221:                              ;   in Loop: Header=BB57_8 Depth=1
	ds_load_b32 v1, v7 offset:4096
	s_waitcnt lgkmcnt(0)
	v_cmp_ne_u32_e32 vcc_lo, 0, v1
	s_cbranch_vccnz .LBB57_225
; %bb.222:                              ;   in Loop: Header=BB57_8 Depth=1
	s_and_saveexec_b32 s9, s0
	s_cbranch_execz .LBB57_224
; %bb.223:                              ;   in Loop: Header=BB57_8 Depth=1
	v_mov_b32_e32 v1, s10
	ds_store_b32 v7, v1 offset:4100
.LBB57_224:                             ;   in Loop: Header=BB57_8 Depth=1
	s_or_b32 exec_lo, exec_lo, s9
	s_waitcnt lgkmcnt(0)
	s_barrier
	buffer_gl0_inv
.LBB57_225:                             ;   in Loop: Header=BB57_8 Depth=1
	s_or_b32 s16, s84, s11
	s_or_b32 s11, s85, s11
	s_mov_b32 s28, 0
	s_mov_b32 s9, 8
	s_branch .LBB57_228
.LBB57_226:                             ;   in Loop: Header=BB57_8 Depth=1
	s_mov_b32 s25, 1
	s_branch .LBB57_231
.LBB57_227:                             ;   in Loop: Header=BB57_8 Depth=1
	s_mov_b32 s28, -1
                                        ; implicit-def: $sgpr9
                                        ; implicit-def: $sgpr16
                                        ; implicit-def: $sgpr11
.LBB57_228:                             ;   in Loop: Header=BB57_8 Depth=1
	s_delay_alu instid0(SALU_CYCLE_1)
	s_and_not1_b32 vcc_lo, exec_lo, s28
	s_cbranch_vccnz .LBB57_230
; %bb.229:                              ;   in Loop: Header=BB57_8 Depth=1
	s_sub_i32 s25, s25, s10
	s_mov_b32 s9, 8
	s_mov_b32 s16, s84
	;; [unrolled: 1-line block ×3, first 2 shown]
.LBB57_230:                             ;   in Loop: Header=BB57_8 Depth=1
	s_mov_b32 s84, s16
	s_mov_b32 s85, s11
.LBB57_231:                             ;   in Loop: Header=BB57_8 Depth=1
	s_mov_b32 s37, exec_lo
.LBB57_232:                             ;   in Loop: Header=BB57_8 Depth=1
	s_or_b32 exec_lo, exec_lo, s18
.LBB57_233:                             ;   in Loop: Header=BB57_8 Depth=1
	s_delay_alu instid0(SALU_CYCLE_1)
	s_and_not1_b32 s10, s21, exec_lo
	s_and_b32 s11, s19, exec_lo
	s_and_not1_b32 s16, s22, exec_lo
	s_or_b32 s21, s10, s11
	s_and_not1_b32 s10, s23, exec_lo
	s_and_b32 s11, s27, exec_lo
	s_and_b32 s18, s26, exec_lo
	s_or_b32 s23, s10, s11
	s_or_b32 s22, s16, s18
	s_and_b32 s28, s37, exec_lo
	s_mov_b32 s26, s25
.LBB57_234:                             ;   in Loop: Header=BB57_8 Depth=1
	s_or_b32 exec_lo, exec_lo, s24
.LBB57_235:                             ;   in Loop: Header=BB57_8 Depth=1
	s_delay_alu instid0(SALU_CYCLE_1)
	s_and_not1_b32 s10, s15, exec_lo
	s_and_b32 s11, s21, exec_lo
	s_and_not1_b32 s14, s14, exec_lo
	s_or_b32 s15, s10, s11
	s_and_not1_b32 s10, s17, exec_lo
	s_and_b32 s11, s23, exec_lo
	s_and_b32 s16, s22, exec_lo
	s_or_b32 s17, s10, s11
	s_or_b32 s14, s14, s16
	s_and_b32 s25, s28, exec_lo
	s_mov_b32 s22, s26
.LBB57_236:                             ;   in Loop: Header=BB57_8 Depth=1
	s_or_b32 exec_lo, exec_lo, s20
	s_and_saveexec_b32 s10, s25
	s_delay_alu instid0(SALU_CYCLE_1)
	s_xor_b32 s10, exec_lo, s10
	s_cbranch_execz .LBB57_6
.LBB57_237:                             ;   in Loop: Header=BB57_8 Depth=1
	s_and_b32 s9, s9, -9
	s_delay_alu instid0(SALU_CYCLE_1)
	s_cmp_eq_u32 s9, 0
	s_cbranch_scc1 .LBB57_4
; %bb.238:                              ;   in Loop: Header=BB57_8 Depth=1
	s_mov_b32 s9, -1
	s_mov_b32 s11, -1
                                        ; implicit-def: $sgpr85
                                        ; implicit-def: $sgpr22
                                        ; implicit-def: $sgpr79
                                        ; implicit-def: $sgpr82
	s_branch .LBB57_5
.LBB57_239:
	s_or_b32 exec_lo, exec_lo, s57
	s_xor_b32 s3, s78, -1
	s_xor_b32 s2, s76, -1
	;; [unrolled: 1-line block ×3, first 2 shown]
	s_mov_b32 s1, 0
	s_and_saveexec_b32 s5, s2
	s_delay_alu instid0(SALU_CYCLE_1)
	s_xor_b32 s2, exec_lo, s5
	s_cbranch_execz .LBB57_260
; %bb.240:
	s_and_saveexec_b32 s1, s3
	s_delay_alu instid0(SALU_CYCLE_1)
	s_xor_b32 s3, exec_lo, s1
	s_cbranch_execz .LBB57_258
; %bb.241:
	s_and_saveexec_b32 s1, s4
	s_delay_alu instid0(SALU_CYCLE_1)
	s_xor_b32 s1, exec_lo, s1
; %bb.242:
	v_and_b32_e32 v2, 0x8000, v1
	v_mov_b32_e32 v3, 0xffff
	s_delay_alu instid0(VALU_DEP_2) | instskip(NEXT) | instid1(VALU_DEP_2)
	v_cmp_eq_u32_e32 vcc_lo, 0, v2
	v_cndmask_b32_e32 v2, 0x8000, v3, vcc_lo
	s_delay_alu instid0(VALU_DEP_1)
	v_xor_b32_e32 v29, v2, v1
; %bb.243:
	s_or_b32 exec_lo, exec_lo, s1
	s_and_saveexec_b32 s1, s0
	s_cbranch_execz .LBB57_245
; %bb.244:
	v_dual_mov_b32 v1, 0 :: v_dual_mov_b32 v2, s36
	ds_store_b32 v1, v2 offset:4108
.LBB57_245:
	s_or_b32 exec_lo, exec_lo, s1
	v_mov_b32_e32 v1, 0
	s_waitcnt lgkmcnt(0)
	s_barrier
	buffer_gl0_inv
	s_mov_b32 s4, exec_lo
	ds_load_b32 v1, v1 offset:4108
	s_waitcnt lgkmcnt(0)
	v_min_i32_e32 v1, s36, v1
	s_delay_alu instid0(VALU_DEP_1)
	v_cmpx_lt_i32_e64 v0, v1
	s_cbranch_execz .LBB57_255
; %bb.246:
	v_cmp_u_f16_e32 vcc_lo, v29, v29
	s_mov_b32 s5, 0
                                        ; implicit-def: $sgpr6
                                        ; implicit-def: $sgpr9
                                        ; implicit-def: $sgpr8
	s_xor_b32 s7, vcc_lo, -1
	s_set_inst_prefetch_distance 0x1
	s_branch .LBB57_248
	.p2align	6
.LBB57_247:                             ;   in Loop: Header=BB57_248 Depth=1
	s_or_b32 exec_lo, exec_lo, s1
	s_delay_alu instid0(SALU_CYCLE_1) | instskip(NEXT) | instid1(SALU_CYCLE_1)
	s_and_b32 s1, exec_lo, s9
	s_or_b32 s5, s1, s5
	s_and_not1_b32 s1, s6, exec_lo
	s_and_b32 s6, s8, exec_lo
	s_delay_alu instid0(SALU_CYCLE_1)
	s_or_b32 s6, s1, s6
	s_and_not1_b32 exec_lo, exec_lo, s5
	s_cbranch_execz .LBB57_250
.LBB57_248:                             ; =>This Inner Loop Header: Depth=1
	v_ashrrev_i32_e32 v6, 31, v5
	s_or_b32 s8, s8, exec_lo
	s_or_b32 s9, s9, exec_lo
	s_delay_alu instid0(VALU_DEP_1) | instskip(NEXT) | instid1(VALU_DEP_1)
	v_lshlrev_b64 v[2:3], 1, v[5:6]
	v_add_co_u32 v2, vcc_lo, s54, v2
	s_delay_alu instid0(VALU_DEP_2)
	v_add_co_ci_u32_e32 v3, vcc_lo, s55, v3, vcc_lo
	global_load_u16 v2, v[2:3], off
	s_waitcnt vmcnt(0)
	v_cmp_o_f16_e32 vcc_lo, v2, v2
	v_cmp_neq_f16_e64 s1, v2, v29
	v_mov_b32_e32 v2, v0
                                        ; implicit-def: $vgpr0
	s_or_b32 s10, s7, vcc_lo
	s_delay_alu instid0(VALU_DEP_2) | instid1(SALU_CYCLE_1)
	s_and_b32 s10, s1, s10
	s_delay_alu instid0(SALU_CYCLE_1)
	s_and_saveexec_b32 s1, s10
	s_cbranch_execz .LBB57_247
; %bb.249:                              ;   in Loop: Header=BB57_248 Depth=1
	v_add_nc_u32_e32 v0, s56, v2
	s_and_not1_b32 s9, s9, exec_lo
	v_add_nc_u32_e32 v5, s59, v5
	s_and_not1_b32 s8, s8, exec_lo
	s_delay_alu instid0(VALU_DEP_2) | instskip(SKIP_1) | instid1(SALU_CYCLE_1)
	v_cmp_ge_i32_e32 vcc_lo, v0, v1
	s_and_b32 s10, vcc_lo, exec_lo
	s_or_b32 s9, s9, s10
	s_branch .LBB57_247
.LBB57_250:
	s_set_inst_prefetch_distance 0x2
	s_or_b32 exec_lo, exec_lo, s5
	s_and_saveexec_b32 s1, s6
	s_delay_alu instid0(SALU_CYCLE_1)
	s_xor_b32 s1, exec_lo, s1
	s_cbranch_execz .LBB57_255
; %bb.251:
	s_mov_b32 s5, exec_lo
	s_brev_b32 s1, -2
.LBB57_252:                             ; =>This Inner Loop Header: Depth=1
	s_ctz_i32_b32 s6, s5
	s_delay_alu instid0(SALU_CYCLE_1) | instskip(SKIP_1) | instid1(SALU_CYCLE_1)
	v_readlane_b32 s7, v2, s6
	s_lshl_b32 s6, 1, s6
	s_and_not1_b32 s5, s5, s6
	s_delay_alu instid0(VALU_DEP_1)
	s_min_i32 s1, s1, s7
	s_cmp_lg_u32 s5, 0
	s_cbranch_scc1 .LBB57_252
; %bb.253:
	v_mbcnt_lo_u32_b32 v0, exec_lo, 0
	s_mov_b32 s5, exec_lo
	s_delay_alu instid0(VALU_DEP_1)
	v_cmpx_eq_u32_e32 0, v0
	s_xor_b32 s5, exec_lo, s5
	s_cbranch_execz .LBB57_255
; %bb.254:
	v_dual_mov_b32 v0, 0 :: v_dual_mov_b32 v1, s1
	ds_min_i32 v0, v1 offset:4108
.LBB57_255:
	s_or_b32 exec_lo, exec_lo, s4
	s_waitcnt lgkmcnt(0)
	s_barrier
	buffer_gl0_inv
	s_and_saveexec_b32 s1, s0
	s_cbranch_execz .LBB57_257
; %bb.256:
	s_mul_i32 s0, s52, s49
	s_xor_b32 s4, s48, s53
	s_sub_i32 s0, s47, s0
	s_add_i32 s5, s52, 1
	s_sub_i32 s6, s0, s49
	s_cmp_ge_u32 s0, s49
	v_mov_b32_e32 v2, 0
	s_cselect_b32 s5, s5, s52
	s_cselect_b32 s0, s6, s0
	s_add_i32 s6, s5, 1
	s_cmp_ge_u32 s0, s49
	s_mul_i32 s0, s50, s46
	s_cselect_b32 s5, s6, s5
	s_sub_i32 s0, s47, s0
	s_xor_b32 s5, s5, s4
	s_xor_b32 s6, s48, s51
	s_sub_i32 s4, s5, s4
	s_add_i32 s7, s50, 1
	s_mul_i32 s5, s4, s38
	s_mul_i32 s4, s4, s42
	s_sub_i32 s5, s29, s5
	s_sub_i32 s8, s0, s46
	s_mul_i32 s5, s5, s43
	ds_load_b32 v0, v2 offset:4108
	s_add_i32 s4, s4, s5
	s_cmp_ge_u32 s0, s46
	s_cselect_b32 s5, s7, s50
	s_cselect_b32 s0, s8, s0
	s_add_i32 s7, s5, 1
	s_cmp_ge_u32 s0, s46
	s_cselect_b32 s0, s7, s5
	s_ashr_i32 s5, s4, 31
	s_xor_b32 s0, s0, s6
	s_lshl_b64 s[4:5], s[4:5], 1
	s_sub_i32 s0, s0, s6
	s_delay_alu instid0(SALU_CYCLE_1) | instskip(SKIP_2) | instid1(SALU_CYCLE_1)
	s_mul_i32 s6, s0, s33
	s_mul_i32 s0, s0, s40
	s_sub_i32 s6, s29, s6
	s_mul_i32 s6, s6, s41
	s_waitcnt lgkmcnt(0)
	v_ashrrev_i32_e32 v1, 31, v0
	s_add_i32 s6, s0, s6
	s_add_u32 s4, s34, s4
	s_addc_u32 s5, s35, s5
	s_ashr_i32 s7, s6, 31
	s_delay_alu instid0(SALU_CYCLE_1) | instskip(NEXT) | instid1(SALU_CYCLE_1)
	s_lshl_b64 s[6:7], s[6:7], 3
	s_add_u32 s6, s30, s6
	s_addc_u32 s7, s31, s7
	s_clause 0x1
	global_store_b64 v2, v[0:1], s[6:7]
	global_store_b16 v2, v29, s[4:5]
.LBB57_257:
	s_or_b32 exec_lo, exec_lo, s1
.LBB57_258:
	s_or_saveexec_b32 s0, s3
	s_mov_b32 s1, 0
	s_xor_b32 exec_lo, exec_lo, s0
	s_cbranch_execnz .LBB57_266
.LBB57_259:
	s_or_b32 exec_lo, exec_lo, s0
	s_delay_alu instid0(SALU_CYCLE_1)
	s_and_b32 s1, s1, exec_lo
.LBB57_260:
	s_and_not1_saveexec_b32 s0, s2
	s_cbranch_execnz .LBB57_264
; %bb.261:
	s_or_b32 exec_lo, exec_lo, s0
	s_and_saveexec_b32 s0, s1
.LBB57_262:
	; divergent unreachable
.LBB57_263:
	s_nop 0
	s_sendmsg sendmsg(MSG_DEALLOC_VGPRS)
	s_endpgm
.LBB57_264:
	s_cbranch_execnz .LBB57_268
; %bb.265:
	s_or_b32 s1, s1, exec_lo
	s_or_b32 exec_lo, exec_lo, s0
	s_and_saveexec_b32 s0, s1
	s_cbranch_execnz .LBB57_262
	s_branch .LBB57_263
.LBB57_266:
	s_cbranch_execnz .LBB57_270
; %bb.267:
	s_mov_b32 s1, exec_lo
	s_branch .LBB57_259
.LBB57_268:
	s_trap 2
	s_sendmsg_rtn_b32 s0, sendmsg(MSG_RTN_GET_DOORBELL)
	s_mov_b32 ttmp2, m0
	s_waitcnt lgkmcnt(0)
	s_and_b32 s0, s0, 0x3ff
	s_delay_alu instid0(SALU_CYCLE_1) | instskip(NEXT) | instid1(SALU_CYCLE_1)
	s_bitset1_b32 s0, 10
	s_mov_b32 m0, s0
	s_sendmsg sendmsg(MSG_INTERRUPT)
	s_mov_b32 m0, ttmp2
.LBB57_269:                             ; =>This Inner Loop Header: Depth=1
	s_sethalt 5
	s_branch .LBB57_269
.LBB57_270:
	s_trap 2
	s_sendmsg_rtn_b32 s0, sendmsg(MSG_RTN_GET_DOORBELL)
	s_mov_b32 ttmp2, m0
	s_waitcnt lgkmcnt(0)
	s_and_b32 s0, s0, 0x3ff
	s_delay_alu instid0(SALU_CYCLE_1) | instskip(NEXT) | instid1(SALU_CYCLE_1)
	s_bitset1_b32 s0, 10
	s_mov_b32 m0, s0
	s_sendmsg sendmsg(MSG_INTERRUPT)
	s_mov_b32 m0, ttmp2
.LBB57_271:                             ; =>This Inner Loop Header: Depth=1
	s_sethalt 5
	s_branch .LBB57_271
	.section	.rodata,"a",@progbits
	.p2align	6, 0x0
	.amdhsa_kernel _ZN2at6native12_GLOBAL__N_114gatherKthValueIN3c104HalfEiLi2EEEvNS_4cuda6detail10TensorInfoIKT_T0_EESA_SA_SA_SA_NS7_IS8_SA_EENS7_IlSA_EE
		.amdhsa_group_segment_fixed_size 4112
		.amdhsa_private_segment_fixed_size 0
		.amdhsa_kernarg_size 920
		.amdhsa_user_sgpr_count 13
		.amdhsa_user_sgpr_dispatch_ptr 0
		.amdhsa_user_sgpr_queue_ptr 0
		.amdhsa_user_sgpr_kernarg_segment_ptr 1
		.amdhsa_user_sgpr_dispatch_id 0
		.amdhsa_user_sgpr_private_segment_size 0
		.amdhsa_wavefront_size32 1
		.amdhsa_uses_dynamic_stack 0
		.amdhsa_enable_private_segment 0
		.amdhsa_system_sgpr_workgroup_id_x 1
		.amdhsa_system_sgpr_workgroup_id_y 1
		.amdhsa_system_sgpr_workgroup_id_z 1
		.amdhsa_system_sgpr_workgroup_info 0
		.amdhsa_system_vgpr_workitem_id 0
		.amdhsa_next_free_vgpr 40
		.amdhsa_next_free_sgpr 95
		.amdhsa_reserve_vcc 1
		.amdhsa_float_round_mode_32 0
		.amdhsa_float_round_mode_16_64 0
		.amdhsa_float_denorm_mode_32 3
		.amdhsa_float_denorm_mode_16_64 3
		.amdhsa_dx10_clamp 1
		.amdhsa_ieee_mode 1
		.amdhsa_fp16_overflow 0
		.amdhsa_workgroup_processor_mode 1
		.amdhsa_memory_ordered 1
		.amdhsa_forward_progress 0
		.amdhsa_shared_vgpr_count 0
		.amdhsa_exception_fp_ieee_invalid_op 0
		.amdhsa_exception_fp_denorm_src 0
		.amdhsa_exception_fp_ieee_div_zero 0
		.amdhsa_exception_fp_ieee_overflow 0
		.amdhsa_exception_fp_ieee_underflow 0
		.amdhsa_exception_fp_ieee_inexact 0
		.amdhsa_exception_int_div_zero 0
	.end_amdhsa_kernel
	.section	.text._ZN2at6native12_GLOBAL__N_114gatherKthValueIN3c104HalfEiLi2EEEvNS_4cuda6detail10TensorInfoIKT_T0_EESA_SA_SA_SA_NS7_IS8_SA_EENS7_IlSA_EE,"axG",@progbits,_ZN2at6native12_GLOBAL__N_114gatherKthValueIN3c104HalfEiLi2EEEvNS_4cuda6detail10TensorInfoIKT_T0_EESA_SA_SA_SA_NS7_IS8_SA_EENS7_IlSA_EE,comdat
.Lfunc_end57:
	.size	_ZN2at6native12_GLOBAL__N_114gatherKthValueIN3c104HalfEiLi2EEEvNS_4cuda6detail10TensorInfoIKT_T0_EESA_SA_SA_SA_NS7_IS8_SA_EENS7_IlSA_EE, .Lfunc_end57-_ZN2at6native12_GLOBAL__N_114gatherKthValueIN3c104HalfEiLi2EEEvNS_4cuda6detail10TensorInfoIKT_T0_EESA_SA_SA_SA_NS7_IS8_SA_EENS7_IlSA_EE
                                        ; -- End function
	.section	.AMDGPU.csdata,"",@progbits
; Kernel info:
; codeLenInByte = 10844
; NumSgprs: 97
; NumVgprs: 40
; ScratchSize: 0
; MemoryBound: 0
; FloatMode: 240
; IeeeMode: 1
; LDSByteSize: 4112 bytes/workgroup (compile time only)
; SGPRBlocks: 12
; VGPRBlocks: 4
; NumSGPRsForWavesPerEU: 97
; NumVGPRsForWavesPerEU: 40
; Occupancy: 16
; WaveLimiterHint : 1
; COMPUTE_PGM_RSRC2:SCRATCH_EN: 0
; COMPUTE_PGM_RSRC2:USER_SGPR: 13
; COMPUTE_PGM_RSRC2:TRAP_HANDLER: 0
; COMPUTE_PGM_RSRC2:TGID_X_EN: 1
; COMPUTE_PGM_RSRC2:TGID_Y_EN: 1
; COMPUTE_PGM_RSRC2:TGID_Z_EN: 1
; COMPUTE_PGM_RSRC2:TIDIG_COMP_CNT: 0
	.section	.text._ZN2at6native12_GLOBAL__N_114gatherKthValueIN3c104HalfEiLi3EEEvNS_4cuda6detail10TensorInfoIKT_T0_EESA_SA_SA_SA_NS7_IS8_SA_EENS7_IlSA_EE,"axG",@progbits,_ZN2at6native12_GLOBAL__N_114gatherKthValueIN3c104HalfEiLi3EEEvNS_4cuda6detail10TensorInfoIKT_T0_EESA_SA_SA_SA_NS7_IS8_SA_EENS7_IlSA_EE,comdat
	.globl	_ZN2at6native12_GLOBAL__N_114gatherKthValueIN3c104HalfEiLi3EEEvNS_4cuda6detail10TensorInfoIKT_T0_EESA_SA_SA_SA_NS7_IS8_SA_EENS7_IlSA_EE ; -- Begin function _ZN2at6native12_GLOBAL__N_114gatherKthValueIN3c104HalfEiLi3EEEvNS_4cuda6detail10TensorInfoIKT_T0_EESA_SA_SA_SA_NS7_IS8_SA_EENS7_IlSA_EE
	.p2align	8
	.type	_ZN2at6native12_GLOBAL__N_114gatherKthValueIN3c104HalfEiLi3EEEvNS_4cuda6detail10TensorInfoIKT_T0_EESA_SA_SA_SA_NS7_IS8_SA_EENS7_IlSA_EE,@function
_ZN2at6native12_GLOBAL__N_114gatherKthValueIN3c104HalfEiLi3EEEvNS_4cuda6detail10TensorInfoIKT_T0_EESA_SA_SA_SA_NS7_IS8_SA_EENS7_IlSA_EE: ; @_ZN2at6native12_GLOBAL__N_114gatherKthValueIN3c104HalfEiLi3EEEvNS_4cuda6detail10TensorInfoIKT_T0_EESA_SA_SA_SA_NS7_IS8_SA_EENS7_IlSA_EE
; %bb.0:
	s_clause 0x1
	s_load_b64 s[8:9], s[0:1], 0x298
	s_load_b128 s[44:47], s[0:1], 0xd8
	s_add_u32 s2, s0, 0x298
	s_addc_u32 s3, s1, 0
	s_waitcnt lgkmcnt(0)
	s_mul_i32 s4, s9, s15
	s_delay_alu instid0(SALU_CYCLE_1) | instskip(NEXT) | instid1(SALU_CYCLE_1)
	s_add_i32 s4, s4, s14
	s_mul_i32 s29, s4, s8
	s_delay_alu instid0(SALU_CYCLE_1) | instskip(NEXT) | instid1(SALU_CYCLE_1)
	s_add_i32 s29, s29, s13
	s_cmp_ge_i32 s29, s46
	s_cbranch_scc1 .LBB58_263
; %bb.1:
	s_clause 0x3
	s_load_b64 s[10:11], s[0:1], 0xc
	s_load_b64 s[30:31], s[0:1], 0xf4
	;; [unrolled: 1-line block ×4, first 2 shown]
	s_abs_i32 s14, s29
	s_mov_b32 s65, 0
	s_waitcnt lgkmcnt(0)
	s_ashr_i32 s4, s11, 31
	s_delay_alu instid0(SALU_CYCLE_1) | instskip(NEXT) | instid1(SALU_CYCLE_1)
	s_add_i32 s5, s11, s4
	s_xor_b32 s5, s5, s4
	s_delay_alu instid0(SALU_CYCLE_1) | instskip(SKIP_1) | instid1(VALU_DEP_1)
	v_cvt_f32_u32_e32 v1, s5
	s_sub_i32 s7, 0, s5
	v_rcp_iflag_f32_e32 v1, v1
	s_waitcnt_depctr 0xfff
	v_mul_f32_e32 v1, 0x4f7ffffe, v1
	s_delay_alu instid0(VALU_DEP_1) | instskip(NEXT) | instid1(VALU_DEP_1)
	v_cvt_u32_f32_e32 v1, v1
	v_readfirstlane_b32 s6, v1
	s_delay_alu instid0(VALU_DEP_1) | instskip(NEXT) | instid1(SALU_CYCLE_1)
	s_mul_i32 s7, s7, s6
	s_mul_hi_u32 s7, s6, s7
	s_delay_alu instid0(SALU_CYCLE_1)
	s_add_i32 s6, s6, s7
	s_ashr_i32 s7, s29, 31
	s_mul_hi_u32 s6, s14, s6
	s_xor_b32 s4, s7, s4
	s_mul_i32 s9, s6, s5
	s_add_i32 s12, s6, 1
	s_sub_i32 s9, s14, s9
	s_delay_alu instid0(SALU_CYCLE_1)
	s_sub_i32 s15, s9, s5
	s_cmp_ge_u32 s9, s5
	s_cselect_b32 s6, s12, s6
	s_cselect_b32 s9, s15, s9
	s_add_i32 s12, s6, 1
	s_cmp_ge_u32 s9, s5
	s_cselect_b32 s5, s12, s6
	s_ashr_i32 s6, s31, 31
	s_abs_i32 s12, s10
	s_add_i32 s9, s31, s6
	v_cvt_f32_u32_e32 v2, s12
	s_xor_b32 s15, s9, s6
	s_xor_b32 s5, s5, s4
	v_cvt_f32_u32_e32 v1, s15
	s_sub_i32 s9, s5, s4
	v_rcp_iflag_f32_e32 v2, v2
	s_xor_b32 s5, s7, s6
	s_sub_i32 s6, 0, s15
	v_rcp_iflag_f32_e32 v1, v1
	s_sub_i32 s19, 0, s12
	s_ashr_i32 s16, s10, 31
	s_ashr_i32 s17, s9, 31
	s_abs_i32 s18, s9
	s_waitcnt_depctr 0xfff
	v_dual_mul_f32 v2, 0x4f7ffffe, v2 :: v_dual_mul_f32 v1, 0x4f7ffffe, v1
	s_delay_alu instid0(VALU_DEP_1) | instskip(NEXT) | instid1(VALU_DEP_2)
	v_cvt_u32_f32_e32 v2, v2
	v_cvt_u32_f32_e32 v1, v1
	s_delay_alu instid0(VALU_DEP_2) | instskip(NEXT) | instid1(VALU_DEP_2)
	v_readfirstlane_b32 s20, v2
	v_readfirstlane_b32 s4, v1
	s_delay_alu instid0(VALU_DEP_2) | instskip(NEXT) | instid1(VALU_DEP_1)
	s_mul_i32 s19, s19, s20
	s_mul_i32 s6, s6, s4
	s_delay_alu instid0(SALU_CYCLE_1) | instskip(NEXT) | instid1(SALU_CYCLE_1)
	s_mul_hi_u32 s6, s4, s6
	s_add_i32 s4, s4, s6
	s_mul_hi_u32 s6, s20, s19
	s_mul_hi_u32 s4, s14, s4
	s_add_i32 s20, s20, s6
	s_mul_i32 s19, s4, s15
	s_delay_alu instid0(SALU_CYCLE_1)
	s_sub_i32 s6, s14, s19
	s_add_i32 s19, s4, 1
	s_sub_i32 s21, s6, s15
	s_cmp_ge_u32 s6, s15
	s_cselect_b32 s4, s19, s4
	s_cselect_b32 s6, s21, s6
	s_add_i32 s19, s4, 1
	s_cmp_ge_u32 s6, s15
	s_cselect_b32 s4, s19, s4
	s_ashr_i32 s6, s35, 31
	s_abs_i32 s54, s30
	s_add_i32 s15, s35, s6
	v_cvt_f32_u32_e32 v2, s54
	s_xor_b32 s15, s15, s6
	s_xor_b32 s22, s7, s6
	v_cvt_f32_u32_e32 v1, s15
	s_sub_i32 s6, 0, s15
	v_rcp_iflag_f32_e32 v2, v2
	s_xor_b32 s4, s4, s5
	s_sub_i32 s21, 0, s54
	v_rcp_iflag_f32_e32 v1, v1
	s_sub_i32 s46, s4, s5
	s_delay_alu instid0(SALU_CYCLE_1) | instskip(SKIP_2) | instid1(VALU_DEP_1)
	s_abs_i32 s55, s46
	s_waitcnt_depctr 0xfff
	v_dual_mul_f32 v2, 0x4f7ffffe, v2 :: v_dual_mul_f32 v1, 0x4f7ffffe, v1
	v_cvt_u32_f32_e32 v2, v2
	s_delay_alu instid0(VALU_DEP_2) | instskip(NEXT) | instid1(VALU_DEP_2)
	v_cvt_u32_f32_e32 v1, v1
	v_readfirstlane_b32 s7, v2
	s_delay_alu instid0(VALU_DEP_2) | instskip(NEXT) | instid1(VALU_DEP_2)
	v_readfirstlane_b32 s19, v1
	s_mul_i32 s21, s21, s7
	s_delay_alu instid0(SALU_CYCLE_1) | instskip(NEXT) | instid1(VALU_DEP_1)
	s_mul_hi_u32 s5, s7, s21
	s_mul_i32 s6, s6, s19
	s_delay_alu instid0(SALU_CYCLE_1) | instskip(NEXT) | instid1(SALU_CYCLE_1)
	s_mul_hi_u32 s4, s19, s6
	s_add_i32 s19, s19, s4
	s_delay_alu instid0(SALU_CYCLE_1)
	s_mul_hi_u32 s4, s14, s19
	s_add_i32 s19, s7, s5
	s_mul_i32 s6, s4, s15
	s_mul_hi_u32 s59, s55, s19
	s_sub_i32 s5, s14, s6
	s_add_i32 s6, s4, 1
	s_sub_i32 s7, s5, s15
	s_cmp_ge_u32 s5, s15
	s_cselect_b32 s4, s6, s4
	s_cselect_b32 s5, s7, s5
	s_add_i32 s6, s4, 1
	s_cmp_ge_u32 s5, s15
	s_clause 0x1
	s_load_b128 s[40:43], s[0:1], 0x154
	s_load_b64 s[14:15], s[0:1], 0x0
	s_cselect_b32 s21, s6, s4
	s_abs_i32 s33, s34
	s_clause 0x2
	s_load_b128 s[36:39], s[0:1], 0x22c
	s_load_b64 s[50:51], s[0:1], 0xe8
	s_load_b128 s[4:7], s[0:1], 0x6c
	v_cvt_f32_u32_e32 v1, s33
	s_mul_hi_u32 s1, s18, s20
	s_sub_i32 s20, 0, s33
	s_xor_b32 s0, s21, s22
	s_delay_alu instid0(VALU_DEP_1)
	v_rcp_iflag_f32_e32 v1, v1
	s_waitcnt lgkmcnt(0)
	s_sub_i32 s39, s0, s22
	v_cmp_eq_u32_e64 s0, 0, v0
	s_abs_i32 s56, s39
	s_waitcnt_depctr 0xfff
	v_mul_f32_e32 v1, 0x4f7ffffe, v1
	s_delay_alu instid0(VALU_DEP_1) | instskip(NEXT) | instid1(VALU_DEP_1)
	v_cvt_u32_f32_e32 v1, v1
	v_readfirstlane_b32 s7, v1
	s_delay_alu instid0(VALU_DEP_1) | instskip(NEXT) | instid1(SALU_CYCLE_1)
	s_mul_i32 s20, s20, s7
	s_mul_hi_u32 s20, s7, s20
	s_delay_alu instid0(SALU_CYCLE_1) | instskip(NEXT) | instid1(SALU_CYCLE_1)
	s_add_i32 s7, s7, s20
	s_mul_hi_u32 s43, s56, s7
	s_and_saveexec_b32 s7, s0
	s_cbranch_execz .LBB58_3
; %bb.2:
	v_dual_mov_b32 v1, 0 :: v_dual_mov_b32 v2, s44
	s_delay_alu instid0(VALU_DEP_1)
	v_mov_b32_e32 v3, v1
	ds_store_b96 v1, v[1:3] offset:4096
.LBB58_3:
	s_or_b32 exec_lo, exec_lo, s7
	s_mul_i32 s7, s9, s11
	s_mul_i32 s11, s1, s12
	s_ashr_i32 s60, s46, 31
	s_sub_i32 s11, s18, s11
	s_ashr_i32 s61, s30, 31
	s_ashr_i32 s57, s39, 31
	s_ashr_i32 s58, s34, 31
	s_sub_i32 s7, s29, s7
	s_xor_b32 s16, s17, s16
	s_add_i32 s17, s1, 1
	s_sub_i32 s18, s11, s12
	s_cmp_ge_u32 s11, s12
	s_waitcnt lgkmcnt(0)
	s_cselect_b32 s1, s17, s1
	s_cselect_b32 s11, s18, s11
	s_add_i32 s17, s1, 1
	s_cmp_ge_u32 s11, s12
	s_barrier
	s_cselect_b32 s1, s17, s1
	buffer_gl0_inv
	s_load_b32 s11, s[2:3], 0xc
	s_xor_b32 s1, s1, s16
	s_mul_i32 s7, s7, s6
	s_sub_i32 s1, s1, s16
	v_mbcnt_lo_u32_b32 v15, -1, 0
	s_mul_i32 s10, s1, s10
	s_mul_i32 s1, s1, s4
	s_sub_i32 s9, s9, s10
	v_cmp_gt_u32_e32 vcc_lo, 32, v0
	s_mul_i32 s5, s9, s5
	v_dual_mov_b32 v28, 0x8000 :: v_dual_lshlrev_b32 v17, 1, v0
	s_add_i32 s5, s5, s7
	v_mov_b32_e32 v7, 0
	s_add_i32 s4, s5, s1
	s_delay_alu instid0(VALU_DEP_2)
	v_add_nc_u32_e32 v18, 0xc00, v17
	s_ashr_i32 s5, s4, 31
	v_cmp_gt_i32_e64 s1, 4, v15
	s_lshl_b64 s[4:5], s[4:5], 1
	v_mul_lo_u32 v5, v0, s47
	s_add_u32 s62, s14, s4
	s_addc_u32 s63, s15, s5
	s_waitcnt lgkmcnt(0)
	s_and_b32 s64, s11, 0xffff
	s_bfe_u32 s4, s11, 0xb0005
	s_lshl_b32 s66, s64, 2
	s_add_i32 s68, s64, -1
	v_cvt_f32_u32_e32 v1, s66
	s_and_b32 s69, vcc_lo, s1
	s_add_i32 s79, s68, s44
	s_cmpk_gt_i32 s44, 0x600
	s_mov_b32 s10, s47
	v_rcp_iflag_f32_e32 v1, v1
	s_cselect_b32 s70, -1, 0
	s_cmp_gt_u32 s64, 31
	v_lshlrev_b32_e32 v16, 2, v0
	s_cselect_b32 s71, -1, 0
	s_cmp_lt_u32 s13, s8
	v_lshlrev_b32_e32 v24, 2, v5
	s_cselect_b32 s1, 12, 18
	v_mad_u64_u32 v[12:13], null, s47, v16, s[10:11]
	s_waitcnt_depctr 0xfff
	v_mul_f32_e32 v1, 0x4f7ffffe, v1
	s_add_u32 s52, s2, s1
	s_addc_u32 s53, s3, 0
	s_add_i32 s1, s4, -1
	s_bfe_u32 s72, s64, 0x30005
	v_cvt_u32_f32_e32 v1, v1
	s_cmp_gt_u32 s1, 6
	v_cmp_eq_u32_e64 s1, 0, v15
	s_cselect_b32 s73, -1, 0
	s_and_b32 s74, s4, 0x7f8
	v_readfirstlane_b32 s2, v1
	s_cmp_lg_u32 s72, 0
	v_cvt_f32_u32_e32 v1, s64
	s_cselect_b32 s75, -1, 0
	s_sub_i32 s3, 0, s66
	v_lshlrev_b32_e32 v26, 3, v0
	s_mul_i32 s3, s3, s2
	v_rcp_iflag_f32_e32 v3, v1
	s_mul_hi_u32 s3, s2, s3
	v_mov_b32_e32 v6, v7
	s_add_i32 s76, s2, s3
	v_cmp_gt_u32_e64 s2, 2, v0
	s_mul_hi_u32 s3, s44, s76
	v_lshl_or_b32 v27, v15, 2, 0xc00
	s_mul_i32 s3, s3, s66
	s_mul_i32 s67, s47, s64
	s_sub_i32 s3, s44, s3
	s_waitcnt_depctr 0xfff
	v_mul_f32_e32 v3, 0x4f7ffffe, v3
	s_sub_i32 s4, s3, s66
	s_cmp_ge_u32 s3, s66
	v_lshlrev_b64 v[1:2], 1, v[5:6]
	s_cselect_b32 s4, s4, s3
	v_cmp_gt_u32_e64 s3, s44, v0
	s_sub_i32 s5, s4, s66
	s_cmp_ge_u32 s4, s66
	v_mov_b32_e32 v29, 0
	s_cselect_b32 s9, s5, s4
	v_add_co_u32 v8, vcc_lo, s62, v1
	s_sub_i32 s77, s44, s9
	v_cvt_u32_f32_e32 v1, v3
	v_add_nc_u32_e32 v19, s77, v0
	s_sub_i32 s6, 0, s64
	v_add_co_ci_u32_e32 v9, vcc_lo, s63, v2, vcc_lo
	s_delay_alu instid0(VALU_DEP_3) | instskip(NEXT) | instid1(VALU_DEP_3)
	v_readfirstlane_b32 s5, v1
	v_mul_lo_u32 v1, v19, s47
	v_lshrrev_b32_e32 v2, 3, v0
	s_abs_i32 s7, s79
	v_lshlrev_b64 v[3:4], v15, -1
	s_mul_i32 s6, s6, s5
	v_cmp_gt_i32_e64 s4, s44, v0
	s_mul_hi_u32 s6, s5, s6
	v_and_b32_e32 v20, 0x7c, v2
	s_add_i32 s78, s5, s6
	v_ashrrev_i32_e32 v2, 31, v1
	s_mul_hi_u32 s5, s7, s78
	v_not_b32_e32 v21, v3
	s_mul_i32 s5, s5, s64
	v_or_b32_e32 v3, 3, v16
	v_lshlrev_b64 v[1:2], 1, v[1:2]
	s_sub_i32 s5, s7, s5
	s_ashr_i32 s7, s79, 31
	s_sub_i32 s6, s5, s64
	s_cmp_ge_u32 s5, s64
	v_mul_lo_u32 v23, s47, v3
	s_cselect_b32 s5, s6, s5
	v_add_co_u32 v10, vcc_lo, s62, v1
	v_add3_u32 v1, s64, s44, v0
	s_sub_i32 s6, s5, s64
	s_cmp_ge_u32 s5, s64
	v_add_co_ci_u32_e32 v11, vcc_lo, s63, v2, vcc_lo
	s_cselect_b32 s6, s6, s5
	v_or_b32_e32 v2, 2, v16
	v_subrev_nc_u32_e32 v1, s9, v1
	s_xor_b32 s8, s6, s7
	v_cmp_gt_i32_e64 s5, s77, v16
	s_sub_i32 s7, s7, s8
	v_mul_lo_u32 v22, s47, v2
	v_mul_lo_u32 v25, s47, v1
	s_add_i32 s79, s79, s7
	v_cmp_gt_u32_e64 s6, s44, v19
	v_cmp_gt_i32_e64 s7, s44, v19
	v_cmp_gt_i32_e64 s8, s79, v0
	s_lshl_b32 s80, s67, 2
	s_lshl_b32 s81, s64, 3
	;; [unrolled: 1-line block ×3, first 2 shown]
	s_mov_b32 s87, 14
	s_movk_i32 s83, 0x3c00
	s_mov_b32 s90, 0
	s_mov_b32 s92, 0
	;; [unrolled: 1-line block ×3, first 2 shown]
                                        ; implicit-def: $sgpr84
                                        ; implicit-def: $sgpr86
                                        ; implicit-def: $sgpr85
                                        ; implicit-def: $sgpr89
                                        ; implicit-def: $sgpr91
                                        ; implicit-def: $sgpr88
	s_branch .LBB58_8
.LBB58_4:                               ;   in Loop: Header=BB58_8 Depth=1
	s_xor_b32 s90, s90, 1
	s_add_i32 s13, s87, -2
	s_cmp_eq_u32 s87, 0
	s_mov_b32 s9, 0
	s_cselect_b32 s11, -1, 0
	s_mov_b32 s87, s13
.LBB58_5:                               ;   in Loop: Header=BB58_8 Depth=1
	s_and_not1_b32 s13, s15, exec_lo
	s_and_b32 s9, s9, exec_lo
	s_and_not1_b32 s17, s17, exec_lo
	s_or_b32 s15, s13, s9
	s_and_not1_b32 s14, s14, exec_lo
	s_or_not1_b32 s13, s11, exec_lo
	s_mov_b32 s45, s22
.LBB58_6:                               ;   in Loop: Header=BB58_8 Depth=1
	s_or_b32 exec_lo, exec_lo, s10
	s_delay_alu instid0(SALU_CYCLE_1)
	s_and_not1_b32 s9, s88, exec_lo
	s_and_b32 s10, s15, exec_lo
	s_and_not1_b32 s11, s89, exec_lo
	s_or_b32 s88, s9, s10
	s_and_not1_b32 s9, s91, exec_lo
	s_and_b32 s10, s17, exec_lo
	s_and_b32 s14, s14, exec_lo
	s_or_b32 s91, s9, s10
	s_or_b32 s89, s11, s14
	s_or_not1_b32 s14, s13, exec_lo
.LBB58_7:                               ;   in Loop: Header=BB58_8 Depth=1
	s_or_b32 exec_lo, exec_lo, s12
	s_delay_alu instid0(SALU_CYCLE_1)
	s_and_b32 s9, exec_lo, s14
	v_mov_b32_e32 v1, s92
	s_or_b32 s65, s9, s65
	s_and_not1_b32 s9, s85, exec_lo
	s_and_b32 s10, s88, exec_lo
	s_and_not1_b32 s11, s84, exec_lo
	s_or_b32 s85, s9, s10
	s_and_not1_b32 s9, s86, exec_lo
	s_and_b32 s10, s91, exec_lo
	s_and_b32 s12, s89, exec_lo
	s_or_b32 s86, s9, s10
	s_or_b32 s84, s11, s12
	s_and_not1_b32 exec_lo, exec_lo, s65
	s_cbranch_execz .LBB58_239
.LBB58_8:                               ; =>This Loop Header: Depth=1
                                        ;     Child Loop BB58_13 Depth 2
                                        ;     Child Loop BB58_32 Depth 2
	;; [unrolled: 1-line block ×16, first 2 shown]
	ds_load_b64 v[1:2], v7 offset:4096
	s_waitcnt lgkmcnt(0)
	v_readfirstlane_b32 s94, v1
	s_delay_alu instid0(VALU_DEP_1)
	s_cmp_gt_i32 s94, 0
	s_cbranch_scc1 .LBB58_39
; %bb.9:                                ;   in Loop: Header=BB58_8 Depth=1
	s_and_b32 vcc_lo, exec_lo, s70
	s_cbranch_vccz .LBB58_21
; %bb.10:                               ;   in Loop: Header=BB58_8 Depth=1
	v_cmp_gt_i32_e32 vcc_lo, 0x601, v2
	s_mov_b32 s10, 0
	s_mov_b32 s9, 0
	s_cbranch_vccz .LBB58_26
; %bb.11:                               ;   in Loop: Header=BB58_8 Depth=1
	global_load_u16 v1, v7, s[52:53]
	global_load_u16 v4, v[8:9], off
	v_mov_b32_e32 v3, v0
	s_mov_b32 s11, 0
	s_waitcnt vmcnt(1)
	v_add_nc_u32_e32 v2, v0, v1
	s_delay_alu instid0(VALU_DEP_1)
	v_mul_lo_u32 v6, s47, v2
	v_mul_lo_u32 v2, s47, v1
	s_branch .LBB58_13
.LBB58_12:                              ;   in Loop: Header=BB58_13 Depth=2
	s_or_b32 exec_lo, exec_lo, s9
	v_cmp_le_i32_e32 vcc_lo, s44, v3
	v_add_nc_u32_e32 v6, v6, v2
	v_mov_b32_e32 v4, v13
	s_or_b32 s11, vcc_lo, s11
	s_delay_alu instid0(SALU_CYCLE_1)
	s_and_not1_b32 exec_lo, exec_lo, s11
	s_cbranch_execz .LBB58_22
.LBB58_13:                              ;   Parent Loop BB58_8 Depth=1
                                        ; =>  This Inner Loop Header: Depth=2
	s_waitcnt lgkmcnt(0)
	v_dual_mov_b32 v14, 0 :: v_dual_add_nc_u32 v3, v3, v1
	v_mov_b32_e32 v13, 0
	s_mov_b32 s9, exec_lo
	s_delay_alu instid0(VALU_DEP_2)
	v_cmpx_gt_u32_e64 s44, v3
	s_cbranch_execz .LBB58_15
; %bb.14:                               ;   in Loop: Header=BB58_13 Depth=2
	v_lshlrev_b64 v[30:31], 1, v[6:7]
	s_delay_alu instid0(VALU_DEP_1) | instskip(NEXT) | instid1(VALU_DEP_2)
	v_add_co_u32 v30, vcc_lo, s62, v30
	v_add_co_ci_u32_e32 v31, vcc_lo, s63, v31, vcc_lo
	global_load_u16 v13, v[30:31], off
.LBB58_15:                              ;   in Loop: Header=BB58_13 Depth=2
	s_or_b32 exec_lo, exec_lo, s9
	s_waitcnt vmcnt(0)
	v_cmp_lt_i16_e32 vcc_lo, -1, v4
	v_and_b32_e32 v30, 0xffff, v4
	v_cndmask_b32_e32 v31, 0xffff, v28, vcc_lo
	v_cmp_o_f16_e32 vcc_lo, v4, v4
	s_delay_alu instid0(VALU_DEP_2) | instskip(NEXT) | instid1(VALU_DEP_1)
	v_xor_b32_e32 v30, v31, v30
	v_cndmask_b32_e32 v30, 0xffff, v30, vcc_lo
	s_delay_alu instid0(VALU_DEP_1) | instskip(NEXT) | instid1(VALU_DEP_1)
	v_and_b32_e32 v30, s93, v30
	v_cmp_eq_u32_e32 vcc_lo, s92, v30
	s_cmp_lg_u32 vcc_lo, 0
	s_cselect_b32 s9, -1, 0
	s_delay_alu instid0(SALU_CYCLE_1) | instskip(NEXT) | instid1(SALU_CYCLE_1)
	s_and_b32 s9, s1, s9
	s_and_saveexec_b32 s12, s9
	s_cbranch_execz .LBB58_19
; %bb.16:                               ;   in Loop: Header=BB58_13 Depth=2
	s_mov_b32 s15, exec_lo
	s_bcnt1_i32_b32 s13, vcc_lo
	v_mbcnt_lo_u32_b32 v14, s15, 0
	s_mov_b32 s14, exec_lo
                                        ; implicit-def: $vgpr30
	s_delay_alu instid0(VALU_DEP_1)
	v_cmpx_eq_u32_e32 0, v14
	s_cbranch_execz .LBB58_18
; %bb.17:                               ;   in Loop: Header=BB58_13 Depth=2
	s_bcnt1_i32_b32 s9, s15
	s_delay_alu instid0(SALU_CYCLE_1) | instskip(NEXT) | instid1(SALU_CYCLE_1)
	s_mul_i32 s9, s13, s9
	v_mov_b32_e32 v30, s9
	ds_add_rtn_u32 v30, v7, v30 offset:4104
.LBB58_18:                              ;   in Loop: Header=BB58_13 Depth=2
	s_or_b32 exec_lo, exec_lo, s14
	s_waitcnt lgkmcnt(0)
	v_readfirstlane_b32 s9, v30
	s_delay_alu instid0(VALU_DEP_1)
	v_mad_u32_u24 v14, s13, v14, s9
.LBB58_19:                              ;   in Loop: Header=BB58_13 Depth=2
	s_or_b32 exec_lo, exec_lo, s12
	ds_bpermute_b32 v14, v7, v14
	s_and_saveexec_b32 s9, vcc_lo
	s_cbranch_execz .LBB58_12
; %bb.20:                               ;   in Loop: Header=BB58_13 Depth=2
	v_and_b32_e32 v30, vcc_lo, v21
	s_delay_alu instid0(VALU_DEP_1) | instskip(NEXT) | instid1(VALU_DEP_1)
	v_bcnt_u32_b32 v30, v30, 0
	v_lshlrev_b32_e32 v30, 1, v30
	s_waitcnt lgkmcnt(0)
	s_delay_alu instid0(VALU_DEP_1)
	v_lshl_add_u32 v14, v14, 1, v30
	ds_store_b16 v14, v4
	s_branch .LBB58_12
.LBB58_21:                              ;   in Loop: Header=BB58_8 Depth=1
	s_mov_b32 s10, -1
	s_mov_b32 s9, 0
	s_branch .LBB58_25
.LBB58_22:                              ;   in Loop: Header=BB58_8 Depth=1
	s_or_b32 exec_lo, exec_lo, s11
	s_waitcnt lgkmcnt(0)
	s_barrier
	buffer_gl0_inv
	s_and_saveexec_b32 s9, s0
	s_cbranch_execz .LBB58_24
; %bb.23:                               ;   in Loop: Header=BB58_8 Depth=1
	ds_load_b32 v1, v7 offset:4104
	s_waitcnt lgkmcnt(0)
	ds_store_b32 v7, v1 offset:4096
.LBB58_24:                              ;   in Loop: Header=BB58_8 Depth=1
	s_or_b32 exec_lo, exec_lo, s9
	s_waitcnt lgkmcnt(0)
	s_mov_b32 s9, -1
	s_barrier
.LBB58_25:                              ;   in Loop: Header=BB58_8 Depth=1
                                        ; implicit-def: $sgpr94
.LBB58_26:                              ;   in Loop: Header=BB58_8 Depth=1
	s_and_b32 vcc_lo, exec_lo, s10
	s_cbranch_vccz .LBB58_37
; %bb.27:                               ;   in Loop: Header=BB58_8 Depth=1
	v_mov_b32_e32 v1, 0
	s_and_saveexec_b32 s9, s3
	s_cbranch_execz .LBB58_29
; %bb.28:                               ;   in Loop: Header=BB58_8 Depth=1
	global_load_u16 v1, v[8:9], off
.LBB58_29:                              ;   in Loop: Header=BB58_8 Depth=1
	s_or_b32 exec_lo, exec_lo, s9
	s_and_saveexec_b32 s9, s4
	s_cbranch_execz .LBB58_34
; %bb.30:                               ;   in Loop: Header=BB58_8 Depth=1
	global_load_u16 v2, v7, s[52:53]
	v_mov_b32_e32 v14, v0
	s_mov_b32 s10, 0
	v_mov_b32_e32 v13, v17
	s_waitcnt vmcnt(0)
	v_add_nc_u32_e32 v3, v0, v2
	v_lshlrev_b32_e32 v4, 1, v2
	s_delay_alu instid0(VALU_DEP_2)
	v_mul_lo_u32 v6, s47, v3
	v_mul_lo_u32 v3, s47, v2
	s_branch .LBB58_32
	.p2align	6
.LBB58_31:                              ;   in Loop: Header=BB58_32 Depth=2
	s_or_b32 exec_lo, exec_lo, s11
	v_cmp_le_i32_e32 vcc_lo, s44, v14
	ds_store_b16 v13, v1
	v_add_nc_u32_e32 v13, v13, v4
	v_add_nc_u32_e32 v6, v6, v3
	s_waitcnt vmcnt(0)
	v_mov_b32_e32 v1, v30
	s_or_b32 s10, vcc_lo, s10
	s_delay_alu instid0(SALU_CYCLE_1)
	s_and_not1_b32 exec_lo, exec_lo, s10
	s_cbranch_execz .LBB58_34
.LBB58_32:                              ;   Parent Loop BB58_8 Depth=1
                                        ; =>  This Inner Loop Header: Depth=2
	v_add_nc_u32_e32 v14, v14, v2
	v_mov_b32_e32 v30, 0
	s_mov_b32 s11, exec_lo
	s_delay_alu instid0(VALU_DEP_2)
	v_cmpx_gt_u32_e64 s44, v14
	s_cbranch_execz .LBB58_31
; %bb.33:                               ;   in Loop: Header=BB58_32 Depth=2
	v_lshlrev_b64 v[30:31], 1, v[6:7]
	s_delay_alu instid0(VALU_DEP_1) | instskip(NEXT) | instid1(VALU_DEP_2)
	v_add_co_u32 v30, vcc_lo, s62, v30
	v_add_co_ci_u32_e32 v31, vcc_lo, s63, v31, vcc_lo
	global_load_u16 v30, v[30:31], off
	s_branch .LBB58_31
.LBB58_34:                              ;   in Loop: Header=BB58_8 Depth=1
	s_or_b32 exec_lo, exec_lo, s9
	s_waitcnt vmcnt(0) lgkmcnt(0)
	s_barrier
	buffer_gl0_inv
	s_and_saveexec_b32 s9, s0
	s_cbranch_execz .LBB58_36
; %bb.35:                               ;   in Loop: Header=BB58_8 Depth=1
	v_mov_b32_e32 v1, s44
	ds_store_b32 v7, v1 offset:4096
.LBB58_36:                              ;   in Loop: Header=BB58_8 Depth=1
	s_or_b32 exec_lo, exec_lo, s9
	s_mov_b32 s9, -1
	s_waitcnt lgkmcnt(0)
	s_barrier
                                        ; implicit-def: $sgpr94
.LBB58_37:                              ;   in Loop: Header=BB58_8 Depth=1
	s_and_b32 vcc_lo, exec_lo, s9
	s_cbranch_vccz .LBB58_39
; %bb.38:                               ;   in Loop: Header=BB58_8 Depth=1
	buffer_gl0_inv
	ds_load_b32 v1, v7 offset:4096
	s_waitcnt lgkmcnt(0)
	v_readfirstlane_b32 s94, v1
.LBB58_39:                              ;   in Loop: Header=BB58_8 Depth=1
	s_delay_alu instid0(VALU_DEP_1)
	s_cmp_lt_i32 s94, 1
	s_cbranch_scc0 .LBB58_43
; %bb.40:                               ;   in Loop: Header=BB58_8 Depth=1
	v_dual_mov_b32 v1, 0 :: v_dual_mov_b32 v2, 0
	v_dual_mov_b32 v3, 0 :: v_dual_mov_b32 v4, 0
	s_mov_b32 s96, 0
	s_and_saveexec_b32 s95, s5
	s_cbranch_execnz .LBB58_44
; %bb.41:                               ;   in Loop: Header=BB58_8 Depth=1
	s_or_b32 exec_lo, exec_lo, s95
	v_mov_b32_e32 v30, 0
	s_and_saveexec_b32 s9, s6
	s_cbranch_execnz .LBB58_47
.LBB58_42:                              ;   in Loop: Header=BB58_8 Depth=1
	s_or_b32 exec_lo, exec_lo, s9
	s_and_saveexec_b32 s13, s7
	s_cbranch_execnz .LBB58_48
	s_branch .LBB58_53
.LBB58_43:                              ;   in Loop: Header=BB58_8 Depth=1
                                        ; implicit-def: $vgpr4
	s_cbranch_execnz .LBB58_54
	s_branch .LBB58_63
.LBB58_44:                              ;   in Loop: Header=BB58_8 Depth=1
	v_mov_b32_e32 v6, v16
	s_and_b32 s97, s87, 0xfe
	s_mov_b32 s98, 0
	s_mov_b32 s99, 0
	;; [unrolled: 1-line block ×5, first 2 shown]
.LBB58_45:                              ;   Parent Loop BB58_8 Depth=1
                                        ; =>  This Inner Loop Header: Depth=2
	v_add_nc_u32_e32 v1, s98, v24
	v_add_nc_u32_e32 v3, s98, v12
	;; [unrolled: 1-line block ×4, first 2 shown]
	s_add_i32 s98, s98, s80
	v_ashrrev_i32_e32 v2, 31, v1
	v_ashrrev_i32_e32 v4, 31, v3
	;; [unrolled: 1-line block ×4, first 2 shown]
	s_delay_alu instid0(VALU_DEP_4) | instskip(NEXT) | instid1(VALU_DEP_4)
	v_lshlrev_b64 v[1:2], 1, v[1:2]
	v_lshlrev_b64 v[3:4], 1, v[3:4]
	s_delay_alu instid0(VALU_DEP_4) | instskip(NEXT) | instid1(VALU_DEP_4)
	v_lshlrev_b64 v[13:14], 1, v[13:14]
	v_lshlrev_b64 v[30:31], 1, v[30:31]
	s_delay_alu instid0(VALU_DEP_4)
	v_add_co_u32 v1, vcc_lo, s62, v1
	v_add_co_ci_u32_e32 v2, vcc_lo, s63, v2, vcc_lo
	v_add_co_u32 v3, vcc_lo, s62, v3
	v_add_co_ci_u32_e32 v4, vcc_lo, s63, v4, vcc_lo
	;; [unrolled: 2-line block ×4, first 2 shown]
	s_clause 0x3
	global_load_u16 v1, v[1:2], off
	global_load_u16 v2, v[3:4], off
	global_load_u16 v3, v[13:14], off
	global_load_u16 v4, v[30:31], off
	s_waitcnt vmcnt(3)
	v_cmp_lt_i16_e64 s9, -1, v1
	v_and_b32_e32 v13, 0xffff, v1
	s_waitcnt vmcnt(2)
	v_and_b32_e32 v30, 0xffff, v2
	s_waitcnt vmcnt(1)
	v_and_b32_e32 v32, 0xffff, v3
	v_cmp_o_f16_e64 s12, v1, v1
	v_cndmask_b32_e64 v14, 0xffff, v28, s9
	v_cmp_lt_i16_e64 s9, -1, v2
	s_waitcnt vmcnt(0)
	v_and_b32_e32 v34, 0xffff, v4
	v_cmp_o_f16_e64 s10, v3, v3
	v_cmp_o_f16_e64 s11, v4, v4
	v_xor_b32_e32 v13, v14, v13
	v_cndmask_b32_e64 v31, 0xffff, v28, s9
	v_cmp_lt_i16_e64 s9, -1, v3
	s_delay_alu instid0(VALU_DEP_3) | instskip(NEXT) | instid1(VALU_DEP_3)
	v_cndmask_b32_e64 v1, 0xffff, v13, s12
	v_xor_b32_e32 v14, v31, v30
	s_delay_alu instid0(VALU_DEP_3) | instskip(SKIP_1) | instid1(VALU_DEP_4)
	v_cndmask_b32_e64 v33, 0xffff, v28, s9
	v_cmp_lt_i16_e64 s9, -1, v4
	v_and_b32_e32 v13, s93, v1
	v_bfe_u32 v1, v1, s97, 2
	s_delay_alu instid0(VALU_DEP_3) | instskip(SKIP_2) | instid1(VALU_DEP_4)
	v_cndmask_b32_e64 v35, 0xffff, v28, s9
	v_cmp_o_f16_e64 s9, v2, v2
	v_xor_b32_e32 v2, v33, v32
	v_cmp_eq_u32_e64 s13, 0, v1
	v_cmp_eq_u32_e64 s17, 1, v1
	v_xor_b32_e32 v3, v35, v34
	v_cndmask_b32_e64 v4, 0xffff, v14, s9
	v_cndmask_b32_e64 v2, 0xffff, v2, s10
	v_cmp_eq_u32_e64 s9, s92, v13
	v_cmp_eq_u32_e64 s21, 2, v1
	v_cndmask_b32_e64 v3, 0xffff, v3, s11
	v_and_b32_e32 v14, s93, v4
	v_bfe_u32 v4, v4, s97, 2
	v_and_b32_e32 v30, s93, v2
	v_bfe_u32 v2, v2, s97, 2
	;; [unrolled: 2-line block ×3, first 2 shown]
	v_cmp_eq_u32_e64 s10, s92, v14
	v_cmp_eq_u32_e64 s14, 0, v4
	v_cmp_eq_u32_e64 s11, s92, v30
	v_cmp_eq_u32_e64 s15, 0, v2
	s_and_b32 s13, s9, s13
	v_cmp_eq_u32_e64 s12, s92, v31
	v_cmp_eq_u32_e64 s16, 0, v3
	;; [unrolled: 1-line block ×3, first 2 shown]
	v_cndmask_b32_e64 v1, 0, 1, s13
	s_and_b32 s13, s10, s14
	v_cmp_eq_u32_e64 s19, 1, v2
	v_cmp_eq_u32_e64 s23, 2, v2
	;; [unrolled: 1-line block ×3, first 2 shown]
	v_cndmask_b32_e64 v2, 0, 1, s13
	s_and_b32 s13, s11, s15
	v_cmp_eq_u32_e64 s18, 1, v4
	v_cmp_eq_u32_e64 s20, 1, v3
	;; [unrolled: 1-line block ×4, first 2 shown]
	v_cndmask_b32_e64 v3, 0, 1, s13
	s_and_b32 s13, s12, s16
	v_cmp_eq_u32_e64 s22, 2, v4
	v_cmp_eq_u32_e64 s26, 3, v4
	v_cndmask_b32_e64 v4, 0, 1, s13
	s_and_b32 s13, s9, s17
	s_delay_alu instid0(SALU_CYCLE_1) | instskip(SKIP_1) | instid1(SALU_CYCLE_1)
	v_cndmask_b32_e64 v13, 0, 1, s13
	s_and_b32 s13, s10, s18
	v_cndmask_b32_e64 v14, 0, 1, s13
	s_and_b32 s13, s11, s19
	s_delay_alu instid0(SALU_CYCLE_1) | instskip(SKIP_1) | instid1(VALU_DEP_2)
	v_cndmask_b32_e64 v30, 0, 1, s13
	s_and_b32 s13, s12, s20
	v_cmp_ne_u32_e64 s14, 0, v14
	v_cndmask_b32_e64 v31, 0, 1, s13
	s_and_b32 s13, s9, s21
	s_and_b32 s9, s9, s25
	v_cndmask_b32_e64 v32, 0, 1, s13
	s_and_b32 s13, s10, s22
	v_cndmask_b32_e64 v36, 0, 1, s9
	;; [unrolled: 2-line block ×7, first 2 shown]
	v_cndmask_b32_e64 v39, 0, 1, s9
	v_cmp_ne_u32_e64 s9, 0, v1
	v_cmp_ne_u32_e64 s13, 0, v13
	;; [unrolled: 1-line block ×8, first 2 shown]
	s_bcnt1_i32_b32 s9, s9
	s_bcnt1_i32_b32 s13, s13
	;; [unrolled: 1-line block ×3, first 2 shown]
	v_cmp_ne_u32_e64 s20, 0, v35
	v_cmp_ne_u32_e64 s22, 0, v37
	s_bcnt1_i32_b32 s10, s10
	s_bcnt1_i32_b32 s14, s14
	s_bcnt1_i32_b32 s18, s18
	s_add_i32 s9, s9, s102
	s_add_i32 s13, s13, s101
	;; [unrolled: 1-line block ×3, first 2 shown]
	v_cmp_ne_u32_e64 s15, 0, v30
	v_cmp_ne_u32_e64 s23, 0, v38
	s_bcnt1_i32_b32 s11, s11
	s_bcnt1_i32_b32 s19, s19
	s_add_i32 s9, s9, s10
	s_add_i32 s10, s13, s14
	;; [unrolled: 1-line block ×3, first 2 shown]
	s_bcnt1_i32_b32 s21, s21
	v_cmp_ne_u32_e64 s12, 0, v4
	v_cmp_ne_u32_e64 s16, 0, v31
	;; [unrolled: 1-line block ×3, first 2 shown]
	s_bcnt1_i32_b32 s20, s20
	s_add_i32 s9, s9, s11
	s_add_i32 s11, s13, s19
	s_bcnt1_i32_b32 s22, s22
	s_add_i32 s21, s21, s99
	s_add_i32 s100, s11, s20
	s_delay_alu instid0(SALU_CYCLE_1)
	v_dual_mov_b32 v3, s100 :: v_dual_add_nc_u32 v6, s66, v6
	s_bcnt1_i32_b32 s15, s15
	s_bcnt1_i32_b32 s23, s23
	s_add_i32 s14, s21, s22
	s_bcnt1_i32_b32 s12, s12
	s_bcnt1_i32_b32 s16, s16
	;; [unrolled: 1-line block ×3, first 2 shown]
	s_add_i32 s10, s10, s15
	s_add_i32 s13, s14, s23
	v_cmp_le_i32_e32 vcc_lo, s77, v6
	s_add_i32 s102, s9, s12
	s_add_i32 s101, s10, s16
	;; [unrolled: 1-line block ×3, first 2 shown]
	v_dual_mov_b32 v1, s102 :: v_dual_mov_b32 v2, s101
	v_mov_b32_e32 v4, s99
	s_or_b32 s96, vcc_lo, s96
	s_delay_alu instid0(SALU_CYCLE_1)
	s_and_not1_b32 exec_lo, exec_lo, s96
	s_cbranch_execnz .LBB58_45
; %bb.46:                               ;   in Loop: Header=BB58_8 Depth=1
	s_or_b32 exec_lo, exec_lo, s96
	s_delay_alu instid0(SALU_CYCLE_1)
	s_or_b32 exec_lo, exec_lo, s95
	v_mov_b32_e32 v30, 0
	s_and_saveexec_b32 s9, s6
	s_cbranch_execz .LBB58_42
.LBB58_47:                              ;   in Loop: Header=BB58_8 Depth=1
	global_load_u16 v30, v[10:11], off
	s_or_b32 exec_lo, exec_lo, s9
	s_and_saveexec_b32 s13, s7
	s_cbranch_execz .LBB58_53
.LBB58_48:                              ;   in Loop: Header=BB58_8 Depth=1
	v_dual_mov_b32 v13, v25 :: v_dual_mov_b32 v6, v19
	s_and_b32 s15, s87, 0xfe
	s_mov_b32 s14, 0
	s_branch .LBB58_50
.LBB58_49:                              ;   in Loop: Header=BB58_50 Depth=2
	s_or_b32 exec_lo, exec_lo, s9
	s_waitcnt vmcnt(0)
	v_cmp_lt_i16_e32 vcc_lo, -1, v30
	v_and_b32_e32 v31, 0xffff, v30
	v_add_nc_u32_e32 v13, s67, v13
	v_cndmask_b32_e32 v32, 0xffff, v28, vcc_lo
	v_cmp_o_f16_e32 vcc_lo, v30, v30
	s_delay_alu instid0(VALU_DEP_2) | instskip(NEXT) | instid1(VALU_DEP_1)
	v_xor_b32_e32 v31, v32, v31
	v_cndmask_b32_e32 v30, 0xffff, v31, vcc_lo
	s_delay_alu instid0(VALU_DEP_1) | instskip(SKIP_1) | instid1(VALU_DEP_2)
	v_and_b32_e32 v31, s93, v30
	v_bfe_u32 v30, v30, s15, 2
	v_cmp_eq_u32_e32 vcc_lo, s92, v31
	s_delay_alu instid0(VALU_DEP_2) | instskip(SKIP_3) | instid1(VALU_DEP_4)
	v_cmp_eq_u32_e64 s9, 0, v30
	v_cmp_eq_u32_e64 s10, 1, v30
	;; [unrolled: 1-line block ×4, first 2 shown]
	s_and_b32 s9, vcc_lo, s9
	s_delay_alu instid0(SALU_CYCLE_1) | instskip(SKIP_1) | instid1(SALU_CYCLE_1)
	v_cndmask_b32_e64 v30, 0, 1, s9
	s_and_b32 s9, vcc_lo, s10
	v_cndmask_b32_e64 v31, 0, 1, s9
	s_and_b32 s9, vcc_lo, s11
	s_delay_alu instid0(SALU_CYCLE_1)
	v_cndmask_b32_e64 v32, 0, 1, s9
	s_and_b32 s9, vcc_lo, s12
	v_cmp_ne_u32_e32 vcc_lo, 0, v30
	v_mov_b32_e32 v30, v14
	v_cndmask_b32_e64 v33, 0, 1, s9
	v_cmp_ne_u32_e64 s9, 0, v31
	v_cmp_ne_u32_e64 s10, 0, v32
	v_cmp_le_i32_e64 s12, s44, v6
	s_bcnt1_i32_b32 s16, vcc_lo
	v_cmp_ne_u32_e64 s11, 0, v33
	s_bcnt1_i32_b32 s9, s9
	s_bcnt1_i32_b32 s10, s10
	v_add_nc_u32_e32 v1, s16, v1
	v_add_nc_u32_e32 v2, s9, v2
	s_bcnt1_i32_b32 s11, s11
	v_add_nc_u32_e32 v3, s10, v3
	v_add_nc_u32_e32 v4, s11, v4
	s_or_b32 s14, s12, s14
	s_delay_alu instid0(SALU_CYCLE_1)
	s_and_not1_b32 exec_lo, exec_lo, s14
	s_cbranch_execz .LBB58_52
.LBB58_50:                              ;   Parent Loop BB58_8 Depth=1
                                        ; =>  This Inner Loop Header: Depth=2
	s_delay_alu instid0(VALU_DEP_1) | instskip(SKIP_2) | instid1(VALU_DEP_2)
	v_add_nc_u32_e32 v6, s64, v6
	v_mov_b32_e32 v14, 0
	s_mov_b32 s9, exec_lo
	v_cmpx_gt_u32_e64 s44, v6
	s_cbranch_execz .LBB58_49
; %bb.51:                               ;   in Loop: Header=BB58_50 Depth=2
	v_ashrrev_i32_e32 v14, 31, v13
	s_delay_alu instid0(VALU_DEP_1) | instskip(NEXT) | instid1(VALU_DEP_1)
	v_lshlrev_b64 v[31:32], 1, v[13:14]
	v_add_co_u32 v31, vcc_lo, s62, v31
	s_delay_alu instid0(VALU_DEP_2)
	v_add_co_ci_u32_e32 v32, vcc_lo, s63, v32, vcc_lo
	global_load_u16 v14, v[31:32], off
	s_branch .LBB58_49
.LBB58_52:                              ;   in Loop: Header=BB58_8 Depth=1
	s_or_b32 exec_lo, exec_lo, s14
.LBB58_53:                              ;   in Loop: Header=BB58_8 Depth=1
	s_delay_alu instid0(SALU_CYCLE_1)
	s_or_b32 exec_lo, exec_lo, s13
	s_branch .LBB58_63
.LBB58_54:                              ;   in Loop: Header=BB58_8 Depth=1
	s_mul_hi_u32 s9, s94, s76
	v_dual_mov_b32 v1, 0 :: v_dual_mov_b32 v2, 0
	s_mul_i32 s9, s9, s66
	v_dual_mov_b32 v3, 0 :: v_dual_mov_b32 v4, 0
	s_sub_i32 s9, s94, s9
	s_mov_b32 s25, 0
	s_sub_i32 s10, s9, s66
	s_cmp_ge_u32 s9, s66
	s_mov_b32 s24, exec_lo
	s_cselect_b32 s9, s10, s9
	s_delay_alu instid0(SALU_CYCLE_1) | instskip(SKIP_2) | instid1(SALU_CYCLE_1)
	s_sub_i32 s10, s9, s66
	s_cmp_ge_u32 s9, s66
	s_cselect_b32 s9, s10, s9
	s_sub_i32 s23, s94, s9
	s_delay_alu instid0(SALU_CYCLE_1)
	v_cmpx_gt_u32_e64 s23, v16
	s_cbranch_execz .LBB58_58
; %bb.55:                               ;   in Loop: Header=BB58_8 Depth=1
	v_dual_mov_b32 v6, v26 :: v_dual_mov_b32 v13, v16
	s_and_b32 s26, s87, 0xfe
	s_mov_b32 s27, 0
	s_mov_b32 s28, 0
	s_mov_b32 s95, 0
	s_mov_b32 s96, 0
.LBB58_56:                              ;   Parent Loop BB58_8 Depth=1
                                        ; =>  This Inner Loop Header: Depth=2
	ds_load_b64 v[1:2], v6
	s_waitcnt lgkmcnt(0)
	v_cmp_lt_i16_e64 s9, -1, v1
	v_lshrrev_b32_e32 v3, 16, v1
	v_lshrrev_b32_e32 v32, 16, v2
	v_and_b32_e32 v4, 0xffff, v1
	s_waitcnt vmcnt(0)
	v_and_b32_e32 v30, 0xffff, v2
	v_cndmask_b32_e64 v14, 0xffff, v28, s9
	v_cmp_lt_i16_e64 s9, -1, v2
	v_cmp_lt_i16_e64 s10, -1, v32
	s_delay_alu instid0(VALU_DEP_3) | instskip(NEXT) | instid1(VALU_DEP_3)
	v_xor_b32_e32 v4, v14, v4
	v_cndmask_b32_e64 v31, 0xffff, v28, s9
	v_cmp_lt_i16_e64 s9, -1, v3
	s_delay_alu instid0(VALU_DEP_2) | instskip(NEXT) | instid1(VALU_DEP_2)
	v_xor_b32_e32 v30, v31, v30
	v_cndmask_b32_e64 v14, 0xffff, v28, s9
	v_cmp_o_f16_e64 s9, v2, v2
	v_cndmask_b32_e64 v2, 0xffff, v28, s10
	v_cmp_o_f16_e64 s10, v1, v1
	s_delay_alu instid0(VALU_DEP_2) | instskip(NEXT) | instid1(VALU_DEP_2)
	v_xor_b32_e32 v2, v2, v32
	v_cndmask_b32_e64 v1, 0xffff, v4, s10
	v_xor_b32_e32 v4, v14, v3
	v_cmp_o_f16_e64 s10, v3, v3
	v_cndmask_b32_e64 v14, 0xffff, v30, s9
	v_cmp_o_f16_e64 s9, v32, v32
	s_delay_alu instid0(VALU_DEP_3)
	v_cndmask_b32_e64 v3, 0xffff, v4, s10
	v_and_b32_e32 v4, s93, v1
	v_bfe_u32 v1, v1, s26, 2
	v_and_b32_e32 v30, s93, v14
	v_bfe_u32 v14, v14, s26, 2
	v_cndmask_b32_e64 v2, 0xffff, v2, s9
	v_cmp_eq_u32_e64 s9, s92, v4
	v_cmp_eq_u32_e64 s11, 0, v1
	;; [unrolled: 1-line block ×4, first 2 shown]
	v_and_b32_e32 v4, s93, v3
	v_and_b32_e32 v30, s93, v2
	v_bfe_u32 v3, v3, s26, 2
	v_bfe_u32 v2, v2, s26, 2
	v_cmp_eq_u32_e64 s13, 1, v1
	v_cmp_eq_u32_e64 s15, 2, v1
	s_and_b32 s11, s9, s11
	v_cmp_eq_u32_e64 s14, 1, v14
	v_cmp_eq_u32_e64 s16, 2, v14
	;; [unrolled: 1-line block ×3, first 2 shown]
	v_cndmask_b32_e64 v1, 0, 1, s11
	s_and_b32 s11, s10, s12
	v_cmp_eq_u32_e64 s18, 3, v14
	v_cmp_eq_u32_e64 s19, s92, v4
	;; [unrolled: 1-line block ×5, first 2 shown]
	v_cndmask_b32_e64 v4, 0, 1, s11
	v_cmp_eq_u32_e64 s11, 1, v3
	s_and_b32 s13, s9, s13
	s_and_b32 s15, s9, s15
	v_cndmask_b32_e64 v14, 0, 1, s13
	s_and_b32 s13, s10, s14
	v_cndmask_b32_e64 v31, 0, 1, s15
	s_and_b32 s15, s10, s16
	s_and_b32 s9, s9, s17
	v_cmp_eq_u32_e64 s12, 1, v2
	v_cndmask_b32_e64 v30, 0, 1, s13
	v_cmp_eq_u32_e64 s13, 2, v3
	v_cmp_eq_u32_e64 s14, 2, v2
	v_cndmask_b32_e64 v32, 0, 1, s15
	v_cmp_eq_u32_e64 s15, 3, v3
	v_cmp_eq_u32_e64 s16, 3, v2
	v_cndmask_b32_e64 v2, 0, 1, s9
	s_and_b32 s9, s10, s18
	s_and_b32 s10, s19, s21
	;; [unrolled: 1-line block ×4, first 2 shown]
	v_cndmask_b32_e64 v3, 0, 1, s9
	v_cmp_ne_u32_e64 s9, 0, v1
	v_cndmask_b32_e64 v1, 0, 1, s10
	v_cmp_ne_u32_e64 s10, 0, v4
	;; [unrolled: 2-line block ×3, first 2 shown]
	v_cndmask_b32_e64 v14, 0, 1, s11
	s_and_b32 s12, s20, s12
	s_and_b32 s13, s19, s13
	;; [unrolled: 1-line block ×5, first 2 shown]
	v_cmp_ne_u32_e64 s11, 0, v30
	v_cndmask_b32_e64 v30, 0, 1, s12
	v_cmp_ne_u32_e64 s12, 0, v31
	v_cndmask_b32_e64 v31, 0, 1, s13
	;; [unrolled: 2-line block ×5, first 2 shown]
	v_cmp_ne_u32_e64 s16, 0, v14
	s_bcnt1_i32_b32 s17, s17
	s_bcnt1_i32_b32 s20, s11
	v_cmp_ne_u32_e64 s11, 0, v30
	s_bcnt1_i32_b32 s18, s9
	v_cmp_ne_u32_e64 s9, 0, v1
	;; [unrolled: 2-line block ×4, first 2 shown]
	s_add_i32 s17, s17, s95
	s_bcnt1_i32_b32 s16, s16
	s_bcnt1_i32_b32 s19, s10
	s_add_i32 s16, s17, s16
	v_cmp_ne_u32_e64 s10, 0, v4
	s_bcnt1_i32_b32 s22, s13
	v_cmp_ne_u32_e64 s13, 0, v32
	s_bcnt1_i32_b32 s98, s15
	;; [unrolled: 2-line block ×3, first 2 shown]
	s_add_i32 s16, s16, s20
	s_add_i32 s18, s18, s96
	;; [unrolled: 1-line block ×4, first 2 shown]
	s_bcnt1_i32_b32 s9, s9
	s_bcnt1_i32_b32 s12, s12
	;; [unrolled: 1-line block ×3, first 2 shown]
	s_add_i32 s95, s16, s11
	s_delay_alu instid0(SALU_CYCLE_1)
	v_dual_mov_b32 v2, s95 :: v_dual_add_nc_u32 v13, s66, v13
	s_add_i32 s9, s18, s9
	s_add_i32 s12, s21, s12
	;; [unrolled: 1-line block ×3, first 2 shown]
	s_bcnt1_i32_b32 s10, s10
	s_bcnt1_i32_b32 s13, s13
	;; [unrolled: 1-line block ×3, first 2 shown]
	s_add_i32 s9, s9, s19
	s_add_i32 s12, s12, s22
	s_add_i32 s14, s14, s98
	v_cmp_le_i32_e32 vcc_lo, s23, v13
	s_add_i32 s96, s9, s10
	s_add_i32 s28, s12, s13
	;; [unrolled: 1-line block ×3, first 2 shown]
	v_dual_mov_b32 v1, s96 :: v_dual_add_nc_u32 v6, s81, v6
	v_dual_mov_b32 v3, s28 :: v_dual_mov_b32 v4, s27
	s_or_b32 s25, vcc_lo, s25
	s_delay_alu instid0(SALU_CYCLE_1)
	s_and_not1_b32 exec_lo, exec_lo, s25
	s_cbranch_execnz .LBB58_56
; %bb.57:                               ;   in Loop: Header=BB58_8 Depth=1
	s_or_b32 exec_lo, exec_lo, s25
.LBB58_58:                              ;   in Loop: Header=BB58_8 Depth=1
	s_delay_alu instid0(SALU_CYCLE_1) | instskip(SKIP_2) | instid1(VALU_DEP_1)
	s_or_b32 exec_lo, exec_lo, s24
	v_add_nc_u32_e32 v6, s23, v0
	s_mov_b32 s14, exec_lo
	v_cmpx_gt_i32_e64 s94, v6
	s_cbranch_execz .LBB58_62
; %bb.59:                               ;   in Loop: Header=BB58_8 Depth=1
	v_lshlrev_b32_e32 v13, 1, v6
	s_and_b32 s16, s87, 0xfe
	s_mov_b32 s15, 0
.LBB58_60:                              ;   Parent Loop BB58_8 Depth=1
                                        ; =>  This Inner Loop Header: Depth=2
	ds_load_u16 v14, v13
	v_add_nc_u32_e32 v6, s64, v6
	v_add_nc_u32_e32 v13, s82, v13
	s_delay_alu instid0(VALU_DEP_2) | instskip(SKIP_4) | instid1(VALU_DEP_2)
	v_cmp_le_i32_e32 vcc_lo, s94, v6
	s_waitcnt lgkmcnt(0)
	v_cmp_lt_i16_e64 s9, -1, v14
	s_waitcnt vmcnt(0)
	v_and_b32_e32 v30, 0xffff, v14
	v_cndmask_b32_e64 v31, 0xffff, v28, s9
	v_cmp_o_f16_e64 s9, v14, v14
	s_delay_alu instid0(VALU_DEP_2) | instskip(NEXT) | instid1(VALU_DEP_1)
	v_xor_b32_e32 v30, v31, v30
	v_cndmask_b32_e64 v14, 0xffff, v30, s9
	s_delay_alu instid0(VALU_DEP_1) | instskip(SKIP_1) | instid1(VALU_DEP_2)
	v_and_b32_e32 v30, s93, v14
	v_bfe_u32 v14, v14, s16, 2
	v_cmp_eq_u32_e64 s9, s92, v30
	s_delay_alu instid0(VALU_DEP_2) | instskip(SKIP_3) | instid1(VALU_DEP_4)
	v_cmp_eq_u32_e64 s10, 0, v14
	v_cmp_eq_u32_e64 s11, 1, v14
	;; [unrolled: 1-line block ×4, first 2 shown]
	s_and_b32 s10, s9, s10
	s_delay_alu instid0(SALU_CYCLE_1) | instskip(SKIP_1) | instid1(SALU_CYCLE_1)
	v_cndmask_b32_e64 v14, 0, 1, s10
	s_and_b32 s10, s9, s11
	v_cndmask_b32_e64 v30, 0, 1, s10
	s_and_b32 s10, s9, s12
	s_and_b32 s9, s9, s13
	v_cndmask_b32_e64 v31, 0, 1, s10
	v_cndmask_b32_e64 v32, 0, 1, s9
	v_cmp_ne_u32_e64 s9, 0, v14
	v_cmp_ne_u32_e64 s10, 0, v30
	s_delay_alu instid0(VALU_DEP_4) | instskip(NEXT) | instid1(VALU_DEP_4)
	v_cmp_ne_u32_e64 s11, 0, v31
	v_cmp_ne_u32_e64 s12, 0, v32
	s_delay_alu instid0(VALU_DEP_4) | instskip(NEXT) | instid1(VALU_DEP_3)
	s_bcnt1_i32_b32 s9, s9
	s_bcnt1_i32_b32 s10, s10
	v_add_nc_u32_e32 v1, s9, v1
	s_bcnt1_i32_b32 s11, s11
	s_bcnt1_i32_b32 s12, s12
	v_add_nc_u32_e32 v2, s10, v2
	v_add_nc_u32_e32 v3, s11, v3
	;; [unrolled: 1-line block ×3, first 2 shown]
	s_or_b32 s15, vcc_lo, s15
	s_delay_alu instid0(SALU_CYCLE_1)
	s_and_not1_b32 exec_lo, exec_lo, s15
	s_cbranch_execnz .LBB58_60
; %bb.61:                               ;   in Loop: Header=BB58_8 Depth=1
	s_or_b32 exec_lo, exec_lo, s15
.LBB58_62:                              ;   in Loop: Header=BB58_8 Depth=1
	s_delay_alu instid0(SALU_CYCLE_1)
	s_or_b32 exec_lo, exec_lo, s14
.LBB58_63:                              ;   in Loop: Header=BB58_8 Depth=1
	s_lshl_b32 s9, s90, 7
	s_and_saveexec_b32 s10, s1
	s_cbranch_execz .LBB58_65
; %bb.64:                               ;   in Loop: Header=BB58_8 Depth=1
	v_or_b32_e32 v6, s9, v20
	s_delay_alu instid0(VALU_DEP_1)
	v_lshlrev_b32_e32 v6, 2, v6
	ds_store_b128 v6, v[1:4] offset:3072
.LBB58_65:                              ;   in Loop: Header=BB58_8 Depth=1
	s_or_b32 exec_lo, exec_lo, s10
	s_waitcnt vmcnt(0) lgkmcnt(0)
	s_barrier
	buffer_gl0_inv
	s_and_saveexec_b32 s10, s69
	s_cbranch_execz .LBB58_75
; %bb.66:                               ;   in Loop: Header=BB58_8 Depth=1
	v_mov_b32_e32 v1, 0
	s_and_not1_b32 vcc_lo, exec_lo, s71
	s_cbranch_vccnz .LBB58_74
; %bb.67:                               ;   in Loop: Header=BB58_8 Depth=1
	v_mov_b32_e32 v1, 0
	s_and_not1_b32 vcc_lo, exec_lo, s73
	s_mov_b32 s11, 0
	s_cbranch_vccnz .LBB58_71
; %bb.68:                               ;   in Loop: Header=BB58_8 Depth=1
	v_lshl_add_u32 v2, s90, 9, v27
	v_mov_b32_e32 v1, 0
	.p2align	6
.LBB58_69:                              ;   Parent Loop BB58_8 Depth=1
                                        ; =>  This Inner Loop Header: Depth=2
	ds_load_2addr_b32 v[3:4], v2 offset1:4
	ds_load_2addr_b32 v[13:14], v2 offset0:8 offset1:12
	ds_load_2addr_b32 v[30:31], v2 offset0:16 offset1:20
	;; [unrolled: 1-line block ×3, first 2 shown]
	v_add_nc_u32_e32 v2, 0x80, v2
	s_add_i32 s11, s11, 8
	s_delay_alu instid0(SALU_CYCLE_1) | instskip(SKIP_3) | instid1(VALU_DEP_1)
	s_cmp_eq_u32 s74, s11
	s_waitcnt lgkmcnt(3)
	v_add3_u32 v1, v3, v1, v4
	s_waitcnt lgkmcnt(2)
	v_add3_u32 v1, v13, v1, v14
	s_waitcnt lgkmcnt(1)
	s_delay_alu instid0(VALU_DEP_1) | instskip(SKIP_1) | instid1(VALU_DEP_1)
	v_add3_u32 v1, v30, v1, v31
	s_waitcnt lgkmcnt(0)
	v_add3_u32 v1, v32, v1, v33
	s_cbranch_scc0 .LBB58_69
; %bb.70:                               ;   in Loop: Header=BB58_8 Depth=1
	s_mov_b32 s11, s74
.LBB58_71:                              ;   in Loop: Header=BB58_8 Depth=1
	s_and_not1_b32 vcc_lo, exec_lo, s75
	s_cbranch_vccnz .LBB58_74
; %bb.72:                               ;   in Loop: Header=BB58_8 Depth=1
	s_lshl_b32 s12, s90, 9
	s_lshl_b32 s11, s11, 4
	s_delay_alu instid0(SALU_CYCLE_1)
	v_add3_u32 v2, s12, s11, v27
	s_mov_b32 s11, s72
.LBB58_73:                              ;   Parent Loop BB58_8 Depth=1
                                        ; =>  This Inner Loop Header: Depth=2
	ds_load_b32 v3, v2
	v_add_nc_u32_e32 v2, 16, v2
	s_add_i32 s11, s11, -1
	s_delay_alu instid0(SALU_CYCLE_1)
	s_cmp_lg_u32 s11, 0
	s_waitcnt lgkmcnt(0)
	v_add_nc_u32_e32 v1, v3, v1
	s_cbranch_scc1 .LBB58_73
.LBB58_74:                              ;   in Loop: Header=BB58_8 Depth=1
	v_add_lshl_u32 v2, s9, v15, 2
	ds_store_b32 v2, v1 offset:3072
.LBB58_75:                              ;   in Loop: Header=BB58_8 Depth=1
	s_or_b32 exec_lo, exec_lo, s10
	s_lshl_b32 s9, s9, 2
	s_waitcnt lgkmcnt(0)
	v_mov_b32_e32 v1, s9
	s_barrier
	buffer_gl0_inv
	s_and_b32 s18, s87, 0xfe
	s_mov_b32 s14, -1
	ds_load_b128 v[1:4], v1 offset:3072
	s_lshl_b32 s11, 3, s18
	s_delay_alu instid0(SALU_CYCLE_1) | instskip(SKIP_4) | instid1(VALU_DEP_3)
	s_not_b32 s19, s11
	s_waitcnt lgkmcnt(0)
	v_readfirstlane_b32 s13, v1
	v_readfirstlane_b32 s21, v2
	;; [unrolled: 1-line block ×3, first 2 shown]
	s_cmp_eq_u32 s13, 1
	s_cselect_b32 s9, -1, 0
	s_cmp_eq_u32 s45, 1
	s_cselect_b32 s10, -1, 0
	s_delay_alu instid0(SALU_CYCLE_1)
	s_and_b32 s15, s9, s10
	v_readfirstlane_b32 s10, v4
	s_and_b32 vcc_lo, exec_lo, s15
	s_cbranch_vccz .LBB58_87
; %bb.76:                               ;   in Loop: Header=BB58_8 Depth=1
	ds_load_b32 v1, v7 offset:4096
	s_waitcnt lgkmcnt(0)
	s_barrier
	buffer_gl0_inv
	v_readfirstlane_b32 s12, v1
	s_and_saveexec_b32 s9, s2
	s_cbranch_execz .LBB58_78
; %bb.77:                               ;   in Loop: Header=BB58_8 Depth=1
	ds_store_b16 v18, v7
.LBB58_78:                              ;   in Loop: Header=BB58_8 Depth=1
	s_or_b32 exec_lo, exec_lo, s9
	s_and_b32 s92, s92, s19
	s_or_b32 s93, s93, s11
	s_cmp_lt_i32 s12, 1
	s_waitcnt lgkmcnt(0)
	s_barrier
	buffer_gl0_inv
	s_cbranch_scc0 .LBB58_88
; %bb.79:                               ;   in Loop: Header=BB58_8 Depth=1
	s_mov_b32 s9, 0
                                        ; implicit-def: $vgpr29
	s_and_saveexec_b32 s17, s8
	s_cbranch_execz .LBB58_90
; %bb.80:                               ;   in Loop: Header=BB58_8 Depth=1
	v_mov_b32_e32 v1, v5
	v_mov_b32_e32 v3, v0
	s_mov_b32 s20, 0
                                        ; implicit-def: $sgpr22
	s_branch .LBB58_82
.LBB58_81:                              ;   in Loop: Header=BB58_82 Depth=2
	s_or_b32 exec_lo, exec_lo, s9
	s_waitcnt vmcnt(0) lgkmcnt(0)
	s_barrier
	buffer_gl0_inv
	ds_load_b32 v2, v7 offset:3072
	v_add_nc_u32_e32 v3, s64, v3
	v_add_nc_u32_e32 v1, s67, v1
	s_waitcnt lgkmcnt(0)
	s_barrier
	buffer_gl0_inv
	v_cmp_le_i32_e32 vcc_lo, s79, v3
	v_cmp_neq_f16_e64 s9, 0, v2
	s_delay_alu instid0(VALU_DEP_1) | instskip(NEXT) | instid1(SALU_CYCLE_1)
	s_or_b32 s23, vcc_lo, s9
	s_and_b32 s23, exec_lo, s23
	s_delay_alu instid0(SALU_CYCLE_1) | instskip(SKIP_2) | instid1(SALU_CYCLE_1)
	s_or_b32 s20, s23, s20
	s_and_not1_b32 s22, s22, exec_lo
	s_and_b32 s9, s9, exec_lo
	s_or_b32 s22, s22, s9
	s_and_not1_b32 exec_lo, exec_lo, s20
	s_cbranch_execz .LBB58_89
.LBB58_82:                              ;   Parent Loop BB58_8 Depth=1
                                        ; =>  This Inner Loop Header: Depth=2
	s_delay_alu instid0(VALU_DEP_1)
	v_cmp_gt_i32_e32 vcc_lo, s44, v3
	v_mov_b32_e32 v2, 0
	s_and_saveexec_b32 s23, vcc_lo
	s_cbranch_execz .LBB58_84
; %bb.83:                               ;   in Loop: Header=BB58_82 Depth=2
	v_ashrrev_i32_e32 v2, 31, v1
	s_delay_alu instid0(VALU_DEP_1) | instskip(NEXT) | instid1(VALU_DEP_1)
	v_lshlrev_b64 v[13:14], 1, v[1:2]
	v_add_co_u32 v13, s9, s62, v13
	s_delay_alu instid0(VALU_DEP_1)
	v_add_co_ci_u32_e64 v14, s9, s63, v14, s9
	global_load_u16 v2, v[13:14], off
.LBB58_84:                              ;   in Loop: Header=BB58_82 Depth=2
	s_or_b32 exec_lo, exec_lo, s23
	s_and_saveexec_b32 s9, vcc_lo
	s_cbranch_execz .LBB58_81
; %bb.85:                               ;   in Loop: Header=BB58_82 Depth=2
	s_waitcnt vmcnt(0)
	v_cmp_lt_i16_e32 vcc_lo, -1, v2
	v_and_b32_e32 v4, 0xffff, v2
	v_cndmask_b32_e32 v6, 0xffff, v28, vcc_lo
	v_cmp_o_f16_e32 vcc_lo, v2, v2
	s_delay_alu instid0(VALU_DEP_2) | instskip(NEXT) | instid1(VALU_DEP_1)
	v_xor_b32_e32 v4, v6, v4
	v_cndmask_b32_e32 v4, 0xffff, v4, vcc_lo
	s_delay_alu instid0(VALU_DEP_1) | instskip(NEXT) | instid1(VALU_DEP_1)
	v_and_b32_e32 v4, s93, v4
	v_cmp_eq_u32_e32 vcc_lo, s92, v4
	s_and_b32 exec_lo, exec_lo, vcc_lo
	s_cbranch_execz .LBB58_81
; %bb.86:                               ;   in Loop: Header=BB58_82 Depth=2
	v_perm_b32 v2, v2, s83, 0x5040100
	ds_store_b32 v7, v2 offset:3072
	s_branch .LBB58_81
.LBB58_87:                              ;   in Loop: Header=BB58_8 Depth=1
	s_mov_b32 s9, -1
                                        ; implicit-def: $sgpr17
                                        ; implicit-def: $sgpr22
                                        ; implicit-def: $sgpr20
	s_branch .LBB58_101
.LBB58_88:                              ;   in Loop: Header=BB58_8 Depth=1
	s_mov_b32 s17, -1
	s_mov_b32 s9, 0
                                        ; implicit-def: $sgpr20
                                        ; implicit-def: $vgpr29
	s_mov_b32 s22, s17
	s_cbranch_execnz .LBB58_91
	s_branch .LBB58_101
.LBB58_89:                              ;   in Loop: Header=BB58_8 Depth=1
	s_or_b32 exec_lo, exec_lo, s20
	v_lshrrev_b32_e32 v29, 16, v2
	s_and_b32 s9, s22, exec_lo
.LBB58_90:                              ;   in Loop: Header=BB58_8 Depth=1
	s_or_b32 exec_lo, exec_lo, s17
	s_mov_b32 s20, -1
	s_mov_b32 s17, 0
	s_delay_alu instid0(SALU_CYCLE_1)
	s_mov_b32 s22, s17
	s_branch .LBB58_101
.LBB58_91:                              ;   in Loop: Header=BB58_8 Depth=1
	s_add_i32 s20, s12, s68
                                        ; implicit-def: $vgpr29
	s_delay_alu instid0(SALU_CYCLE_1) | instskip(NEXT) | instid1(SALU_CYCLE_1)
	s_abs_i32 s9, s20
	s_mul_hi_u32 s17, s9, s78
	s_delay_alu instid0(SALU_CYCLE_1) | instskip(NEXT) | instid1(SALU_CYCLE_1)
	s_mul_i32 s17, s17, s64
	s_sub_i32 s9, s9, s17
	s_ashr_i32 s17, s20, 31
	s_sub_i32 s22, s9, s64
	s_cmp_ge_u32 s9, s64
	s_cselect_b32 s9, s22, s9
	s_delay_alu instid0(SALU_CYCLE_1) | instskip(SKIP_2) | instid1(SALU_CYCLE_1)
	s_sub_i32 s22, s9, s64
	s_cmp_ge_u32 s9, s64
	s_cselect_b32 s9, s22, s9
	s_xor_b32 s9, s9, s17
	s_delay_alu instid0(SALU_CYCLE_1)
	s_sub_i32 s9, s17, s9
	s_mov_b32 s17, exec_lo
	s_add_i32 s20, s20, s9
	s_mov_b32 s9, 0
	v_cmpx_gt_i32_e64 s20, v0
	s_cbranch_execz .LBB58_100
; %bb.92:                               ;   in Loop: Header=BB58_8 Depth=1
	v_dual_mov_b32 v1, v17 :: v_dual_mov_b32 v2, v0
	s_mov_b32 s22, 0
                                        ; implicit-def: $sgpr23
	s_set_inst_prefetch_distance 0x1
	s_branch .LBB58_94
	.p2align	6
.LBB58_93:                              ;   in Loop: Header=BB58_94 Depth=2
	s_or_b32 exec_lo, exec_lo, s9
	s_waitcnt lgkmcnt(0)
	s_barrier
	buffer_gl0_inv
	ds_load_b32 v3, v7 offset:3072
	v_add_nc_u32_e32 v2, s64, v2
	v_add_nc_u32_e32 v1, s82, v1
	s_waitcnt lgkmcnt(0)
	s_barrier
	buffer_gl0_inv
	v_cmp_le_i32_e32 vcc_lo, s20, v2
	v_cmp_neq_f16_e64 s9, 0, v3
	s_delay_alu instid0(VALU_DEP_1) | instskip(NEXT) | instid1(SALU_CYCLE_1)
	s_or_b32 s24, vcc_lo, s9
	s_and_b32 s24, exec_lo, s24
	s_delay_alu instid0(SALU_CYCLE_1) | instskip(SKIP_2) | instid1(SALU_CYCLE_1)
	s_or_b32 s22, s24, s22
	s_and_not1_b32 s23, s23, exec_lo
	s_and_b32 s9, s9, exec_lo
	s_or_b32 s23, s23, s9
	s_and_not1_b32 exec_lo, exec_lo, s22
	s_cbranch_execz .LBB58_99
.LBB58_94:                              ;   Parent Loop BB58_8 Depth=1
                                        ; =>  This Inner Loop Header: Depth=2
	s_delay_alu instid0(VALU_DEP_1)
	v_cmp_gt_i32_e32 vcc_lo, s12, v2
	v_mov_b32_e32 v3, 0
	s_and_saveexec_b32 s9, vcc_lo
	s_cbranch_execz .LBB58_96
; %bb.95:                               ;   in Loop: Header=BB58_94 Depth=2
	ds_load_u16 v3, v1
.LBB58_96:                              ;   in Loop: Header=BB58_94 Depth=2
	s_or_b32 exec_lo, exec_lo, s9
	s_and_saveexec_b32 s9, vcc_lo
	s_cbranch_execz .LBB58_93
; %bb.97:                               ;   in Loop: Header=BB58_94 Depth=2
	s_waitcnt lgkmcnt(0)
	v_cmp_lt_i16_e32 vcc_lo, -1, v3
	v_and_b32_e32 v4, 0xffff, v3
	v_cndmask_b32_e32 v6, 0xffff, v28, vcc_lo
	v_cmp_o_f16_e32 vcc_lo, v3, v3
	s_delay_alu instid0(VALU_DEP_2) | instskip(NEXT) | instid1(VALU_DEP_1)
	v_xor_b32_e32 v4, v6, v4
	v_cndmask_b32_e32 v4, 0xffff, v4, vcc_lo
	s_delay_alu instid0(VALU_DEP_1) | instskip(NEXT) | instid1(VALU_DEP_1)
	v_and_b32_e32 v4, s93, v4
	v_cmp_eq_u32_e32 vcc_lo, s92, v4
	s_and_b32 exec_lo, exec_lo, vcc_lo
	s_cbranch_execz .LBB58_93
; %bb.98:                               ;   in Loop: Header=BB58_94 Depth=2
	v_perm_b32 v3, v3, s83, 0x5040100
	ds_store_b32 v7, v3 offset:3072
	s_branch .LBB58_93
.LBB58_99:                              ;   in Loop: Header=BB58_8 Depth=1
	s_set_inst_prefetch_distance 0x2
	s_or_b32 exec_lo, exec_lo, s22
	v_lshrrev_b32_e32 v29, 16, v3
	s_and_b32 s9, s23, exec_lo
.LBB58_100:                             ;   in Loop: Header=BB58_8 Depth=1
	s_or_b32 exec_lo, exec_lo, s17
	s_mov_b32 s22, -1
	s_mov_b32 s17, 0
	s_mov_b32 s20, 0
.LBB58_101:                             ;   in Loop: Header=BB58_8 Depth=1
	s_and_not1_b32 s12, s88, exec_lo
	s_and_b32 s17, s17, exec_lo
	s_and_b32 s20, s20, exec_lo
	s_or_b32 s88, s12, s17
	s_and_not1_b32 s12, s91, exec_lo
	s_and_b32 s17, s22, exec_lo
	s_and_not1_b32 s22, s89, exec_lo
	s_or_b32 s91, s12, s17
	s_or_b32 s89, s22, s20
	s_and_saveexec_b32 s12, s9
	s_cbranch_execz .LBB58_7
; %bb.102:                              ;   in Loop: Header=BB58_8 Depth=1
	s_xor_b32 s9, s15, -1
	s_mov_b32 s14, 0
	s_and_not1_b32 vcc_lo, exec_lo, s9
	s_mov_b32 s22, 1
	s_cbranch_vccnz .LBB58_113
; %bb.103:                              ;   in Loop: Header=BB58_8 Depth=1
	s_cmp_gt_i32 s45, s13
	s_mov_b32 s14, -1
                                        ; implicit-def: $sgpr9
                                        ; implicit-def: $sgpr15
                                        ; implicit-def: $sgpr17
	s_cbranch_scc1 .LBB58_109
; %bb.104:                              ;   in Loop: Header=BB58_8 Depth=1
	ds_load_b32 v1, v7 offset:4096
	s_waitcnt lgkmcnt(0)
	v_cmp_ne_u32_e32 vcc_lo, 0, v1
	s_cbranch_vccnz .LBB58_108
; %bb.105:                              ;   in Loop: Header=BB58_8 Depth=1
	s_and_saveexec_b32 s9, s0
	s_cbranch_execz .LBB58_107
; %bb.106:                              ;   in Loop: Header=BB58_8 Depth=1
	v_mov_b32_e32 v1, s13
	ds_store_b32 v7, v1 offset:4100
.LBB58_107:                             ;   in Loop: Header=BB58_8 Depth=1
	s_or_b32 exec_lo, exec_lo, s9
	s_waitcnt lgkmcnt(0)
	s_barrier
	buffer_gl0_inv
.LBB58_108:                             ;   in Loop: Header=BB58_8 Depth=1
	s_and_b32 s15, s92, s19
	s_or_b32 s17, s93, s11
	s_mov_b32 s14, 0
	s_mov_b32 s9, 8
.LBB58_109:                             ;   in Loop: Header=BB58_8 Depth=1
	s_and_not1_b32 vcc_lo, exec_lo, s14
	s_cbranch_vccnz .LBB58_111
; %bb.110:                              ;   in Loop: Header=BB58_8 Depth=1
	s_sub_i32 s45, s45, s13
	s_mov_b32 s14, -1
	s_mov_b32 s9, 0
	s_mov_b32 s15, s92
	;; [unrolled: 1-line block ×3, first 2 shown]
.LBB58_111:                             ;   in Loop: Header=BB58_8 Depth=1
	s_delay_alu instid0(SALU_CYCLE_1)
	s_mov_b32 s93, s17
	s_mov_b32 s92, s15
	;; [unrolled: 1-line block ×3, first 2 shown]
	s_and_b32 vcc_lo, exec_lo, s14
	s_mov_b32 s13, -1
	s_cbranch_vccnz .LBB58_114
.LBB58_112:                             ;   in Loop: Header=BB58_8 Depth=1
	s_mov_b32 s25, -1
                                        ; implicit-def: $sgpr14
                                        ; implicit-def: $sgpr17
                                        ; implicit-def: $sgpr15
	s_delay_alu instid0(SALU_CYCLE_1) | instskip(NEXT) | instid1(SALU_CYCLE_1)
	s_and_saveexec_b32 s10, s25
	s_xor_b32 s10, exec_lo, s10
	s_cbranch_execz .LBB58_6
	s_branch .LBB58_237
.LBB58_113:                             ;   in Loop: Header=BB58_8 Depth=1
	s_mov_b32 s9, 1
	s_and_b32 vcc_lo, exec_lo, s14
	s_mov_b32 s13, -1
	s_cbranch_vccz .LBB58_112
.LBB58_114:                             ;   in Loop: Header=BB58_8 Depth=1
	s_cmp_eq_u32 s21, 1
	s_mov_b32 s24, -1
	s_cselect_b32 s9, -1, 0
	s_cmp_eq_u32 s22, 1
	s_cselect_b32 s14, -1, 0
	s_delay_alu instid0(SALU_CYCLE_1) | instskip(NEXT) | instid1(SALU_CYCLE_1)
	s_and_b32 s23, s9, s14
	s_and_b32 vcc_lo, exec_lo, s23
	s_cbranch_vccz .LBB58_126
; %bb.115:                              ;   in Loop: Header=BB58_8 Depth=1
	ds_load_b32 v1, v7 offset:4096
	s_waitcnt lgkmcnt(0)
	s_barrier
	buffer_gl0_inv
	v_readfirstlane_b32 s20, v1
	s_and_saveexec_b32 s9, s2
	s_cbranch_execz .LBB58_117
; %bb.116:                              ;   in Loop: Header=BB58_8 Depth=1
	ds_store_b16 v18, v7
.LBB58_117:                             ;   in Loop: Header=BB58_8 Depth=1
	s_or_b32 exec_lo, exec_lo, s9
	s_lshl_b32 s9, 1, s18
	s_and_b32 s14, s92, s19
	s_or_b32 s93, s93, s11
	s_or_b32 s92, s14, s9
	s_cmp_gt_i32 s20, 0
	s_waitcnt lgkmcnt(0)
	s_barrier
	buffer_gl0_inv
	s_cbranch_scc1 .LBB58_127
; %bb.118:                              ;   in Loop: Header=BB58_8 Depth=1
	s_mov_b32 s24, 0
                                        ; implicit-def: $vgpr29
	s_and_saveexec_b32 s14, s8
	s_cbranch_execz .LBB58_129
; %bb.119:                              ;   in Loop: Header=BB58_8 Depth=1
	v_mov_b32_e32 v1, v5
	v_mov_b32_e32 v3, v0
	s_mov_b32 s15, 0
                                        ; implicit-def: $sgpr17
	s_branch .LBB58_121
.LBB58_120:                             ;   in Loop: Header=BB58_121 Depth=2
	s_or_b32 exec_lo, exec_lo, s9
	s_waitcnt vmcnt(0) lgkmcnt(0)
	s_barrier
	buffer_gl0_inv
	ds_load_b32 v2, v7 offset:3072
	v_add_nc_u32_e32 v3, s64, v3
	v_add_nc_u32_e32 v1, s67, v1
	s_waitcnt lgkmcnt(0)
	s_barrier
	buffer_gl0_inv
	v_cmp_le_i32_e32 vcc_lo, s79, v3
	v_cmp_neq_f16_e64 s9, 0, v2
	s_delay_alu instid0(VALU_DEP_1) | instskip(NEXT) | instid1(SALU_CYCLE_1)
	s_or_b32 s24, vcc_lo, s9
	s_and_b32 s24, exec_lo, s24
	s_delay_alu instid0(SALU_CYCLE_1) | instskip(SKIP_2) | instid1(SALU_CYCLE_1)
	s_or_b32 s15, s24, s15
	s_and_not1_b32 s17, s17, exec_lo
	s_and_b32 s9, s9, exec_lo
	s_or_b32 s17, s17, s9
	s_and_not1_b32 exec_lo, exec_lo, s15
	s_cbranch_execz .LBB58_128
.LBB58_121:                             ;   Parent Loop BB58_8 Depth=1
                                        ; =>  This Inner Loop Header: Depth=2
	s_delay_alu instid0(VALU_DEP_1)
	v_cmp_gt_i32_e32 vcc_lo, s44, v3
	v_mov_b32_e32 v2, 0
	s_and_saveexec_b32 s24, vcc_lo
	s_cbranch_execz .LBB58_123
; %bb.122:                              ;   in Loop: Header=BB58_121 Depth=2
	v_ashrrev_i32_e32 v2, 31, v1
	s_delay_alu instid0(VALU_DEP_1) | instskip(NEXT) | instid1(VALU_DEP_1)
	v_lshlrev_b64 v[13:14], 1, v[1:2]
	v_add_co_u32 v13, s9, s62, v13
	s_delay_alu instid0(VALU_DEP_1)
	v_add_co_ci_u32_e64 v14, s9, s63, v14, s9
	global_load_u16 v2, v[13:14], off
.LBB58_123:                             ;   in Loop: Header=BB58_121 Depth=2
	s_or_b32 exec_lo, exec_lo, s24
	s_and_saveexec_b32 s9, vcc_lo
	s_cbranch_execz .LBB58_120
; %bb.124:                              ;   in Loop: Header=BB58_121 Depth=2
	s_waitcnt vmcnt(0)
	v_cmp_lt_i16_e32 vcc_lo, -1, v2
	v_and_b32_e32 v4, 0xffff, v2
	v_cndmask_b32_e32 v6, 0xffff, v28, vcc_lo
	v_cmp_o_f16_e32 vcc_lo, v2, v2
	s_delay_alu instid0(VALU_DEP_2) | instskip(NEXT) | instid1(VALU_DEP_1)
	v_xor_b32_e32 v4, v6, v4
	v_cndmask_b32_e32 v4, 0xffff, v4, vcc_lo
	s_delay_alu instid0(VALU_DEP_1) | instskip(NEXT) | instid1(VALU_DEP_1)
	v_and_b32_e32 v4, s93, v4
	v_cmp_eq_u32_e32 vcc_lo, s92, v4
	s_and_b32 exec_lo, exec_lo, vcc_lo
	s_cbranch_execz .LBB58_120
; %bb.125:                              ;   in Loop: Header=BB58_121 Depth=2
	v_perm_b32 v2, v2, s83, 0x5040100
	ds_store_b32 v7, v2 offset:3072
	s_branch .LBB58_120
.LBB58_126:                             ;   in Loop: Header=BB58_8 Depth=1
                                        ; implicit-def: $sgpr15
                                        ; implicit-def: $sgpr17
                                        ; implicit-def: $sgpr14
	s_branch .LBB58_140
.LBB58_127:                             ;   in Loop: Header=BB58_8 Depth=1
	s_mov_b32 s15, -1
	s_mov_b32 s24, 0
                                        ; implicit-def: $sgpr14
                                        ; implicit-def: $vgpr29
	s_mov_b32 s17, s15
	s_cbranch_execnz .LBB58_130
	s_branch .LBB58_140
.LBB58_128:                             ;   in Loop: Header=BB58_8 Depth=1
	s_or_b32 exec_lo, exec_lo, s15
	v_lshrrev_b32_e32 v29, 16, v2
	s_and_b32 s24, s17, exec_lo
.LBB58_129:                             ;   in Loop: Header=BB58_8 Depth=1
	s_or_b32 exec_lo, exec_lo, s14
	s_mov_b32 s14, -1
	s_mov_b32 s15, 0
	s_delay_alu instid0(SALU_CYCLE_1)
	s_mov_b32 s17, s15
	s_branch .LBB58_140
.LBB58_130:                             ;   in Loop: Header=BB58_8 Depth=1
	s_add_i32 s15, s20, s68
	s_mov_b32 s24, 0
	s_abs_i32 s9, s15
                                        ; implicit-def: $vgpr29
	s_delay_alu instid0(SALU_CYCLE_1) | instskip(NEXT) | instid1(SALU_CYCLE_1)
	s_mul_hi_u32 s14, s9, s78
	s_mul_i32 s14, s14, s64
	s_delay_alu instid0(SALU_CYCLE_1) | instskip(SKIP_4) | instid1(SALU_CYCLE_1)
	s_sub_i32 s9, s9, s14
	s_ashr_i32 s14, s15, 31
	s_sub_i32 s17, s9, s64
	s_cmp_ge_u32 s9, s64
	s_cselect_b32 s9, s17, s9
	s_sub_i32 s17, s9, s64
	s_cmp_ge_u32 s9, s64
	s_cselect_b32 s9, s17, s9
	s_delay_alu instid0(SALU_CYCLE_1) | instskip(NEXT) | instid1(SALU_CYCLE_1)
	s_xor_b32 s9, s9, s14
	s_sub_i32 s9, s14, s9
	s_mov_b32 s14, exec_lo
	s_add_i32 s15, s15, s9
	s_delay_alu instid0(SALU_CYCLE_1)
	v_cmpx_gt_i32_e64 s15, v0
	s_cbranch_execz .LBB58_139
; %bb.131:                              ;   in Loop: Header=BB58_8 Depth=1
	v_dual_mov_b32 v1, v17 :: v_dual_mov_b32 v2, v0
	s_mov_b32 s17, 0
                                        ; implicit-def: $sgpr24
	s_set_inst_prefetch_distance 0x1
	s_branch .LBB58_133
	.p2align	6
.LBB58_132:                             ;   in Loop: Header=BB58_133 Depth=2
	s_or_b32 exec_lo, exec_lo, s9
	s_waitcnt lgkmcnt(0)
	s_barrier
	buffer_gl0_inv
	ds_load_b32 v3, v7 offset:3072
	v_add_nc_u32_e32 v2, s64, v2
	v_add_nc_u32_e32 v1, s82, v1
	s_waitcnt lgkmcnt(0)
	s_barrier
	buffer_gl0_inv
	v_cmp_le_i32_e32 vcc_lo, s15, v2
	v_cmp_neq_f16_e64 s9, 0, v3
	s_delay_alu instid0(VALU_DEP_1) | instskip(NEXT) | instid1(SALU_CYCLE_1)
	s_or_b32 s25, vcc_lo, s9
	s_and_b32 s25, exec_lo, s25
	s_delay_alu instid0(SALU_CYCLE_1) | instskip(SKIP_2) | instid1(SALU_CYCLE_1)
	s_or_b32 s17, s25, s17
	s_and_not1_b32 s24, s24, exec_lo
	s_and_b32 s9, s9, exec_lo
	s_or_b32 s24, s24, s9
	s_and_not1_b32 exec_lo, exec_lo, s17
	s_cbranch_execz .LBB58_138
.LBB58_133:                             ;   Parent Loop BB58_8 Depth=1
                                        ; =>  This Inner Loop Header: Depth=2
	s_delay_alu instid0(VALU_DEP_1)
	v_cmp_gt_i32_e32 vcc_lo, s20, v2
	v_mov_b32_e32 v3, 0
	s_and_saveexec_b32 s9, vcc_lo
	s_cbranch_execz .LBB58_135
; %bb.134:                              ;   in Loop: Header=BB58_133 Depth=2
	ds_load_u16 v3, v1
.LBB58_135:                             ;   in Loop: Header=BB58_133 Depth=2
	s_or_b32 exec_lo, exec_lo, s9
	s_and_saveexec_b32 s9, vcc_lo
	s_cbranch_execz .LBB58_132
; %bb.136:                              ;   in Loop: Header=BB58_133 Depth=2
	s_waitcnt lgkmcnt(0)
	v_cmp_lt_i16_e32 vcc_lo, -1, v3
	v_and_b32_e32 v4, 0xffff, v3
	v_cndmask_b32_e32 v6, 0xffff, v28, vcc_lo
	v_cmp_o_f16_e32 vcc_lo, v3, v3
	s_delay_alu instid0(VALU_DEP_2) | instskip(NEXT) | instid1(VALU_DEP_1)
	v_xor_b32_e32 v4, v6, v4
	v_cndmask_b32_e32 v4, 0xffff, v4, vcc_lo
	s_delay_alu instid0(VALU_DEP_1) | instskip(NEXT) | instid1(VALU_DEP_1)
	v_and_b32_e32 v4, s93, v4
	v_cmp_eq_u32_e32 vcc_lo, s92, v4
	s_and_b32 exec_lo, exec_lo, vcc_lo
	s_cbranch_execz .LBB58_132
; %bb.137:                              ;   in Loop: Header=BB58_133 Depth=2
	v_perm_b32 v3, v3, s83, 0x5040100
	ds_store_b32 v7, v3 offset:3072
	s_branch .LBB58_132
.LBB58_138:                             ;   in Loop: Header=BB58_8 Depth=1
	s_set_inst_prefetch_distance 0x2
	s_or_b32 exec_lo, exec_lo, s17
	v_lshrrev_b32_e32 v29, 16, v3
	s_and_b32 s24, s24, exec_lo
.LBB58_139:                             ;   in Loop: Header=BB58_8 Depth=1
	s_or_b32 exec_lo, exec_lo, s14
	s_mov_b32 s17, -1
	s_mov_b32 s15, 0
	s_mov_b32 s14, 0
.LBB58_140:                             ;   in Loop: Header=BB58_8 Depth=1
	s_mov_b32 s25, 0
                                        ; implicit-def: $sgpr9
	s_and_saveexec_b32 s20, s24
	s_cbranch_execz .LBB58_236
; %bb.141:                              ;   in Loop: Header=BB58_8 Depth=1
	s_xor_b32 s9, s23, -1
	s_mov_b32 s23, 0
	s_and_not1_b32 vcc_lo, exec_lo, s9
	s_mov_b32 s26, 1
	s_cbranch_vccnz .LBB58_152
; %bb.142:                              ;   in Loop: Header=BB58_8 Depth=1
	s_cmp_gt_i32 s22, s21
	s_mov_b32 s23, -1
                                        ; implicit-def: $sgpr9
                                        ; implicit-def: $sgpr24
                                        ; implicit-def: $sgpr25
	s_cbranch_scc1 .LBB58_148
; %bb.143:                              ;   in Loop: Header=BB58_8 Depth=1
	ds_load_b32 v1, v7 offset:4096
	s_waitcnt lgkmcnt(0)
	v_cmp_ne_u32_e32 vcc_lo, 0, v1
	s_cbranch_vccnz .LBB58_147
; %bb.144:                              ;   in Loop: Header=BB58_8 Depth=1
	s_and_saveexec_b32 s9, s0
	s_cbranch_execz .LBB58_146
; %bb.145:                              ;   in Loop: Header=BB58_8 Depth=1
	v_mov_b32_e32 v1, s21
	ds_store_b32 v7, v1 offset:4100
.LBB58_146:                             ;   in Loop: Header=BB58_8 Depth=1
	s_or_b32 exec_lo, exec_lo, s9
	s_waitcnt lgkmcnt(0)
	s_barrier
	buffer_gl0_inv
.LBB58_147:                             ;   in Loop: Header=BB58_8 Depth=1
	s_lshl_b32 s9, 1, s18
	s_and_b32 s23, s92, s19
	s_or_b32 s25, s93, s11
	s_or_b32 s24, s23, s9
	s_mov_b32 s23, 0
	s_mov_b32 s9, 8
.LBB58_148:                             ;   in Loop: Header=BB58_8 Depth=1
	s_and_not1_b32 vcc_lo, exec_lo, s23
	s_cbranch_vccnz .LBB58_150
; %bb.149:                              ;   in Loop: Header=BB58_8 Depth=1
	s_sub_i32 s22, s22, s21
	s_mov_b32 s23, -1
	s_mov_b32 s9, 0
	s_mov_b32 s24, s92
	;; [unrolled: 1-line block ×3, first 2 shown]
.LBB58_150:                             ;   in Loop: Header=BB58_8 Depth=1
	s_delay_alu instid0(SALU_CYCLE_1)
	s_mov_b32 s93, s25
	s_mov_b32 s92, s24
	;; [unrolled: 1-line block ×3, first 2 shown]
	s_and_not1_b32 vcc_lo, exec_lo, s23
	s_mov_b32 s28, -1
	s_cbranch_vccz .LBB58_153
.LBB58_151:                             ;   in Loop: Header=BB58_8 Depth=1
                                        ; implicit-def: $sgpr22
                                        ; implicit-def: $sgpr23
                                        ; implicit-def: $sgpr21
	s_branch .LBB58_235
.LBB58_152:                             ;   in Loop: Header=BB58_8 Depth=1
	s_mov_b32 s9, 1
	s_and_not1_b32 vcc_lo, exec_lo, s23
	s_mov_b32 s28, -1
	s_cbranch_vccnz .LBB58_151
.LBB58_153:                             ;   in Loop: Header=BB58_8 Depth=1
	s_cmp_eq_u32 s16, 1
	s_mov_b32 s27, -1
	s_cselect_b32 s9, -1, 0
	s_cmp_eq_u32 s26, 1
	s_cselect_b32 s21, -1, 0
	s_delay_alu instid0(SALU_CYCLE_1) | instskip(NEXT) | instid1(SALU_CYCLE_1)
	s_and_b32 s25, s9, s21
	s_and_b32 vcc_lo, exec_lo, s25
	s_cbranch_vccz .LBB58_165
; %bb.154:                              ;   in Loop: Header=BB58_8 Depth=1
	ds_load_b32 v1, v7 offset:4096
	s_waitcnt lgkmcnt(0)
	s_barrier
	buffer_gl0_inv
	v_readfirstlane_b32 s24, v1
	s_and_saveexec_b32 s9, s2
	s_cbranch_execz .LBB58_156
; %bb.155:                              ;   in Loop: Header=BB58_8 Depth=1
	ds_store_b16 v18, v7
.LBB58_156:                             ;   in Loop: Header=BB58_8 Depth=1
	s_or_b32 exec_lo, exec_lo, s9
	s_lshl_b32 s9, 2, s18
	s_and_b32 s21, s92, s19
	s_or_b32 s93, s93, s11
	s_or_b32 s92, s21, s9
	s_cmp_gt_i32 s24, 0
	s_waitcnt lgkmcnt(0)
	s_barrier
	buffer_gl0_inv
	s_cbranch_scc1 .LBB58_166
; %bb.157:                              ;   in Loop: Header=BB58_8 Depth=1
	s_mov_b32 s27, 0
                                        ; implicit-def: $vgpr29
	s_and_saveexec_b32 s21, s8
	s_cbranch_execz .LBB58_168
; %bb.158:                              ;   in Loop: Header=BB58_8 Depth=1
	v_mov_b32_e32 v1, v5
	v_mov_b32_e32 v3, v0
	s_mov_b32 s22, 0
                                        ; implicit-def: $sgpr23
	s_branch .LBB58_160
.LBB58_159:                             ;   in Loop: Header=BB58_160 Depth=2
	s_or_b32 exec_lo, exec_lo, s9
	s_waitcnt vmcnt(0) lgkmcnt(0)
	s_barrier
	buffer_gl0_inv
	ds_load_b32 v2, v7 offset:3072
	v_add_nc_u32_e32 v3, s64, v3
	v_add_nc_u32_e32 v1, s67, v1
	s_waitcnt lgkmcnt(0)
	s_barrier
	buffer_gl0_inv
	v_cmp_le_i32_e32 vcc_lo, s79, v3
	v_cmp_neq_f16_e64 s9, 0, v2
	s_delay_alu instid0(VALU_DEP_1) | instskip(NEXT) | instid1(SALU_CYCLE_1)
	s_or_b32 s27, vcc_lo, s9
	s_and_b32 s27, exec_lo, s27
	s_delay_alu instid0(SALU_CYCLE_1) | instskip(SKIP_2) | instid1(SALU_CYCLE_1)
	s_or_b32 s22, s27, s22
	s_and_not1_b32 s23, s23, exec_lo
	s_and_b32 s9, s9, exec_lo
	s_or_b32 s23, s23, s9
	s_and_not1_b32 exec_lo, exec_lo, s22
	s_cbranch_execz .LBB58_167
.LBB58_160:                             ;   Parent Loop BB58_8 Depth=1
                                        ; =>  This Inner Loop Header: Depth=2
	s_delay_alu instid0(VALU_DEP_1)
	v_cmp_gt_i32_e32 vcc_lo, s44, v3
	v_mov_b32_e32 v2, 0
	s_and_saveexec_b32 s27, vcc_lo
	s_cbranch_execz .LBB58_162
; %bb.161:                              ;   in Loop: Header=BB58_160 Depth=2
	v_ashrrev_i32_e32 v2, 31, v1
	s_delay_alu instid0(VALU_DEP_1) | instskip(NEXT) | instid1(VALU_DEP_1)
	v_lshlrev_b64 v[13:14], 1, v[1:2]
	v_add_co_u32 v13, s9, s62, v13
	s_delay_alu instid0(VALU_DEP_1)
	v_add_co_ci_u32_e64 v14, s9, s63, v14, s9
	global_load_u16 v2, v[13:14], off
.LBB58_162:                             ;   in Loop: Header=BB58_160 Depth=2
	s_or_b32 exec_lo, exec_lo, s27
	s_and_saveexec_b32 s9, vcc_lo
	s_cbranch_execz .LBB58_159
; %bb.163:                              ;   in Loop: Header=BB58_160 Depth=2
	s_waitcnt vmcnt(0)
	v_cmp_lt_i16_e32 vcc_lo, -1, v2
	v_and_b32_e32 v4, 0xffff, v2
	v_cndmask_b32_e32 v6, 0xffff, v28, vcc_lo
	v_cmp_o_f16_e32 vcc_lo, v2, v2
	s_delay_alu instid0(VALU_DEP_2) | instskip(NEXT) | instid1(VALU_DEP_1)
	v_xor_b32_e32 v4, v6, v4
	v_cndmask_b32_e32 v4, 0xffff, v4, vcc_lo
	s_delay_alu instid0(VALU_DEP_1) | instskip(NEXT) | instid1(VALU_DEP_1)
	v_and_b32_e32 v4, s93, v4
	v_cmp_eq_u32_e32 vcc_lo, s92, v4
	s_and_b32 exec_lo, exec_lo, vcc_lo
	s_cbranch_execz .LBB58_159
; %bb.164:                              ;   in Loop: Header=BB58_160 Depth=2
	v_perm_b32 v2, v2, s83, 0x5040100
	ds_store_b32 v7, v2 offset:3072
	s_branch .LBB58_159
.LBB58_165:                             ;   in Loop: Header=BB58_8 Depth=1
                                        ; implicit-def: $sgpr21
                                        ; implicit-def: $sgpr23
                                        ; implicit-def: $sgpr22
	s_branch .LBB58_179
.LBB58_166:                             ;   in Loop: Header=BB58_8 Depth=1
	s_mov_b32 s21, -1
	s_mov_b32 s27, 0
                                        ; implicit-def: $sgpr22
                                        ; implicit-def: $vgpr29
	s_mov_b32 s23, s21
	s_cbranch_execnz .LBB58_169
	s_branch .LBB58_179
.LBB58_167:                             ;   in Loop: Header=BB58_8 Depth=1
	s_or_b32 exec_lo, exec_lo, s22
	v_lshrrev_b32_e32 v29, 16, v2
	s_and_b32 s27, s23, exec_lo
.LBB58_168:                             ;   in Loop: Header=BB58_8 Depth=1
	s_or_b32 exec_lo, exec_lo, s21
	s_mov_b32 s22, -1
	s_mov_b32 s21, 0
	s_delay_alu instid0(SALU_CYCLE_1)
	s_mov_b32 s23, s21
	s_branch .LBB58_179
.LBB58_169:                             ;   in Loop: Header=BB58_8 Depth=1
	s_add_i32 s22, s24, s68
	s_mov_b32 s27, 0
	s_abs_i32 s9, s22
                                        ; implicit-def: $vgpr29
	s_delay_alu instid0(SALU_CYCLE_1) | instskip(NEXT) | instid1(SALU_CYCLE_1)
	s_mul_hi_u32 s21, s9, s78
	s_mul_i32 s21, s21, s64
	s_delay_alu instid0(SALU_CYCLE_1) | instskip(SKIP_4) | instid1(SALU_CYCLE_1)
	s_sub_i32 s9, s9, s21
	s_ashr_i32 s21, s22, 31
	s_sub_i32 s23, s9, s64
	s_cmp_ge_u32 s9, s64
	s_cselect_b32 s9, s23, s9
	s_sub_i32 s23, s9, s64
	s_cmp_ge_u32 s9, s64
	s_cselect_b32 s9, s23, s9
	s_delay_alu instid0(SALU_CYCLE_1) | instskip(NEXT) | instid1(SALU_CYCLE_1)
	s_xor_b32 s9, s9, s21
	s_sub_i32 s9, s21, s9
	s_mov_b32 s21, exec_lo
	s_add_i32 s22, s22, s9
	s_delay_alu instid0(SALU_CYCLE_1)
	v_cmpx_gt_i32_e64 s22, v0
	s_cbranch_execz .LBB58_178
; %bb.170:                              ;   in Loop: Header=BB58_8 Depth=1
	v_dual_mov_b32 v1, v17 :: v_dual_mov_b32 v2, v0
	s_mov_b32 s23, 0
                                        ; implicit-def: $sgpr27
	s_set_inst_prefetch_distance 0x1
	s_branch .LBB58_172
	.p2align	6
.LBB58_171:                             ;   in Loop: Header=BB58_172 Depth=2
	s_or_b32 exec_lo, exec_lo, s9
	s_waitcnt lgkmcnt(0)
	s_barrier
	buffer_gl0_inv
	ds_load_b32 v3, v7 offset:3072
	v_add_nc_u32_e32 v2, s64, v2
	v_add_nc_u32_e32 v1, s82, v1
	s_waitcnt lgkmcnt(0)
	s_barrier
	buffer_gl0_inv
	v_cmp_le_i32_e32 vcc_lo, s22, v2
	v_cmp_neq_f16_e64 s9, 0, v3
	s_delay_alu instid0(VALU_DEP_1) | instskip(NEXT) | instid1(SALU_CYCLE_1)
	s_or_b32 s28, vcc_lo, s9
	s_and_b32 s28, exec_lo, s28
	s_delay_alu instid0(SALU_CYCLE_1) | instskip(SKIP_2) | instid1(SALU_CYCLE_1)
	s_or_b32 s23, s28, s23
	s_and_not1_b32 s27, s27, exec_lo
	s_and_b32 s9, s9, exec_lo
	s_or_b32 s27, s27, s9
	s_and_not1_b32 exec_lo, exec_lo, s23
	s_cbranch_execz .LBB58_177
.LBB58_172:                             ;   Parent Loop BB58_8 Depth=1
                                        ; =>  This Inner Loop Header: Depth=2
	s_delay_alu instid0(VALU_DEP_1)
	v_cmp_gt_i32_e32 vcc_lo, s24, v2
	v_mov_b32_e32 v3, 0
	s_and_saveexec_b32 s9, vcc_lo
	s_cbranch_execz .LBB58_174
; %bb.173:                              ;   in Loop: Header=BB58_172 Depth=2
	ds_load_u16 v3, v1
.LBB58_174:                             ;   in Loop: Header=BB58_172 Depth=2
	s_or_b32 exec_lo, exec_lo, s9
	s_and_saveexec_b32 s9, vcc_lo
	s_cbranch_execz .LBB58_171
; %bb.175:                              ;   in Loop: Header=BB58_172 Depth=2
	s_waitcnt lgkmcnt(0)
	v_cmp_lt_i16_e32 vcc_lo, -1, v3
	v_and_b32_e32 v4, 0xffff, v3
	v_cndmask_b32_e32 v6, 0xffff, v28, vcc_lo
	v_cmp_o_f16_e32 vcc_lo, v3, v3
	s_delay_alu instid0(VALU_DEP_2) | instskip(NEXT) | instid1(VALU_DEP_1)
	v_xor_b32_e32 v4, v6, v4
	v_cndmask_b32_e32 v4, 0xffff, v4, vcc_lo
	s_delay_alu instid0(VALU_DEP_1) | instskip(NEXT) | instid1(VALU_DEP_1)
	v_and_b32_e32 v4, s93, v4
	v_cmp_eq_u32_e32 vcc_lo, s92, v4
	s_and_b32 exec_lo, exec_lo, vcc_lo
	s_cbranch_execz .LBB58_171
; %bb.176:                              ;   in Loop: Header=BB58_172 Depth=2
	v_perm_b32 v3, v3, s83, 0x5040100
	ds_store_b32 v7, v3 offset:3072
	s_branch .LBB58_171
.LBB58_177:                             ;   in Loop: Header=BB58_8 Depth=1
	s_set_inst_prefetch_distance 0x2
	s_or_b32 exec_lo, exec_lo, s23
	v_lshrrev_b32_e32 v29, 16, v3
	s_and_b32 s27, s27, exec_lo
.LBB58_178:                             ;   in Loop: Header=BB58_8 Depth=1
	s_or_b32 exec_lo, exec_lo, s21
	s_mov_b32 s23, -1
	s_mov_b32 s21, 0
	s_mov_b32 s22, 0
.LBB58_179:                             ;   in Loop: Header=BB58_8 Depth=1
	s_mov_b32 s28, 0
                                        ; implicit-def: $sgpr9
	s_and_saveexec_b32 s24, s27
	s_cbranch_execz .LBB58_234
; %bb.180:                              ;   in Loop: Header=BB58_8 Depth=1
	s_xor_b32 s9, s25, -1
	s_mov_b32 s27, 0
	s_and_not1_b32 vcc_lo, exec_lo, s9
	s_mov_b32 s25, 1
	s_cbranch_vccnz .LBB58_191
; %bb.181:                              ;   in Loop: Header=BB58_8 Depth=1
	s_cmp_gt_i32 s26, s16
	s_mov_b32 s27, -1
                                        ; implicit-def: $sgpr9
                                        ; implicit-def: $sgpr25
                                        ; implicit-def: $sgpr28
	s_cbranch_scc1 .LBB58_187
; %bb.182:                              ;   in Loop: Header=BB58_8 Depth=1
	ds_load_b32 v1, v7 offset:4096
	s_waitcnt lgkmcnt(0)
	v_cmp_ne_u32_e32 vcc_lo, 0, v1
	s_cbranch_vccnz .LBB58_186
; %bb.183:                              ;   in Loop: Header=BB58_8 Depth=1
	s_and_saveexec_b32 s9, s0
	s_cbranch_execz .LBB58_185
; %bb.184:                              ;   in Loop: Header=BB58_8 Depth=1
	v_mov_b32_e32 v1, s16
	ds_store_b32 v7, v1 offset:4100
.LBB58_185:                             ;   in Loop: Header=BB58_8 Depth=1
	s_or_b32 exec_lo, exec_lo, s9
	s_waitcnt lgkmcnt(0)
	s_barrier
	buffer_gl0_inv
.LBB58_186:                             ;   in Loop: Header=BB58_8 Depth=1
	s_lshl_b32 s9, 2, s18
	s_and_b32 s18, s92, s19
	s_or_b32 s28, s93, s11
	s_or_b32 s25, s18, s9
	s_mov_b32 s27, 0
	s_mov_b32 s9, 8
.LBB58_187:                             ;   in Loop: Header=BB58_8 Depth=1
	s_and_not1_b32 vcc_lo, exec_lo, s27
	s_cbranch_vccnz .LBB58_189
; %bb.188:                              ;   in Loop: Header=BB58_8 Depth=1
	s_sub_i32 s26, s26, s16
	s_mov_b32 s27, -1
	s_mov_b32 s9, 0
	s_mov_b32 s25, s92
	;; [unrolled: 1-line block ×3, first 2 shown]
.LBB58_189:                             ;   in Loop: Header=BB58_8 Depth=1
	s_delay_alu instid0(SALU_CYCLE_1)
	s_mov_b32 s93, s28
	s_mov_b32 s92, s25
	;; [unrolled: 1-line block ×3, first 2 shown]
	s_and_not1_b32 vcc_lo, exec_lo, s27
	s_mov_b32 s45, -1
	s_cbranch_vccz .LBB58_192
.LBB58_190:                             ;   in Loop: Header=BB58_8 Depth=1
                                        ; implicit-def: $sgpr19
                                        ; implicit-def: $sgpr27
                                        ; implicit-def: $sgpr26
	s_branch .LBB58_233
.LBB58_191:                             ;   in Loop: Header=BB58_8 Depth=1
	s_mov_b32 s9, 1
	s_and_not1_b32 vcc_lo, exec_lo, s27
	s_mov_b32 s45, -1
	s_cbranch_vccnz .LBB58_190
.LBB58_192:                             ;   in Loop: Header=BB58_8 Depth=1
	s_cmp_eq_u32 s10, 1
	s_mov_b32 s28, -1
	s_cselect_b32 s9, -1, 0
	s_cmp_eq_u32 s25, 1
	s_cselect_b32 s16, -1, 0
	s_delay_alu instid0(SALU_CYCLE_1) | instskip(NEXT) | instid1(SALU_CYCLE_1)
	s_and_b32 s16, s9, s16
	s_and_b32 vcc_lo, exec_lo, s16
	s_cbranch_vccz .LBB58_204
; %bb.193:                              ;   in Loop: Header=BB58_8 Depth=1
	ds_load_b32 v1, v7 offset:4096
	s_waitcnt lgkmcnt(0)
	s_barrier
	buffer_gl0_inv
	v_readfirstlane_b32 s18, v1
	s_and_saveexec_b32 s9, s2
	s_cbranch_execz .LBB58_195
; %bb.194:                              ;   in Loop: Header=BB58_8 Depth=1
	ds_store_b16 v18, v7
.LBB58_195:                             ;   in Loop: Header=BB58_8 Depth=1
	s_or_b32 exec_lo, exec_lo, s9
	s_or_b32 s92, s92, s11
	s_or_b32 s93, s93, s11
	s_cmp_gt_i32 s18, 0
	s_waitcnt lgkmcnt(0)
	s_barrier
	buffer_gl0_inv
	s_cbranch_scc1 .LBB58_205
; %bb.196:                              ;   in Loop: Header=BB58_8 Depth=1
	s_mov_b32 s28, 0
                                        ; implicit-def: $vgpr29
	s_and_saveexec_b32 s19, s8
	s_cbranch_execz .LBB58_207
; %bb.197:                              ;   in Loop: Header=BB58_8 Depth=1
	v_mov_b32_e32 v1, v5
	v_mov_b32_e32 v3, v0
	s_mov_b32 s26, 0
                                        ; implicit-def: $sgpr27
	s_branch .LBB58_199
.LBB58_198:                             ;   in Loop: Header=BB58_199 Depth=2
	s_or_b32 exec_lo, exec_lo, s9
	s_waitcnt vmcnt(0) lgkmcnt(0)
	s_barrier
	buffer_gl0_inv
	ds_load_b32 v2, v7 offset:3072
	v_add_nc_u32_e32 v3, s64, v3
	v_add_nc_u32_e32 v1, s67, v1
	s_waitcnt lgkmcnt(0)
	s_barrier
	buffer_gl0_inv
	v_cmp_le_i32_e32 vcc_lo, s79, v3
	v_cmp_neq_f16_e64 s9, 0, v2
	s_delay_alu instid0(VALU_DEP_1) | instskip(NEXT) | instid1(SALU_CYCLE_1)
	s_or_b32 s28, vcc_lo, s9
	s_and_b32 s28, exec_lo, s28
	s_delay_alu instid0(SALU_CYCLE_1) | instskip(SKIP_2) | instid1(SALU_CYCLE_1)
	s_or_b32 s26, s28, s26
	s_and_not1_b32 s27, s27, exec_lo
	s_and_b32 s9, s9, exec_lo
	s_or_b32 s27, s27, s9
	s_and_not1_b32 exec_lo, exec_lo, s26
	s_cbranch_execz .LBB58_206
.LBB58_199:                             ;   Parent Loop BB58_8 Depth=1
                                        ; =>  This Inner Loop Header: Depth=2
	s_delay_alu instid0(VALU_DEP_1)
	v_cmp_gt_i32_e32 vcc_lo, s44, v3
	v_mov_b32_e32 v2, 0
	s_and_saveexec_b32 s28, vcc_lo
	s_cbranch_execz .LBB58_201
; %bb.200:                              ;   in Loop: Header=BB58_199 Depth=2
	v_ashrrev_i32_e32 v2, 31, v1
	s_delay_alu instid0(VALU_DEP_1) | instskip(NEXT) | instid1(VALU_DEP_1)
	v_lshlrev_b64 v[13:14], 1, v[1:2]
	v_add_co_u32 v13, s9, s62, v13
	s_delay_alu instid0(VALU_DEP_1)
	v_add_co_ci_u32_e64 v14, s9, s63, v14, s9
	global_load_u16 v2, v[13:14], off
.LBB58_201:                             ;   in Loop: Header=BB58_199 Depth=2
	s_or_b32 exec_lo, exec_lo, s28
	s_and_saveexec_b32 s9, vcc_lo
	s_cbranch_execz .LBB58_198
; %bb.202:                              ;   in Loop: Header=BB58_199 Depth=2
	s_waitcnt vmcnt(0)
	v_cmp_lt_i16_e32 vcc_lo, -1, v2
	v_and_b32_e32 v4, 0xffff, v2
	v_cndmask_b32_e32 v6, 0xffff, v28, vcc_lo
	v_cmp_o_f16_e32 vcc_lo, v2, v2
	s_delay_alu instid0(VALU_DEP_2) | instskip(NEXT) | instid1(VALU_DEP_1)
	v_xor_b32_e32 v4, v6, v4
	v_cndmask_b32_e32 v4, 0xffff, v4, vcc_lo
	s_delay_alu instid0(VALU_DEP_1) | instskip(NEXT) | instid1(VALU_DEP_1)
	v_and_b32_e32 v4, s93, v4
	v_cmp_eq_u32_e32 vcc_lo, s92, v4
	s_and_b32 exec_lo, exec_lo, vcc_lo
	s_cbranch_execz .LBB58_198
; %bb.203:                              ;   in Loop: Header=BB58_199 Depth=2
	v_perm_b32 v2, v2, s83, 0x5040100
	ds_store_b32 v7, v2 offset:3072
	s_branch .LBB58_198
.LBB58_204:                             ;   in Loop: Header=BB58_8 Depth=1
                                        ; implicit-def: $sgpr19
                                        ; implicit-def: $sgpr27
                                        ; implicit-def: $sgpr26
	s_branch .LBB58_218
.LBB58_205:                             ;   in Loop: Header=BB58_8 Depth=1
	s_mov_b32 s19, -1
	s_mov_b32 s28, 0
                                        ; implicit-def: $sgpr26
                                        ; implicit-def: $vgpr29
	s_mov_b32 s27, s19
	s_cbranch_execnz .LBB58_208
	s_branch .LBB58_218
.LBB58_206:                             ;   in Loop: Header=BB58_8 Depth=1
	s_or_b32 exec_lo, exec_lo, s26
	v_lshrrev_b32_e32 v29, 16, v2
	s_and_b32 s28, s27, exec_lo
.LBB58_207:                             ;   in Loop: Header=BB58_8 Depth=1
	s_or_b32 exec_lo, exec_lo, s19
	s_mov_b32 s26, -1
	s_mov_b32 s19, 0
	s_delay_alu instid0(SALU_CYCLE_1)
	s_mov_b32 s27, s19
	s_branch .LBB58_218
.LBB58_208:                             ;   in Loop: Header=BB58_8 Depth=1
	s_add_i32 s26, s18, s68
	s_mov_b32 s28, 0
	s_abs_i32 s9, s26
                                        ; implicit-def: $vgpr29
	s_delay_alu instid0(SALU_CYCLE_1) | instskip(NEXT) | instid1(SALU_CYCLE_1)
	s_mul_hi_u32 s19, s9, s78
	s_mul_i32 s19, s19, s64
	s_delay_alu instid0(SALU_CYCLE_1) | instskip(SKIP_4) | instid1(SALU_CYCLE_1)
	s_sub_i32 s9, s9, s19
	s_ashr_i32 s19, s26, 31
	s_sub_i32 s27, s9, s64
	s_cmp_ge_u32 s9, s64
	s_cselect_b32 s9, s27, s9
	s_sub_i32 s27, s9, s64
	s_cmp_ge_u32 s9, s64
	s_cselect_b32 s9, s27, s9
	s_delay_alu instid0(SALU_CYCLE_1) | instskip(NEXT) | instid1(SALU_CYCLE_1)
	s_xor_b32 s9, s9, s19
	s_sub_i32 s9, s19, s9
	s_mov_b32 s19, exec_lo
	s_add_i32 s26, s26, s9
	s_delay_alu instid0(SALU_CYCLE_1)
	v_cmpx_gt_i32_e64 s26, v0
	s_cbranch_execz .LBB58_217
; %bb.209:                              ;   in Loop: Header=BB58_8 Depth=1
	v_dual_mov_b32 v1, v17 :: v_dual_mov_b32 v2, v0
	s_mov_b32 s27, 0
                                        ; implicit-def: $sgpr28
	s_set_inst_prefetch_distance 0x1
	s_branch .LBB58_211
	.p2align	6
.LBB58_210:                             ;   in Loop: Header=BB58_211 Depth=2
	s_or_b32 exec_lo, exec_lo, s9
	s_waitcnt lgkmcnt(0)
	s_barrier
	buffer_gl0_inv
	ds_load_b32 v3, v7 offset:3072
	v_add_nc_u32_e32 v2, s64, v2
	v_add_nc_u32_e32 v1, s82, v1
	s_waitcnt lgkmcnt(0)
	s_barrier
	buffer_gl0_inv
	v_cmp_le_i32_e32 vcc_lo, s26, v2
	v_cmp_neq_f16_e64 s9, 0, v3
	s_delay_alu instid0(VALU_DEP_1) | instskip(NEXT) | instid1(SALU_CYCLE_1)
	s_or_b32 s45, vcc_lo, s9
	s_and_b32 s45, exec_lo, s45
	s_delay_alu instid0(SALU_CYCLE_1) | instskip(SKIP_2) | instid1(SALU_CYCLE_1)
	s_or_b32 s27, s45, s27
	s_and_not1_b32 s28, s28, exec_lo
	s_and_b32 s9, s9, exec_lo
	s_or_b32 s28, s28, s9
	s_and_not1_b32 exec_lo, exec_lo, s27
	s_cbranch_execz .LBB58_216
.LBB58_211:                             ;   Parent Loop BB58_8 Depth=1
                                        ; =>  This Inner Loop Header: Depth=2
	s_delay_alu instid0(VALU_DEP_1)
	v_cmp_gt_i32_e32 vcc_lo, s18, v2
	v_mov_b32_e32 v3, 0
	s_and_saveexec_b32 s9, vcc_lo
	s_cbranch_execz .LBB58_213
; %bb.212:                              ;   in Loop: Header=BB58_211 Depth=2
	ds_load_u16 v3, v1
.LBB58_213:                             ;   in Loop: Header=BB58_211 Depth=2
	s_or_b32 exec_lo, exec_lo, s9
	s_and_saveexec_b32 s9, vcc_lo
	s_cbranch_execz .LBB58_210
; %bb.214:                              ;   in Loop: Header=BB58_211 Depth=2
	s_waitcnt lgkmcnt(0)
	v_cmp_lt_i16_e32 vcc_lo, -1, v3
	v_and_b32_e32 v4, 0xffff, v3
	v_cndmask_b32_e32 v6, 0xffff, v28, vcc_lo
	v_cmp_o_f16_e32 vcc_lo, v3, v3
	s_delay_alu instid0(VALU_DEP_2) | instskip(NEXT) | instid1(VALU_DEP_1)
	v_xor_b32_e32 v4, v6, v4
	v_cndmask_b32_e32 v4, 0xffff, v4, vcc_lo
	s_delay_alu instid0(VALU_DEP_1) | instskip(NEXT) | instid1(VALU_DEP_1)
	v_and_b32_e32 v4, s93, v4
	v_cmp_eq_u32_e32 vcc_lo, s92, v4
	s_and_b32 exec_lo, exec_lo, vcc_lo
	s_cbranch_execz .LBB58_210
; %bb.215:                              ;   in Loop: Header=BB58_211 Depth=2
	v_perm_b32 v3, v3, s83, 0x5040100
	ds_store_b32 v7, v3 offset:3072
	s_branch .LBB58_210
.LBB58_216:                             ;   in Loop: Header=BB58_8 Depth=1
	s_set_inst_prefetch_distance 0x2
	s_or_b32 exec_lo, exec_lo, s27
	v_lshrrev_b32_e32 v29, 16, v3
	s_and_b32 s28, s28, exec_lo
.LBB58_217:                             ;   in Loop: Header=BB58_8 Depth=1
	s_or_b32 exec_lo, exec_lo, s19
	s_mov_b32 s27, -1
	s_mov_b32 s19, 0
	s_mov_b32 s26, 0
.LBB58_218:                             ;   in Loop: Header=BB58_8 Depth=1
	s_mov_b32 s45, 0
                                        ; implicit-def: $sgpr9
	s_and_saveexec_b32 s18, s28
	s_cbranch_execz .LBB58_232
; %bb.219:                              ;   in Loop: Header=BB58_8 Depth=1
	s_xor_b32 s9, s16, -1
	s_delay_alu instid0(SALU_CYCLE_1)
	s_and_not1_b32 vcc_lo, exec_lo, s9
	s_mov_b32 s9, 1
	s_cbranch_vccnz .LBB58_226
; %bb.220:                              ;   in Loop: Header=BB58_8 Depth=1
	s_cmp_gt_i32 s25, s10
	s_cbranch_scc1 .LBB58_227
; %bb.221:                              ;   in Loop: Header=BB58_8 Depth=1
	ds_load_b32 v1, v7 offset:4096
	s_waitcnt lgkmcnt(0)
	v_cmp_ne_u32_e32 vcc_lo, 0, v1
	s_cbranch_vccnz .LBB58_225
; %bb.222:                              ;   in Loop: Header=BB58_8 Depth=1
	s_and_saveexec_b32 s9, s0
	s_cbranch_execz .LBB58_224
; %bb.223:                              ;   in Loop: Header=BB58_8 Depth=1
	v_mov_b32_e32 v1, s10
	ds_store_b32 v7, v1 offset:4100
.LBB58_224:                             ;   in Loop: Header=BB58_8 Depth=1
	s_or_b32 exec_lo, exec_lo, s9
	s_waitcnt lgkmcnt(0)
	s_barrier
	buffer_gl0_inv
.LBB58_225:                             ;   in Loop: Header=BB58_8 Depth=1
	s_or_b32 s16, s92, s11
	s_or_b32 s11, s93, s11
	s_mov_b32 s28, 0
	s_mov_b32 s9, 8
	s_branch .LBB58_228
.LBB58_226:                             ;   in Loop: Header=BB58_8 Depth=1
	s_mov_b32 s25, 1
	s_branch .LBB58_231
.LBB58_227:                             ;   in Loop: Header=BB58_8 Depth=1
	s_mov_b32 s28, -1
                                        ; implicit-def: $sgpr9
                                        ; implicit-def: $sgpr16
                                        ; implicit-def: $sgpr11
.LBB58_228:                             ;   in Loop: Header=BB58_8 Depth=1
	s_delay_alu instid0(SALU_CYCLE_1)
	s_and_not1_b32 vcc_lo, exec_lo, s28
	s_cbranch_vccnz .LBB58_230
; %bb.229:                              ;   in Loop: Header=BB58_8 Depth=1
	s_sub_i32 s25, s25, s10
	s_mov_b32 s9, 8
	s_mov_b32 s16, s92
	;; [unrolled: 1-line block ×3, first 2 shown]
.LBB58_230:                             ;   in Loop: Header=BB58_8 Depth=1
	s_mov_b32 s92, s16
	s_mov_b32 s93, s11
.LBB58_231:                             ;   in Loop: Header=BB58_8 Depth=1
	s_mov_b32 s45, exec_lo
.LBB58_232:                             ;   in Loop: Header=BB58_8 Depth=1
	s_or_b32 exec_lo, exec_lo, s18
.LBB58_233:                             ;   in Loop: Header=BB58_8 Depth=1
	s_delay_alu instid0(SALU_CYCLE_1)
	s_and_not1_b32 s10, s21, exec_lo
	s_and_b32 s11, s19, exec_lo
	s_and_not1_b32 s16, s22, exec_lo
	s_or_b32 s21, s10, s11
	s_and_not1_b32 s10, s23, exec_lo
	s_and_b32 s11, s27, exec_lo
	s_and_b32 s18, s26, exec_lo
	s_or_b32 s23, s10, s11
	s_or_b32 s22, s16, s18
	s_and_b32 s28, s45, exec_lo
	s_mov_b32 s26, s25
.LBB58_234:                             ;   in Loop: Header=BB58_8 Depth=1
	s_or_b32 exec_lo, exec_lo, s24
.LBB58_235:                             ;   in Loop: Header=BB58_8 Depth=1
	s_delay_alu instid0(SALU_CYCLE_1)
	s_and_not1_b32 s10, s15, exec_lo
	s_and_b32 s11, s21, exec_lo
	s_and_not1_b32 s14, s14, exec_lo
	s_or_b32 s15, s10, s11
	s_and_not1_b32 s10, s17, exec_lo
	s_and_b32 s11, s23, exec_lo
	s_and_b32 s16, s22, exec_lo
	s_or_b32 s17, s10, s11
	s_or_b32 s14, s14, s16
	s_and_b32 s25, s28, exec_lo
	s_mov_b32 s22, s26
.LBB58_236:                             ;   in Loop: Header=BB58_8 Depth=1
	s_or_b32 exec_lo, exec_lo, s20
	s_and_saveexec_b32 s10, s25
	s_delay_alu instid0(SALU_CYCLE_1)
	s_xor_b32 s10, exec_lo, s10
	s_cbranch_execz .LBB58_6
.LBB58_237:                             ;   in Loop: Header=BB58_8 Depth=1
	s_and_b32 s9, s9, -9
	s_delay_alu instid0(SALU_CYCLE_1)
	s_cmp_eq_u32 s9, 0
	s_cbranch_scc1 .LBB58_4
; %bb.238:                              ;   in Loop: Header=BB58_8 Depth=1
	s_mov_b32 s9, -1
	s_mov_b32 s11, -1
                                        ; implicit-def: $sgpr93
                                        ; implicit-def: $sgpr22
                                        ; implicit-def: $sgpr87
                                        ; implicit-def: $sgpr90
	s_branch .LBB58_5
.LBB58_239:
	s_or_b32 exec_lo, exec_lo, s65
	s_xor_b32 s3, s86, -1
	s_xor_b32 s2, s84, -1
	;; [unrolled: 1-line block ×3, first 2 shown]
	s_mov_b32 s1, 0
	s_and_saveexec_b32 s5, s2
	s_delay_alu instid0(SALU_CYCLE_1)
	s_xor_b32 s2, exec_lo, s5
	s_cbranch_execz .LBB58_260
; %bb.240:
	s_and_saveexec_b32 s1, s3
	s_delay_alu instid0(SALU_CYCLE_1)
	s_xor_b32 s3, exec_lo, s1
	s_cbranch_execz .LBB58_258
; %bb.241:
	s_and_saveexec_b32 s1, s4
	s_delay_alu instid0(SALU_CYCLE_1)
	s_xor_b32 s1, exec_lo, s1
; %bb.242:
	v_and_b32_e32 v2, 0x8000, v1
	v_mov_b32_e32 v3, 0xffff
	s_delay_alu instid0(VALU_DEP_2) | instskip(NEXT) | instid1(VALU_DEP_2)
	v_cmp_eq_u32_e32 vcc_lo, 0, v2
	v_cndmask_b32_e32 v2, 0x8000, v3, vcc_lo
	s_delay_alu instid0(VALU_DEP_1)
	v_xor_b32_e32 v29, v2, v1
; %bb.243:
	s_or_b32 exec_lo, exec_lo, s1
	s_and_saveexec_b32 s1, s0
	s_cbranch_execz .LBB58_245
; %bb.244:
	v_dual_mov_b32 v1, 0 :: v_dual_mov_b32 v2, s44
	ds_store_b32 v1, v2 offset:4108
.LBB58_245:
	s_or_b32 exec_lo, exec_lo, s1
	v_mov_b32_e32 v1, 0
	s_waitcnt lgkmcnt(0)
	s_barrier
	buffer_gl0_inv
	s_mov_b32 s4, exec_lo
	ds_load_b32 v1, v1 offset:4108
	s_waitcnt lgkmcnt(0)
	v_min_i32_e32 v1, s44, v1
	s_delay_alu instid0(VALU_DEP_1)
	v_cmpx_lt_i32_e64 v0, v1
	s_cbranch_execz .LBB58_255
; %bb.246:
	v_cmp_u_f16_e32 vcc_lo, v29, v29
	s_mov_b32 s5, 0
                                        ; implicit-def: $sgpr6
                                        ; implicit-def: $sgpr9
                                        ; implicit-def: $sgpr8
	s_xor_b32 s7, vcc_lo, -1
	s_set_inst_prefetch_distance 0x1
	s_branch .LBB58_248
	.p2align	6
.LBB58_247:                             ;   in Loop: Header=BB58_248 Depth=1
	s_or_b32 exec_lo, exec_lo, s1
	s_delay_alu instid0(SALU_CYCLE_1) | instskip(NEXT) | instid1(SALU_CYCLE_1)
	s_and_b32 s1, exec_lo, s9
	s_or_b32 s5, s1, s5
	s_and_not1_b32 s1, s6, exec_lo
	s_and_b32 s6, s8, exec_lo
	s_delay_alu instid0(SALU_CYCLE_1)
	s_or_b32 s6, s1, s6
	s_and_not1_b32 exec_lo, exec_lo, s5
	s_cbranch_execz .LBB58_250
.LBB58_248:                             ; =>This Inner Loop Header: Depth=1
	v_ashrrev_i32_e32 v6, 31, v5
	s_or_b32 s8, s8, exec_lo
	s_or_b32 s9, s9, exec_lo
	s_delay_alu instid0(VALU_DEP_1) | instskip(NEXT) | instid1(VALU_DEP_1)
	v_lshlrev_b64 v[2:3], 1, v[5:6]
	v_add_co_u32 v2, vcc_lo, s62, v2
	s_delay_alu instid0(VALU_DEP_2)
	v_add_co_ci_u32_e32 v3, vcc_lo, s63, v3, vcc_lo
	global_load_u16 v2, v[2:3], off
	s_waitcnt vmcnt(0)
	v_cmp_o_f16_e32 vcc_lo, v2, v2
	v_cmp_neq_f16_e64 s1, v2, v29
	v_mov_b32_e32 v2, v0
                                        ; implicit-def: $vgpr0
	s_or_b32 s10, s7, vcc_lo
	s_delay_alu instid0(VALU_DEP_2) | instid1(SALU_CYCLE_1)
	s_and_b32 s10, s1, s10
	s_delay_alu instid0(SALU_CYCLE_1)
	s_and_saveexec_b32 s1, s10
	s_cbranch_execz .LBB58_247
; %bb.249:                              ;   in Loop: Header=BB58_248 Depth=1
	v_add_nc_u32_e32 v0, s64, v2
	s_and_not1_b32 s9, s9, exec_lo
	v_add_nc_u32_e32 v5, s67, v5
	s_and_not1_b32 s8, s8, exec_lo
	s_delay_alu instid0(VALU_DEP_2) | instskip(SKIP_1) | instid1(SALU_CYCLE_1)
	v_cmp_ge_i32_e32 vcc_lo, v0, v1
	s_and_b32 s10, vcc_lo, exec_lo
	s_or_b32 s9, s9, s10
	s_branch .LBB58_247
.LBB58_250:
	s_set_inst_prefetch_distance 0x2
	s_or_b32 exec_lo, exec_lo, s5
	s_and_saveexec_b32 s1, s6
	s_delay_alu instid0(SALU_CYCLE_1)
	s_xor_b32 s1, exec_lo, s1
	s_cbranch_execz .LBB58_255
; %bb.251:
	s_mov_b32 s5, exec_lo
	s_brev_b32 s1, -2
.LBB58_252:                             ; =>This Inner Loop Header: Depth=1
	s_ctz_i32_b32 s6, s5
	s_delay_alu instid0(SALU_CYCLE_1) | instskip(SKIP_1) | instid1(SALU_CYCLE_1)
	v_readlane_b32 s7, v2, s6
	s_lshl_b32 s6, 1, s6
	s_and_not1_b32 s5, s5, s6
	s_delay_alu instid0(VALU_DEP_1)
	s_min_i32 s1, s1, s7
	s_cmp_lg_u32 s5, 0
	s_cbranch_scc1 .LBB58_252
; %bb.253:
	v_mbcnt_lo_u32_b32 v0, exec_lo, 0
	s_mov_b32 s5, exec_lo
	s_delay_alu instid0(VALU_DEP_1)
	v_cmpx_eq_u32_e32 0, v0
	s_xor_b32 s5, exec_lo, s5
	s_cbranch_execz .LBB58_255
; %bb.254:
	v_dual_mov_b32 v0, 0 :: v_dual_mov_b32 v1, s1
	ds_min_i32 v0, v1 offset:4108
.LBB58_255:
	s_or_b32 exec_lo, exec_lo, s4
	s_waitcnt lgkmcnt(0)
	s_barrier
	buffer_gl0_inv
	s_and_saveexec_b32 s1, s0
	s_cbranch_execz .LBB58_257
; %bb.256:
	s_mul_i32 s4, s59, s54
	s_mul_i32 s0, s46, s31
	s_sub_i32 s4, s55, s4
	s_sub_i32 s0, s29, s0
	s_xor_b32 s5, s60, s61
	s_add_i32 s6, s59, 1
	s_sub_i32 s7, s4, s54
	s_cmp_ge_u32 s4, s54
	s_mul_i32 s0, s0, s42
	s_cselect_b32 s6, s6, s59
	s_cselect_b32 s4, s7, s4
	s_add_i32 s7, s6, 1
	s_cmp_ge_u32 s4, s54
	v_mov_b32_e32 v2, 0
	s_cselect_b32 s4, s7, s6
	s_mul_i32 s7, s43, s33
	s_xor_b32 s4, s4, s5
	s_mul_i32 s6, s39, s35
	s_sub_i32 s4, s4, s5
	s_sub_i32 s6, s29, s6
	s_mul_i32 s5, s4, s30
	s_mul_i32 s4, s4, s40
	s_sub_i32 s5, s46, s5
	s_xor_b32 s8, s57, s58
	s_mul_i32 s5, s5, s41
	ds_load_b32 v0, v2 offset:4108
	s_add_i32 s0, s5, s0
	s_sub_i32 s5, s56, s7
	s_add_i32 s4, s0, s4
	s_add_i32 s0, s43, 1
	s_sub_i32 s7, s5, s33
	s_cmp_ge_u32 s5, s33
	s_mul_i32 s6, s6, s38
	s_cselect_b32 s0, s0, s43
	s_cselect_b32 s5, s7, s5
	s_add_i32 s7, s0, 1
	s_cmp_ge_u32 s5, s33
	s_cselect_b32 s0, s7, s0
	s_delay_alu instid0(SALU_CYCLE_1) | instskip(NEXT) | instid1(SALU_CYCLE_1)
	s_xor_b32 s0, s0, s8
	s_sub_i32 s0, s0, s8
	s_delay_alu instid0(SALU_CYCLE_1)
	s_mul_i32 s5, s0, s34
	s_mul_i32 s0, s0, s36
	s_sub_i32 s7, s39, s5
	s_ashr_i32 s5, s4, 31
	s_mul_i32 s7, s7, s37
	s_lshl_b64 s[4:5], s[4:5], 1
	s_add_i32 s6, s7, s6
	s_waitcnt lgkmcnt(0)
	v_ashrrev_i32_e32 v1, 31, v0
	s_add_i32 s6, s6, s0
	s_add_u32 s4, s50, s4
	s_addc_u32 s5, s51, s5
	s_ashr_i32 s7, s6, 31
	s_delay_alu instid0(SALU_CYCLE_1) | instskip(NEXT) | instid1(SALU_CYCLE_1)
	s_lshl_b64 s[6:7], s[6:7], 3
	s_add_u32 s6, s48, s6
	s_addc_u32 s7, s49, s7
	s_clause 0x1
	global_store_b64 v2, v[0:1], s[6:7]
	global_store_b16 v2, v29, s[4:5]
.LBB58_257:
	s_or_b32 exec_lo, exec_lo, s1
.LBB58_258:
	s_or_saveexec_b32 s0, s3
	s_mov_b32 s1, 0
	s_xor_b32 exec_lo, exec_lo, s0
	s_cbranch_execnz .LBB58_266
.LBB58_259:
	s_or_b32 exec_lo, exec_lo, s0
	s_delay_alu instid0(SALU_CYCLE_1)
	s_and_b32 s1, s1, exec_lo
.LBB58_260:
	s_and_not1_saveexec_b32 s0, s2
	s_cbranch_execnz .LBB58_264
; %bb.261:
	s_or_b32 exec_lo, exec_lo, s0
	s_and_saveexec_b32 s0, s1
.LBB58_262:
	; divergent unreachable
.LBB58_263:
	s_nop 0
	s_sendmsg sendmsg(MSG_DEALLOC_VGPRS)
	s_endpgm
.LBB58_264:
	s_cbranch_execnz .LBB58_268
; %bb.265:
	s_or_b32 s1, s1, exec_lo
	s_or_b32 exec_lo, exec_lo, s0
	s_and_saveexec_b32 s0, s1
	s_cbranch_execnz .LBB58_262
	s_branch .LBB58_263
.LBB58_266:
	s_cbranch_execnz .LBB58_270
; %bb.267:
	s_mov_b32 s1, exec_lo
	s_branch .LBB58_259
.LBB58_268:
	s_trap 2
	s_sendmsg_rtn_b32 s0, sendmsg(MSG_RTN_GET_DOORBELL)
	s_mov_b32 ttmp2, m0
	s_waitcnt lgkmcnt(0)
	s_and_b32 s0, s0, 0x3ff
	s_delay_alu instid0(SALU_CYCLE_1) | instskip(NEXT) | instid1(SALU_CYCLE_1)
	s_bitset1_b32 s0, 10
	s_mov_b32 m0, s0
	s_sendmsg sendmsg(MSG_INTERRUPT)
	s_mov_b32 m0, ttmp2
.LBB58_269:                             ; =>This Inner Loop Header: Depth=1
	s_sethalt 5
	s_branch .LBB58_269
.LBB58_270:
	s_trap 2
	s_sendmsg_rtn_b32 s0, sendmsg(MSG_RTN_GET_DOORBELL)
	s_mov_b32 ttmp2, m0
	s_waitcnt lgkmcnt(0)
	s_and_b32 s0, s0, 0x3ff
	s_delay_alu instid0(SALU_CYCLE_1) | instskip(NEXT) | instid1(SALU_CYCLE_1)
	s_bitset1_b32 s0, 10
	s_mov_b32 m0, s0
	s_sendmsg sendmsg(MSG_INTERRUPT)
	s_mov_b32 m0, ttmp2
.LBB58_271:                             ; =>This Inner Loop Header: Depth=1
	s_sethalt 5
	s_branch .LBB58_271
	.section	.rodata,"a",@progbits
	.p2align	6, 0x0
	.amdhsa_kernel _ZN2at6native12_GLOBAL__N_114gatherKthValueIN3c104HalfEiLi3EEEvNS_4cuda6detail10TensorInfoIKT_T0_EESA_SA_SA_SA_NS7_IS8_SA_EENS7_IlSA_EE
		.amdhsa_group_segment_fixed_size 4112
		.amdhsa_private_segment_fixed_size 0
		.amdhsa_kernarg_size 920
		.amdhsa_user_sgpr_count 13
		.amdhsa_user_sgpr_dispatch_ptr 0
		.amdhsa_user_sgpr_queue_ptr 0
		.amdhsa_user_sgpr_kernarg_segment_ptr 1
		.amdhsa_user_sgpr_dispatch_id 0
		.amdhsa_user_sgpr_private_segment_size 0
		.amdhsa_wavefront_size32 1
		.amdhsa_uses_dynamic_stack 0
		.amdhsa_enable_private_segment 0
		.amdhsa_system_sgpr_workgroup_id_x 1
		.amdhsa_system_sgpr_workgroup_id_y 1
		.amdhsa_system_sgpr_workgroup_id_z 1
		.amdhsa_system_sgpr_workgroup_info 0
		.amdhsa_system_vgpr_workitem_id 0
		.amdhsa_next_free_vgpr 40
		.amdhsa_next_free_sgpr 103
		.amdhsa_reserve_vcc 1
		.amdhsa_float_round_mode_32 0
		.amdhsa_float_round_mode_16_64 0
		.amdhsa_float_denorm_mode_32 3
		.amdhsa_float_denorm_mode_16_64 3
		.amdhsa_dx10_clamp 1
		.amdhsa_ieee_mode 1
		.amdhsa_fp16_overflow 0
		.amdhsa_workgroup_processor_mode 1
		.amdhsa_memory_ordered 1
		.amdhsa_forward_progress 0
		.amdhsa_shared_vgpr_count 0
		.amdhsa_exception_fp_ieee_invalid_op 0
		.amdhsa_exception_fp_denorm_src 0
		.amdhsa_exception_fp_ieee_div_zero 0
		.amdhsa_exception_fp_ieee_overflow 0
		.amdhsa_exception_fp_ieee_underflow 0
		.amdhsa_exception_fp_ieee_inexact 0
		.amdhsa_exception_int_div_zero 0
	.end_amdhsa_kernel
	.section	.text._ZN2at6native12_GLOBAL__N_114gatherKthValueIN3c104HalfEiLi3EEEvNS_4cuda6detail10TensorInfoIKT_T0_EESA_SA_SA_SA_NS7_IS8_SA_EENS7_IlSA_EE,"axG",@progbits,_ZN2at6native12_GLOBAL__N_114gatherKthValueIN3c104HalfEiLi3EEEvNS_4cuda6detail10TensorInfoIKT_T0_EESA_SA_SA_SA_NS7_IS8_SA_EENS7_IlSA_EE,comdat
.Lfunc_end58:
	.size	_ZN2at6native12_GLOBAL__N_114gatherKthValueIN3c104HalfEiLi3EEEvNS_4cuda6detail10TensorInfoIKT_T0_EESA_SA_SA_SA_NS7_IS8_SA_EENS7_IlSA_EE, .Lfunc_end58-_ZN2at6native12_GLOBAL__N_114gatherKthValueIN3c104HalfEiLi3EEEvNS_4cuda6detail10TensorInfoIKT_T0_EESA_SA_SA_SA_NS7_IS8_SA_EENS7_IlSA_EE
                                        ; -- End function
	.section	.AMDGPU.csdata,"",@progbits
; Kernel info:
; codeLenInByte = 11332
; NumSgprs: 105
; NumVgprs: 40
; ScratchSize: 0
; MemoryBound: 0
; FloatMode: 240
; IeeeMode: 1
; LDSByteSize: 4112 bytes/workgroup (compile time only)
; SGPRBlocks: 13
; VGPRBlocks: 4
; NumSGPRsForWavesPerEU: 105
; NumVGPRsForWavesPerEU: 40
; Occupancy: 16
; WaveLimiterHint : 1
; COMPUTE_PGM_RSRC2:SCRATCH_EN: 0
; COMPUTE_PGM_RSRC2:USER_SGPR: 13
; COMPUTE_PGM_RSRC2:TRAP_HANDLER: 0
; COMPUTE_PGM_RSRC2:TGID_X_EN: 1
; COMPUTE_PGM_RSRC2:TGID_Y_EN: 1
; COMPUTE_PGM_RSRC2:TGID_Z_EN: 1
; COMPUTE_PGM_RSRC2:TIDIG_COMP_CNT: 0
	.section	.text._ZN2at6native12_GLOBAL__N_114gatherKthValueIN3c104HalfEiLin1EEEvNS_4cuda6detail10TensorInfoIKT_T0_EESA_SA_SA_SA_NS7_IS8_SA_EENS7_IlSA_EE,"axG",@progbits,_ZN2at6native12_GLOBAL__N_114gatherKthValueIN3c104HalfEiLin1EEEvNS_4cuda6detail10TensorInfoIKT_T0_EESA_SA_SA_SA_NS7_IS8_SA_EENS7_IlSA_EE,comdat
	.globl	_ZN2at6native12_GLOBAL__N_114gatherKthValueIN3c104HalfEiLin1EEEvNS_4cuda6detail10TensorInfoIKT_T0_EESA_SA_SA_SA_NS7_IS8_SA_EENS7_IlSA_EE ; -- Begin function _ZN2at6native12_GLOBAL__N_114gatherKthValueIN3c104HalfEiLin1EEEvNS_4cuda6detail10TensorInfoIKT_T0_EESA_SA_SA_SA_NS7_IS8_SA_EENS7_IlSA_EE
	.p2align	8
	.type	_ZN2at6native12_GLOBAL__N_114gatherKthValueIN3c104HalfEiLin1EEEvNS_4cuda6detail10TensorInfoIKT_T0_EESA_SA_SA_SA_NS7_IS8_SA_EENS7_IlSA_EE,@function
_ZN2at6native12_GLOBAL__N_114gatherKthValueIN3c104HalfEiLin1EEEvNS_4cuda6detail10TensorInfoIKT_T0_EESA_SA_SA_SA_NS7_IS8_SA_EENS7_IlSA_EE: ; @_ZN2at6native12_GLOBAL__N_114gatherKthValueIN3c104HalfEiLin1EEEvNS_4cuda6detail10TensorInfoIKT_T0_EESA_SA_SA_SA_NS7_IS8_SA_EENS7_IlSA_EE
; %bb.0:
	s_clause 0x1
	s_load_b64 s[6:7], s[0:1], 0x298
	s_load_b128 s[36:39], s[0:1], 0xd8
	s_add_u32 s4, s0, 0x298
	s_addc_u32 s5, s1, 0
	s_waitcnt lgkmcnt(0)
	s_mul_i32 s2, s7, s15
	s_delay_alu instid0(SALU_CYCLE_1) | instskip(NEXT) | instid1(SALU_CYCLE_1)
	s_add_i32 s2, s2, s14
	s_mul_i32 s2, s2, s6
	s_delay_alu instid0(SALU_CYCLE_1) | instskip(NEXT) | instid1(SALU_CYCLE_1)
	s_add_i32 s33, s2, s13
	s_cmp_ge_i32 s33, s38
	s_cbranch_scc1 .LBB59_272
; %bb.1:
	s_load_b32 s8, s[0:1], 0xd0
	s_mov_b32 s3, 0
	s_mov_b32 s7, s33
	s_waitcnt lgkmcnt(0)
	s_cmp_lt_i32 s8, 2
	s_cbranch_scc1 .LBB59_4
; %bb.2:
	s_add_i32 s2, s8, -1
	s_delay_alu instid0(SALU_CYCLE_1)
	s_lshl_b64 s[10:11], s[2:3], 2
	s_add_i32 s2, s8, 1
	s_add_u32 s7, s10, s0
	s_addc_u32 s9, s11, s1
	s_add_u32 s8, s7, 8
	s_addc_u32 s9, s9, 0
	s_mov_b32 s7, s33
	s_set_inst_prefetch_distance 0x1
	.p2align	6
.LBB59_3:                               ; =>This Inner Loop Header: Depth=1
	s_clause 0x1
	s_load_b32 s10, s[8:9], 0x0
	s_load_b32 s11, s[8:9], 0x64
	s_mov_b32 s16, s7
	s_waitcnt lgkmcnt(0)
	s_abs_i32 s12, s10
	s_delay_alu instid0(SALU_CYCLE_1)
	v_cvt_f32_u32_e32 v1, s12
	s_sub_i32 s15, 0, s12
	s_waitcnt_depctr 0xfff
	v_rcp_iflag_f32_e32 v1, v1
	s_waitcnt_depctr 0xfff
	v_mul_f32_e32 v1, 0x4f7ffffe, v1
	s_delay_alu instid0(VALU_DEP_1) | instskip(NEXT) | instid1(VALU_DEP_1)
	v_cvt_u32_f32_e32 v1, v1
	v_readfirstlane_b32 s14, v1
	s_delay_alu instid0(VALU_DEP_1) | instskip(NEXT) | instid1(SALU_CYCLE_1)
	s_mul_i32 s15, s15, s14
	s_mul_hi_u32 s7, s14, s15
	s_abs_i32 s15, s16
	s_add_i32 s14, s14, s7
	s_delay_alu instid0(SALU_CYCLE_1)
	s_mul_hi_u32 s7, s15, s14
	s_xor_b32 s14, s16, s10
	s_mul_i32 s17, s7, s12
	s_ashr_i32 s14, s14, 31
	s_sub_i32 s15, s15, s17
	s_add_i32 s17, s7, 1
	s_sub_i32 s18, s15, s12
	s_cmp_ge_u32 s15, s12
	s_cselect_b32 s7, s17, s7
	s_cselect_b32 s15, s18, s15
	s_add_i32 s17, s7, 1
	s_cmp_ge_u32 s15, s12
	s_cselect_b32 s7, s17, s7
	s_add_i32 s2, s2, -1
	s_xor_b32 s7, s7, s14
	s_delay_alu instid0(SALU_CYCLE_1) | instskip(NEXT) | instid1(SALU_CYCLE_1)
	s_sub_i32 s7, s7, s14
	s_mul_i32 s10, s7, s10
	s_delay_alu instid0(SALU_CYCLE_1) | instskip(NEXT) | instid1(SALU_CYCLE_1)
	s_sub_i32 s10, s16, s10
	s_mul_i32 s10, s11, s10
	s_delay_alu instid0(SALU_CYCLE_1)
	s_add_i32 s3, s10, s3
	s_add_u32 s8, s8, -4
	s_addc_u32 s9, s9, -1
	s_cmp_gt_u32 s2, 2
	s_cbranch_scc1 .LBB59_3
.LBB59_4:
	s_set_inst_prefetch_distance 0x2
	s_load_b32 s2, s[0:1], 0x1b8
	s_add_u32 s8, s0, 0xe8
	s_addc_u32 s9, s1, 0
	s_mov_b32 s29, 0
	s_mov_b32 s38, s33
	s_waitcnt lgkmcnt(0)
	s_cmp_lt_i32 s2, 2
	s_cbranch_scc1 .LBB59_7
; %bb.5:
	s_add_i32 s28, s2, -1
	s_add_i32 s2, s2, 1
	s_lshl_b64 s[10:11], s[28:29], 2
	s_mov_b32 s38, s33
	s_add_u32 s10, s10, s8
	s_addc_u32 s11, s11, s9
	s_add_u32 s10, s10, 8
	s_addc_u32 s11, s11, 0
	s_set_inst_prefetch_distance 0x1
	.p2align	6
.LBB59_6:                               ; =>This Inner Loop Header: Depth=1
	s_clause 0x1
	s_load_b32 s12, s[10:11], 0x0
	s_load_b32 s14, s[10:11], 0x64
	s_abs_i32 s19, s38
	s_mov_b32 s18, s38
	s_waitcnt lgkmcnt(0)
	s_abs_i32 s15, s12
	s_delay_alu instid0(SALU_CYCLE_1)
	v_cvt_f32_u32_e32 v1, s15
	s_sub_i32 s17, 0, s15
	s_waitcnt_depctr 0xfff
	v_rcp_iflag_f32_e32 v1, v1
	s_waitcnt_depctr 0xfff
	v_mul_f32_e32 v1, 0x4f7ffffe, v1
	s_delay_alu instid0(VALU_DEP_1) | instskip(NEXT) | instid1(VALU_DEP_1)
	v_cvt_u32_f32_e32 v1, v1
	v_readfirstlane_b32 s16, v1
	s_delay_alu instid0(VALU_DEP_1) | instskip(NEXT) | instid1(SALU_CYCLE_1)
	s_mul_i32 s17, s17, s16
	s_mul_hi_u32 s17, s16, s17
	s_delay_alu instid0(SALU_CYCLE_1) | instskip(SKIP_4) | instid1(SALU_CYCLE_1)
	s_add_i32 s16, s16, s17
	s_xor_b32 s17, s38, s12
	s_mul_hi_u32 s16, s19, s16
	s_ashr_i32 s17, s17, 31
	s_mul_i32 s20, s16, s15
	s_sub_i32 s19, s19, s20
	s_add_i32 s20, s16, 1
	s_sub_i32 s21, s19, s15
	s_cmp_ge_u32 s19, s15
	s_cselect_b32 s16, s20, s16
	s_cselect_b32 s19, s21, s19
	s_add_i32 s20, s16, 1
	s_cmp_ge_u32 s19, s15
	s_cselect_b32 s15, s20, s16
	s_add_i32 s2, s2, -1
	s_xor_b32 s15, s15, s17
	s_delay_alu instid0(SALU_CYCLE_1) | instskip(NEXT) | instid1(SALU_CYCLE_1)
	s_sub_i32 s38, s15, s17
	s_mul_i32 s12, s38, s12
	s_delay_alu instid0(SALU_CYCLE_1) | instskip(NEXT) | instid1(SALU_CYCLE_1)
	s_sub_i32 s12, s18, s12
	s_mul_i32 s12, s14, s12
	s_delay_alu instid0(SALU_CYCLE_1)
	s_add_i32 s29, s12, s29
	s_add_u32 s10, s10, -4
	s_addc_u32 s11, s11, -1
	s_cmp_gt_u32 s2, 2
	s_cbranch_scc1 .LBB59_6
.LBB59_7:
	s_set_inst_prefetch_distance 0x2
	s_clause 0x1
	s_load_b32 s12, s[0:1], 0x6c
	s_load_b32 s2, s[0:1], 0x290
	s_add_u32 s10, s0, 0x1c0
	s_addc_u32 s11, s1, 0
	s_mov_b32 s31, 0
	s_waitcnt lgkmcnt(0)
	s_cmp_lt_i32 s2, 2
	s_cbranch_scc1 .LBB59_10
; %bb.8:
	s_add_i32 s30, s2, -1
	s_add_i32 s2, s2, 1
	s_lshl_b64 s[14:15], s[30:31], 2
	s_delay_alu instid0(SALU_CYCLE_1)
	s_add_u32 s10, s14, s10
	s_addc_u32 s11, s15, s11
	s_add_u32 s10, s10, 8
	s_addc_u32 s11, s11, 0
	s_set_inst_prefetch_distance 0x1
	.p2align	6
.LBB59_9:                               ; =>This Inner Loop Header: Depth=1
	s_clause 0x1
	s_load_b32 s14, s[10:11], 0x0
	s_load_b32 s15, s[10:11], 0x64
	s_abs_i32 s20, s33
	s_mov_b32 s19, s33
	s_waitcnt lgkmcnt(0)
	s_abs_i32 s16, s14
	s_delay_alu instid0(SALU_CYCLE_1)
	v_cvt_f32_u32_e32 v1, s16
	s_sub_i32 s18, 0, s16
	s_waitcnt_depctr 0xfff
	v_rcp_iflag_f32_e32 v1, v1
	s_waitcnt_depctr 0xfff
	v_mul_f32_e32 v1, 0x4f7ffffe, v1
	s_delay_alu instid0(VALU_DEP_1) | instskip(NEXT) | instid1(VALU_DEP_1)
	v_cvt_u32_f32_e32 v1, v1
	v_readfirstlane_b32 s17, v1
	s_delay_alu instid0(VALU_DEP_1) | instskip(NEXT) | instid1(SALU_CYCLE_1)
	s_mul_i32 s18, s18, s17
	s_mul_hi_u32 s18, s17, s18
	s_delay_alu instid0(SALU_CYCLE_1) | instskip(SKIP_4) | instid1(SALU_CYCLE_1)
	s_add_i32 s17, s17, s18
	s_xor_b32 s18, s33, s14
	s_mul_hi_u32 s17, s20, s17
	s_ashr_i32 s18, s18, 31
	s_mul_i32 s21, s17, s16
	s_sub_i32 s20, s20, s21
	s_add_i32 s21, s17, 1
	s_sub_i32 s22, s20, s16
	s_cmp_ge_u32 s20, s16
	s_cselect_b32 s17, s21, s17
	s_cselect_b32 s20, s22, s20
	s_add_i32 s21, s17, 1
	s_cmp_ge_u32 s20, s16
	s_cselect_b32 s16, s21, s17
	s_add_i32 s2, s2, -1
	s_xor_b32 s16, s16, s18
	s_delay_alu instid0(SALU_CYCLE_1) | instskip(NEXT) | instid1(SALU_CYCLE_1)
	s_sub_i32 s33, s16, s18
	s_mul_i32 s14, s33, s14
	s_delay_alu instid0(SALU_CYCLE_1) | instskip(NEXT) | instid1(SALU_CYCLE_1)
	s_sub_i32 s14, s19, s14
	s_mul_i32 s14, s15, s14
	s_delay_alu instid0(SALU_CYCLE_1)
	s_add_i32 s31, s14, s31
	s_add_u32 s10, s10, -4
	s_addc_u32 s11, s11, -1
	s_cmp_gt_u32 s2, 2
	s_cbranch_scc1 .LBB59_9
.LBB59_10:
	s_set_inst_prefetch_distance 0x2
	s_clause 0x3
	s_load_b32 s30, s[8:9], 0x6c
	s_load_b64 s[8:9], s[0:1], 0x0
	s_load_b64 s[40:41], s[0:1], 0xe8
	;; [unrolled: 1-line block ×3, first 2 shown]
	v_cmp_eq_u32_e64 s2, 0, v0
	s_mov_b32 s48, 0
	s_delay_alu instid0(VALU_DEP_1)
	s_and_saveexec_b32 s10, s2
	s_cbranch_execz .LBB59_12
; %bb.11:
	v_dual_mov_b32 v1, 0 :: v_dual_mov_b32 v2, s36
	s_delay_alu instid0(VALU_DEP_1)
	v_mov_b32_e32 v3, v1
	ds_store_b96 v1, v[1:3] offset:4096
.LBB59_12:
	s_or_b32 exec_lo, exec_lo, s10
	s_waitcnt lgkmcnt(0)
	s_barrier
	buffer_gl0_inv
	s_load_b32 s14, s[4:5], 0xc
	s_load_b32 s44, s[0:1], 0x22c
	s_mul_i32 s0, s12, s7
	v_mbcnt_lo_u32_b32 v15, -1, 0
	s_add_i32 s0, s0, s3
	v_cmp_gt_u32_e32 vcc_lo, 32, v0
	s_ashr_i32 s1, s0, 31
	v_mul_lo_u32 v5, v0, s39
	s_lshl_b64 s[10:11], s[0:1], 1
	v_cmp_gt_i32_e64 s1, 4, v15
	s_add_u32 s45, s8, s10
	s_addc_u32 s46, s9, s11
	v_mov_b32_e32 v7, 0
	v_lshrrev_b32_e32 v3, 3, v0
	s_and_b32 s50, vcc_lo, s1
	v_lshlrev_b32_e32 v17, 1, v0
	s_mov_b32 s10, s39
	v_mov_b32_e32 v6, v7
	v_dual_mov_b32 v29, 0 :: v_dual_and_b32 v20, 0x7c, v3
	s_waitcnt lgkmcnt(0)
	s_and_b32 s47, s14, 0xffff
	s_bfe_u32 s1, s14, 0xb0005
	s_lshl_b32 s49, s47, 2
	s_add_i32 s52, s47, -1
	v_cvt_f32_u32_e32 v1, s49
	s_add_i32 s62, s52, s36
	s_cmpk_gt_i32 s36, 0x600
	v_cvt_f32_u32_e32 v2, s47
	s_cselect_b32 s53, -1, 0
	v_rcp_iflag_f32_e32 v1, v1
	s_cmp_gt_u32 s47, 31
	v_lshlrev_b32_e32 v16, 2, v0
	s_cselect_b32 s54, -1, 0
	s_cmp_lt_u32 s13, s6
	v_rcp_iflag_f32_e32 v2, v2
	s_cselect_b32 s3, 12, 18
	v_lshlrev_b64 v[8:9], 1, v[5:6]
	s_add_u32 s42, s4, s3
	s_addc_u32 s43, s5, 0
	s_waitcnt_depctr 0xfff
	v_mul_f32_e32 v1, 0x4f7ffffe, v1
	s_add_i32 s3, s1, -1
	s_bfe_u32 s55, s47, 0x30005
	s_cmp_gt_u32 s3, 6
	v_add_co_u32 v8, vcc_lo, s45, v8
	v_cvt_u32_f32_e32 v1, v1
	s_cselect_b32 s56, -1, 0
	s_and_b32 s57, s1, 0x7f8
	s_cmp_lg_u32 s55, 0
	v_lshlrev_b32_e32 v24, 2, v5
	v_readfirstlane_b32 s4, v1
	s_cselect_b32 s58, -1, 0
	s_sub_i32 s3, 0, s49
	v_mul_f32_e32 v1, 0x4f7ffffe, v2
	v_add_co_ci_u32_e32 v9, vcc_lo, s46, v9, vcc_lo
	s_mul_i32 s5, s3, s4
	v_mad_u64_u32 v[12:13], null, s39, v16, s[10:11]
	s_mul_hi_u32 s5, s4, s5
	v_cvt_u32_f32_e32 v1, v1
	s_add_i32 s59, s4, s5
	v_cmp_gt_u32_e64 s0, 2, v0
	s_mul_hi_u32 s5, s36, s59
	v_cmp_gt_u32_e64 s1, s36, v0
	s_mul_i32 s5, s5, s49
	v_cmp_gt_i32_e64 s3, s36, v0
	s_sub_i32 s5, s36, s5
	v_cmp_eq_u32_e64 s4, 0, v15
	s_sub_i32 s6, s5, s49
	s_cmp_ge_u32 s5, s49
	v_add_nc_u32_e32 v18, 0xc00, v17
	s_cselect_b32 s5, s6, s5
	v_readfirstlane_b32 s6, v1
	s_sub_i32 s7, s5, s49
	s_cmp_ge_u32 s5, s49
	v_lshlrev_b64 v[1:2], v15, -1
	s_cselect_b32 s9, s7, s5
	v_mov_b32_e32 v28, 0x8000
	s_sub_i32 s60, s36, s9
	s_sub_i32 s5, 0, s47
	v_add_nc_u32_e32 v19, s60, v0
	s_mul_i32 s5, s5, s6
	s_abs_i32 s7, s62
	s_mul_hi_u32 s5, s6, s5
	v_not_b32_e32 v21, v1
	v_mul_lo_u32 v2, v19, s39
	s_add_i32 s61, s6, s5
	v_lshlrev_b32_e32 v26, 3, v0
	s_mul_hi_u32 s5, s7, s61
	v_lshl_or_b32 v27, v15, 2, 0xc00
	s_mul_i32 s5, s5, s47
	s_mul_i32 s51, s39, s47
	s_sub_i32 s5, s7, s5
	v_ashrrev_i32_e32 v3, 31, v2
	s_ashr_i32 s7, s62, 31
	s_sub_i32 s6, s5, s47
	s_cmp_ge_u32 s5, s47
	s_mov_b32 s70, 14
	v_lshlrev_b64 v[1:2], 1, v[2:3]
	s_cselect_b32 s5, s6, s5
	v_or_b32_e32 v3, 3, v16
	s_sub_i32 s6, s5, s47
	s_cmp_ge_u32 s5, s47
	s_movk_i32 s66, 0x3c00
	v_add_co_u32 v10, vcc_lo, s45, v1
	v_add3_u32 v1, s47, s36, v0
	s_cselect_b32 s6, s6, s5
	v_add_co_ci_u32_e32 v11, vcc_lo, s46, v2, vcc_lo
	v_or_b32_e32 v2, 2, v16
	s_delay_alu instid0(VALU_DEP_3)
	v_subrev_nc_u32_e32 v1, s9, v1
	s_xor_b32 s8, s6, s7
	v_mul_lo_u32 v23, s39, v3
	s_sub_i32 s7, s7, s8
	v_mul_lo_u32 v22, s39, v2
	v_mul_lo_u32 v25, s39, v1
	s_add_i32 s62, s62, s7
	v_cmp_gt_i32_e64 s5, s60, v16
	v_cmp_gt_u32_e64 s6, s36, v19
	v_cmp_gt_i32_e64 s7, s36, v19
	v_cmp_gt_i32_e64 s8, s62, v0
	s_lshl_b32 s63, s51, 2
	s_lshl_b32 s64, s47, 3
	s_lshl_b32 s65, s47, 1
	s_mov_b32 s73, 0
	s_mov_b32 s75, 0
	;; [unrolled: 1-line block ×3, first 2 shown]
                                        ; implicit-def: $sgpr67
                                        ; implicit-def: $sgpr69
                                        ; implicit-def: $sgpr68
                                        ; implicit-def: $sgpr72
                                        ; implicit-def: $sgpr74
                                        ; implicit-def: $sgpr71
	s_branch .LBB59_17
.LBB59_13:                              ;   in Loop: Header=BB59_17 Depth=1
	s_xor_b32 s73, s73, 1
	s_add_i32 s13, s70, -2
	s_cmp_eq_u32 s70, 0
	s_mov_b32 s9, 0
	s_cselect_b32 s11, -1, 0
	s_mov_b32 s70, s13
.LBB59_14:                              ;   in Loop: Header=BB59_17 Depth=1
	s_and_not1_b32 s13, s15, exec_lo
	s_and_b32 s9, s9, exec_lo
	s_and_not1_b32 s17, s17, exec_lo
	s_or_b32 s15, s13, s9
	s_and_not1_b32 s14, s14, exec_lo
	s_or_not1_b32 s13, s11, exec_lo
	s_mov_b32 s37, s22
.LBB59_15:                              ;   in Loop: Header=BB59_17 Depth=1
	s_or_b32 exec_lo, exec_lo, s10
	s_delay_alu instid0(SALU_CYCLE_1)
	s_and_not1_b32 s9, s71, exec_lo
	s_and_b32 s10, s15, exec_lo
	s_and_not1_b32 s11, s72, exec_lo
	s_or_b32 s71, s9, s10
	s_and_not1_b32 s9, s74, exec_lo
	s_and_b32 s10, s17, exec_lo
	s_and_b32 s14, s14, exec_lo
	s_or_b32 s74, s9, s10
	s_or_b32 s72, s11, s14
	s_or_not1_b32 s14, s13, exec_lo
.LBB59_16:                              ;   in Loop: Header=BB59_17 Depth=1
	s_or_b32 exec_lo, exec_lo, s12
	s_delay_alu instid0(SALU_CYCLE_1)
	s_and_b32 s9, exec_lo, s14
	v_mov_b32_e32 v1, s75
	s_or_b32 s48, s9, s48
	s_and_not1_b32 s9, s68, exec_lo
	s_and_b32 s10, s71, exec_lo
	s_and_not1_b32 s11, s67, exec_lo
	s_or_b32 s68, s9, s10
	s_and_not1_b32 s9, s69, exec_lo
	s_and_b32 s10, s74, exec_lo
	s_and_b32 s12, s72, exec_lo
	s_or_b32 s69, s9, s10
	s_or_b32 s67, s11, s12
	s_and_not1_b32 exec_lo, exec_lo, s48
	s_cbranch_execz .LBB59_248
.LBB59_17:                              ; =>This Loop Header: Depth=1
                                        ;     Child Loop BB59_22 Depth 2
                                        ;     Child Loop BB59_41 Depth 2
	;; [unrolled: 1-line block ×16, first 2 shown]
	ds_load_b64 v[1:2], v7 offset:4096
	s_waitcnt lgkmcnt(0)
	v_readfirstlane_b32 s77, v1
	s_delay_alu instid0(VALU_DEP_1)
	s_cmp_gt_i32 s77, 0
	s_cbranch_scc1 .LBB59_48
; %bb.18:                               ;   in Loop: Header=BB59_17 Depth=1
	s_and_b32 vcc_lo, exec_lo, s53
	s_cbranch_vccz .LBB59_30
; %bb.19:                               ;   in Loop: Header=BB59_17 Depth=1
	v_cmp_gt_i32_e32 vcc_lo, 0x601, v2
	s_mov_b32 s10, 0
	s_mov_b32 s9, 0
	s_cbranch_vccz .LBB59_35
; %bb.20:                               ;   in Loop: Header=BB59_17 Depth=1
	global_load_u16 v1, v7, s[42:43]
	global_load_u16 v4, v[8:9], off
	v_mov_b32_e32 v3, v0
	s_mov_b32 s11, 0
	s_waitcnt vmcnt(1)
	v_add_nc_u32_e32 v2, v0, v1
	s_delay_alu instid0(VALU_DEP_1)
	v_mul_lo_u32 v6, s39, v2
	v_mul_lo_u32 v2, s39, v1
	s_branch .LBB59_22
.LBB59_21:                              ;   in Loop: Header=BB59_22 Depth=2
	s_or_b32 exec_lo, exec_lo, s9
	v_cmp_le_i32_e32 vcc_lo, s36, v3
	v_add_nc_u32_e32 v6, v6, v2
	v_mov_b32_e32 v4, v13
	s_or_b32 s11, vcc_lo, s11
	s_delay_alu instid0(SALU_CYCLE_1)
	s_and_not1_b32 exec_lo, exec_lo, s11
	s_cbranch_execz .LBB59_31
.LBB59_22:                              ;   Parent Loop BB59_17 Depth=1
                                        ; =>  This Inner Loop Header: Depth=2
	s_waitcnt lgkmcnt(0)
	v_dual_mov_b32 v14, 0 :: v_dual_add_nc_u32 v3, v3, v1
	v_mov_b32_e32 v13, 0
	s_mov_b32 s9, exec_lo
	s_delay_alu instid0(VALU_DEP_2)
	v_cmpx_gt_u32_e64 s36, v3
	s_cbranch_execz .LBB59_24
; %bb.23:                               ;   in Loop: Header=BB59_22 Depth=2
	v_lshlrev_b64 v[30:31], 1, v[6:7]
	s_delay_alu instid0(VALU_DEP_1) | instskip(NEXT) | instid1(VALU_DEP_2)
	v_add_co_u32 v30, vcc_lo, s45, v30
	v_add_co_ci_u32_e32 v31, vcc_lo, s46, v31, vcc_lo
	global_load_u16 v13, v[30:31], off
.LBB59_24:                              ;   in Loop: Header=BB59_22 Depth=2
	s_or_b32 exec_lo, exec_lo, s9
	s_waitcnt vmcnt(0)
	v_cmp_lt_i16_e32 vcc_lo, -1, v4
	v_and_b32_e32 v30, 0xffff, v4
	v_cndmask_b32_e32 v31, 0xffff, v28, vcc_lo
	v_cmp_o_f16_e32 vcc_lo, v4, v4
	s_delay_alu instid0(VALU_DEP_2) | instskip(NEXT) | instid1(VALU_DEP_1)
	v_xor_b32_e32 v30, v31, v30
	v_cndmask_b32_e32 v30, 0xffff, v30, vcc_lo
	s_delay_alu instid0(VALU_DEP_1) | instskip(NEXT) | instid1(VALU_DEP_1)
	v_and_b32_e32 v30, s76, v30
	v_cmp_eq_u32_e32 vcc_lo, s75, v30
	s_cmp_lg_u32 vcc_lo, 0
	s_cselect_b32 s9, -1, 0
	s_delay_alu instid0(SALU_CYCLE_1) | instskip(NEXT) | instid1(SALU_CYCLE_1)
	s_and_b32 s9, s4, s9
	s_and_saveexec_b32 s12, s9
	s_cbranch_execz .LBB59_28
; %bb.25:                               ;   in Loop: Header=BB59_22 Depth=2
	s_mov_b32 s15, exec_lo
	s_bcnt1_i32_b32 s13, vcc_lo
	v_mbcnt_lo_u32_b32 v14, s15, 0
	s_mov_b32 s14, exec_lo
                                        ; implicit-def: $vgpr30
	s_delay_alu instid0(VALU_DEP_1)
	v_cmpx_eq_u32_e32 0, v14
	s_cbranch_execz .LBB59_27
; %bb.26:                               ;   in Loop: Header=BB59_22 Depth=2
	s_bcnt1_i32_b32 s9, s15
	s_delay_alu instid0(SALU_CYCLE_1) | instskip(NEXT) | instid1(SALU_CYCLE_1)
	s_mul_i32 s9, s13, s9
	v_mov_b32_e32 v30, s9
	ds_add_rtn_u32 v30, v7, v30 offset:4104
.LBB59_27:                              ;   in Loop: Header=BB59_22 Depth=2
	s_or_b32 exec_lo, exec_lo, s14
	s_waitcnt lgkmcnt(0)
	v_readfirstlane_b32 s9, v30
	s_delay_alu instid0(VALU_DEP_1)
	v_mad_u32_u24 v14, s13, v14, s9
.LBB59_28:                              ;   in Loop: Header=BB59_22 Depth=2
	s_or_b32 exec_lo, exec_lo, s12
	ds_bpermute_b32 v14, v7, v14
	s_and_saveexec_b32 s9, vcc_lo
	s_cbranch_execz .LBB59_21
; %bb.29:                               ;   in Loop: Header=BB59_22 Depth=2
	v_and_b32_e32 v30, vcc_lo, v21
	s_delay_alu instid0(VALU_DEP_1) | instskip(NEXT) | instid1(VALU_DEP_1)
	v_bcnt_u32_b32 v30, v30, 0
	v_lshlrev_b32_e32 v30, 1, v30
	s_waitcnt lgkmcnt(0)
	s_delay_alu instid0(VALU_DEP_1)
	v_lshl_add_u32 v14, v14, 1, v30
	ds_store_b16 v14, v4
	s_branch .LBB59_21
.LBB59_30:                              ;   in Loop: Header=BB59_17 Depth=1
	s_mov_b32 s10, -1
	s_mov_b32 s9, 0
	s_branch .LBB59_34
.LBB59_31:                              ;   in Loop: Header=BB59_17 Depth=1
	s_or_b32 exec_lo, exec_lo, s11
	s_waitcnt lgkmcnt(0)
	s_barrier
	buffer_gl0_inv
	s_and_saveexec_b32 s9, s2
	s_cbranch_execz .LBB59_33
; %bb.32:                               ;   in Loop: Header=BB59_17 Depth=1
	ds_load_b32 v1, v7 offset:4104
	s_waitcnt lgkmcnt(0)
	ds_store_b32 v7, v1 offset:4096
.LBB59_33:                              ;   in Loop: Header=BB59_17 Depth=1
	s_or_b32 exec_lo, exec_lo, s9
	s_waitcnt lgkmcnt(0)
	s_mov_b32 s9, -1
	s_barrier
.LBB59_34:                              ;   in Loop: Header=BB59_17 Depth=1
                                        ; implicit-def: $sgpr77
.LBB59_35:                              ;   in Loop: Header=BB59_17 Depth=1
	s_and_b32 vcc_lo, exec_lo, s10
	s_cbranch_vccz .LBB59_46
; %bb.36:                               ;   in Loop: Header=BB59_17 Depth=1
	v_mov_b32_e32 v1, 0
	s_and_saveexec_b32 s9, s1
	s_cbranch_execz .LBB59_38
; %bb.37:                               ;   in Loop: Header=BB59_17 Depth=1
	global_load_u16 v1, v[8:9], off
.LBB59_38:                              ;   in Loop: Header=BB59_17 Depth=1
	s_or_b32 exec_lo, exec_lo, s9
	s_and_saveexec_b32 s9, s3
	s_cbranch_execz .LBB59_43
; %bb.39:                               ;   in Loop: Header=BB59_17 Depth=1
	global_load_u16 v2, v7, s[42:43]
	v_mov_b32_e32 v14, v0
	s_mov_b32 s10, 0
	v_mov_b32_e32 v13, v17
	s_waitcnt vmcnt(0)
	v_add_nc_u32_e32 v3, v0, v2
	v_lshlrev_b32_e32 v4, 1, v2
	s_delay_alu instid0(VALU_DEP_2)
	v_mul_lo_u32 v6, s39, v3
	v_mul_lo_u32 v3, s39, v2
	s_branch .LBB59_41
	.p2align	6
.LBB59_40:                              ;   in Loop: Header=BB59_41 Depth=2
	s_or_b32 exec_lo, exec_lo, s11
	v_cmp_le_i32_e32 vcc_lo, s36, v14
	ds_store_b16 v13, v1
	v_add_nc_u32_e32 v13, v13, v4
	v_add_nc_u32_e32 v6, v6, v3
	s_waitcnt vmcnt(0)
	v_mov_b32_e32 v1, v30
	s_or_b32 s10, vcc_lo, s10
	s_delay_alu instid0(SALU_CYCLE_1)
	s_and_not1_b32 exec_lo, exec_lo, s10
	s_cbranch_execz .LBB59_43
.LBB59_41:                              ;   Parent Loop BB59_17 Depth=1
                                        ; =>  This Inner Loop Header: Depth=2
	v_add_nc_u32_e32 v14, v14, v2
	v_mov_b32_e32 v30, 0
	s_mov_b32 s11, exec_lo
	s_delay_alu instid0(VALU_DEP_2)
	v_cmpx_gt_u32_e64 s36, v14
	s_cbranch_execz .LBB59_40
; %bb.42:                               ;   in Loop: Header=BB59_41 Depth=2
	v_lshlrev_b64 v[30:31], 1, v[6:7]
	s_delay_alu instid0(VALU_DEP_1) | instskip(NEXT) | instid1(VALU_DEP_2)
	v_add_co_u32 v30, vcc_lo, s45, v30
	v_add_co_ci_u32_e32 v31, vcc_lo, s46, v31, vcc_lo
	global_load_u16 v30, v[30:31], off
	s_branch .LBB59_40
.LBB59_43:                              ;   in Loop: Header=BB59_17 Depth=1
	s_or_b32 exec_lo, exec_lo, s9
	s_waitcnt vmcnt(0) lgkmcnt(0)
	s_barrier
	buffer_gl0_inv
	s_and_saveexec_b32 s9, s2
	s_cbranch_execz .LBB59_45
; %bb.44:                               ;   in Loop: Header=BB59_17 Depth=1
	v_mov_b32_e32 v1, s36
	ds_store_b32 v7, v1 offset:4096
.LBB59_45:                              ;   in Loop: Header=BB59_17 Depth=1
	s_or_b32 exec_lo, exec_lo, s9
	s_mov_b32 s9, -1
	s_waitcnt lgkmcnt(0)
	s_barrier
                                        ; implicit-def: $sgpr77
.LBB59_46:                              ;   in Loop: Header=BB59_17 Depth=1
	s_and_b32 vcc_lo, exec_lo, s9
	s_cbranch_vccz .LBB59_48
; %bb.47:                               ;   in Loop: Header=BB59_17 Depth=1
	buffer_gl0_inv
	ds_load_b32 v1, v7 offset:4096
	s_waitcnt lgkmcnt(0)
	v_readfirstlane_b32 s77, v1
.LBB59_48:                              ;   in Loop: Header=BB59_17 Depth=1
	s_delay_alu instid0(VALU_DEP_1)
	s_cmp_lt_i32 s77, 1
	s_cbranch_scc0 .LBB59_52
; %bb.49:                               ;   in Loop: Header=BB59_17 Depth=1
	v_dual_mov_b32 v1, 0 :: v_dual_mov_b32 v2, 0
	v_dual_mov_b32 v3, 0 :: v_dual_mov_b32 v4, 0
	s_mov_b32 s79, 0
	s_and_saveexec_b32 s78, s5
	s_cbranch_execnz .LBB59_53
; %bb.50:                               ;   in Loop: Header=BB59_17 Depth=1
	s_or_b32 exec_lo, exec_lo, s78
	v_mov_b32_e32 v30, 0
	s_and_saveexec_b32 s9, s6
	s_cbranch_execnz .LBB59_56
.LBB59_51:                              ;   in Loop: Header=BB59_17 Depth=1
	s_or_b32 exec_lo, exec_lo, s9
	s_and_saveexec_b32 s13, s7
	s_cbranch_execnz .LBB59_57
	s_branch .LBB59_62
.LBB59_52:                              ;   in Loop: Header=BB59_17 Depth=1
                                        ; implicit-def: $vgpr4
	s_cbranch_execnz .LBB59_63
	s_branch .LBB59_72
.LBB59_53:                              ;   in Loop: Header=BB59_17 Depth=1
	v_mov_b32_e32 v6, v16
	s_and_b32 s80, s70, 0xfe
	s_mov_b32 s81, 0
	s_mov_b32 s82, 0
	;; [unrolled: 1-line block ×5, first 2 shown]
.LBB59_54:                              ;   Parent Loop BB59_17 Depth=1
                                        ; =>  This Inner Loop Header: Depth=2
	v_add_nc_u32_e32 v1, s81, v24
	v_add_nc_u32_e32 v3, s81, v12
	;; [unrolled: 1-line block ×4, first 2 shown]
	s_add_i32 s81, s81, s63
	v_ashrrev_i32_e32 v2, 31, v1
	v_ashrrev_i32_e32 v4, 31, v3
	;; [unrolled: 1-line block ×4, first 2 shown]
	s_delay_alu instid0(VALU_DEP_4) | instskip(NEXT) | instid1(VALU_DEP_4)
	v_lshlrev_b64 v[1:2], 1, v[1:2]
	v_lshlrev_b64 v[3:4], 1, v[3:4]
	s_delay_alu instid0(VALU_DEP_4) | instskip(NEXT) | instid1(VALU_DEP_4)
	v_lshlrev_b64 v[13:14], 1, v[13:14]
	v_lshlrev_b64 v[30:31], 1, v[30:31]
	s_delay_alu instid0(VALU_DEP_4)
	v_add_co_u32 v1, vcc_lo, s45, v1
	v_add_co_ci_u32_e32 v2, vcc_lo, s46, v2, vcc_lo
	v_add_co_u32 v3, vcc_lo, s45, v3
	v_add_co_ci_u32_e32 v4, vcc_lo, s46, v4, vcc_lo
	;; [unrolled: 2-line block ×4, first 2 shown]
	s_clause 0x3
	global_load_u16 v1, v[1:2], off
	global_load_u16 v2, v[3:4], off
	global_load_u16 v3, v[13:14], off
	global_load_u16 v4, v[30:31], off
	s_waitcnt vmcnt(3)
	v_cmp_lt_i16_e64 s9, -1, v1
	v_and_b32_e32 v13, 0xffff, v1
	s_waitcnt vmcnt(2)
	v_and_b32_e32 v30, 0xffff, v2
	s_waitcnt vmcnt(1)
	v_and_b32_e32 v32, 0xffff, v3
	v_cmp_o_f16_e64 s12, v1, v1
	v_cndmask_b32_e64 v14, 0xffff, v28, s9
	v_cmp_lt_i16_e64 s9, -1, v2
	s_waitcnt vmcnt(0)
	v_and_b32_e32 v34, 0xffff, v4
	v_cmp_o_f16_e64 s10, v3, v3
	v_cmp_o_f16_e64 s11, v4, v4
	v_xor_b32_e32 v13, v14, v13
	v_cndmask_b32_e64 v31, 0xffff, v28, s9
	v_cmp_lt_i16_e64 s9, -1, v3
	s_delay_alu instid0(VALU_DEP_3) | instskip(NEXT) | instid1(VALU_DEP_3)
	v_cndmask_b32_e64 v1, 0xffff, v13, s12
	v_xor_b32_e32 v14, v31, v30
	s_delay_alu instid0(VALU_DEP_3) | instskip(SKIP_1) | instid1(VALU_DEP_4)
	v_cndmask_b32_e64 v33, 0xffff, v28, s9
	v_cmp_lt_i16_e64 s9, -1, v4
	v_and_b32_e32 v13, s76, v1
	v_bfe_u32 v1, v1, s80, 2
	s_delay_alu instid0(VALU_DEP_3) | instskip(SKIP_2) | instid1(VALU_DEP_4)
	v_cndmask_b32_e64 v35, 0xffff, v28, s9
	v_cmp_o_f16_e64 s9, v2, v2
	v_xor_b32_e32 v2, v33, v32
	v_cmp_eq_u32_e64 s13, 0, v1
	v_cmp_eq_u32_e64 s17, 1, v1
	v_xor_b32_e32 v3, v35, v34
	v_cndmask_b32_e64 v4, 0xffff, v14, s9
	v_cndmask_b32_e64 v2, 0xffff, v2, s10
	v_cmp_eq_u32_e64 s9, s75, v13
	v_cmp_eq_u32_e64 s21, 2, v1
	v_cndmask_b32_e64 v3, 0xffff, v3, s11
	v_and_b32_e32 v14, s76, v4
	v_bfe_u32 v4, v4, s80, 2
	v_and_b32_e32 v30, s76, v2
	v_bfe_u32 v2, v2, s80, 2
	;; [unrolled: 2-line block ×3, first 2 shown]
	v_cmp_eq_u32_e64 s10, s75, v14
	v_cmp_eq_u32_e64 s14, 0, v4
	;; [unrolled: 1-line block ×4, first 2 shown]
	s_and_b32 s13, s9, s13
	v_cmp_eq_u32_e64 s12, s75, v31
	v_cmp_eq_u32_e64 s16, 0, v3
	;; [unrolled: 1-line block ×3, first 2 shown]
	v_cndmask_b32_e64 v1, 0, 1, s13
	s_and_b32 s13, s10, s14
	v_cmp_eq_u32_e64 s19, 1, v2
	v_cmp_eq_u32_e64 s23, 2, v2
	;; [unrolled: 1-line block ×3, first 2 shown]
	v_cndmask_b32_e64 v2, 0, 1, s13
	s_and_b32 s13, s11, s15
	v_cmp_eq_u32_e64 s18, 1, v4
	v_cmp_eq_u32_e64 s20, 1, v3
	;; [unrolled: 1-line block ×4, first 2 shown]
	v_cndmask_b32_e64 v3, 0, 1, s13
	s_and_b32 s13, s12, s16
	v_cmp_eq_u32_e64 s22, 2, v4
	v_cmp_eq_u32_e64 s26, 3, v4
	v_cndmask_b32_e64 v4, 0, 1, s13
	s_and_b32 s13, s9, s17
	s_delay_alu instid0(SALU_CYCLE_1) | instskip(SKIP_1) | instid1(SALU_CYCLE_1)
	v_cndmask_b32_e64 v13, 0, 1, s13
	s_and_b32 s13, s10, s18
	v_cndmask_b32_e64 v14, 0, 1, s13
	s_and_b32 s13, s11, s19
	s_delay_alu instid0(SALU_CYCLE_1) | instskip(SKIP_1) | instid1(VALU_DEP_2)
	v_cndmask_b32_e64 v30, 0, 1, s13
	s_and_b32 s13, s12, s20
	v_cmp_ne_u32_e64 s14, 0, v14
	v_cndmask_b32_e64 v31, 0, 1, s13
	s_and_b32 s13, s9, s21
	s_and_b32 s9, s9, s25
	v_cndmask_b32_e64 v32, 0, 1, s13
	s_and_b32 s13, s10, s22
	v_cndmask_b32_e64 v36, 0, 1, s9
	;; [unrolled: 2-line block ×7, first 2 shown]
	v_cndmask_b32_e64 v39, 0, 1, s9
	v_cmp_ne_u32_e64 s9, 0, v1
	v_cmp_ne_u32_e64 s13, 0, v13
	;; [unrolled: 1-line block ×8, first 2 shown]
	s_bcnt1_i32_b32 s9, s9
	s_bcnt1_i32_b32 s13, s13
	;; [unrolled: 1-line block ×3, first 2 shown]
	v_cmp_ne_u32_e64 s20, 0, v35
	v_cmp_ne_u32_e64 s22, 0, v37
	s_bcnt1_i32_b32 s10, s10
	s_bcnt1_i32_b32 s14, s14
	;; [unrolled: 1-line block ×3, first 2 shown]
	s_add_i32 s9, s9, s85
	s_add_i32 s13, s13, s84
	;; [unrolled: 1-line block ×3, first 2 shown]
	v_cmp_ne_u32_e64 s15, 0, v30
	v_cmp_ne_u32_e64 s23, 0, v38
	s_bcnt1_i32_b32 s11, s11
	s_bcnt1_i32_b32 s19, s19
	s_add_i32 s9, s9, s10
	s_add_i32 s10, s13, s14
	;; [unrolled: 1-line block ×3, first 2 shown]
	s_bcnt1_i32_b32 s21, s21
	v_cmp_ne_u32_e64 s12, 0, v4
	v_cmp_ne_u32_e64 s16, 0, v31
	;; [unrolled: 1-line block ×3, first 2 shown]
	s_bcnt1_i32_b32 s20, s20
	s_add_i32 s9, s9, s11
	s_add_i32 s11, s13, s19
	s_bcnt1_i32_b32 s22, s22
	s_add_i32 s21, s21, s82
	s_add_i32 s83, s11, s20
	s_delay_alu instid0(SALU_CYCLE_1)
	v_dual_mov_b32 v3, s83 :: v_dual_add_nc_u32 v6, s49, v6
	s_bcnt1_i32_b32 s15, s15
	s_bcnt1_i32_b32 s23, s23
	s_add_i32 s14, s21, s22
	s_bcnt1_i32_b32 s12, s12
	s_bcnt1_i32_b32 s16, s16
	;; [unrolled: 1-line block ×3, first 2 shown]
	s_add_i32 s10, s10, s15
	s_add_i32 s13, s14, s23
	v_cmp_le_i32_e32 vcc_lo, s60, v6
	s_add_i32 s85, s9, s12
	s_add_i32 s84, s10, s16
	;; [unrolled: 1-line block ×3, first 2 shown]
	v_dual_mov_b32 v1, s85 :: v_dual_mov_b32 v2, s84
	v_mov_b32_e32 v4, s82
	s_or_b32 s79, vcc_lo, s79
	s_delay_alu instid0(SALU_CYCLE_1)
	s_and_not1_b32 exec_lo, exec_lo, s79
	s_cbranch_execnz .LBB59_54
; %bb.55:                               ;   in Loop: Header=BB59_17 Depth=1
	s_or_b32 exec_lo, exec_lo, s79
	s_delay_alu instid0(SALU_CYCLE_1)
	s_or_b32 exec_lo, exec_lo, s78
	v_mov_b32_e32 v30, 0
	s_and_saveexec_b32 s9, s6
	s_cbranch_execz .LBB59_51
.LBB59_56:                              ;   in Loop: Header=BB59_17 Depth=1
	global_load_u16 v30, v[10:11], off
	s_or_b32 exec_lo, exec_lo, s9
	s_and_saveexec_b32 s13, s7
	s_cbranch_execz .LBB59_62
.LBB59_57:                              ;   in Loop: Header=BB59_17 Depth=1
	v_dual_mov_b32 v13, v25 :: v_dual_mov_b32 v6, v19
	s_and_b32 s15, s70, 0xfe
	s_mov_b32 s14, 0
	s_branch .LBB59_59
.LBB59_58:                              ;   in Loop: Header=BB59_59 Depth=2
	s_or_b32 exec_lo, exec_lo, s9
	s_waitcnt vmcnt(0)
	v_cmp_lt_i16_e32 vcc_lo, -1, v30
	v_and_b32_e32 v31, 0xffff, v30
	v_add_nc_u32_e32 v13, s51, v13
	v_cndmask_b32_e32 v32, 0xffff, v28, vcc_lo
	v_cmp_o_f16_e32 vcc_lo, v30, v30
	s_delay_alu instid0(VALU_DEP_2) | instskip(NEXT) | instid1(VALU_DEP_1)
	v_xor_b32_e32 v31, v32, v31
	v_cndmask_b32_e32 v30, 0xffff, v31, vcc_lo
	s_delay_alu instid0(VALU_DEP_1) | instskip(SKIP_1) | instid1(VALU_DEP_2)
	v_and_b32_e32 v31, s76, v30
	v_bfe_u32 v30, v30, s15, 2
	v_cmp_eq_u32_e32 vcc_lo, s75, v31
	s_delay_alu instid0(VALU_DEP_2) | instskip(SKIP_3) | instid1(VALU_DEP_4)
	v_cmp_eq_u32_e64 s9, 0, v30
	v_cmp_eq_u32_e64 s10, 1, v30
	v_cmp_eq_u32_e64 s11, 2, v30
	v_cmp_eq_u32_e64 s12, 3, v30
	s_and_b32 s9, vcc_lo, s9
	s_delay_alu instid0(SALU_CYCLE_1) | instskip(SKIP_1) | instid1(SALU_CYCLE_1)
	v_cndmask_b32_e64 v30, 0, 1, s9
	s_and_b32 s9, vcc_lo, s10
	v_cndmask_b32_e64 v31, 0, 1, s9
	s_and_b32 s9, vcc_lo, s11
	s_delay_alu instid0(SALU_CYCLE_1)
	v_cndmask_b32_e64 v32, 0, 1, s9
	s_and_b32 s9, vcc_lo, s12
	v_cmp_ne_u32_e32 vcc_lo, 0, v30
	v_mov_b32_e32 v30, v14
	v_cndmask_b32_e64 v33, 0, 1, s9
	v_cmp_ne_u32_e64 s9, 0, v31
	v_cmp_ne_u32_e64 s10, 0, v32
	v_cmp_le_i32_e64 s12, s36, v6
	s_bcnt1_i32_b32 s16, vcc_lo
	v_cmp_ne_u32_e64 s11, 0, v33
	s_bcnt1_i32_b32 s9, s9
	s_bcnt1_i32_b32 s10, s10
	v_add_nc_u32_e32 v1, s16, v1
	v_add_nc_u32_e32 v2, s9, v2
	s_bcnt1_i32_b32 s11, s11
	v_add_nc_u32_e32 v3, s10, v3
	v_add_nc_u32_e32 v4, s11, v4
	s_or_b32 s14, s12, s14
	s_delay_alu instid0(SALU_CYCLE_1)
	s_and_not1_b32 exec_lo, exec_lo, s14
	s_cbranch_execz .LBB59_61
.LBB59_59:                              ;   Parent Loop BB59_17 Depth=1
                                        ; =>  This Inner Loop Header: Depth=2
	s_delay_alu instid0(VALU_DEP_1) | instskip(SKIP_2) | instid1(VALU_DEP_2)
	v_add_nc_u32_e32 v6, s47, v6
	v_mov_b32_e32 v14, 0
	s_mov_b32 s9, exec_lo
	v_cmpx_gt_u32_e64 s36, v6
	s_cbranch_execz .LBB59_58
; %bb.60:                               ;   in Loop: Header=BB59_59 Depth=2
	v_ashrrev_i32_e32 v14, 31, v13
	s_delay_alu instid0(VALU_DEP_1) | instskip(NEXT) | instid1(VALU_DEP_1)
	v_lshlrev_b64 v[31:32], 1, v[13:14]
	v_add_co_u32 v31, vcc_lo, s45, v31
	s_delay_alu instid0(VALU_DEP_2)
	v_add_co_ci_u32_e32 v32, vcc_lo, s46, v32, vcc_lo
	global_load_u16 v14, v[31:32], off
	s_branch .LBB59_58
.LBB59_61:                              ;   in Loop: Header=BB59_17 Depth=1
	s_or_b32 exec_lo, exec_lo, s14
.LBB59_62:                              ;   in Loop: Header=BB59_17 Depth=1
	s_delay_alu instid0(SALU_CYCLE_1)
	s_or_b32 exec_lo, exec_lo, s13
	s_branch .LBB59_72
.LBB59_63:                              ;   in Loop: Header=BB59_17 Depth=1
	s_mul_hi_u32 s9, s77, s59
	v_dual_mov_b32 v1, 0 :: v_dual_mov_b32 v2, 0
	s_mul_i32 s9, s9, s49
	v_dual_mov_b32 v3, 0 :: v_dual_mov_b32 v4, 0
	s_sub_i32 s9, s77, s9
	s_mov_b32 s25, 0
	s_sub_i32 s10, s9, s49
	s_cmp_ge_u32 s9, s49
	s_mov_b32 s24, exec_lo
	s_cselect_b32 s9, s10, s9
	s_delay_alu instid0(SALU_CYCLE_1) | instskip(SKIP_2) | instid1(SALU_CYCLE_1)
	s_sub_i32 s10, s9, s49
	s_cmp_ge_u32 s9, s49
	s_cselect_b32 s9, s10, s9
	s_sub_i32 s23, s77, s9
	s_delay_alu instid0(SALU_CYCLE_1)
	v_cmpx_gt_u32_e64 s23, v16
	s_cbranch_execz .LBB59_67
; %bb.64:                               ;   in Loop: Header=BB59_17 Depth=1
	v_dual_mov_b32 v6, v26 :: v_dual_mov_b32 v13, v16
	s_and_b32 s26, s70, 0xfe
	s_mov_b32 s27, 0
	s_mov_b32 s28, 0
	s_mov_b32 s78, 0
	s_mov_b32 s79, 0
.LBB59_65:                              ;   Parent Loop BB59_17 Depth=1
                                        ; =>  This Inner Loop Header: Depth=2
	ds_load_b64 v[1:2], v6
	s_waitcnt lgkmcnt(0)
	v_cmp_lt_i16_e64 s9, -1, v1
	v_lshrrev_b32_e32 v3, 16, v1
	v_lshrrev_b32_e32 v32, 16, v2
	v_and_b32_e32 v4, 0xffff, v1
	s_waitcnt vmcnt(0)
	v_and_b32_e32 v30, 0xffff, v2
	v_cndmask_b32_e64 v14, 0xffff, v28, s9
	v_cmp_lt_i16_e64 s9, -1, v2
	v_cmp_lt_i16_e64 s10, -1, v32
	s_delay_alu instid0(VALU_DEP_3) | instskip(NEXT) | instid1(VALU_DEP_3)
	v_xor_b32_e32 v4, v14, v4
	v_cndmask_b32_e64 v31, 0xffff, v28, s9
	v_cmp_lt_i16_e64 s9, -1, v3
	s_delay_alu instid0(VALU_DEP_2) | instskip(NEXT) | instid1(VALU_DEP_2)
	v_xor_b32_e32 v30, v31, v30
	v_cndmask_b32_e64 v14, 0xffff, v28, s9
	v_cmp_o_f16_e64 s9, v2, v2
	v_cndmask_b32_e64 v2, 0xffff, v28, s10
	v_cmp_o_f16_e64 s10, v1, v1
	s_delay_alu instid0(VALU_DEP_2) | instskip(NEXT) | instid1(VALU_DEP_2)
	v_xor_b32_e32 v2, v2, v32
	v_cndmask_b32_e64 v1, 0xffff, v4, s10
	v_xor_b32_e32 v4, v14, v3
	v_cmp_o_f16_e64 s10, v3, v3
	v_cndmask_b32_e64 v14, 0xffff, v30, s9
	v_cmp_o_f16_e64 s9, v32, v32
	s_delay_alu instid0(VALU_DEP_3)
	v_cndmask_b32_e64 v3, 0xffff, v4, s10
	v_and_b32_e32 v4, s76, v1
	v_bfe_u32 v1, v1, s26, 2
	v_and_b32_e32 v30, s76, v14
	v_bfe_u32 v14, v14, s26, 2
	v_cndmask_b32_e64 v2, 0xffff, v2, s9
	v_cmp_eq_u32_e64 s9, s75, v4
	v_cmp_eq_u32_e64 s11, 0, v1
	;; [unrolled: 1-line block ×4, first 2 shown]
	v_and_b32_e32 v4, s76, v3
	v_and_b32_e32 v30, s76, v2
	v_bfe_u32 v3, v3, s26, 2
	v_bfe_u32 v2, v2, s26, 2
	v_cmp_eq_u32_e64 s13, 1, v1
	v_cmp_eq_u32_e64 s15, 2, v1
	s_and_b32 s11, s9, s11
	v_cmp_eq_u32_e64 s14, 1, v14
	v_cmp_eq_u32_e64 s16, 2, v14
	;; [unrolled: 1-line block ×3, first 2 shown]
	v_cndmask_b32_e64 v1, 0, 1, s11
	s_and_b32 s11, s10, s12
	v_cmp_eq_u32_e64 s18, 3, v14
	v_cmp_eq_u32_e64 s19, s75, v4
	;; [unrolled: 1-line block ×5, first 2 shown]
	v_cndmask_b32_e64 v4, 0, 1, s11
	v_cmp_eq_u32_e64 s11, 1, v3
	s_and_b32 s13, s9, s13
	s_and_b32 s15, s9, s15
	v_cndmask_b32_e64 v14, 0, 1, s13
	s_and_b32 s13, s10, s14
	v_cndmask_b32_e64 v31, 0, 1, s15
	s_and_b32 s15, s10, s16
	s_and_b32 s9, s9, s17
	v_cmp_eq_u32_e64 s12, 1, v2
	v_cndmask_b32_e64 v30, 0, 1, s13
	v_cmp_eq_u32_e64 s13, 2, v3
	v_cmp_eq_u32_e64 s14, 2, v2
	v_cndmask_b32_e64 v32, 0, 1, s15
	v_cmp_eq_u32_e64 s15, 3, v3
	v_cmp_eq_u32_e64 s16, 3, v2
	v_cndmask_b32_e64 v2, 0, 1, s9
	s_and_b32 s9, s10, s18
	s_and_b32 s10, s19, s21
	;; [unrolled: 1-line block ×4, first 2 shown]
	v_cndmask_b32_e64 v3, 0, 1, s9
	v_cmp_ne_u32_e64 s9, 0, v1
	v_cndmask_b32_e64 v1, 0, 1, s10
	v_cmp_ne_u32_e64 s10, 0, v4
	;; [unrolled: 2-line block ×3, first 2 shown]
	v_cndmask_b32_e64 v14, 0, 1, s11
	s_and_b32 s12, s20, s12
	s_and_b32 s13, s19, s13
	s_and_b32 s14, s20, s14
	s_and_b32 s15, s19, s15
	s_and_b32 s16, s20, s16
	v_cmp_ne_u32_e64 s11, 0, v30
	v_cndmask_b32_e64 v30, 0, 1, s12
	v_cmp_ne_u32_e64 s12, 0, v31
	v_cndmask_b32_e64 v31, 0, 1, s13
	;; [unrolled: 2-line block ×5, first 2 shown]
	v_cmp_ne_u32_e64 s16, 0, v14
	s_bcnt1_i32_b32 s17, s17
	s_bcnt1_i32_b32 s20, s11
	v_cmp_ne_u32_e64 s11, 0, v30
	s_bcnt1_i32_b32 s18, s9
	v_cmp_ne_u32_e64 s9, 0, v1
	;; [unrolled: 2-line block ×4, first 2 shown]
	s_add_i32 s17, s17, s78
	s_bcnt1_i32_b32 s16, s16
	s_bcnt1_i32_b32 s19, s10
	s_add_i32 s16, s17, s16
	v_cmp_ne_u32_e64 s10, 0, v4
	s_bcnt1_i32_b32 s22, s13
	v_cmp_ne_u32_e64 s13, 0, v32
	s_bcnt1_i32_b32 s81, s15
	;; [unrolled: 2-line block ×3, first 2 shown]
	s_add_i32 s16, s16, s20
	s_add_i32 s18, s18, s79
	;; [unrolled: 1-line block ×4, first 2 shown]
	s_bcnt1_i32_b32 s9, s9
	s_bcnt1_i32_b32 s12, s12
	;; [unrolled: 1-line block ×3, first 2 shown]
	s_add_i32 s78, s16, s11
	s_delay_alu instid0(SALU_CYCLE_1)
	v_dual_mov_b32 v2, s78 :: v_dual_add_nc_u32 v13, s49, v13
	s_add_i32 s9, s18, s9
	s_add_i32 s12, s21, s12
	;; [unrolled: 1-line block ×3, first 2 shown]
	s_bcnt1_i32_b32 s10, s10
	s_bcnt1_i32_b32 s13, s13
	;; [unrolled: 1-line block ×3, first 2 shown]
	s_add_i32 s9, s9, s19
	s_add_i32 s12, s12, s22
	;; [unrolled: 1-line block ×3, first 2 shown]
	v_cmp_le_i32_e32 vcc_lo, s23, v13
	s_add_i32 s79, s9, s10
	s_add_i32 s28, s12, s13
	;; [unrolled: 1-line block ×3, first 2 shown]
	v_dual_mov_b32 v1, s79 :: v_dual_add_nc_u32 v6, s64, v6
	v_dual_mov_b32 v3, s28 :: v_dual_mov_b32 v4, s27
	s_or_b32 s25, vcc_lo, s25
	s_delay_alu instid0(SALU_CYCLE_1)
	s_and_not1_b32 exec_lo, exec_lo, s25
	s_cbranch_execnz .LBB59_65
; %bb.66:                               ;   in Loop: Header=BB59_17 Depth=1
	s_or_b32 exec_lo, exec_lo, s25
.LBB59_67:                              ;   in Loop: Header=BB59_17 Depth=1
	s_delay_alu instid0(SALU_CYCLE_1) | instskip(SKIP_2) | instid1(VALU_DEP_1)
	s_or_b32 exec_lo, exec_lo, s24
	v_add_nc_u32_e32 v6, s23, v0
	s_mov_b32 s14, exec_lo
	v_cmpx_gt_i32_e64 s77, v6
	s_cbranch_execz .LBB59_71
; %bb.68:                               ;   in Loop: Header=BB59_17 Depth=1
	v_lshlrev_b32_e32 v13, 1, v6
	s_and_b32 s16, s70, 0xfe
	s_mov_b32 s15, 0
.LBB59_69:                              ;   Parent Loop BB59_17 Depth=1
                                        ; =>  This Inner Loop Header: Depth=2
	ds_load_u16 v14, v13
	v_add_nc_u32_e32 v6, s47, v6
	v_add_nc_u32_e32 v13, s65, v13
	s_delay_alu instid0(VALU_DEP_2) | instskip(SKIP_4) | instid1(VALU_DEP_2)
	v_cmp_le_i32_e32 vcc_lo, s77, v6
	s_waitcnt lgkmcnt(0)
	v_cmp_lt_i16_e64 s9, -1, v14
	s_waitcnt vmcnt(0)
	v_and_b32_e32 v30, 0xffff, v14
	v_cndmask_b32_e64 v31, 0xffff, v28, s9
	v_cmp_o_f16_e64 s9, v14, v14
	s_delay_alu instid0(VALU_DEP_2) | instskip(NEXT) | instid1(VALU_DEP_1)
	v_xor_b32_e32 v30, v31, v30
	v_cndmask_b32_e64 v14, 0xffff, v30, s9
	s_delay_alu instid0(VALU_DEP_1) | instskip(SKIP_1) | instid1(VALU_DEP_2)
	v_and_b32_e32 v30, s76, v14
	v_bfe_u32 v14, v14, s16, 2
	v_cmp_eq_u32_e64 s9, s75, v30
	s_delay_alu instid0(VALU_DEP_2) | instskip(SKIP_3) | instid1(VALU_DEP_4)
	v_cmp_eq_u32_e64 s10, 0, v14
	v_cmp_eq_u32_e64 s11, 1, v14
	;; [unrolled: 1-line block ×4, first 2 shown]
	s_and_b32 s10, s9, s10
	s_delay_alu instid0(SALU_CYCLE_1) | instskip(SKIP_1) | instid1(SALU_CYCLE_1)
	v_cndmask_b32_e64 v14, 0, 1, s10
	s_and_b32 s10, s9, s11
	v_cndmask_b32_e64 v30, 0, 1, s10
	s_and_b32 s10, s9, s12
	s_and_b32 s9, s9, s13
	v_cndmask_b32_e64 v31, 0, 1, s10
	v_cndmask_b32_e64 v32, 0, 1, s9
	v_cmp_ne_u32_e64 s9, 0, v14
	v_cmp_ne_u32_e64 s10, 0, v30
	s_delay_alu instid0(VALU_DEP_4) | instskip(NEXT) | instid1(VALU_DEP_4)
	v_cmp_ne_u32_e64 s11, 0, v31
	v_cmp_ne_u32_e64 s12, 0, v32
	s_delay_alu instid0(VALU_DEP_4) | instskip(NEXT) | instid1(VALU_DEP_3)
	s_bcnt1_i32_b32 s9, s9
	s_bcnt1_i32_b32 s10, s10
	v_add_nc_u32_e32 v1, s9, v1
	s_bcnt1_i32_b32 s11, s11
	s_bcnt1_i32_b32 s12, s12
	v_add_nc_u32_e32 v2, s10, v2
	v_add_nc_u32_e32 v3, s11, v3
	v_add_nc_u32_e32 v4, s12, v4
	s_or_b32 s15, vcc_lo, s15
	s_delay_alu instid0(SALU_CYCLE_1)
	s_and_not1_b32 exec_lo, exec_lo, s15
	s_cbranch_execnz .LBB59_69
; %bb.70:                               ;   in Loop: Header=BB59_17 Depth=1
	s_or_b32 exec_lo, exec_lo, s15
.LBB59_71:                              ;   in Loop: Header=BB59_17 Depth=1
	s_delay_alu instid0(SALU_CYCLE_1)
	s_or_b32 exec_lo, exec_lo, s14
.LBB59_72:                              ;   in Loop: Header=BB59_17 Depth=1
	s_lshl_b32 s9, s73, 7
	s_and_saveexec_b32 s10, s4
	s_cbranch_execz .LBB59_74
; %bb.73:                               ;   in Loop: Header=BB59_17 Depth=1
	v_or_b32_e32 v6, s9, v20
	s_delay_alu instid0(VALU_DEP_1)
	v_lshlrev_b32_e32 v6, 2, v6
	ds_store_b128 v6, v[1:4] offset:3072
.LBB59_74:                              ;   in Loop: Header=BB59_17 Depth=1
	s_or_b32 exec_lo, exec_lo, s10
	s_waitcnt vmcnt(0) lgkmcnt(0)
	s_barrier
	buffer_gl0_inv
	s_and_saveexec_b32 s10, s50
	s_cbranch_execz .LBB59_84
; %bb.75:                               ;   in Loop: Header=BB59_17 Depth=1
	v_mov_b32_e32 v1, 0
	s_and_not1_b32 vcc_lo, exec_lo, s54
	s_cbranch_vccnz .LBB59_83
; %bb.76:                               ;   in Loop: Header=BB59_17 Depth=1
	v_mov_b32_e32 v1, 0
	s_and_not1_b32 vcc_lo, exec_lo, s56
	s_mov_b32 s11, 0
	s_cbranch_vccnz .LBB59_80
; %bb.77:                               ;   in Loop: Header=BB59_17 Depth=1
	v_lshl_add_u32 v2, s73, 9, v27
	v_mov_b32_e32 v1, 0
	.p2align	6
.LBB59_78:                              ;   Parent Loop BB59_17 Depth=1
                                        ; =>  This Inner Loop Header: Depth=2
	ds_load_2addr_b32 v[3:4], v2 offset1:4
	ds_load_2addr_b32 v[13:14], v2 offset0:8 offset1:12
	ds_load_2addr_b32 v[30:31], v2 offset0:16 offset1:20
	;; [unrolled: 1-line block ×3, first 2 shown]
	v_add_nc_u32_e32 v2, 0x80, v2
	s_add_i32 s11, s11, 8
	s_delay_alu instid0(SALU_CYCLE_1) | instskip(SKIP_3) | instid1(VALU_DEP_1)
	s_cmp_eq_u32 s57, s11
	s_waitcnt lgkmcnt(3)
	v_add3_u32 v1, v3, v1, v4
	s_waitcnt lgkmcnt(2)
	v_add3_u32 v1, v13, v1, v14
	s_waitcnt lgkmcnt(1)
	s_delay_alu instid0(VALU_DEP_1) | instskip(SKIP_1) | instid1(VALU_DEP_1)
	v_add3_u32 v1, v30, v1, v31
	s_waitcnt lgkmcnt(0)
	v_add3_u32 v1, v32, v1, v33
	s_cbranch_scc0 .LBB59_78
; %bb.79:                               ;   in Loop: Header=BB59_17 Depth=1
	s_mov_b32 s11, s57
.LBB59_80:                              ;   in Loop: Header=BB59_17 Depth=1
	s_and_not1_b32 vcc_lo, exec_lo, s58
	s_cbranch_vccnz .LBB59_83
; %bb.81:                               ;   in Loop: Header=BB59_17 Depth=1
	s_lshl_b32 s12, s73, 9
	s_lshl_b32 s11, s11, 4
	s_delay_alu instid0(SALU_CYCLE_1)
	v_add3_u32 v2, s12, s11, v27
	s_mov_b32 s11, s55
.LBB59_82:                              ;   Parent Loop BB59_17 Depth=1
                                        ; =>  This Inner Loop Header: Depth=2
	ds_load_b32 v3, v2
	v_add_nc_u32_e32 v2, 16, v2
	s_add_i32 s11, s11, -1
	s_delay_alu instid0(SALU_CYCLE_1)
	s_cmp_lg_u32 s11, 0
	s_waitcnt lgkmcnt(0)
	v_add_nc_u32_e32 v1, v3, v1
	s_cbranch_scc1 .LBB59_82
.LBB59_83:                              ;   in Loop: Header=BB59_17 Depth=1
	v_add_lshl_u32 v2, s9, v15, 2
	ds_store_b32 v2, v1 offset:3072
.LBB59_84:                              ;   in Loop: Header=BB59_17 Depth=1
	s_or_b32 exec_lo, exec_lo, s10
	s_lshl_b32 s9, s9, 2
	s_waitcnt lgkmcnt(0)
	v_mov_b32_e32 v1, s9
	s_barrier
	buffer_gl0_inv
	s_and_b32 s18, s70, 0xfe
	s_mov_b32 s14, -1
	ds_load_b128 v[1:4], v1 offset:3072
	s_lshl_b32 s11, 3, s18
	s_delay_alu instid0(SALU_CYCLE_1) | instskip(SKIP_4) | instid1(VALU_DEP_3)
	s_not_b32 s19, s11
	s_waitcnt lgkmcnt(0)
	v_readfirstlane_b32 s13, v1
	v_readfirstlane_b32 s21, v2
	;; [unrolled: 1-line block ×3, first 2 shown]
	s_cmp_eq_u32 s13, 1
	s_cselect_b32 s9, -1, 0
	s_cmp_eq_u32 s37, 1
	s_cselect_b32 s10, -1, 0
	s_delay_alu instid0(SALU_CYCLE_1)
	s_and_b32 s15, s9, s10
	v_readfirstlane_b32 s10, v4
	s_and_b32 vcc_lo, exec_lo, s15
	s_cbranch_vccz .LBB59_96
; %bb.85:                               ;   in Loop: Header=BB59_17 Depth=1
	ds_load_b32 v1, v7 offset:4096
	s_waitcnt lgkmcnt(0)
	s_barrier
	buffer_gl0_inv
	v_readfirstlane_b32 s12, v1
	s_and_saveexec_b32 s9, s0
	s_cbranch_execz .LBB59_87
; %bb.86:                               ;   in Loop: Header=BB59_17 Depth=1
	ds_store_b16 v18, v7
.LBB59_87:                              ;   in Loop: Header=BB59_17 Depth=1
	s_or_b32 exec_lo, exec_lo, s9
	s_and_b32 s75, s75, s19
	s_or_b32 s76, s76, s11
	s_cmp_lt_i32 s12, 1
	s_waitcnt lgkmcnt(0)
	s_barrier
	buffer_gl0_inv
	s_cbranch_scc0 .LBB59_97
; %bb.88:                               ;   in Loop: Header=BB59_17 Depth=1
	s_mov_b32 s9, 0
                                        ; implicit-def: $vgpr29
	s_and_saveexec_b32 s17, s8
	s_cbranch_execz .LBB59_99
; %bb.89:                               ;   in Loop: Header=BB59_17 Depth=1
	v_mov_b32_e32 v1, v5
	v_mov_b32_e32 v3, v0
	s_mov_b32 s20, 0
                                        ; implicit-def: $sgpr22
	s_branch .LBB59_91
.LBB59_90:                              ;   in Loop: Header=BB59_91 Depth=2
	s_or_b32 exec_lo, exec_lo, s9
	s_waitcnt vmcnt(0) lgkmcnt(0)
	s_barrier
	buffer_gl0_inv
	ds_load_b32 v2, v7 offset:3072
	v_add_nc_u32_e32 v3, s47, v3
	v_add_nc_u32_e32 v1, s51, v1
	s_waitcnt lgkmcnt(0)
	s_barrier
	buffer_gl0_inv
	v_cmp_le_i32_e32 vcc_lo, s62, v3
	v_cmp_neq_f16_e64 s9, 0, v2
	s_delay_alu instid0(VALU_DEP_1) | instskip(NEXT) | instid1(SALU_CYCLE_1)
	s_or_b32 s23, vcc_lo, s9
	s_and_b32 s23, exec_lo, s23
	s_delay_alu instid0(SALU_CYCLE_1) | instskip(SKIP_2) | instid1(SALU_CYCLE_1)
	s_or_b32 s20, s23, s20
	s_and_not1_b32 s22, s22, exec_lo
	s_and_b32 s9, s9, exec_lo
	s_or_b32 s22, s22, s9
	s_and_not1_b32 exec_lo, exec_lo, s20
	s_cbranch_execz .LBB59_98
.LBB59_91:                              ;   Parent Loop BB59_17 Depth=1
                                        ; =>  This Inner Loop Header: Depth=2
	s_delay_alu instid0(VALU_DEP_1)
	v_cmp_gt_i32_e32 vcc_lo, s36, v3
	v_mov_b32_e32 v2, 0
	s_and_saveexec_b32 s23, vcc_lo
	s_cbranch_execz .LBB59_93
; %bb.92:                               ;   in Loop: Header=BB59_91 Depth=2
	v_ashrrev_i32_e32 v2, 31, v1
	s_delay_alu instid0(VALU_DEP_1) | instskip(NEXT) | instid1(VALU_DEP_1)
	v_lshlrev_b64 v[13:14], 1, v[1:2]
	v_add_co_u32 v13, s9, s45, v13
	s_delay_alu instid0(VALU_DEP_1)
	v_add_co_ci_u32_e64 v14, s9, s46, v14, s9
	global_load_u16 v2, v[13:14], off
.LBB59_93:                              ;   in Loop: Header=BB59_91 Depth=2
	s_or_b32 exec_lo, exec_lo, s23
	s_and_saveexec_b32 s9, vcc_lo
	s_cbranch_execz .LBB59_90
; %bb.94:                               ;   in Loop: Header=BB59_91 Depth=2
	s_waitcnt vmcnt(0)
	v_cmp_lt_i16_e32 vcc_lo, -1, v2
	v_and_b32_e32 v4, 0xffff, v2
	v_cndmask_b32_e32 v6, 0xffff, v28, vcc_lo
	v_cmp_o_f16_e32 vcc_lo, v2, v2
	s_delay_alu instid0(VALU_DEP_2) | instskip(NEXT) | instid1(VALU_DEP_1)
	v_xor_b32_e32 v4, v6, v4
	v_cndmask_b32_e32 v4, 0xffff, v4, vcc_lo
	s_delay_alu instid0(VALU_DEP_1) | instskip(NEXT) | instid1(VALU_DEP_1)
	v_and_b32_e32 v4, s76, v4
	v_cmp_eq_u32_e32 vcc_lo, s75, v4
	s_and_b32 exec_lo, exec_lo, vcc_lo
	s_cbranch_execz .LBB59_90
; %bb.95:                               ;   in Loop: Header=BB59_91 Depth=2
	v_perm_b32 v2, v2, s66, 0x5040100
	ds_store_b32 v7, v2 offset:3072
	s_branch .LBB59_90
.LBB59_96:                              ;   in Loop: Header=BB59_17 Depth=1
	s_mov_b32 s9, -1
                                        ; implicit-def: $sgpr17
                                        ; implicit-def: $sgpr22
                                        ; implicit-def: $sgpr20
	s_branch .LBB59_110
.LBB59_97:                              ;   in Loop: Header=BB59_17 Depth=1
	s_mov_b32 s17, -1
	s_mov_b32 s9, 0
                                        ; implicit-def: $sgpr20
                                        ; implicit-def: $vgpr29
	s_mov_b32 s22, s17
	s_cbranch_execnz .LBB59_100
	s_branch .LBB59_110
.LBB59_98:                              ;   in Loop: Header=BB59_17 Depth=1
	s_or_b32 exec_lo, exec_lo, s20
	v_lshrrev_b32_e32 v29, 16, v2
	s_and_b32 s9, s22, exec_lo
.LBB59_99:                              ;   in Loop: Header=BB59_17 Depth=1
	s_or_b32 exec_lo, exec_lo, s17
	s_mov_b32 s20, -1
	s_mov_b32 s17, 0
	s_delay_alu instid0(SALU_CYCLE_1)
	s_mov_b32 s22, s17
	s_branch .LBB59_110
.LBB59_100:                             ;   in Loop: Header=BB59_17 Depth=1
	s_add_i32 s20, s12, s52
                                        ; implicit-def: $vgpr29
	s_delay_alu instid0(SALU_CYCLE_1) | instskip(NEXT) | instid1(SALU_CYCLE_1)
	s_abs_i32 s9, s20
	s_mul_hi_u32 s17, s9, s61
	s_delay_alu instid0(SALU_CYCLE_1) | instskip(NEXT) | instid1(SALU_CYCLE_1)
	s_mul_i32 s17, s17, s47
	s_sub_i32 s9, s9, s17
	s_ashr_i32 s17, s20, 31
	s_sub_i32 s22, s9, s47
	s_cmp_ge_u32 s9, s47
	s_cselect_b32 s9, s22, s9
	s_delay_alu instid0(SALU_CYCLE_1) | instskip(SKIP_2) | instid1(SALU_CYCLE_1)
	s_sub_i32 s22, s9, s47
	s_cmp_ge_u32 s9, s47
	s_cselect_b32 s9, s22, s9
	s_xor_b32 s9, s9, s17
	s_delay_alu instid0(SALU_CYCLE_1)
	s_sub_i32 s9, s17, s9
	s_mov_b32 s17, exec_lo
	s_add_i32 s20, s20, s9
	s_mov_b32 s9, 0
	v_cmpx_gt_i32_e64 s20, v0
	s_cbranch_execz .LBB59_109
; %bb.101:                              ;   in Loop: Header=BB59_17 Depth=1
	v_dual_mov_b32 v1, v17 :: v_dual_mov_b32 v2, v0
	s_mov_b32 s22, 0
                                        ; implicit-def: $sgpr23
	s_set_inst_prefetch_distance 0x1
	s_branch .LBB59_103
	.p2align	6
.LBB59_102:                             ;   in Loop: Header=BB59_103 Depth=2
	s_or_b32 exec_lo, exec_lo, s9
	s_waitcnt lgkmcnt(0)
	s_barrier
	buffer_gl0_inv
	ds_load_b32 v3, v7 offset:3072
	v_add_nc_u32_e32 v2, s47, v2
	v_add_nc_u32_e32 v1, s65, v1
	s_waitcnt lgkmcnt(0)
	s_barrier
	buffer_gl0_inv
	v_cmp_le_i32_e32 vcc_lo, s20, v2
	v_cmp_neq_f16_e64 s9, 0, v3
	s_delay_alu instid0(VALU_DEP_1) | instskip(NEXT) | instid1(SALU_CYCLE_1)
	s_or_b32 s24, vcc_lo, s9
	s_and_b32 s24, exec_lo, s24
	s_delay_alu instid0(SALU_CYCLE_1) | instskip(SKIP_2) | instid1(SALU_CYCLE_1)
	s_or_b32 s22, s24, s22
	s_and_not1_b32 s23, s23, exec_lo
	s_and_b32 s9, s9, exec_lo
	s_or_b32 s23, s23, s9
	s_and_not1_b32 exec_lo, exec_lo, s22
	s_cbranch_execz .LBB59_108
.LBB59_103:                             ;   Parent Loop BB59_17 Depth=1
                                        ; =>  This Inner Loop Header: Depth=2
	s_delay_alu instid0(VALU_DEP_1)
	v_cmp_gt_i32_e32 vcc_lo, s12, v2
	v_mov_b32_e32 v3, 0
	s_and_saveexec_b32 s9, vcc_lo
	s_cbranch_execz .LBB59_105
; %bb.104:                              ;   in Loop: Header=BB59_103 Depth=2
	ds_load_u16 v3, v1
.LBB59_105:                             ;   in Loop: Header=BB59_103 Depth=2
	s_or_b32 exec_lo, exec_lo, s9
	s_and_saveexec_b32 s9, vcc_lo
	s_cbranch_execz .LBB59_102
; %bb.106:                              ;   in Loop: Header=BB59_103 Depth=2
	s_waitcnt lgkmcnt(0)
	v_cmp_lt_i16_e32 vcc_lo, -1, v3
	v_and_b32_e32 v4, 0xffff, v3
	v_cndmask_b32_e32 v6, 0xffff, v28, vcc_lo
	v_cmp_o_f16_e32 vcc_lo, v3, v3
	s_delay_alu instid0(VALU_DEP_2) | instskip(NEXT) | instid1(VALU_DEP_1)
	v_xor_b32_e32 v4, v6, v4
	v_cndmask_b32_e32 v4, 0xffff, v4, vcc_lo
	s_delay_alu instid0(VALU_DEP_1) | instskip(NEXT) | instid1(VALU_DEP_1)
	v_and_b32_e32 v4, s76, v4
	v_cmp_eq_u32_e32 vcc_lo, s75, v4
	s_and_b32 exec_lo, exec_lo, vcc_lo
	s_cbranch_execz .LBB59_102
; %bb.107:                              ;   in Loop: Header=BB59_103 Depth=2
	v_perm_b32 v3, v3, s66, 0x5040100
	ds_store_b32 v7, v3 offset:3072
	s_branch .LBB59_102
.LBB59_108:                             ;   in Loop: Header=BB59_17 Depth=1
	s_set_inst_prefetch_distance 0x2
	s_or_b32 exec_lo, exec_lo, s22
	v_lshrrev_b32_e32 v29, 16, v3
	s_and_b32 s9, s23, exec_lo
.LBB59_109:                             ;   in Loop: Header=BB59_17 Depth=1
	s_or_b32 exec_lo, exec_lo, s17
	s_mov_b32 s22, -1
	s_mov_b32 s17, 0
	s_mov_b32 s20, 0
.LBB59_110:                             ;   in Loop: Header=BB59_17 Depth=1
	s_and_not1_b32 s12, s71, exec_lo
	s_and_b32 s17, s17, exec_lo
	s_and_b32 s20, s20, exec_lo
	s_or_b32 s71, s12, s17
	s_and_not1_b32 s12, s74, exec_lo
	s_and_b32 s17, s22, exec_lo
	s_and_not1_b32 s22, s72, exec_lo
	s_or_b32 s74, s12, s17
	s_or_b32 s72, s22, s20
	s_and_saveexec_b32 s12, s9
	s_cbranch_execz .LBB59_16
; %bb.111:                              ;   in Loop: Header=BB59_17 Depth=1
	s_xor_b32 s9, s15, -1
	s_mov_b32 s14, 0
	s_and_not1_b32 vcc_lo, exec_lo, s9
	s_mov_b32 s22, 1
	s_cbranch_vccnz .LBB59_122
; %bb.112:                              ;   in Loop: Header=BB59_17 Depth=1
	s_cmp_gt_i32 s37, s13
	s_mov_b32 s14, -1
                                        ; implicit-def: $sgpr9
                                        ; implicit-def: $sgpr15
                                        ; implicit-def: $sgpr17
	s_cbranch_scc1 .LBB59_118
; %bb.113:                              ;   in Loop: Header=BB59_17 Depth=1
	ds_load_b32 v1, v7 offset:4096
	s_waitcnt lgkmcnt(0)
	v_cmp_ne_u32_e32 vcc_lo, 0, v1
	s_cbranch_vccnz .LBB59_117
; %bb.114:                              ;   in Loop: Header=BB59_17 Depth=1
	s_and_saveexec_b32 s9, s2
	s_cbranch_execz .LBB59_116
; %bb.115:                              ;   in Loop: Header=BB59_17 Depth=1
	v_mov_b32_e32 v1, s13
	ds_store_b32 v7, v1 offset:4100
.LBB59_116:                             ;   in Loop: Header=BB59_17 Depth=1
	s_or_b32 exec_lo, exec_lo, s9
	s_waitcnt lgkmcnt(0)
	s_barrier
	buffer_gl0_inv
.LBB59_117:                             ;   in Loop: Header=BB59_17 Depth=1
	s_and_b32 s15, s75, s19
	s_or_b32 s17, s76, s11
	s_mov_b32 s14, 0
	s_mov_b32 s9, 8
.LBB59_118:                             ;   in Loop: Header=BB59_17 Depth=1
	s_and_not1_b32 vcc_lo, exec_lo, s14
	s_cbranch_vccnz .LBB59_120
; %bb.119:                              ;   in Loop: Header=BB59_17 Depth=1
	s_sub_i32 s37, s37, s13
	s_mov_b32 s14, -1
	s_mov_b32 s9, 0
	s_mov_b32 s15, s75
	s_mov_b32 s17, s76
.LBB59_120:                             ;   in Loop: Header=BB59_17 Depth=1
	s_delay_alu instid0(SALU_CYCLE_1)
	s_mov_b32 s76, s17
	s_mov_b32 s75, s15
	s_mov_b32 s22, s37
	s_and_b32 vcc_lo, exec_lo, s14
	s_mov_b32 s13, -1
	s_cbranch_vccnz .LBB59_123
.LBB59_121:                             ;   in Loop: Header=BB59_17 Depth=1
	s_mov_b32 s25, -1
                                        ; implicit-def: $sgpr14
                                        ; implicit-def: $sgpr17
                                        ; implicit-def: $sgpr15
	s_delay_alu instid0(SALU_CYCLE_1) | instskip(NEXT) | instid1(SALU_CYCLE_1)
	s_and_saveexec_b32 s10, s25
	s_xor_b32 s10, exec_lo, s10
	s_cbranch_execz .LBB59_15
	s_branch .LBB59_246
.LBB59_122:                             ;   in Loop: Header=BB59_17 Depth=1
	s_mov_b32 s9, 1
	s_and_b32 vcc_lo, exec_lo, s14
	s_mov_b32 s13, -1
	s_cbranch_vccz .LBB59_121
.LBB59_123:                             ;   in Loop: Header=BB59_17 Depth=1
	s_cmp_eq_u32 s21, 1
	s_mov_b32 s24, -1
	s_cselect_b32 s9, -1, 0
	s_cmp_eq_u32 s22, 1
	s_cselect_b32 s14, -1, 0
	s_delay_alu instid0(SALU_CYCLE_1) | instskip(NEXT) | instid1(SALU_CYCLE_1)
	s_and_b32 s23, s9, s14
	s_and_b32 vcc_lo, exec_lo, s23
	s_cbranch_vccz .LBB59_135
; %bb.124:                              ;   in Loop: Header=BB59_17 Depth=1
	ds_load_b32 v1, v7 offset:4096
	s_waitcnt lgkmcnt(0)
	s_barrier
	buffer_gl0_inv
	v_readfirstlane_b32 s20, v1
	s_and_saveexec_b32 s9, s0
	s_cbranch_execz .LBB59_126
; %bb.125:                              ;   in Loop: Header=BB59_17 Depth=1
	ds_store_b16 v18, v7
.LBB59_126:                             ;   in Loop: Header=BB59_17 Depth=1
	s_or_b32 exec_lo, exec_lo, s9
	s_lshl_b32 s9, 1, s18
	s_and_b32 s14, s75, s19
	s_or_b32 s76, s76, s11
	s_or_b32 s75, s14, s9
	s_cmp_gt_i32 s20, 0
	s_waitcnt lgkmcnt(0)
	s_barrier
	buffer_gl0_inv
	s_cbranch_scc1 .LBB59_136
; %bb.127:                              ;   in Loop: Header=BB59_17 Depth=1
	s_mov_b32 s24, 0
                                        ; implicit-def: $vgpr29
	s_and_saveexec_b32 s14, s8
	s_cbranch_execz .LBB59_138
; %bb.128:                              ;   in Loop: Header=BB59_17 Depth=1
	v_mov_b32_e32 v1, v5
	v_mov_b32_e32 v3, v0
	s_mov_b32 s15, 0
                                        ; implicit-def: $sgpr17
	s_branch .LBB59_130
.LBB59_129:                             ;   in Loop: Header=BB59_130 Depth=2
	s_or_b32 exec_lo, exec_lo, s9
	s_waitcnt vmcnt(0) lgkmcnt(0)
	s_barrier
	buffer_gl0_inv
	ds_load_b32 v2, v7 offset:3072
	v_add_nc_u32_e32 v3, s47, v3
	v_add_nc_u32_e32 v1, s51, v1
	s_waitcnt lgkmcnt(0)
	s_barrier
	buffer_gl0_inv
	v_cmp_le_i32_e32 vcc_lo, s62, v3
	v_cmp_neq_f16_e64 s9, 0, v2
	s_delay_alu instid0(VALU_DEP_1) | instskip(NEXT) | instid1(SALU_CYCLE_1)
	s_or_b32 s24, vcc_lo, s9
	s_and_b32 s24, exec_lo, s24
	s_delay_alu instid0(SALU_CYCLE_1) | instskip(SKIP_2) | instid1(SALU_CYCLE_1)
	s_or_b32 s15, s24, s15
	s_and_not1_b32 s17, s17, exec_lo
	s_and_b32 s9, s9, exec_lo
	s_or_b32 s17, s17, s9
	s_and_not1_b32 exec_lo, exec_lo, s15
	s_cbranch_execz .LBB59_137
.LBB59_130:                             ;   Parent Loop BB59_17 Depth=1
                                        ; =>  This Inner Loop Header: Depth=2
	s_delay_alu instid0(VALU_DEP_1)
	v_cmp_gt_i32_e32 vcc_lo, s36, v3
	v_mov_b32_e32 v2, 0
	s_and_saveexec_b32 s24, vcc_lo
	s_cbranch_execz .LBB59_132
; %bb.131:                              ;   in Loop: Header=BB59_130 Depth=2
	v_ashrrev_i32_e32 v2, 31, v1
	s_delay_alu instid0(VALU_DEP_1) | instskip(NEXT) | instid1(VALU_DEP_1)
	v_lshlrev_b64 v[13:14], 1, v[1:2]
	v_add_co_u32 v13, s9, s45, v13
	s_delay_alu instid0(VALU_DEP_1)
	v_add_co_ci_u32_e64 v14, s9, s46, v14, s9
	global_load_u16 v2, v[13:14], off
.LBB59_132:                             ;   in Loop: Header=BB59_130 Depth=2
	s_or_b32 exec_lo, exec_lo, s24
	s_and_saveexec_b32 s9, vcc_lo
	s_cbranch_execz .LBB59_129
; %bb.133:                              ;   in Loop: Header=BB59_130 Depth=2
	s_waitcnt vmcnt(0)
	v_cmp_lt_i16_e32 vcc_lo, -1, v2
	v_and_b32_e32 v4, 0xffff, v2
	v_cndmask_b32_e32 v6, 0xffff, v28, vcc_lo
	v_cmp_o_f16_e32 vcc_lo, v2, v2
	s_delay_alu instid0(VALU_DEP_2) | instskip(NEXT) | instid1(VALU_DEP_1)
	v_xor_b32_e32 v4, v6, v4
	v_cndmask_b32_e32 v4, 0xffff, v4, vcc_lo
	s_delay_alu instid0(VALU_DEP_1) | instskip(NEXT) | instid1(VALU_DEP_1)
	v_and_b32_e32 v4, s76, v4
	v_cmp_eq_u32_e32 vcc_lo, s75, v4
	s_and_b32 exec_lo, exec_lo, vcc_lo
	s_cbranch_execz .LBB59_129
; %bb.134:                              ;   in Loop: Header=BB59_130 Depth=2
	v_perm_b32 v2, v2, s66, 0x5040100
	ds_store_b32 v7, v2 offset:3072
	s_branch .LBB59_129
.LBB59_135:                             ;   in Loop: Header=BB59_17 Depth=1
                                        ; implicit-def: $sgpr15
                                        ; implicit-def: $sgpr17
                                        ; implicit-def: $sgpr14
	s_branch .LBB59_149
.LBB59_136:                             ;   in Loop: Header=BB59_17 Depth=1
	s_mov_b32 s15, -1
	s_mov_b32 s24, 0
                                        ; implicit-def: $sgpr14
                                        ; implicit-def: $vgpr29
	s_mov_b32 s17, s15
	s_cbranch_execnz .LBB59_139
	s_branch .LBB59_149
.LBB59_137:                             ;   in Loop: Header=BB59_17 Depth=1
	s_or_b32 exec_lo, exec_lo, s15
	v_lshrrev_b32_e32 v29, 16, v2
	s_and_b32 s24, s17, exec_lo
.LBB59_138:                             ;   in Loop: Header=BB59_17 Depth=1
	s_or_b32 exec_lo, exec_lo, s14
	s_mov_b32 s14, -1
	s_mov_b32 s15, 0
	s_delay_alu instid0(SALU_CYCLE_1)
	s_mov_b32 s17, s15
	s_branch .LBB59_149
.LBB59_139:                             ;   in Loop: Header=BB59_17 Depth=1
	s_add_i32 s15, s20, s52
	s_mov_b32 s24, 0
	s_abs_i32 s9, s15
                                        ; implicit-def: $vgpr29
	s_delay_alu instid0(SALU_CYCLE_1) | instskip(NEXT) | instid1(SALU_CYCLE_1)
	s_mul_hi_u32 s14, s9, s61
	s_mul_i32 s14, s14, s47
	s_delay_alu instid0(SALU_CYCLE_1) | instskip(SKIP_4) | instid1(SALU_CYCLE_1)
	s_sub_i32 s9, s9, s14
	s_ashr_i32 s14, s15, 31
	s_sub_i32 s17, s9, s47
	s_cmp_ge_u32 s9, s47
	s_cselect_b32 s9, s17, s9
	s_sub_i32 s17, s9, s47
	s_cmp_ge_u32 s9, s47
	s_cselect_b32 s9, s17, s9
	s_delay_alu instid0(SALU_CYCLE_1) | instskip(NEXT) | instid1(SALU_CYCLE_1)
	s_xor_b32 s9, s9, s14
	s_sub_i32 s9, s14, s9
	s_mov_b32 s14, exec_lo
	s_add_i32 s15, s15, s9
	s_delay_alu instid0(SALU_CYCLE_1)
	v_cmpx_gt_i32_e64 s15, v0
	s_cbranch_execz .LBB59_148
; %bb.140:                              ;   in Loop: Header=BB59_17 Depth=1
	v_dual_mov_b32 v1, v17 :: v_dual_mov_b32 v2, v0
	s_mov_b32 s17, 0
                                        ; implicit-def: $sgpr24
	s_set_inst_prefetch_distance 0x1
	s_branch .LBB59_142
	.p2align	6
.LBB59_141:                             ;   in Loop: Header=BB59_142 Depth=2
	s_or_b32 exec_lo, exec_lo, s9
	s_waitcnt lgkmcnt(0)
	s_barrier
	buffer_gl0_inv
	ds_load_b32 v3, v7 offset:3072
	v_add_nc_u32_e32 v2, s47, v2
	v_add_nc_u32_e32 v1, s65, v1
	s_waitcnt lgkmcnt(0)
	s_barrier
	buffer_gl0_inv
	v_cmp_le_i32_e32 vcc_lo, s15, v2
	v_cmp_neq_f16_e64 s9, 0, v3
	s_delay_alu instid0(VALU_DEP_1) | instskip(NEXT) | instid1(SALU_CYCLE_1)
	s_or_b32 s25, vcc_lo, s9
	s_and_b32 s25, exec_lo, s25
	s_delay_alu instid0(SALU_CYCLE_1) | instskip(SKIP_2) | instid1(SALU_CYCLE_1)
	s_or_b32 s17, s25, s17
	s_and_not1_b32 s24, s24, exec_lo
	s_and_b32 s9, s9, exec_lo
	s_or_b32 s24, s24, s9
	s_and_not1_b32 exec_lo, exec_lo, s17
	s_cbranch_execz .LBB59_147
.LBB59_142:                             ;   Parent Loop BB59_17 Depth=1
                                        ; =>  This Inner Loop Header: Depth=2
	s_delay_alu instid0(VALU_DEP_1)
	v_cmp_gt_i32_e32 vcc_lo, s20, v2
	v_mov_b32_e32 v3, 0
	s_and_saveexec_b32 s9, vcc_lo
	s_cbranch_execz .LBB59_144
; %bb.143:                              ;   in Loop: Header=BB59_142 Depth=2
	ds_load_u16 v3, v1
.LBB59_144:                             ;   in Loop: Header=BB59_142 Depth=2
	s_or_b32 exec_lo, exec_lo, s9
	s_and_saveexec_b32 s9, vcc_lo
	s_cbranch_execz .LBB59_141
; %bb.145:                              ;   in Loop: Header=BB59_142 Depth=2
	s_waitcnt lgkmcnt(0)
	v_cmp_lt_i16_e32 vcc_lo, -1, v3
	v_and_b32_e32 v4, 0xffff, v3
	v_cndmask_b32_e32 v6, 0xffff, v28, vcc_lo
	v_cmp_o_f16_e32 vcc_lo, v3, v3
	s_delay_alu instid0(VALU_DEP_2) | instskip(NEXT) | instid1(VALU_DEP_1)
	v_xor_b32_e32 v4, v6, v4
	v_cndmask_b32_e32 v4, 0xffff, v4, vcc_lo
	s_delay_alu instid0(VALU_DEP_1) | instskip(NEXT) | instid1(VALU_DEP_1)
	v_and_b32_e32 v4, s76, v4
	v_cmp_eq_u32_e32 vcc_lo, s75, v4
	s_and_b32 exec_lo, exec_lo, vcc_lo
	s_cbranch_execz .LBB59_141
; %bb.146:                              ;   in Loop: Header=BB59_142 Depth=2
	v_perm_b32 v3, v3, s66, 0x5040100
	ds_store_b32 v7, v3 offset:3072
	s_branch .LBB59_141
.LBB59_147:                             ;   in Loop: Header=BB59_17 Depth=1
	s_set_inst_prefetch_distance 0x2
	s_or_b32 exec_lo, exec_lo, s17
	v_lshrrev_b32_e32 v29, 16, v3
	s_and_b32 s24, s24, exec_lo
.LBB59_148:                             ;   in Loop: Header=BB59_17 Depth=1
	s_or_b32 exec_lo, exec_lo, s14
	s_mov_b32 s17, -1
	s_mov_b32 s15, 0
	s_mov_b32 s14, 0
.LBB59_149:                             ;   in Loop: Header=BB59_17 Depth=1
	s_mov_b32 s25, 0
                                        ; implicit-def: $sgpr9
	s_and_saveexec_b32 s20, s24
	s_cbranch_execz .LBB59_245
; %bb.150:                              ;   in Loop: Header=BB59_17 Depth=1
	s_xor_b32 s9, s23, -1
	s_mov_b32 s23, 0
	s_and_not1_b32 vcc_lo, exec_lo, s9
	s_mov_b32 s26, 1
	s_cbranch_vccnz .LBB59_161
; %bb.151:                              ;   in Loop: Header=BB59_17 Depth=1
	s_cmp_gt_i32 s22, s21
	s_mov_b32 s23, -1
                                        ; implicit-def: $sgpr9
                                        ; implicit-def: $sgpr24
                                        ; implicit-def: $sgpr25
	s_cbranch_scc1 .LBB59_157
; %bb.152:                              ;   in Loop: Header=BB59_17 Depth=1
	ds_load_b32 v1, v7 offset:4096
	s_waitcnt lgkmcnt(0)
	v_cmp_ne_u32_e32 vcc_lo, 0, v1
	s_cbranch_vccnz .LBB59_156
; %bb.153:                              ;   in Loop: Header=BB59_17 Depth=1
	s_and_saveexec_b32 s9, s2
	s_cbranch_execz .LBB59_155
; %bb.154:                              ;   in Loop: Header=BB59_17 Depth=1
	v_mov_b32_e32 v1, s21
	ds_store_b32 v7, v1 offset:4100
.LBB59_155:                             ;   in Loop: Header=BB59_17 Depth=1
	s_or_b32 exec_lo, exec_lo, s9
	s_waitcnt lgkmcnt(0)
	s_barrier
	buffer_gl0_inv
.LBB59_156:                             ;   in Loop: Header=BB59_17 Depth=1
	s_lshl_b32 s9, 1, s18
	s_and_b32 s23, s75, s19
	s_or_b32 s25, s76, s11
	s_or_b32 s24, s23, s9
	s_mov_b32 s23, 0
	s_mov_b32 s9, 8
.LBB59_157:                             ;   in Loop: Header=BB59_17 Depth=1
	s_and_not1_b32 vcc_lo, exec_lo, s23
	s_cbranch_vccnz .LBB59_159
; %bb.158:                              ;   in Loop: Header=BB59_17 Depth=1
	s_sub_i32 s22, s22, s21
	s_mov_b32 s23, -1
	s_mov_b32 s9, 0
	s_mov_b32 s24, s75
	;; [unrolled: 1-line block ×3, first 2 shown]
.LBB59_159:                             ;   in Loop: Header=BB59_17 Depth=1
	s_delay_alu instid0(SALU_CYCLE_1)
	s_mov_b32 s76, s25
	s_mov_b32 s75, s24
	;; [unrolled: 1-line block ×3, first 2 shown]
	s_and_not1_b32 vcc_lo, exec_lo, s23
	s_mov_b32 s28, -1
	s_cbranch_vccz .LBB59_162
.LBB59_160:                             ;   in Loop: Header=BB59_17 Depth=1
                                        ; implicit-def: $sgpr22
                                        ; implicit-def: $sgpr23
                                        ; implicit-def: $sgpr21
	s_branch .LBB59_244
.LBB59_161:                             ;   in Loop: Header=BB59_17 Depth=1
	s_mov_b32 s9, 1
	s_and_not1_b32 vcc_lo, exec_lo, s23
	s_mov_b32 s28, -1
	s_cbranch_vccnz .LBB59_160
.LBB59_162:                             ;   in Loop: Header=BB59_17 Depth=1
	s_cmp_eq_u32 s16, 1
	s_mov_b32 s27, -1
	s_cselect_b32 s9, -1, 0
	s_cmp_eq_u32 s26, 1
	s_cselect_b32 s21, -1, 0
	s_delay_alu instid0(SALU_CYCLE_1) | instskip(NEXT) | instid1(SALU_CYCLE_1)
	s_and_b32 s25, s9, s21
	s_and_b32 vcc_lo, exec_lo, s25
	s_cbranch_vccz .LBB59_174
; %bb.163:                              ;   in Loop: Header=BB59_17 Depth=1
	ds_load_b32 v1, v7 offset:4096
	s_waitcnt lgkmcnt(0)
	s_barrier
	buffer_gl0_inv
	v_readfirstlane_b32 s24, v1
	s_and_saveexec_b32 s9, s0
	s_cbranch_execz .LBB59_165
; %bb.164:                              ;   in Loop: Header=BB59_17 Depth=1
	ds_store_b16 v18, v7
.LBB59_165:                             ;   in Loop: Header=BB59_17 Depth=1
	s_or_b32 exec_lo, exec_lo, s9
	s_lshl_b32 s9, 2, s18
	s_and_b32 s21, s75, s19
	s_or_b32 s76, s76, s11
	s_or_b32 s75, s21, s9
	s_cmp_gt_i32 s24, 0
	s_waitcnt lgkmcnt(0)
	s_barrier
	buffer_gl0_inv
	s_cbranch_scc1 .LBB59_175
; %bb.166:                              ;   in Loop: Header=BB59_17 Depth=1
	s_mov_b32 s27, 0
                                        ; implicit-def: $vgpr29
	s_and_saveexec_b32 s21, s8
	s_cbranch_execz .LBB59_177
; %bb.167:                              ;   in Loop: Header=BB59_17 Depth=1
	v_mov_b32_e32 v1, v5
	v_mov_b32_e32 v3, v0
	s_mov_b32 s22, 0
                                        ; implicit-def: $sgpr23
	s_branch .LBB59_169
.LBB59_168:                             ;   in Loop: Header=BB59_169 Depth=2
	s_or_b32 exec_lo, exec_lo, s9
	s_waitcnt vmcnt(0) lgkmcnt(0)
	s_barrier
	buffer_gl0_inv
	ds_load_b32 v2, v7 offset:3072
	v_add_nc_u32_e32 v3, s47, v3
	v_add_nc_u32_e32 v1, s51, v1
	s_waitcnt lgkmcnt(0)
	s_barrier
	buffer_gl0_inv
	v_cmp_le_i32_e32 vcc_lo, s62, v3
	v_cmp_neq_f16_e64 s9, 0, v2
	s_delay_alu instid0(VALU_DEP_1) | instskip(NEXT) | instid1(SALU_CYCLE_1)
	s_or_b32 s27, vcc_lo, s9
	s_and_b32 s27, exec_lo, s27
	s_delay_alu instid0(SALU_CYCLE_1) | instskip(SKIP_2) | instid1(SALU_CYCLE_1)
	s_or_b32 s22, s27, s22
	s_and_not1_b32 s23, s23, exec_lo
	s_and_b32 s9, s9, exec_lo
	s_or_b32 s23, s23, s9
	s_and_not1_b32 exec_lo, exec_lo, s22
	s_cbranch_execz .LBB59_176
.LBB59_169:                             ;   Parent Loop BB59_17 Depth=1
                                        ; =>  This Inner Loop Header: Depth=2
	s_delay_alu instid0(VALU_DEP_1)
	v_cmp_gt_i32_e32 vcc_lo, s36, v3
	v_mov_b32_e32 v2, 0
	s_and_saveexec_b32 s27, vcc_lo
	s_cbranch_execz .LBB59_171
; %bb.170:                              ;   in Loop: Header=BB59_169 Depth=2
	v_ashrrev_i32_e32 v2, 31, v1
	s_delay_alu instid0(VALU_DEP_1) | instskip(NEXT) | instid1(VALU_DEP_1)
	v_lshlrev_b64 v[13:14], 1, v[1:2]
	v_add_co_u32 v13, s9, s45, v13
	s_delay_alu instid0(VALU_DEP_1)
	v_add_co_ci_u32_e64 v14, s9, s46, v14, s9
	global_load_u16 v2, v[13:14], off
.LBB59_171:                             ;   in Loop: Header=BB59_169 Depth=2
	s_or_b32 exec_lo, exec_lo, s27
	s_and_saveexec_b32 s9, vcc_lo
	s_cbranch_execz .LBB59_168
; %bb.172:                              ;   in Loop: Header=BB59_169 Depth=2
	s_waitcnt vmcnt(0)
	v_cmp_lt_i16_e32 vcc_lo, -1, v2
	v_and_b32_e32 v4, 0xffff, v2
	v_cndmask_b32_e32 v6, 0xffff, v28, vcc_lo
	v_cmp_o_f16_e32 vcc_lo, v2, v2
	s_delay_alu instid0(VALU_DEP_2) | instskip(NEXT) | instid1(VALU_DEP_1)
	v_xor_b32_e32 v4, v6, v4
	v_cndmask_b32_e32 v4, 0xffff, v4, vcc_lo
	s_delay_alu instid0(VALU_DEP_1) | instskip(NEXT) | instid1(VALU_DEP_1)
	v_and_b32_e32 v4, s76, v4
	v_cmp_eq_u32_e32 vcc_lo, s75, v4
	s_and_b32 exec_lo, exec_lo, vcc_lo
	s_cbranch_execz .LBB59_168
; %bb.173:                              ;   in Loop: Header=BB59_169 Depth=2
	v_perm_b32 v2, v2, s66, 0x5040100
	ds_store_b32 v7, v2 offset:3072
	s_branch .LBB59_168
.LBB59_174:                             ;   in Loop: Header=BB59_17 Depth=1
                                        ; implicit-def: $sgpr21
                                        ; implicit-def: $sgpr23
                                        ; implicit-def: $sgpr22
	s_branch .LBB59_188
.LBB59_175:                             ;   in Loop: Header=BB59_17 Depth=1
	s_mov_b32 s21, -1
	s_mov_b32 s27, 0
                                        ; implicit-def: $sgpr22
                                        ; implicit-def: $vgpr29
	s_mov_b32 s23, s21
	s_cbranch_execnz .LBB59_178
	s_branch .LBB59_188
.LBB59_176:                             ;   in Loop: Header=BB59_17 Depth=1
	s_or_b32 exec_lo, exec_lo, s22
	v_lshrrev_b32_e32 v29, 16, v2
	s_and_b32 s27, s23, exec_lo
.LBB59_177:                             ;   in Loop: Header=BB59_17 Depth=1
	s_or_b32 exec_lo, exec_lo, s21
	s_mov_b32 s22, -1
	s_mov_b32 s21, 0
	s_delay_alu instid0(SALU_CYCLE_1)
	s_mov_b32 s23, s21
	s_branch .LBB59_188
.LBB59_178:                             ;   in Loop: Header=BB59_17 Depth=1
	s_add_i32 s22, s24, s52
	s_mov_b32 s27, 0
	s_abs_i32 s9, s22
                                        ; implicit-def: $vgpr29
	s_delay_alu instid0(SALU_CYCLE_1) | instskip(NEXT) | instid1(SALU_CYCLE_1)
	s_mul_hi_u32 s21, s9, s61
	s_mul_i32 s21, s21, s47
	s_delay_alu instid0(SALU_CYCLE_1) | instskip(SKIP_4) | instid1(SALU_CYCLE_1)
	s_sub_i32 s9, s9, s21
	s_ashr_i32 s21, s22, 31
	s_sub_i32 s23, s9, s47
	s_cmp_ge_u32 s9, s47
	s_cselect_b32 s9, s23, s9
	s_sub_i32 s23, s9, s47
	s_cmp_ge_u32 s9, s47
	s_cselect_b32 s9, s23, s9
	s_delay_alu instid0(SALU_CYCLE_1) | instskip(NEXT) | instid1(SALU_CYCLE_1)
	s_xor_b32 s9, s9, s21
	s_sub_i32 s9, s21, s9
	s_mov_b32 s21, exec_lo
	s_add_i32 s22, s22, s9
	s_delay_alu instid0(SALU_CYCLE_1)
	v_cmpx_gt_i32_e64 s22, v0
	s_cbranch_execz .LBB59_187
; %bb.179:                              ;   in Loop: Header=BB59_17 Depth=1
	v_dual_mov_b32 v1, v17 :: v_dual_mov_b32 v2, v0
	s_mov_b32 s23, 0
                                        ; implicit-def: $sgpr27
	s_set_inst_prefetch_distance 0x1
	s_branch .LBB59_181
	.p2align	6
.LBB59_180:                             ;   in Loop: Header=BB59_181 Depth=2
	s_or_b32 exec_lo, exec_lo, s9
	s_waitcnt lgkmcnt(0)
	s_barrier
	buffer_gl0_inv
	ds_load_b32 v3, v7 offset:3072
	v_add_nc_u32_e32 v2, s47, v2
	v_add_nc_u32_e32 v1, s65, v1
	s_waitcnt lgkmcnt(0)
	s_barrier
	buffer_gl0_inv
	v_cmp_le_i32_e32 vcc_lo, s22, v2
	v_cmp_neq_f16_e64 s9, 0, v3
	s_delay_alu instid0(VALU_DEP_1) | instskip(NEXT) | instid1(SALU_CYCLE_1)
	s_or_b32 s28, vcc_lo, s9
	s_and_b32 s28, exec_lo, s28
	s_delay_alu instid0(SALU_CYCLE_1) | instskip(SKIP_2) | instid1(SALU_CYCLE_1)
	s_or_b32 s23, s28, s23
	s_and_not1_b32 s27, s27, exec_lo
	s_and_b32 s9, s9, exec_lo
	s_or_b32 s27, s27, s9
	s_and_not1_b32 exec_lo, exec_lo, s23
	s_cbranch_execz .LBB59_186
.LBB59_181:                             ;   Parent Loop BB59_17 Depth=1
                                        ; =>  This Inner Loop Header: Depth=2
	s_delay_alu instid0(VALU_DEP_1)
	v_cmp_gt_i32_e32 vcc_lo, s24, v2
	v_mov_b32_e32 v3, 0
	s_and_saveexec_b32 s9, vcc_lo
	s_cbranch_execz .LBB59_183
; %bb.182:                              ;   in Loop: Header=BB59_181 Depth=2
	ds_load_u16 v3, v1
.LBB59_183:                             ;   in Loop: Header=BB59_181 Depth=2
	s_or_b32 exec_lo, exec_lo, s9
	s_and_saveexec_b32 s9, vcc_lo
	s_cbranch_execz .LBB59_180
; %bb.184:                              ;   in Loop: Header=BB59_181 Depth=2
	s_waitcnt lgkmcnt(0)
	v_cmp_lt_i16_e32 vcc_lo, -1, v3
	v_and_b32_e32 v4, 0xffff, v3
	v_cndmask_b32_e32 v6, 0xffff, v28, vcc_lo
	v_cmp_o_f16_e32 vcc_lo, v3, v3
	s_delay_alu instid0(VALU_DEP_2) | instskip(NEXT) | instid1(VALU_DEP_1)
	v_xor_b32_e32 v4, v6, v4
	v_cndmask_b32_e32 v4, 0xffff, v4, vcc_lo
	s_delay_alu instid0(VALU_DEP_1) | instskip(NEXT) | instid1(VALU_DEP_1)
	v_and_b32_e32 v4, s76, v4
	v_cmp_eq_u32_e32 vcc_lo, s75, v4
	s_and_b32 exec_lo, exec_lo, vcc_lo
	s_cbranch_execz .LBB59_180
; %bb.185:                              ;   in Loop: Header=BB59_181 Depth=2
	v_perm_b32 v3, v3, s66, 0x5040100
	ds_store_b32 v7, v3 offset:3072
	s_branch .LBB59_180
.LBB59_186:                             ;   in Loop: Header=BB59_17 Depth=1
	s_set_inst_prefetch_distance 0x2
	s_or_b32 exec_lo, exec_lo, s23
	v_lshrrev_b32_e32 v29, 16, v3
	s_and_b32 s27, s27, exec_lo
.LBB59_187:                             ;   in Loop: Header=BB59_17 Depth=1
	s_or_b32 exec_lo, exec_lo, s21
	s_mov_b32 s23, -1
	s_mov_b32 s21, 0
	s_mov_b32 s22, 0
.LBB59_188:                             ;   in Loop: Header=BB59_17 Depth=1
	s_mov_b32 s28, 0
                                        ; implicit-def: $sgpr9
	s_and_saveexec_b32 s24, s27
	s_cbranch_execz .LBB59_243
; %bb.189:                              ;   in Loop: Header=BB59_17 Depth=1
	s_xor_b32 s9, s25, -1
	s_mov_b32 s27, 0
	s_and_not1_b32 vcc_lo, exec_lo, s9
	s_mov_b32 s25, 1
	s_cbranch_vccnz .LBB59_200
; %bb.190:                              ;   in Loop: Header=BB59_17 Depth=1
	s_cmp_gt_i32 s26, s16
	s_mov_b32 s27, -1
                                        ; implicit-def: $sgpr9
                                        ; implicit-def: $sgpr25
                                        ; implicit-def: $sgpr28
	s_cbranch_scc1 .LBB59_196
; %bb.191:                              ;   in Loop: Header=BB59_17 Depth=1
	ds_load_b32 v1, v7 offset:4096
	s_waitcnt lgkmcnt(0)
	v_cmp_ne_u32_e32 vcc_lo, 0, v1
	s_cbranch_vccnz .LBB59_195
; %bb.192:                              ;   in Loop: Header=BB59_17 Depth=1
	s_and_saveexec_b32 s9, s2
	s_cbranch_execz .LBB59_194
; %bb.193:                              ;   in Loop: Header=BB59_17 Depth=1
	v_mov_b32_e32 v1, s16
	ds_store_b32 v7, v1 offset:4100
.LBB59_194:                             ;   in Loop: Header=BB59_17 Depth=1
	s_or_b32 exec_lo, exec_lo, s9
	s_waitcnt lgkmcnt(0)
	s_barrier
	buffer_gl0_inv
.LBB59_195:                             ;   in Loop: Header=BB59_17 Depth=1
	s_lshl_b32 s9, 2, s18
	s_and_b32 s18, s75, s19
	s_or_b32 s28, s76, s11
	s_or_b32 s25, s18, s9
	s_mov_b32 s27, 0
	s_mov_b32 s9, 8
.LBB59_196:                             ;   in Loop: Header=BB59_17 Depth=1
	s_and_not1_b32 vcc_lo, exec_lo, s27
	s_cbranch_vccnz .LBB59_198
; %bb.197:                              ;   in Loop: Header=BB59_17 Depth=1
	s_sub_i32 s26, s26, s16
	s_mov_b32 s27, -1
	s_mov_b32 s9, 0
	s_mov_b32 s25, s75
	s_mov_b32 s28, s76
.LBB59_198:                             ;   in Loop: Header=BB59_17 Depth=1
	s_delay_alu instid0(SALU_CYCLE_1)
	s_mov_b32 s76, s28
	s_mov_b32 s75, s25
	;; [unrolled: 1-line block ×3, first 2 shown]
	s_and_not1_b32 vcc_lo, exec_lo, s27
	s_mov_b32 s37, -1
	s_cbranch_vccz .LBB59_201
.LBB59_199:                             ;   in Loop: Header=BB59_17 Depth=1
                                        ; implicit-def: $sgpr19
                                        ; implicit-def: $sgpr27
                                        ; implicit-def: $sgpr26
	s_branch .LBB59_242
.LBB59_200:                             ;   in Loop: Header=BB59_17 Depth=1
	s_mov_b32 s9, 1
	s_and_not1_b32 vcc_lo, exec_lo, s27
	s_mov_b32 s37, -1
	s_cbranch_vccnz .LBB59_199
.LBB59_201:                             ;   in Loop: Header=BB59_17 Depth=1
	s_cmp_eq_u32 s10, 1
	s_mov_b32 s28, -1
	s_cselect_b32 s9, -1, 0
	s_cmp_eq_u32 s25, 1
	s_cselect_b32 s16, -1, 0
	s_delay_alu instid0(SALU_CYCLE_1) | instskip(NEXT) | instid1(SALU_CYCLE_1)
	s_and_b32 s16, s9, s16
	s_and_b32 vcc_lo, exec_lo, s16
	s_cbranch_vccz .LBB59_213
; %bb.202:                              ;   in Loop: Header=BB59_17 Depth=1
	ds_load_b32 v1, v7 offset:4096
	s_waitcnt lgkmcnt(0)
	s_barrier
	buffer_gl0_inv
	v_readfirstlane_b32 s18, v1
	s_and_saveexec_b32 s9, s0
	s_cbranch_execz .LBB59_204
; %bb.203:                              ;   in Loop: Header=BB59_17 Depth=1
	ds_store_b16 v18, v7
.LBB59_204:                             ;   in Loop: Header=BB59_17 Depth=1
	s_or_b32 exec_lo, exec_lo, s9
	s_or_b32 s75, s75, s11
	s_or_b32 s76, s76, s11
	s_cmp_gt_i32 s18, 0
	s_waitcnt lgkmcnt(0)
	s_barrier
	buffer_gl0_inv
	s_cbranch_scc1 .LBB59_214
; %bb.205:                              ;   in Loop: Header=BB59_17 Depth=1
	s_mov_b32 s28, 0
                                        ; implicit-def: $vgpr29
	s_and_saveexec_b32 s19, s8
	s_cbranch_execz .LBB59_216
; %bb.206:                              ;   in Loop: Header=BB59_17 Depth=1
	v_mov_b32_e32 v1, v5
	v_mov_b32_e32 v3, v0
	s_mov_b32 s26, 0
                                        ; implicit-def: $sgpr27
	s_branch .LBB59_208
.LBB59_207:                             ;   in Loop: Header=BB59_208 Depth=2
	s_or_b32 exec_lo, exec_lo, s9
	s_waitcnt vmcnt(0) lgkmcnt(0)
	s_barrier
	buffer_gl0_inv
	ds_load_b32 v2, v7 offset:3072
	v_add_nc_u32_e32 v3, s47, v3
	v_add_nc_u32_e32 v1, s51, v1
	s_waitcnt lgkmcnt(0)
	s_barrier
	buffer_gl0_inv
	v_cmp_le_i32_e32 vcc_lo, s62, v3
	v_cmp_neq_f16_e64 s9, 0, v2
	s_delay_alu instid0(VALU_DEP_1) | instskip(NEXT) | instid1(SALU_CYCLE_1)
	s_or_b32 s28, vcc_lo, s9
	s_and_b32 s28, exec_lo, s28
	s_delay_alu instid0(SALU_CYCLE_1) | instskip(SKIP_2) | instid1(SALU_CYCLE_1)
	s_or_b32 s26, s28, s26
	s_and_not1_b32 s27, s27, exec_lo
	s_and_b32 s9, s9, exec_lo
	s_or_b32 s27, s27, s9
	s_and_not1_b32 exec_lo, exec_lo, s26
	s_cbranch_execz .LBB59_215
.LBB59_208:                             ;   Parent Loop BB59_17 Depth=1
                                        ; =>  This Inner Loop Header: Depth=2
	s_delay_alu instid0(VALU_DEP_1)
	v_cmp_gt_i32_e32 vcc_lo, s36, v3
	v_mov_b32_e32 v2, 0
	s_and_saveexec_b32 s28, vcc_lo
	s_cbranch_execz .LBB59_210
; %bb.209:                              ;   in Loop: Header=BB59_208 Depth=2
	v_ashrrev_i32_e32 v2, 31, v1
	s_delay_alu instid0(VALU_DEP_1) | instskip(NEXT) | instid1(VALU_DEP_1)
	v_lshlrev_b64 v[13:14], 1, v[1:2]
	v_add_co_u32 v13, s9, s45, v13
	s_delay_alu instid0(VALU_DEP_1)
	v_add_co_ci_u32_e64 v14, s9, s46, v14, s9
	global_load_u16 v2, v[13:14], off
.LBB59_210:                             ;   in Loop: Header=BB59_208 Depth=2
	s_or_b32 exec_lo, exec_lo, s28
	s_and_saveexec_b32 s9, vcc_lo
	s_cbranch_execz .LBB59_207
; %bb.211:                              ;   in Loop: Header=BB59_208 Depth=2
	s_waitcnt vmcnt(0)
	v_cmp_lt_i16_e32 vcc_lo, -1, v2
	v_and_b32_e32 v4, 0xffff, v2
	v_cndmask_b32_e32 v6, 0xffff, v28, vcc_lo
	v_cmp_o_f16_e32 vcc_lo, v2, v2
	s_delay_alu instid0(VALU_DEP_2) | instskip(NEXT) | instid1(VALU_DEP_1)
	v_xor_b32_e32 v4, v6, v4
	v_cndmask_b32_e32 v4, 0xffff, v4, vcc_lo
	s_delay_alu instid0(VALU_DEP_1) | instskip(NEXT) | instid1(VALU_DEP_1)
	v_and_b32_e32 v4, s76, v4
	v_cmp_eq_u32_e32 vcc_lo, s75, v4
	s_and_b32 exec_lo, exec_lo, vcc_lo
	s_cbranch_execz .LBB59_207
; %bb.212:                              ;   in Loop: Header=BB59_208 Depth=2
	v_perm_b32 v2, v2, s66, 0x5040100
	ds_store_b32 v7, v2 offset:3072
	s_branch .LBB59_207
.LBB59_213:                             ;   in Loop: Header=BB59_17 Depth=1
                                        ; implicit-def: $sgpr19
                                        ; implicit-def: $sgpr27
                                        ; implicit-def: $sgpr26
	s_branch .LBB59_227
.LBB59_214:                             ;   in Loop: Header=BB59_17 Depth=1
	s_mov_b32 s19, -1
	s_mov_b32 s28, 0
                                        ; implicit-def: $sgpr26
                                        ; implicit-def: $vgpr29
	s_mov_b32 s27, s19
	s_cbranch_execnz .LBB59_217
	s_branch .LBB59_227
.LBB59_215:                             ;   in Loop: Header=BB59_17 Depth=1
	s_or_b32 exec_lo, exec_lo, s26
	v_lshrrev_b32_e32 v29, 16, v2
	s_and_b32 s28, s27, exec_lo
.LBB59_216:                             ;   in Loop: Header=BB59_17 Depth=1
	s_or_b32 exec_lo, exec_lo, s19
	s_mov_b32 s26, -1
	s_mov_b32 s19, 0
	s_delay_alu instid0(SALU_CYCLE_1)
	s_mov_b32 s27, s19
	s_branch .LBB59_227
.LBB59_217:                             ;   in Loop: Header=BB59_17 Depth=1
	s_add_i32 s26, s18, s52
	s_mov_b32 s28, 0
	s_abs_i32 s9, s26
                                        ; implicit-def: $vgpr29
	s_delay_alu instid0(SALU_CYCLE_1) | instskip(NEXT) | instid1(SALU_CYCLE_1)
	s_mul_hi_u32 s19, s9, s61
	s_mul_i32 s19, s19, s47
	s_delay_alu instid0(SALU_CYCLE_1) | instskip(SKIP_4) | instid1(SALU_CYCLE_1)
	s_sub_i32 s9, s9, s19
	s_ashr_i32 s19, s26, 31
	s_sub_i32 s27, s9, s47
	s_cmp_ge_u32 s9, s47
	s_cselect_b32 s9, s27, s9
	s_sub_i32 s27, s9, s47
	s_cmp_ge_u32 s9, s47
	s_cselect_b32 s9, s27, s9
	s_delay_alu instid0(SALU_CYCLE_1) | instskip(NEXT) | instid1(SALU_CYCLE_1)
	s_xor_b32 s9, s9, s19
	s_sub_i32 s9, s19, s9
	s_mov_b32 s19, exec_lo
	s_add_i32 s26, s26, s9
	s_delay_alu instid0(SALU_CYCLE_1)
	v_cmpx_gt_i32_e64 s26, v0
	s_cbranch_execz .LBB59_226
; %bb.218:                              ;   in Loop: Header=BB59_17 Depth=1
	v_dual_mov_b32 v1, v17 :: v_dual_mov_b32 v2, v0
	s_mov_b32 s27, 0
                                        ; implicit-def: $sgpr28
	s_set_inst_prefetch_distance 0x1
	s_branch .LBB59_220
	.p2align	6
.LBB59_219:                             ;   in Loop: Header=BB59_220 Depth=2
	s_or_b32 exec_lo, exec_lo, s9
	s_waitcnt lgkmcnt(0)
	s_barrier
	buffer_gl0_inv
	ds_load_b32 v3, v7 offset:3072
	v_add_nc_u32_e32 v2, s47, v2
	v_add_nc_u32_e32 v1, s65, v1
	s_waitcnt lgkmcnt(0)
	s_barrier
	buffer_gl0_inv
	v_cmp_le_i32_e32 vcc_lo, s26, v2
	v_cmp_neq_f16_e64 s9, 0, v3
	s_delay_alu instid0(VALU_DEP_1) | instskip(NEXT) | instid1(SALU_CYCLE_1)
	s_or_b32 s37, vcc_lo, s9
	s_and_b32 s37, exec_lo, s37
	s_delay_alu instid0(SALU_CYCLE_1) | instskip(SKIP_2) | instid1(SALU_CYCLE_1)
	s_or_b32 s27, s37, s27
	s_and_not1_b32 s28, s28, exec_lo
	s_and_b32 s9, s9, exec_lo
	s_or_b32 s28, s28, s9
	s_and_not1_b32 exec_lo, exec_lo, s27
	s_cbranch_execz .LBB59_225
.LBB59_220:                             ;   Parent Loop BB59_17 Depth=1
                                        ; =>  This Inner Loop Header: Depth=2
	s_delay_alu instid0(VALU_DEP_1)
	v_cmp_gt_i32_e32 vcc_lo, s18, v2
	v_mov_b32_e32 v3, 0
	s_and_saveexec_b32 s9, vcc_lo
	s_cbranch_execz .LBB59_222
; %bb.221:                              ;   in Loop: Header=BB59_220 Depth=2
	ds_load_u16 v3, v1
.LBB59_222:                             ;   in Loop: Header=BB59_220 Depth=2
	s_or_b32 exec_lo, exec_lo, s9
	s_and_saveexec_b32 s9, vcc_lo
	s_cbranch_execz .LBB59_219
; %bb.223:                              ;   in Loop: Header=BB59_220 Depth=2
	s_waitcnt lgkmcnt(0)
	v_cmp_lt_i16_e32 vcc_lo, -1, v3
	v_and_b32_e32 v4, 0xffff, v3
	v_cndmask_b32_e32 v6, 0xffff, v28, vcc_lo
	v_cmp_o_f16_e32 vcc_lo, v3, v3
	s_delay_alu instid0(VALU_DEP_2) | instskip(NEXT) | instid1(VALU_DEP_1)
	v_xor_b32_e32 v4, v6, v4
	v_cndmask_b32_e32 v4, 0xffff, v4, vcc_lo
	s_delay_alu instid0(VALU_DEP_1) | instskip(NEXT) | instid1(VALU_DEP_1)
	v_and_b32_e32 v4, s76, v4
	v_cmp_eq_u32_e32 vcc_lo, s75, v4
	s_and_b32 exec_lo, exec_lo, vcc_lo
	s_cbranch_execz .LBB59_219
; %bb.224:                              ;   in Loop: Header=BB59_220 Depth=2
	v_perm_b32 v3, v3, s66, 0x5040100
	ds_store_b32 v7, v3 offset:3072
	s_branch .LBB59_219
.LBB59_225:                             ;   in Loop: Header=BB59_17 Depth=1
	s_set_inst_prefetch_distance 0x2
	s_or_b32 exec_lo, exec_lo, s27
	v_lshrrev_b32_e32 v29, 16, v3
	s_and_b32 s28, s28, exec_lo
.LBB59_226:                             ;   in Loop: Header=BB59_17 Depth=1
	s_or_b32 exec_lo, exec_lo, s19
	s_mov_b32 s27, -1
	s_mov_b32 s19, 0
	s_mov_b32 s26, 0
.LBB59_227:                             ;   in Loop: Header=BB59_17 Depth=1
	s_mov_b32 s37, 0
                                        ; implicit-def: $sgpr9
	s_and_saveexec_b32 s18, s28
	s_cbranch_execz .LBB59_241
; %bb.228:                              ;   in Loop: Header=BB59_17 Depth=1
	s_xor_b32 s9, s16, -1
	s_delay_alu instid0(SALU_CYCLE_1)
	s_and_not1_b32 vcc_lo, exec_lo, s9
	s_mov_b32 s9, 1
	s_cbranch_vccnz .LBB59_235
; %bb.229:                              ;   in Loop: Header=BB59_17 Depth=1
	s_cmp_gt_i32 s25, s10
	s_cbranch_scc1 .LBB59_236
; %bb.230:                              ;   in Loop: Header=BB59_17 Depth=1
	ds_load_b32 v1, v7 offset:4096
	s_waitcnt lgkmcnt(0)
	v_cmp_ne_u32_e32 vcc_lo, 0, v1
	s_cbranch_vccnz .LBB59_234
; %bb.231:                              ;   in Loop: Header=BB59_17 Depth=1
	s_and_saveexec_b32 s9, s2
	s_cbranch_execz .LBB59_233
; %bb.232:                              ;   in Loop: Header=BB59_17 Depth=1
	v_mov_b32_e32 v1, s10
	ds_store_b32 v7, v1 offset:4100
.LBB59_233:                             ;   in Loop: Header=BB59_17 Depth=1
	s_or_b32 exec_lo, exec_lo, s9
	s_waitcnt lgkmcnt(0)
	s_barrier
	buffer_gl0_inv
.LBB59_234:                             ;   in Loop: Header=BB59_17 Depth=1
	s_or_b32 s16, s75, s11
	s_or_b32 s11, s76, s11
	s_mov_b32 s28, 0
	s_mov_b32 s9, 8
	s_branch .LBB59_237
.LBB59_235:                             ;   in Loop: Header=BB59_17 Depth=1
	s_mov_b32 s25, 1
	s_branch .LBB59_240
.LBB59_236:                             ;   in Loop: Header=BB59_17 Depth=1
	s_mov_b32 s28, -1
                                        ; implicit-def: $sgpr9
                                        ; implicit-def: $sgpr16
                                        ; implicit-def: $sgpr11
.LBB59_237:                             ;   in Loop: Header=BB59_17 Depth=1
	s_delay_alu instid0(SALU_CYCLE_1)
	s_and_not1_b32 vcc_lo, exec_lo, s28
	s_cbranch_vccnz .LBB59_239
; %bb.238:                              ;   in Loop: Header=BB59_17 Depth=1
	s_sub_i32 s25, s25, s10
	s_mov_b32 s9, 8
	s_mov_b32 s16, s75
	;; [unrolled: 1-line block ×3, first 2 shown]
.LBB59_239:                             ;   in Loop: Header=BB59_17 Depth=1
	s_mov_b32 s75, s16
	s_mov_b32 s76, s11
.LBB59_240:                             ;   in Loop: Header=BB59_17 Depth=1
	s_mov_b32 s37, exec_lo
.LBB59_241:                             ;   in Loop: Header=BB59_17 Depth=1
	s_or_b32 exec_lo, exec_lo, s18
.LBB59_242:                             ;   in Loop: Header=BB59_17 Depth=1
	s_delay_alu instid0(SALU_CYCLE_1)
	s_and_not1_b32 s10, s21, exec_lo
	s_and_b32 s11, s19, exec_lo
	s_and_not1_b32 s16, s22, exec_lo
	s_or_b32 s21, s10, s11
	s_and_not1_b32 s10, s23, exec_lo
	s_and_b32 s11, s27, exec_lo
	s_and_b32 s18, s26, exec_lo
	s_or_b32 s23, s10, s11
	s_or_b32 s22, s16, s18
	s_and_b32 s28, s37, exec_lo
	s_mov_b32 s26, s25
.LBB59_243:                             ;   in Loop: Header=BB59_17 Depth=1
	s_or_b32 exec_lo, exec_lo, s24
.LBB59_244:                             ;   in Loop: Header=BB59_17 Depth=1
	s_delay_alu instid0(SALU_CYCLE_1)
	s_and_not1_b32 s10, s15, exec_lo
	s_and_b32 s11, s21, exec_lo
	s_and_not1_b32 s14, s14, exec_lo
	s_or_b32 s15, s10, s11
	s_and_not1_b32 s10, s17, exec_lo
	s_and_b32 s11, s23, exec_lo
	s_and_b32 s16, s22, exec_lo
	s_or_b32 s17, s10, s11
	s_or_b32 s14, s14, s16
	s_and_b32 s25, s28, exec_lo
	s_mov_b32 s22, s26
.LBB59_245:                             ;   in Loop: Header=BB59_17 Depth=1
	s_or_b32 exec_lo, exec_lo, s20
	s_and_saveexec_b32 s10, s25
	s_delay_alu instid0(SALU_CYCLE_1)
	s_xor_b32 s10, exec_lo, s10
	s_cbranch_execz .LBB59_15
.LBB59_246:                             ;   in Loop: Header=BB59_17 Depth=1
	s_and_b32 s9, s9, -9
	s_delay_alu instid0(SALU_CYCLE_1)
	s_cmp_eq_u32 s9, 0
	s_cbranch_scc1 .LBB59_13
; %bb.247:                              ;   in Loop: Header=BB59_17 Depth=1
	s_mov_b32 s9, -1
	s_mov_b32 s11, -1
                                        ; implicit-def: $sgpr76
                                        ; implicit-def: $sgpr22
                                        ; implicit-def: $sgpr70
                                        ; implicit-def: $sgpr73
	s_branch .LBB59_14
.LBB59_248:
	s_or_b32 exec_lo, exec_lo, s48
	s_xor_b32 s3, s69, -1
	s_xor_b32 s1, s67, -1
	;; [unrolled: 1-line block ×3, first 2 shown]
	s_mov_b32 s0, 0
	s_and_saveexec_b32 s5, s1
	s_delay_alu instid0(SALU_CYCLE_1)
	s_xor_b32 s1, exec_lo, s5
	s_cbranch_execz .LBB59_269
; %bb.249:
	s_and_saveexec_b32 s0, s3
	s_delay_alu instid0(SALU_CYCLE_1)
	s_xor_b32 s3, exec_lo, s0
	s_cbranch_execz .LBB59_267
; %bb.250:
	s_and_saveexec_b32 s0, s4
	s_delay_alu instid0(SALU_CYCLE_1)
	s_xor_b32 s0, exec_lo, s0
; %bb.251:
	v_and_b32_e32 v2, 0x8000, v1
	v_mov_b32_e32 v3, 0xffff
	s_delay_alu instid0(VALU_DEP_2) | instskip(NEXT) | instid1(VALU_DEP_2)
	v_cmp_eq_u32_e32 vcc_lo, 0, v2
	v_cndmask_b32_e32 v2, 0x8000, v3, vcc_lo
	s_delay_alu instid0(VALU_DEP_1)
	v_xor_b32_e32 v29, v2, v1
; %bb.252:
	s_or_b32 exec_lo, exec_lo, s0
	s_and_saveexec_b32 s0, s2
	s_cbranch_execz .LBB59_254
; %bb.253:
	v_dual_mov_b32 v1, 0 :: v_dual_mov_b32 v2, s36
	ds_store_b32 v1, v2 offset:4108
.LBB59_254:
	s_or_b32 exec_lo, exec_lo, s0
	v_mov_b32_e32 v1, 0
	s_waitcnt lgkmcnt(0)
	s_barrier
	buffer_gl0_inv
	s_mov_b32 s4, exec_lo
	ds_load_b32 v1, v1 offset:4108
	s_waitcnt lgkmcnt(0)
	v_min_i32_e32 v1, s36, v1
	s_delay_alu instid0(VALU_DEP_1)
	v_cmpx_lt_i32_e64 v0, v1
	s_cbranch_execz .LBB59_264
; %bb.255:
	v_cmp_u_f16_e32 vcc_lo, v29, v29
	s_mov_b32 s5, 0
                                        ; implicit-def: $sgpr6
                                        ; implicit-def: $sgpr9
                                        ; implicit-def: $sgpr8
	s_xor_b32 s7, vcc_lo, -1
	s_set_inst_prefetch_distance 0x1
	s_branch .LBB59_257
	.p2align	6
.LBB59_256:                             ;   in Loop: Header=BB59_257 Depth=1
	s_or_b32 exec_lo, exec_lo, s0
	s_delay_alu instid0(SALU_CYCLE_1) | instskip(NEXT) | instid1(SALU_CYCLE_1)
	s_and_b32 s0, exec_lo, s9
	s_or_b32 s5, s0, s5
	s_and_not1_b32 s0, s6, exec_lo
	s_and_b32 s6, s8, exec_lo
	s_delay_alu instid0(SALU_CYCLE_1)
	s_or_b32 s6, s0, s6
	s_and_not1_b32 exec_lo, exec_lo, s5
	s_cbranch_execz .LBB59_259
.LBB59_257:                             ; =>This Inner Loop Header: Depth=1
	v_ashrrev_i32_e32 v6, 31, v5
	s_or_b32 s8, s8, exec_lo
	s_or_b32 s9, s9, exec_lo
	s_delay_alu instid0(VALU_DEP_1) | instskip(NEXT) | instid1(VALU_DEP_1)
	v_lshlrev_b64 v[2:3], 1, v[5:6]
	v_add_co_u32 v2, vcc_lo, s45, v2
	s_delay_alu instid0(VALU_DEP_2)
	v_add_co_ci_u32_e32 v3, vcc_lo, s46, v3, vcc_lo
	global_load_u16 v2, v[2:3], off
	s_waitcnt vmcnt(0)
	v_cmp_o_f16_e32 vcc_lo, v2, v2
	v_cmp_neq_f16_e64 s0, v2, v29
	v_mov_b32_e32 v2, v0
                                        ; implicit-def: $vgpr0
	s_or_b32 s10, s7, vcc_lo
	s_delay_alu instid0(VALU_DEP_2) | instid1(SALU_CYCLE_1)
	s_and_b32 s10, s0, s10
	s_delay_alu instid0(SALU_CYCLE_1)
	s_and_saveexec_b32 s0, s10
	s_cbranch_execz .LBB59_256
; %bb.258:                              ;   in Loop: Header=BB59_257 Depth=1
	v_add_nc_u32_e32 v0, s47, v2
	s_and_not1_b32 s9, s9, exec_lo
	v_add_nc_u32_e32 v5, s51, v5
	s_and_not1_b32 s8, s8, exec_lo
	s_delay_alu instid0(VALU_DEP_2) | instskip(SKIP_1) | instid1(SALU_CYCLE_1)
	v_cmp_ge_i32_e32 vcc_lo, v0, v1
	s_and_b32 s10, vcc_lo, exec_lo
	s_or_b32 s9, s9, s10
	s_branch .LBB59_256
.LBB59_259:
	s_set_inst_prefetch_distance 0x2
	s_or_b32 exec_lo, exec_lo, s5
	s_and_saveexec_b32 s0, s6
	s_delay_alu instid0(SALU_CYCLE_1)
	s_xor_b32 s0, exec_lo, s0
	s_cbranch_execz .LBB59_264
; %bb.260:
	s_mov_b32 s5, exec_lo
	s_brev_b32 s0, -2
.LBB59_261:                             ; =>This Inner Loop Header: Depth=1
	s_ctz_i32_b32 s6, s5
	s_delay_alu instid0(SALU_CYCLE_1) | instskip(SKIP_1) | instid1(SALU_CYCLE_1)
	v_readlane_b32 s7, v2, s6
	s_lshl_b32 s6, 1, s6
	s_and_not1_b32 s5, s5, s6
	s_delay_alu instid0(VALU_DEP_1)
	s_min_i32 s0, s0, s7
	s_cmp_lg_u32 s5, 0
	s_cbranch_scc1 .LBB59_261
; %bb.262:
	v_mbcnt_lo_u32_b32 v0, exec_lo, 0
	s_mov_b32 s5, exec_lo
	s_delay_alu instid0(VALU_DEP_1)
	v_cmpx_eq_u32_e32 0, v0
	s_xor_b32 s5, exec_lo, s5
	s_cbranch_execz .LBB59_264
; %bb.263:
	v_dual_mov_b32 v0, 0 :: v_dual_mov_b32 v1, s0
	ds_min_i32 v0, v1 offset:4108
.LBB59_264:
	s_or_b32 exec_lo, exec_lo, s4
	s_waitcnt lgkmcnt(0)
	s_barrier
	buffer_gl0_inv
	s_and_saveexec_b32 s0, s2
	s_cbranch_execz .LBB59_266
; %bb.265:
	v_mov_b32_e32 v2, 0
	s_mul_i32 s2, s30, s38
	s_delay_alu instid0(SALU_CYCLE_1)
	s_add_i32 s4, s2, s29
	s_mul_i32 s2, s44, s33
	ds_load_b32 v0, v2 offset:4108
	s_ashr_i32 s5, s4, 31
	s_add_i32 s6, s2, s31
	s_lshl_b64 s[4:5], s[4:5], 1
	s_delay_alu instid0(SALU_CYCLE_1) | instskip(SKIP_2) | instid1(SALU_CYCLE_1)
	s_add_u32 s4, s40, s4
	s_addc_u32 s5, s41, s5
	s_ashr_i32 s7, s6, 31
	s_lshl_b64 s[6:7], s[6:7], 3
	s_delay_alu instid0(SALU_CYCLE_1)
	s_add_u32 s6, s34, s6
	s_addc_u32 s7, s35, s7
	s_waitcnt lgkmcnt(0)
	v_ashrrev_i32_e32 v1, 31, v0
	s_clause 0x1
	global_store_b64 v2, v[0:1], s[6:7]
	global_store_b16 v2, v29, s[4:5]
.LBB59_266:
	s_or_b32 exec_lo, exec_lo, s0
.LBB59_267:
	s_or_saveexec_b32 s0, s3
	s_mov_b32 s2, 0
	s_xor_b32 exec_lo, exec_lo, s0
	s_cbranch_execnz .LBB59_275
.LBB59_268:
	s_or_b32 exec_lo, exec_lo, s0
	s_delay_alu instid0(SALU_CYCLE_1)
	s_and_b32 s0, s2, exec_lo
.LBB59_269:
	s_and_not1_saveexec_b32 s1, s1
	s_cbranch_execnz .LBB59_273
; %bb.270:
	s_or_b32 exec_lo, exec_lo, s1
	s_and_saveexec_b32 s1, s0
.LBB59_271:
	; divergent unreachable
.LBB59_272:
	s_nop 0
	s_sendmsg sendmsg(MSG_DEALLOC_VGPRS)
	s_endpgm
.LBB59_273:
	s_cbranch_execnz .LBB59_277
; %bb.274:
	s_or_b32 s0, s0, exec_lo
	s_or_b32 exec_lo, exec_lo, s1
	s_and_saveexec_b32 s1, s0
	s_cbranch_execnz .LBB59_271
	s_branch .LBB59_272
.LBB59_275:
	s_cbranch_execnz .LBB59_279
; %bb.276:
	s_mov_b32 s2, exec_lo
	s_branch .LBB59_268
.LBB59_277:
	s_trap 2
	s_sendmsg_rtn_b32 s0, sendmsg(MSG_RTN_GET_DOORBELL)
	s_mov_b32 ttmp2, m0
	s_waitcnt lgkmcnt(0)
	s_and_b32 s0, s0, 0x3ff
	s_delay_alu instid0(SALU_CYCLE_1) | instskip(NEXT) | instid1(SALU_CYCLE_1)
	s_bitset1_b32 s0, 10
	s_mov_b32 m0, s0
	s_sendmsg sendmsg(MSG_INTERRUPT)
	s_mov_b32 m0, ttmp2
.LBB59_278:                             ; =>This Inner Loop Header: Depth=1
	s_sethalt 5
	s_branch .LBB59_278
.LBB59_279:
	s_trap 2
	s_sendmsg_rtn_b32 s0, sendmsg(MSG_RTN_GET_DOORBELL)
	s_mov_b32 ttmp2, m0
	s_waitcnt lgkmcnt(0)
	s_and_b32 s0, s0, 0x3ff
	s_delay_alu instid0(SALU_CYCLE_1) | instskip(NEXT) | instid1(SALU_CYCLE_1)
	s_bitset1_b32 s0, 10
	s_mov_b32 m0, s0
	s_sendmsg sendmsg(MSG_INTERRUPT)
	s_mov_b32 m0, ttmp2
.LBB59_280:                             ; =>This Inner Loop Header: Depth=1
	s_sethalt 5
	s_branch .LBB59_280
	.section	.rodata,"a",@progbits
	.p2align	6, 0x0
	.amdhsa_kernel _ZN2at6native12_GLOBAL__N_114gatherKthValueIN3c104HalfEiLin1EEEvNS_4cuda6detail10TensorInfoIKT_T0_EESA_SA_SA_SA_NS7_IS8_SA_EENS7_IlSA_EE
		.amdhsa_group_segment_fixed_size 4112
		.amdhsa_private_segment_fixed_size 0
		.amdhsa_kernarg_size 920
		.amdhsa_user_sgpr_count 13
		.amdhsa_user_sgpr_dispatch_ptr 0
		.amdhsa_user_sgpr_queue_ptr 0
		.amdhsa_user_sgpr_kernarg_segment_ptr 1
		.amdhsa_user_sgpr_dispatch_id 0
		.amdhsa_user_sgpr_private_segment_size 0
		.amdhsa_wavefront_size32 1
		.amdhsa_uses_dynamic_stack 0
		.amdhsa_enable_private_segment 0
		.amdhsa_system_sgpr_workgroup_id_x 1
		.amdhsa_system_sgpr_workgroup_id_y 1
		.amdhsa_system_sgpr_workgroup_id_z 1
		.amdhsa_system_sgpr_workgroup_info 0
		.amdhsa_system_vgpr_workitem_id 0
		.amdhsa_next_free_vgpr 40
		.amdhsa_next_free_sgpr 86
		.amdhsa_reserve_vcc 1
		.amdhsa_float_round_mode_32 0
		.amdhsa_float_round_mode_16_64 0
		.amdhsa_float_denorm_mode_32 3
		.amdhsa_float_denorm_mode_16_64 3
		.amdhsa_dx10_clamp 1
		.amdhsa_ieee_mode 1
		.amdhsa_fp16_overflow 0
		.amdhsa_workgroup_processor_mode 1
		.amdhsa_memory_ordered 1
		.amdhsa_forward_progress 0
		.amdhsa_shared_vgpr_count 0
		.amdhsa_exception_fp_ieee_invalid_op 0
		.amdhsa_exception_fp_denorm_src 0
		.amdhsa_exception_fp_ieee_div_zero 0
		.amdhsa_exception_fp_ieee_overflow 0
		.amdhsa_exception_fp_ieee_underflow 0
		.amdhsa_exception_fp_ieee_inexact 0
		.amdhsa_exception_int_div_zero 0
	.end_amdhsa_kernel
	.section	.text._ZN2at6native12_GLOBAL__N_114gatherKthValueIN3c104HalfEiLin1EEEvNS_4cuda6detail10TensorInfoIKT_T0_EESA_SA_SA_SA_NS7_IS8_SA_EENS7_IlSA_EE,"axG",@progbits,_ZN2at6native12_GLOBAL__N_114gatherKthValueIN3c104HalfEiLin1EEEvNS_4cuda6detail10TensorInfoIKT_T0_EESA_SA_SA_SA_NS7_IS8_SA_EENS7_IlSA_EE,comdat
.Lfunc_end59:
	.size	_ZN2at6native12_GLOBAL__N_114gatherKthValueIN3c104HalfEiLin1EEEvNS_4cuda6detail10TensorInfoIKT_T0_EESA_SA_SA_SA_NS7_IS8_SA_EENS7_IlSA_EE, .Lfunc_end59-_ZN2at6native12_GLOBAL__N_114gatherKthValueIN3c104HalfEiLin1EEEvNS_4cuda6detail10TensorInfoIKT_T0_EESA_SA_SA_SA_NS7_IS8_SA_EENS7_IlSA_EE
                                        ; -- End function
	.section	.AMDGPU.csdata,"",@progbits
; Kernel info:
; codeLenInByte = 11300
; NumSgprs: 88
; NumVgprs: 40
; ScratchSize: 0
; MemoryBound: 0
; FloatMode: 240
; IeeeMode: 1
; LDSByteSize: 4112 bytes/workgroup (compile time only)
; SGPRBlocks: 10
; VGPRBlocks: 4
; NumSGPRsForWavesPerEU: 88
; NumVGPRsForWavesPerEU: 40
; Occupancy: 16
; WaveLimiterHint : 1
; COMPUTE_PGM_RSRC2:SCRATCH_EN: 0
; COMPUTE_PGM_RSRC2:USER_SGPR: 13
; COMPUTE_PGM_RSRC2:TRAP_HANDLER: 0
; COMPUTE_PGM_RSRC2:TGID_X_EN: 1
; COMPUTE_PGM_RSRC2:TGID_Y_EN: 1
; COMPUTE_PGM_RSRC2:TGID_Z_EN: 1
; COMPUTE_PGM_RSRC2:TIDIG_COMP_CNT: 0
	.section	.text._ZN2at6native12_GLOBAL__N_114gatherKthValueIN3c104HalfElLi1EEEvNS_4cuda6detail10TensorInfoIKT_T0_EESA_SA_SA_SA_NS7_IS8_SA_EENS7_IlSA_EE,"axG",@progbits,_ZN2at6native12_GLOBAL__N_114gatherKthValueIN3c104HalfElLi1EEEvNS_4cuda6detail10TensorInfoIKT_T0_EESA_SA_SA_SA_NS7_IS8_SA_EENS7_IlSA_EE,comdat
	.globl	_ZN2at6native12_GLOBAL__N_114gatherKthValueIN3c104HalfElLi1EEEvNS_4cuda6detail10TensorInfoIKT_T0_EESA_SA_SA_SA_NS7_IS8_SA_EENS7_IlSA_EE ; -- Begin function _ZN2at6native12_GLOBAL__N_114gatherKthValueIN3c104HalfElLi1EEEvNS_4cuda6detail10TensorInfoIKT_T0_EESA_SA_SA_SA_NS7_IS8_SA_EENS7_IlSA_EE
	.p2align	8
	.type	_ZN2at6native12_GLOBAL__N_114gatherKthValueIN3c104HalfElLi1EEEvNS_4cuda6detail10TensorInfoIKT_T0_EESA_SA_SA_SA_NS7_IS8_SA_EENS7_IlSA_EE,@function
_ZN2at6native12_GLOBAL__N_114gatherKthValueIN3c104HalfElLi1EEEvNS_4cuda6detail10TensorInfoIKT_T0_EESA_SA_SA_SA_NS7_IS8_SA_EENS7_IlSA_EE: ; @_ZN2at6native12_GLOBAL__N_114gatherKthValueIN3c104HalfElLi1EEEvNS_4cuda6detail10TensorInfoIKT_T0_EESA_SA_SA_SA_NS7_IS8_SA_EENS7_IlSA_EE
; %bb.0:
	s_clause 0x1
	s_load_b64 s[6:7], s[0:1], 0x500
	s_load_b256 s[24:31], s[0:1], 0x1a0
	s_add_u32 s4, s0, 0x500
	s_addc_u32 s5, s1, 0
	s_mov_b32 s35, 0
	s_waitcnt lgkmcnt(0)
	s_mul_i32 s2, s7, s15
	s_delay_alu instid0(SALU_CYCLE_1) | instskip(NEXT) | instid1(SALU_CYCLE_1)
	s_add_i32 s2, s2, s14
	s_mul_i32 s2, s2, s6
	s_delay_alu instid0(SALU_CYCLE_1) | instskip(NEXT) | instid1(SALU_CYCLE_1)
	s_add_i32 s34, s2, s13
	v_cmp_ge_i64_e64 s2, s[34:35], s[28:29]
	s_delay_alu instid0(VALU_DEP_1)
	s_and_b32 vcc_lo, exec_lo, s2
	s_cbranch_vccnz .LBB60_300
; %bb.1:
	s_clause 0x5
	s_load_b64 s[38:39], s[0:1], 0x430
	s_load_b64 s[28:29], s[0:1], 0x360
	;; [unrolled: 1-line block ×6, first 2 shown]
	v_cmp_eq_u32_e64 s0, 0, v0
	s_delay_alu instid0(VALU_DEP_1)
	s_and_saveexec_b32 s1, s0
	s_cbranch_execz .LBB60_3
; %bb.2:
	v_dual_mov_b32 v1, 0 :: v_dual_mov_b32 v4, s25
	s_delay_alu instid0(VALU_DEP_1)
	v_dual_mov_b32 v3, s24 :: v_dual_mov_b32 v2, v1
	ds_store_b32 v1, v1 offset:5136
	ds_store_b128 v1, v[1:4] offset:5120
.LBB60_3:
	s_or_b32 exec_lo, exec_lo, s1
	v_mad_u64_u32 v[2:3], null, v0, s30, 0
	v_lshlrev_b32_e32 v33, 3, v0
	v_mbcnt_lo_u32_b32 v29, -1, 0
	v_dual_mov_b32 v13, 0 :: v_dual_lshlrev_b32 v14, 2, v0
	v_lshrrev_b32_e32 v6, 3, v0
	s_delay_alu instid0(VALU_DEP_4)
	v_or_b32_e32 v22, 2, v33
	v_dual_mov_b32 v1, v3 :: v_dual_lshlrev_b32 v30, 1, v0
	s_waitcnt lgkmcnt(0)
	s_mul_i32 s1, s3, s34
	s_mul_hi_u32 s3, s2, s34
	v_mad_u64_u32 v[20:21], null, s30, v22, 0
	v_mad_u64_u32 v[3:4], null, v0, s31, v[1:2]
	s_barrier
	buffer_gl0_inv
	s_load_b32 s7, s[4:5], 0xc
	s_mul_i32 s10, s2, s34
	s_add_i32 s11, s3, s1
	v_lshlrev_b64 v[4:5], 1, v[2:3]
	v_cmp_gt_u32_e32 vcc_lo, 32, v0
	v_cmp_gt_i32_e64 s1, 4, v29
	v_dual_mov_b32 v1, v13 :: v_dual_and_b32 v32, 0x7c, v6
	v_mov_b32_e32 v6, v21
	v_or_b32_e32 v9, 6, v33
	v_or_b32_e32 v12, 4, v33
	s_lshl_b64 s[10:11], s[10:11], 1
	v_cmp_lt_i64_e64 s35, 0x600, s[24:25]
	s_add_u32 s46, s8, s10
	s_addc_u32 s47, s9, s11
	s_and_b32 s68, vcc_lo, s1
	v_add_co_u32 v10, vcc_lo, s46, v4
	v_mad_u64_u32 v[16:17], null, s30, v9, 0
	v_mad_u64_u32 v[18:19], null, s30, v12, 0
	v_add_co_ci_u32_e32 v11, vcc_lo, s47, v5, vcc_lo
	v_lshlrev_b64 v[4:5], v29, -1
	v_add_nc_u32_e32 v31, 0xc00, v30
	s_waitcnt lgkmcnt(0)
	s_and_b32 s33, s7, 0xffff
	s_bfe_u32 s8, s7, 0xb0005
	s_delay_alu instid0(VALU_DEP_4)
	v_mov_b32_e32 v5, v19
	s_add_u32 s69, s33, -1
	v_not_b32_e32 v34, v4
	v_mov_b32_e32 v4, v17
	s_addc_u32 s70, 0, -1
	s_add_u32 s71, s69, s24
	s_addc_u32 s49, s70, s25
	s_cmp_lt_u32 s13, s6
	v_mad_u64_u32 v[7:8], null, s31, v9, v[4:5]
	s_cselect_b32 s6, 12, 18
	v_mad_u64_u32 v[8:9], null, s31, v12, v[5:6]
	s_add_u32 s50, s4, s6
	s_addc_u32 s51, s5, 0
	s_add_i32 s4, s8, -1
	s_delay_alu instid0(VALU_DEP_2)
	v_mad_u64_u32 v[4:5], null, s31, v22, v[6:7]
	s_bfe_u32 s72, s33, 0x30005
	s_cmp_gt_u32 s4, 6
	v_add_co_u32 v36, s6, s24, v0
	s_cselect_b32 s73, -1, 0
	s_and_b32 s74, s8, 0x7f8
	v_cmp_gt_i64_e64 s1, s[24:25], v[0:1]
	s_cmp_lg_u32 s72, 0
	v_lshlrev_b64 v[21:22], 3, v[2:3]
	s_mul_i32 s4, s31, s33
	s_mul_hi_u32 s5, s30, s33
	v_cmp_gt_u32_e64 s2, 2, v0
	v_cmp_eq_u32_e64 s3, 0, v29
	v_mov_b32_e32 v15, v13
	v_cmp_gt_u16_e64 s75, s7, 31
	v_mov_b32_e32 v17, v7
	v_mov_b32_e32 v19, v8
	;; [unrolled: 1-line block ×3, first 2 shown]
	v_add_co_ci_u32_e64 v37, null, s25, 0, s6
	v_lshl_or_b32 v38, v29, 3, 0xc00
	v_mov_b32_e32 v39, 0x8000
	v_cvt_f32_ubyte0_e32 v40, 0
	v_mov_b32_e32 v41, 0
	s_cselect_b32 s76, -1, 0
	s_add_i32 s5, s5, s4
	s_mul_i32 s4, s30, s33
	s_mov_b32 s45, 0
	s_lshl_b64 s[52:53], s[30:31], 1
	s_lshl_b64 s[54:55], s[30:31], 3
	;; [unrolled: 1-line block ×3, first 2 shown]
	s_lshl_b32 s77, s33, 1
	s_mov_b32 s82, 14
	s_movk_i32 s78, 0x3c00
	s_mov_b32 s79, 0
	s_mov_b32 s84, 0
	;; [unrolled: 1-line block ×4, first 2 shown]
                                        ; implicit-def: $sgpr80
                                        ; implicit-def: $sgpr83
                                        ; implicit-def: $sgpr81
                                        ; implicit-def: $sgpr86
                                        ; implicit-def: $sgpr87
                                        ; implicit-def: $sgpr85
	s_branch .LBB60_8
.LBB60_4:                               ;   in Loop: Header=BB60_8 Depth=1
	s_xor_b32 s84, s84, 1
	s_add_i32 s7, s82, -2
	s_cmp_eq_u32 s82, 0
	s_mov_b32 s5, 0
	s_cselect_b32 s6, -1, 0
	s_mov_b32 s82, s7
.LBB60_5:                               ;   in Loop: Header=BB60_8 Depth=1
	s_and_not1_b32 s7, s20, exec_lo
	s_and_b32 s5, s5, exec_lo
	s_and_not1_b32 s21, s21, exec_lo
	s_or_b32 s20, s7, s5
	s_and_not1_b32 s19, s19, exec_lo
	s_or_not1_b32 s15, s6, exec_lo
.LBB60_6:                               ;   in Loop: Header=BB60_8 Depth=1
	s_or_b32 exec_lo, exec_lo, s4
	s_delay_alu instid0(SALU_CYCLE_1)
	s_and_not1_b32 s4, s85, exec_lo
	s_and_b32 s5, s20, exec_lo
	s_and_not1_b32 s6, s86, exec_lo
	s_or_b32 s85, s4, s5
	s_and_not1_b32 s4, s87, exec_lo
	s_and_b32 s5, s21, exec_lo
	s_and_b32 s7, s19, exec_lo
	s_or_b32 s87, s4, s5
	s_or_b32 s86, s6, s7
	s_or_not1_b32 s19, s15, exec_lo
.LBB60_7:                               ;   in Loop: Header=BB60_8 Depth=1
	s_or_b32 exec_lo, exec_lo, s14
	s_delay_alu instid0(SALU_CYCLE_1)
	s_and_b32 s4, exec_lo, s19
	v_mov_b32_e32 v2, s89
	s_or_b32 s79, s4, s79
	s_and_not1_b32 s4, s81, exec_lo
	s_and_b32 s5, s85, exec_lo
	s_and_not1_b32 s6, s80, exec_lo
	s_or_b32 s81, s4, s5
	s_and_not1_b32 s4, s83, exec_lo
	s_and_b32 s5, s87, exec_lo
	s_and_b32 s7, s86, exec_lo
	s_or_b32 s83, s4, s5
	s_or_b32 s80, s6, s7
	s_and_not1_b32 exec_lo, exec_lo, s79
	s_cbranch_execz .LBB60_274
.LBB60_8:                               ; =>This Loop Header: Depth=1
                                        ;     Child Loop BB60_13 Depth 2
                                        ;     Child Loop BB60_32 Depth 2
	;; [unrolled: 1-line block ×16, first 2 shown]
	ds_load_b128 v[2:5], v13 offset:5120
	s_waitcnt lgkmcnt(0)
	v_readfirstlane_b32 s57, v3
	v_readfirstlane_b32 s56, v2
	s_delay_alu instid0(VALU_DEP_1) | instskip(NEXT) | instid1(VALU_DEP_1)
	v_cmp_gt_i64_e64 s4, s[56:57], 0
	s_and_b32 vcc_lo, exec_lo, s4
	s_cbranch_vccnz .LBB60_39
; %bb.9:                                ;   in Loop: Header=BB60_8 Depth=1
	s_and_b32 vcc_lo, exec_lo, s35
	s_cbranch_vccz .LBB60_21
; %bb.10:                               ;   in Loop: Header=BB60_8 Depth=1
	v_cmp_gt_i64_e32 vcc_lo, 0x601, v[4:5]
	s_mov_b32 s6, 0
	s_mov_b32 s4, 0
	s_cbranch_vccz .LBB60_26
; %bb.11:                               ;   in Loop: Header=BB60_8 Depth=1
	global_load_u16 v6, v13, s[50:51]
	global_load_u16 v7, v[10:11], off
	s_mov_b32 s8, 0
	s_waitcnt vmcnt(1)
	v_readfirstlane_b32 s4, v6
	v_and_b32_e32 v6, 0xffff, v6
	s_delay_alu instid0(VALU_DEP_2) | instskip(NEXT) | instid1(SALU_CYCLE_1)
	s_and_b32 s4, 0xffff, s4
	v_add_nc_u32_e32 v8, s4, v0
	s_mul_i32 s5, s53, s4
	s_mul_hi_u32 s7, s52, s4
	s_mul_i32 s9, s52, s4
	s_add_i32 s7, s7, s5
	v_mad_u64_u32 v[2:3], null, s52, v8, s[46:47]
	s_delay_alu instid0(VALU_DEP_1) | instskip(NEXT) | instid1(VALU_DEP_1)
	v_mad_u64_u32 v[4:5], null, s53, v8, v[3:4]
	v_mov_b32_e32 v3, v4
	v_dual_mov_b32 v5, v1 :: v_dual_mov_b32 v4, v0
	s_branch .LBB60_13
.LBB60_12:                              ;   in Loop: Header=BB60_13 Depth=2
	s_or_b32 exec_lo, exec_lo, s5
	v_add_co_u32 v2, vcc_lo, v2, s9
	v_add_co_ci_u32_e32 v3, vcc_lo, s7, v3, vcc_lo
	v_mov_b32_e32 v7, v8
	s_and_not1_b32 exec_lo, exec_lo, s8
	s_cbranch_execz .LBB60_22
.LBB60_13:                              ;   Parent Loop BB60_8 Depth=1
                                        ; =>  This Inner Loop Header: Depth=2
	s_delay_alu instid0(VALU_DEP_1) | instskip(NEXT) | instid1(VALU_DEP_2)
	v_add_co_u32 v4, vcc_lo, v4, v6
	v_add_co_ci_u32_e32 v5, vcc_lo, 0, v5, vcc_lo
	s_waitcnt lgkmcnt(0)
	v_dual_mov_b32 v9, 0 :: v_dual_mov_b32 v8, 0
	s_mov_b32 s5, exec_lo
	s_delay_alu instid0(VALU_DEP_2)
	v_cmp_le_i64_e32 vcc_lo, s[24:25], v[4:5]
	v_cmpx_gt_i64_e64 s[24:25], v[4:5]
	s_cbranch_execz .LBB60_15
; %bb.14:                               ;   in Loop: Header=BB60_13 Depth=2
	global_load_u16 v8, v[2:3], off
.LBB60_15:                              ;   in Loop: Header=BB60_13 Depth=2
	s_or_b32 exec_lo, exec_lo, s5
	s_waitcnt vmcnt(0)
	v_cmp_lt_i16_e64 s4, -1, v7
	v_and_b32_e32 v12, 0xffff, v7
	s_delay_alu instid0(VALU_DEP_2) | instskip(SKIP_1) | instid1(VALU_DEP_2)
	v_cndmask_b32_e64 v23, 0xffff, v39, s4
	v_cmp_o_f16_e64 s4, v7, v7
	v_xor_b32_e32 v12, v23, v12
	s_delay_alu instid0(VALU_DEP_1) | instskip(NEXT) | instid1(VALU_DEP_1)
	v_cndmask_b32_e64 v12, 0xffff, v12, s4
	v_and_b32_e32 v12, s88, v12
	s_delay_alu instid0(VALU_DEP_1) | instskip(NEXT) | instid1(VALU_DEP_1)
	v_cmp_eq_u32_e64 s4, s89, v12
	s_cmp_lg_u32 s4, 0
	s_cselect_b32 s5, -1, 0
	s_delay_alu instid0(SALU_CYCLE_1) | instskip(NEXT) | instid1(SALU_CYCLE_1)
	s_and_b32 s5, s3, s5
	s_and_saveexec_b32 s10, s5
	s_cbranch_execz .LBB60_19
; %bb.16:                               ;   in Loop: Header=BB60_13 Depth=2
	s_mov_b32 s13, exec_lo
	s_bcnt1_i32_b32 s11, s4
	v_mbcnt_lo_u32_b32 v9, s13, 0
	s_mov_b32 s12, exec_lo
                                        ; implicit-def: $vgpr12
	s_delay_alu instid0(VALU_DEP_1)
	v_cmpx_eq_u32_e32 0, v9
	s_cbranch_execz .LBB60_18
; %bb.17:                               ;   in Loop: Header=BB60_13 Depth=2
	s_bcnt1_i32_b32 s5, s13
	s_delay_alu instid0(SALU_CYCLE_1) | instskip(NEXT) | instid1(SALU_CYCLE_1)
	s_mul_i32 s5, s11, s5
	v_mov_b32_e32 v12, s5
	ds_add_rtn_u32 v12, v13, v12 offset:5136
.LBB60_18:                              ;   in Loop: Header=BB60_13 Depth=2
	s_or_b32 exec_lo, exec_lo, s12
	s_waitcnt lgkmcnt(0)
	v_readfirstlane_b32 s5, v12
	s_delay_alu instid0(VALU_DEP_1)
	v_mad_u32_u24 v9, s11, v9, s5
.LBB60_19:                              ;   in Loop: Header=BB60_13 Depth=2
	s_or_b32 exec_lo, exec_lo, s10
	ds_bpermute_b32 v9, v13, v9
	s_and_b32 s5, exec_lo, vcc_lo
	s_delay_alu instid0(SALU_CYCLE_1)
	s_or_b32 s8, s5, s8
	s_and_saveexec_b32 s5, s4
	s_cbranch_execz .LBB60_12
; %bb.20:                               ;   in Loop: Header=BB60_13 Depth=2
	v_and_b32_e32 v12, s4, v34
	s_delay_alu instid0(VALU_DEP_1) | instskip(NEXT) | instid1(VALU_DEP_1)
	v_bcnt_u32_b32 v12, v12, 0
	v_lshlrev_b32_e32 v12, 1, v12
	s_waitcnt lgkmcnt(0)
	s_delay_alu instid0(VALU_DEP_1)
	v_lshl_add_u32 v9, v9, 1, v12
	ds_store_b16 v9, v7
	s_branch .LBB60_12
.LBB60_21:                              ;   in Loop: Header=BB60_8 Depth=1
	s_mov_b32 s6, -1
	s_mov_b32 s4, 0
	s_branch .LBB60_25
.LBB60_22:                              ;   in Loop: Header=BB60_8 Depth=1
	s_or_b32 exec_lo, exec_lo, s8
	s_waitcnt lgkmcnt(0)
	s_barrier
	buffer_gl0_inv
	s_and_saveexec_b32 s4, s0
	s_cbranch_execz .LBB60_24
; %bb.23:                               ;   in Loop: Header=BB60_8 Depth=1
	ds_load_b32 v2, v13 offset:5136
	s_waitcnt lgkmcnt(0)
	v_ashrrev_i32_e32 v3, 31, v2
	ds_store_b64 v13, v[2:3] offset:5120
.LBB60_24:                              ;   in Loop: Header=BB60_8 Depth=1
	s_or_b32 exec_lo, exec_lo, s4
	s_waitcnt lgkmcnt(0)
	s_mov_b32 s4, -1
	s_barrier
.LBB60_25:                              ;   in Loop: Header=BB60_8 Depth=1
                                        ; implicit-def: $sgpr56_sgpr57
.LBB60_26:                              ;   in Loop: Header=BB60_8 Depth=1
	s_and_b32 vcc_lo, exec_lo, s6
	s_cbranch_vccz .LBB60_37
; %bb.27:                               ;   in Loop: Header=BB60_8 Depth=1
	v_mov_b32_e32 v6, 0
	s_and_saveexec_b32 s4, s1
	s_cbranch_execz .LBB60_29
; %bb.28:                               ;   in Loop: Header=BB60_8 Depth=1
	global_load_u16 v6, v[10:11], off
.LBB60_29:                              ;   in Loop: Header=BB60_8 Depth=1
	s_or_b32 exec_lo, exec_lo, s4
	s_and_saveexec_b32 s5, s1
	s_cbranch_execz .LBB60_34
; %bb.30:                               ;   in Loop: Header=BB60_8 Depth=1
	global_load_u16 v8, v13, s[50:51]
	s_mov_b32 s9, 0
	s_waitcnt vmcnt(0)
	v_readfirstlane_b32 s4, v8
	v_and_b32_e32 v8, 0xffff, v8
	s_delay_alu instid0(VALU_DEP_2) | instskip(NEXT) | instid1(SALU_CYCLE_1)
	s_and_b32 s4, 0xffff, s4
	v_add_nc_u32_e32 v7, s4, v0
	s_mul_i32 s7, s53, s4
	s_mul_hi_u32 s8, s52, s4
	s_lshl_b32 s6, s4, 1
	s_add_i32 s7, s8, s7
	v_mad_u64_u32 v[2:3], null, s52, v7, s[46:47]
	s_mul_i32 s8, s52, s4
	s_delay_alu instid0(VALU_DEP_1) | instskip(SKIP_1) | instid1(VALU_DEP_2)
	v_mad_u64_u32 v[4:5], null, s53, v7, v[3:4]
	v_mov_b32_e32 v7, v30
	v_mov_b32_e32 v3, v4
	v_dual_mov_b32 v5, v1 :: v_dual_mov_b32 v4, v0
	s_branch .LBB60_32
	.p2align	6
.LBB60_31:                              ;   in Loop: Header=BB60_32 Depth=2
	s_or_b32 exec_lo, exec_lo, s10
	s_delay_alu instid0(SALU_CYCLE_1)
	s_and_b32 s4, exec_lo, vcc_lo
	v_add_co_u32 v2, vcc_lo, v2, s8
	ds_store_b16 v7, v6
	s_waitcnt vmcnt(0)
	v_dual_mov_b32 v6, v9 :: v_dual_add_nc_u32 v7, s6, v7
	v_add_co_ci_u32_e32 v3, vcc_lo, s7, v3, vcc_lo
	s_or_b32 s9, s4, s9
	s_delay_alu instid0(SALU_CYCLE_1)
	s_and_not1_b32 exec_lo, exec_lo, s9
	s_cbranch_execz .LBB60_34
.LBB60_32:                              ;   Parent Loop BB60_8 Depth=1
                                        ; =>  This Inner Loop Header: Depth=2
	s_delay_alu instid0(VALU_DEP_1) | instskip(NEXT) | instid1(VALU_DEP_2)
	v_add_co_u32 v4, vcc_lo, v4, v8
	v_add_co_ci_u32_e32 v5, vcc_lo, 0, v5, vcc_lo
	v_mov_b32_e32 v9, 0
	s_mov_b32 s10, exec_lo
	s_delay_alu instid0(VALU_DEP_2)
	v_cmp_le_i64_e32 vcc_lo, s[24:25], v[4:5]
	v_cmpx_gt_i64_e64 s[24:25], v[4:5]
	s_cbranch_execz .LBB60_31
; %bb.33:                               ;   in Loop: Header=BB60_32 Depth=2
	global_load_u16 v9, v[2:3], off
	s_branch .LBB60_31
.LBB60_34:                              ;   in Loop: Header=BB60_8 Depth=1
	s_or_b32 exec_lo, exec_lo, s5
	s_waitcnt vmcnt(0) lgkmcnt(0)
	s_barrier
	buffer_gl0_inv
	s_and_saveexec_b32 s4, s0
	s_cbranch_execz .LBB60_36
; %bb.35:                               ;   in Loop: Header=BB60_8 Depth=1
	v_dual_mov_b32 v2, s24 :: v_dual_mov_b32 v3, s25
	ds_store_b64 v13, v[2:3] offset:5120
.LBB60_36:                              ;   in Loop: Header=BB60_8 Depth=1
	s_or_b32 exec_lo, exec_lo, s4
	s_mov_b32 s4, -1
	s_waitcnt lgkmcnt(0)
	s_barrier
                                        ; implicit-def: $sgpr56_sgpr57
.LBB60_37:                              ;   in Loop: Header=BB60_8 Depth=1
	s_and_b32 vcc_lo, exec_lo, s4
	s_cbranch_vccz .LBB60_39
; %bb.38:                               ;   in Loop: Header=BB60_8 Depth=1
	buffer_gl0_inv
	ds_load_b64 v[2:3], v13 offset:5120
	s_waitcnt lgkmcnt(0)
	v_readfirstlane_b32 s56, v2
.LBB60_39:                              ;   in Loop: Header=BB60_8 Depth=1
	s_delay_alu instid0(VALU_DEP_1)
	s_cmp_lt_i32 s56, 1
	s_cbranch_scc0 .LBB60_54
; %bb.40:                               ;   in Loop: Header=BB60_8 Depth=1
	global_load_u16 v2, v13, s[50:51]
	s_mov_b32 s5, s25
	s_waitcnt vmcnt(0)
	v_readfirstlane_b32 s4, v2
	s_delay_alu instid0(VALU_DEP_1)
	s_and_b32 s44, s4, 0xffff
	s_mov_b32 s4, s45
	s_lshl_b32 s48, s44, 2
	s_cmp_lg_u64 s[4:5], 0
	s_cbranch_scc0 .LBB60_74
; %bb.41:                               ;   in Loop: Header=BB60_8 Depth=1
	v_cvt_f32_u32_e32 v2, s48
	s_sub_u32 s6, 0, s48
	s_subb_u32 s7, 0, 0
	s_delay_alu instid0(VALU_DEP_1) | instskip(NEXT) | instid1(VALU_DEP_1)
	v_fmac_f32_e32 v2, 0x4f800000, v40
	v_rcp_f32_e32 v2, v2
	s_waitcnt_depctr 0xfff
	v_mul_f32_e32 v2, 0x5f7ffffc, v2
	s_delay_alu instid0(VALU_DEP_1) | instskip(NEXT) | instid1(VALU_DEP_1)
	v_mul_f32_e32 v3, 0x2f800000, v2
	v_trunc_f32_e32 v3, v3
	s_delay_alu instid0(VALU_DEP_1) | instskip(SKIP_1) | instid1(VALU_DEP_2)
	v_fmac_f32_e32 v2, 0xcf800000, v3
	v_cvt_u32_f32_e32 v3, v3
	v_cvt_u32_f32_e32 v2, v2
	s_delay_alu instid0(VALU_DEP_2) | instskip(NEXT) | instid1(VALU_DEP_2)
	v_readfirstlane_b32 s4, v3
	v_readfirstlane_b32 s5, v2
	s_delay_alu instid0(VALU_DEP_2) | instskip(NEXT) | instid1(VALU_DEP_1)
	s_mul_i32 s8, s6, s4
	s_mul_hi_u32 s10, s6, s5
	s_mul_i32 s9, s7, s5
	s_add_i32 s8, s10, s8
	s_mul_i32 s11, s6, s5
	s_add_i32 s8, s8, s9
	s_mul_hi_u32 s10, s5, s11
	s_mul_hi_u32 s12, s4, s11
	s_mul_i32 s9, s4, s11
	s_mul_hi_u32 s11, s5, s8
	s_mul_i32 s5, s5, s8
	s_mul_hi_u32 s13, s4, s8
	s_add_u32 s5, s10, s5
	s_addc_u32 s10, 0, s11
	s_add_u32 s5, s5, s9
	s_mul_i32 s8, s4, s8
	s_addc_u32 s5, s10, s12
	s_addc_u32 s9, s13, 0
	s_add_u32 s5, s5, s8
	s_addc_u32 s8, 0, s9
	v_add_co_u32 v2, s5, v2, s5
	s_delay_alu instid0(VALU_DEP_1) | instskip(SKIP_1) | instid1(VALU_DEP_1)
	s_cmp_lg_u32 s5, 0
	s_addc_u32 s4, s4, s8
	v_readfirstlane_b32 s5, v2
	s_mul_i32 s8, s6, s4
	s_delay_alu instid0(VALU_DEP_1)
	s_mul_hi_u32 s9, s6, s5
	s_mul_i32 s7, s7, s5
	s_add_i32 s8, s9, s8
	s_mul_i32 s6, s6, s5
	s_add_i32 s8, s8, s7
	s_mul_hi_u32 s9, s4, s6
	s_mul_i32 s10, s4, s6
	s_mul_hi_u32 s6, s5, s6
	s_mul_hi_u32 s11, s5, s8
	s_mul_i32 s5, s5, s8
	s_mul_hi_u32 s7, s4, s8
	s_add_u32 s5, s6, s5
	s_addc_u32 s6, 0, s11
	s_add_u32 s5, s5, s10
	s_mul_i32 s8, s4, s8
	s_addc_u32 s5, s6, s9
	s_addc_u32 s6, s7, 0
	s_add_u32 s5, s5, s8
	s_addc_u32 s6, 0, s6
	v_add_co_u32 v2, s5, v2, s5
	s_delay_alu instid0(VALU_DEP_1) | instskip(SKIP_2) | instid1(VALU_DEP_1)
	s_cmp_lg_u32 s5, 0
	s_addc_u32 s8, s4, s6
	s_ashr_i32 s6, s25, 31
	v_readfirstlane_b32 s9, v2
	s_add_u32 s4, s24, s6
	s_mov_b32 s7, s6
	s_addc_u32 s5, s25, s6
	s_delay_alu instid0(SALU_CYCLE_1) | instskip(NEXT) | instid1(SALU_CYCLE_1)
	s_xor_b64 s[4:5], s[4:5], s[6:7]
	s_mul_i32 s10, s4, s8
	s_mul_hi_u32 s11, s4, s9
	s_mul_hi_u32 s7, s4, s8
	;; [unrolled: 1-line block ×3, first 2 shown]
	s_mul_i32 s9, s5, s9
	s_add_u32 s10, s11, s10
	s_addc_u32 s7, 0, s7
	s_mul_hi_u32 s12, s5, s8
	s_add_u32 s9, s10, s9
	s_mul_i32 s8, s5, s8
	s_addc_u32 s7, s7, s13
	s_addc_u32 s9, s12, 0
	s_add_u32 s7, s7, s8
	s_addc_u32 s8, 0, s9
	s_mul_hi_u32 s9, s48, s7
	s_mul_i32 s7, s48, s7
	s_mul_i32 s8, s48, s8
	v_sub_co_u32 v2, s4, s4, s7
	s_add_i32 s9, s9, s8
	s_cmp_lg_u32 s4, 0
	s_delay_alu instid0(VALU_DEP_1) | instskip(SKIP_2) | instid1(VALU_DEP_1)
	v_sub_co_u32 v3, s4, v2, s48
	s_subb_u32 s5, s5, s9
	s_cmp_lg_u32 s4, 0
	v_cmp_le_u32_e32 vcc_lo, s48, v3
	v_sub_co_u32 v4, s4, v3, s48
	s_subb_u32 s7, s5, 0
	s_cmp_lg_u32 s4, 0
	v_cndmask_b32_e64 v5, 0, -1, vcc_lo
	s_subb_u32 s4, s7, 0
	s_cmp_eq_u32 s7, 0
	v_mov_b32_e32 v7, s4
	s_cselect_b32 vcc_lo, -1, 0
	s_cmp_eq_u32 s5, 0
	v_cndmask_b32_e32 v5, -1, v5, vcc_lo
	v_cmp_le_u32_e32 vcc_lo, s48, v2
	s_cselect_b32 s4, -1, 0
	v_cndmask_b32_e64 v6, 0, -1, vcc_lo
	s_delay_alu instid0(VALU_DEP_3) | instskip(NEXT) | instid1(VALU_DEP_2)
	v_cmp_ne_u32_e32 vcc_lo, 0, v5
	v_cndmask_b32_e64 v5, -1, v6, s4
	v_cndmask_b32_e32 v3, v3, v4, vcc_lo
	v_cndmask_b32_e32 v6, s7, v7, vcc_lo
	s_delay_alu instid0(VALU_DEP_3) | instskip(NEXT) | instid1(VALU_DEP_3)
	v_cmp_ne_u32_e32 vcc_lo, 0, v5
	v_cndmask_b32_e32 v2, v2, v3, vcc_lo
	s_delay_alu instid0(VALU_DEP_3) | instskip(NEXT) | instid1(VALU_DEP_2)
	v_cndmask_b32_e32 v4, s5, v6, vcc_lo
	v_xor_b32_e32 v2, s6, v2
	s_delay_alu instid0(VALU_DEP_2) | instskip(NEXT) | instid1(VALU_DEP_2)
	v_xor_b32_e32 v3, s6, v4
	v_sub_co_u32 v23, vcc_lo, v2, s6
	s_delay_alu instid0(VALU_DEP_2)
	v_subrev_co_ci_u32_e32 v24, vcc_lo, s6, v3, vcc_lo
	s_cbranch_execnz .LBB60_43
.LBB60_42:                              ;   in Loop: Header=BB60_8 Depth=1
	v_cvt_f32_u32_e32 v2, s48
	s_sub_i32 s4, 0, s48
	s_delay_alu instid0(VALU_DEP_1) | instskip(SKIP_2) | instid1(VALU_DEP_1)
	v_rcp_iflag_f32_e32 v2, v2
	s_waitcnt_depctr 0xfff
	v_mul_f32_e32 v2, 0x4f7ffffe, v2
	v_cvt_u32_f32_e32 v2, v2
	s_delay_alu instid0(VALU_DEP_1) | instskip(NEXT) | instid1(VALU_DEP_1)
	v_mul_lo_u32 v3, s4, v2
	v_mul_hi_u32 v3, v2, v3
	s_delay_alu instid0(VALU_DEP_1) | instskip(NEXT) | instid1(VALU_DEP_1)
	v_add_nc_u32_e32 v2, v2, v3
	v_mul_hi_u32 v2, s24, v2
	s_delay_alu instid0(VALU_DEP_1) | instskip(NEXT) | instid1(VALU_DEP_1)
	v_mul_lo_u32 v2, v2, s48
	v_sub_nc_u32_e32 v2, s24, v2
	s_delay_alu instid0(VALU_DEP_1) | instskip(SKIP_1) | instid1(VALU_DEP_2)
	v_subrev_nc_u32_e32 v3, s48, v2
	v_cmp_le_u32_e32 vcc_lo, s48, v2
	v_cndmask_b32_e32 v2, v2, v3, vcc_lo
	s_delay_alu instid0(VALU_DEP_1) | instskip(SKIP_1) | instid1(VALU_DEP_2)
	v_subrev_nc_u32_e32 v3, s48, v2
	v_cmp_le_u32_e32 vcc_lo, s48, v2
	v_cndmask_b32_e32 v12, v2, v3, vcc_lo
	s_delay_alu instid0(VALU_DEP_1)
	v_dual_mov_b32 v24, v13 :: v_dual_mov_b32 v23, v12
.LBB60_43:                              ;   in Loop: Header=BB60_8 Depth=1
	v_mov_b32_e32 v2, 0
	v_mov_b32_e32 v3, 0
	s_delay_alu instid0(VALU_DEP_3) | instskip(NEXT) | instid1(VALU_DEP_4)
	v_sub_co_u32 v25, vcc_lo, s24, v23
	v_sub_co_ci_u32_e32 v26, vcc_lo, s25, v24, vcc_lo
	s_delay_alu instid0(VALU_DEP_3)
	v_dual_mov_b32 v5, v3 :: v_dual_mov_b32 v4, v2
	v_dual_mov_b32 v7, v3 :: v_dual_mov_b32 v6, v2
	;; [unrolled: 1-line block ×3, first 2 shown]
	s_mov_b64 s[58:59], 0
	s_mov_b32 s57, exec_lo
	v_cmpx_gt_i64_e64 v[25:26], v[14:15]
	s_cbranch_execz .LBB60_47
; %bb.44:                               ;   in Loop: Header=BB60_8 Depth=1
	v_dual_mov_b32 v28, v15 :: v_dual_mov_b32 v27, v14
	s_mul_i32 s4, s55, s44
	s_mul_hi_u32 s5, s54, s44
	s_and_b32 s90, s82, 0xfe
	s_add_i32 s91, s5, s4
	s_mul_i32 s92, s54, s44
	s_mov_b32 s93, 0
	s_mov_b64 s[60:61], s[46:47]
	s_mov_b64 s[62:63], 0
	;; [unrolled: 1-line block ×4, first 2 shown]
.LBB60_45:                              ;   Parent Loop BB60_8 Depth=1
                                        ; =>  This Inner Loop Header: Depth=2
	v_add_co_u32 v2, vcc_lo, s60, v21
	v_add_co_ci_u32_e32 v3, vcc_lo, s61, v22, vcc_lo
	v_add_co_u32 v4, vcc_lo, s60, v20
	v_add_co_ci_u32_e32 v5, vcc_lo, s61, v35, vcc_lo
	;; [unrolled: 2-line block ×4, first 2 shown]
	s_clause 0x3
	global_load_u16 v2, v[2:3], off
	global_load_u16 v3, v[4:5], off
	;; [unrolled: 1-line block ×4, first 2 shown]
	v_add_co_u32 v27, vcc_lo, v27, s48
	v_add_co_ci_u32_e32 v28, vcc_lo, 0, v28, vcc_lo
	s_delay_alu instid0(VALU_DEP_1)
	v_cmp_ge_i64_e32 vcc_lo, v[27:28], v[25:26]
	s_waitcnt vmcnt(3)
	v_cmp_lt_i16_e64 s4, -1, v2
	v_and_b32_e32 v6, 0xffff, v2
	s_waitcnt vmcnt(2)
	v_and_b32_e32 v8, 0xffff, v3
	s_waitcnt vmcnt(1)
	v_and_b32_e32 v12, 0xffff, v4
	v_cmp_o_f16_e64 s7, v2, v2
	v_cndmask_b32_e64 v7, 0xffff, v39, s4
	v_cmp_lt_i16_e64 s4, -1, v3
	s_waitcnt vmcnt(0)
	v_and_b32_e32 v43, 0xffff, v5
	v_cmp_o_f16_e64 s5, v4, v4
	v_cmp_o_f16_e64 s6, v5, v5
	v_xor_b32_e32 v6, v7, v6
	v_cndmask_b32_e64 v9, 0xffff, v39, s4
	v_cmp_lt_i16_e64 s4, -1, v4
	s_delay_alu instid0(VALU_DEP_3) | instskip(NEXT) | instid1(VALU_DEP_3)
	v_cndmask_b32_e64 v2, 0xffff, v6, s7
	v_xor_b32_e32 v7, v9, v8
	s_delay_alu instid0(VALU_DEP_3) | instskip(SKIP_1) | instid1(VALU_DEP_4)
	v_cndmask_b32_e64 v42, 0xffff, v39, s4
	v_cmp_lt_i16_e64 s4, -1, v5
	v_and_b32_e32 v6, s88, v2
	v_bfe_u32 v2, v2, s90, 2
	s_delay_alu instid0(VALU_DEP_3) | instskip(SKIP_2) | instid1(VALU_DEP_4)
	v_cndmask_b32_e64 v44, 0xffff, v39, s4
	v_cmp_o_f16_e64 s4, v3, v3
	v_xor_b32_e32 v3, v42, v12
	v_cmp_eq_u32_e64 s8, 0, v2
	v_cmp_eq_u32_e64 s12, 1, v2
	v_xor_b32_e32 v4, v44, v43
	v_cndmask_b32_e64 v5, 0xffff, v7, s4
	v_cndmask_b32_e64 v3, 0xffff, v3, s5
	v_cmp_eq_u32_e64 s4, s89, v6
	v_cmp_eq_u32_e64 s16, 2, v2
	v_cndmask_b32_e64 v4, 0xffff, v4, s6
	v_and_b32_e32 v7, s88, v5
	v_bfe_u32 v5, v5, s90, 2
	v_and_b32_e32 v8, s88, v3
	v_bfe_u32 v3, v3, s90, 2
	;; [unrolled: 2-line block ×3, first 2 shown]
	v_cmp_eq_u32_e64 s5, s89, v7
	v_cmp_eq_u32_e64 s9, 0, v5
	;; [unrolled: 1-line block ×4, first 2 shown]
	s_and_b32 s8, s4, s8
	v_cmp_eq_u32_e64 s7, s89, v9
	v_cmp_eq_u32_e64 s11, 0, v4
	v_cmp_eq_u32_e64 s20, 3, v2
	v_cndmask_b32_e64 v2, 0, 1, s8
	s_and_b32 s8, s5, s9
	v_cmp_eq_u32_e64 s14, 1, v3
	v_cmp_eq_u32_e64 s18, 2, v3
	v_cmp_eq_u32_e64 s22, 3, v3
	v_cndmask_b32_e64 v3, 0, 1, s8
	;; [unrolled: 5-line block ×4, first 2 shown]
	v_cmp_ne_u32_e64 s8, 0, v2
	v_cmp_ne_u32_e64 s9, 0, v3
	;; [unrolled: 1-line block ×3, first 2 shown]
	s_delay_alu instid0(VALU_DEP_4) | instskip(NEXT) | instid1(VALU_DEP_4)
	v_cmp_ne_u32_e64 s11, 0, v5
	s_bcnt1_i32_b32 s8, s8
	s_delay_alu instid0(VALU_DEP_3) | instskip(NEXT) | instid1(VALU_DEP_2)
	s_bcnt1_i32_b32 s9, s9
	s_bcnt1_i32_b32 s10, s10
	s_add_i32 s8, s9, s8
	s_bcnt1_i32_b32 s11, s11
	s_add_i32 s8, s8, s10
	s_delay_alu instid0(SALU_CYCLE_1) | instskip(NEXT) | instid1(SALU_CYCLE_1)
	s_add_i32 s8, s8, s11
	s_add_u32 s66, s66, s8
	s_addc_u32 s67, s67, 0
	s_and_b32 s8, s4, s12
	v_mov_b32_e32 v2, s66
	v_cndmask_b32_e64 v4, 0, 1, s8
	s_and_b32 s8, s5, s13
	v_mov_b32_e32 v3, s67
	v_cndmask_b32_e64 v5, 0, 1, s8
	s_and_b32 s8, s6, s14
	s_delay_alu instid0(SALU_CYCLE_1) | instskip(SKIP_1) | instid1(VALU_DEP_2)
	v_cndmask_b32_e64 v6, 0, 1, s8
	s_and_b32 s8, s7, s15
	v_cmp_ne_u32_e64 s9, 0, v5
	v_cndmask_b32_e64 v7, 0, 1, s8
	v_cmp_ne_u32_e64 s8, 0, v4
	v_cmp_ne_u32_e64 s10, 0, v6
	s_delay_alu instid0(VALU_DEP_4) | instskip(NEXT) | instid1(VALU_DEP_3)
	s_bcnt1_i32_b32 s9, s9
	v_cmp_ne_u32_e64 s11, 0, v7
	s_delay_alu instid0(VALU_DEP_3) | instskip(NEXT) | instid1(VALU_DEP_2)
	s_bcnt1_i32_b32 s8, s8
	s_bcnt1_i32_b32 s10, s10
	s_add_i32 s8, s9, s8
	s_delay_alu instid0(VALU_DEP_1) | instskip(SKIP_1) | instid1(SALU_CYCLE_1)
	s_bcnt1_i32_b32 s11, s11
	s_add_i32 s8, s8, s10
	s_add_i32 s8, s8, s11
	s_delay_alu instid0(SALU_CYCLE_1) | instskip(SKIP_2) | instid1(SALU_CYCLE_1)
	s_add_u32 s64, s64, s8
	s_addc_u32 s65, s65, 0
	s_and_b32 s8, s4, s16
	v_cndmask_b32_e64 v4, 0, 1, s8
	s_and_b32 s8, s5, s17
	s_delay_alu instid0(SALU_CYCLE_1) | instskip(SKIP_1) | instid1(SALU_CYCLE_1)
	v_cndmask_b32_e64 v5, 0, 1, s8
	s_and_b32 s8, s6, s18
	v_cndmask_b32_e64 v6, 0, 1, s8
	s_and_b32 s8, s7, s19
	s_delay_alu instid0(VALU_DEP_2) | instskip(SKIP_3) | instid1(VALU_DEP_4)
	v_cmp_ne_u32_e64 s9, 0, v5
	v_cndmask_b32_e64 v7, 0, 1, s8
	v_cmp_ne_u32_e64 s8, 0, v4
	v_cmp_ne_u32_e64 s10, 0, v6
	s_bcnt1_i32_b32 s9, s9
	s_delay_alu instid0(VALU_DEP_3) | instskip(NEXT) | instid1(VALU_DEP_3)
	v_cmp_ne_u32_e64 s11, 0, v7
	s_bcnt1_i32_b32 s8, s8
	s_delay_alu instid0(VALU_DEP_2) | instskip(SKIP_1) | instid1(VALU_DEP_1)
	s_bcnt1_i32_b32 s10, s10
	s_add_i32 s8, s9, s8
	s_bcnt1_i32_b32 s11, s11
	s_add_i32 s8, s8, s10
	s_delay_alu instid0(SALU_CYCLE_1) | instskip(NEXT) | instid1(SALU_CYCLE_1)
	s_add_i32 s8, s8, s11
	s_add_u32 s62, s62, s8
	s_addc_u32 s63, s63, 0
	s_and_b32 s4, s4, s20
	s_delay_alu instid0(SALU_CYCLE_1) | instskip(SKIP_1) | instid1(SALU_CYCLE_1)
	v_cndmask_b32_e64 v4, 0, 1, s4
	s_and_b32 s4, s5, s21
	v_cndmask_b32_e64 v5, 0, 1, s4
	s_and_b32 s4, s6, s22
	s_delay_alu instid0(SALU_CYCLE_1) | instskip(SKIP_1) | instid1(VALU_DEP_2)
	v_cndmask_b32_e64 v6, 0, 1, s4
	s_and_b32 s4, s7, s23
	v_cmp_ne_u32_e64 s5, 0, v5
	v_cndmask_b32_e64 v7, 0, 1, s4
	v_cmp_ne_u32_e64 s4, 0, v4
	v_cmp_ne_u32_e64 s6, 0, v6
	v_mov_b32_e32 v4, s64
	s_bcnt1_i32_b32 s5, s5
	v_cmp_ne_u32_e64 s7, 0, v7
	v_mov_b32_e32 v6, s62
	s_bcnt1_i32_b32 s4, s4
	s_bcnt1_i32_b32 s6, s6
	s_add_i32 s4, s5, s4
	s_bcnt1_i32_b32 s5, s7
	s_add_i32 s4, s4, s6
	v_mov_b32_e32 v5, s65
	s_add_i32 s4, s4, s5
	v_mov_b32_e32 v7, s63
	s_add_u32 s58, s58, s4
	s_addc_u32 s59, s59, 0
	s_delay_alu instid0(SALU_CYCLE_1) | instskip(SKIP_3) | instid1(SALU_CYCLE_1)
	v_dual_mov_b32 v8, s58 :: v_dual_mov_b32 v9, s59
	s_add_u32 s60, s60, s92
	s_addc_u32 s61, s61, s91
	s_or_b32 s93, vcc_lo, s93
	s_and_not1_b32 exec_lo, exec_lo, s93
	s_cbranch_execnz .LBB60_45
; %bb.46:                               ;   in Loop: Header=BB60_8 Depth=1
	s_or_b32 exec_lo, exec_lo, s93
.LBB60_47:                              ;   in Loop: Header=BB60_8 Depth=1
	s_delay_alu instid0(SALU_CYCLE_1) | instskip(SKIP_3) | instid1(VALU_DEP_2)
	s_or_b32 exec_lo, exec_lo, s57
	v_add_co_u32 v25, vcc_lo, v25, v0
	v_add_co_ci_u32_e32 v26, vcc_lo, 0, v26, vcc_lo
	v_mov_b32_e32 v12, 0
	v_cmp_gt_i64_e32 vcc_lo, s[24:25], v[25:26]
	s_and_saveexec_b32 s5, vcc_lo
	s_cbranch_execz .LBB60_49
; %bb.48:                               ;   in Loop: Header=BB60_8 Depth=1
	v_mul_lo_u32 v12, v26, s30
	v_mul_lo_u32 v42, v25, s31
	v_mad_u64_u32 v[27:28], null, v25, s30, 0
	s_delay_alu instid0(VALU_DEP_1) | instskip(NEXT) | instid1(VALU_DEP_1)
	v_add3_u32 v28, v28, v42, v12
	v_lshlrev_b64 v[27:28], 1, v[27:28]
	s_delay_alu instid0(VALU_DEP_1) | instskip(NEXT) | instid1(VALU_DEP_1)
	v_add_co_u32 v27, s4, s46, v27
	v_add_co_ci_u32_e64 v28, s4, s47, v28, s4
	global_load_u16 v12, v[27:28], off
.LBB60_49:                              ;   in Loop: Header=BB60_8 Depth=1
	s_or_b32 exec_lo, exec_lo, s5
	s_and_saveexec_b32 s8, vcc_lo
	s_cbranch_execz .LBB60_56
; %bb.50:                               ;   in Loop: Header=BB60_8 Depth=1
	v_add_co_u32 v27, vcc_lo, v36, s44
	v_add_co_ci_u32_e32 v28, vcc_lo, 0, v37, vcc_lo
	s_mul_i32 s4, s53, s44
	s_delay_alu instid0(VALU_DEP_2) | instskip(NEXT) | instid1(VALU_DEP_2)
	v_sub_co_u32 v27, vcc_lo, v27, v23
	v_sub_co_ci_u32_e32 v23, vcc_lo, v28, v24, vcc_lo
	s_mul_hi_u32 s5, s52, s44
	s_delay_alu instid0(VALU_DEP_2) | instskip(SKIP_1) | instid1(VALU_DEP_2)
	v_mul_lo_u32 v42, s53, v27
	s_and_b32 s9, s82, 0xfe
	v_mul_lo_u32 v28, s52, v23
	v_mad_u64_u32 v[23:24], null, s52, v27, s[46:47]
	s_add_i32 s10, s5, s4
	s_mul_i32 s11, s52, s44
	s_mov_b32 s12, 0
	s_delay_alu instid0(VALU_DEP_1)
	v_add3_u32 v24, v42, v24, v28
	s_branch .LBB60_52
.LBB60_51:                              ;   in Loop: Header=BB60_52 Depth=2
	s_or_b32 exec_lo, exec_lo, s5
	s_waitcnt vmcnt(0)
	v_cmp_lt_i16_e64 s4, -1, v12
	v_and_b32_e32 v28, 0xffff, v12
	s_and_b32 s5, exec_lo, vcc_lo
	s_delay_alu instid0(SALU_CYCLE_1) | instskip(NEXT) | instid1(VALU_DEP_2)
	s_or_b32 s12, s5, s12
	v_cndmask_b32_e64 v42, 0xffff, v39, s4
	v_cmp_o_f16_e64 s4, v12, v12
	s_delay_alu instid0(VALU_DEP_2) | instskip(NEXT) | instid1(VALU_DEP_1)
	v_xor_b32_e32 v28, v42, v28
	v_cndmask_b32_e64 v12, 0xffff, v28, s4
	s_delay_alu instid0(VALU_DEP_1) | instskip(SKIP_1) | instid1(VALU_DEP_2)
	v_and_b32_e32 v28, s88, v12
	v_bfe_u32 v12, v12, s9, 2
	v_cmp_eq_u32_e32 vcc_lo, s89, v28
	s_delay_alu instid0(VALU_DEP_2) | instskip(SKIP_3) | instid1(VALU_DEP_4)
	v_cmp_eq_u32_e64 s4, 0, v12
	v_cmp_eq_u32_e64 s5, 1, v12
	;; [unrolled: 1-line block ×4, first 2 shown]
	s_and_b32 s4, vcc_lo, s4
	s_delay_alu instid0(SALU_CYCLE_1) | instskip(SKIP_1) | instid1(SALU_CYCLE_1)
	v_cndmask_b32_e64 v12, 0, 1, s4
	s_and_b32 s4, vcc_lo, s5
	v_cndmask_b32_e64 v28, 0, 1, s4
	s_and_b32 s4, vcc_lo, s6
	s_delay_alu instid0(SALU_CYCLE_1)
	v_cndmask_b32_e64 v42, 0, 1, s4
	s_and_b32 s4, vcc_lo, s7
	v_cmp_ne_u32_e32 vcc_lo, 0, v12
	v_cndmask_b32_e64 v43, 0, 1, s4
	v_cmp_ne_u32_e64 s4, 0, v28
	v_cmp_ne_u32_e64 s5, 0, v42
	v_mov_b32_e32 v12, v27
	s_bcnt1_i32_b32 s7, vcc_lo
	v_cmp_ne_u32_e64 s6, 0, v43
	v_add_co_u32 v2, vcc_lo, v2, s7
	s_bcnt1_i32_b32 s4, s4
	v_add_co_ci_u32_e32 v3, vcc_lo, 0, v3, vcc_lo
	v_add_co_u32 v4, vcc_lo, v4, s4
	s_bcnt1_i32_b32 s5, s5
	v_add_co_ci_u32_e32 v5, vcc_lo, 0, v5, vcc_lo
	;; [unrolled: 3-line block ×3, first 2 shown]
	v_add_co_u32 v8, vcc_lo, v8, s4
	v_add_co_ci_u32_e32 v9, vcc_lo, 0, v9, vcc_lo
	v_add_co_u32 v23, vcc_lo, v23, s11
	v_add_co_ci_u32_e32 v24, vcc_lo, s10, v24, vcc_lo
	s_and_not1_b32 exec_lo, exec_lo, s12
	s_cbranch_execz .LBB60_55
.LBB60_52:                              ;   Parent Loop BB60_8 Depth=1
                                        ; =>  This Inner Loop Header: Depth=2
	v_add_co_u32 v25, vcc_lo, v25, s44
	v_add_co_ci_u32_e32 v26, vcc_lo, 0, v26, vcc_lo
	v_mov_b32_e32 v27, 0
	s_mov_b32 s5, exec_lo
	s_delay_alu instid0(VALU_DEP_2)
	v_cmp_le_i64_e32 vcc_lo, s[24:25], v[25:26]
	v_cmpx_gt_i64_e64 s[24:25], v[25:26]
	s_cbranch_execz .LBB60_51
; %bb.53:                               ;   in Loop: Header=BB60_52 Depth=2
	global_load_u16 v27, v[23:24], off
	s_branch .LBB60_51
.LBB60_54:                              ;   in Loop: Header=BB60_8 Depth=1
                                        ; implicit-def: $vgpr8_vgpr9
                                        ; implicit-def: $vgpr4_vgpr5
	s_cbranch_execnz .LBB60_57
	s_branch .LBB60_66
.LBB60_55:                              ;   in Loop: Header=BB60_8 Depth=1
	s_or_b32 exec_lo, exec_lo, s12
.LBB60_56:                              ;   in Loop: Header=BB60_8 Depth=1
	s_delay_alu instid0(SALU_CYCLE_1)
	s_or_b32 exec_lo, exec_lo, s8
	s_branch .LBB60_66
.LBB60_57:                              ;   in Loop: Header=BB60_8 Depth=1
	global_load_u16 v8, v13, s[50:51]
	s_mov_b64 s[58:59], 0
	s_mov_b32 s57, exec_lo
	s_waitcnt vmcnt(0)
	v_readfirstlane_b32 s4, v8
	v_and_b32_e32 v25, 0xffff, v8
	s_delay_alu instid0(VALU_DEP_2) | instskip(NEXT) | instid1(SALU_CYCLE_1)
	s_and_b32 s4, 0xffff, s4
	s_lshl_b32 s48, s4, 2
	s_delay_alu instid0(SALU_CYCLE_1) | instskip(SKIP_1) | instid1(VALU_DEP_1)
	v_cvt_f32_u32_e32 v2, s48
	s_sub_i32 s5, 0, s48
	v_rcp_iflag_f32_e32 v2, v2
	s_waitcnt_depctr 0xfff
	v_mul_f32_e32 v2, 0x4f7ffffe, v2
	s_delay_alu instid0(VALU_DEP_1) | instskip(NEXT) | instid1(VALU_DEP_1)
	v_cvt_u32_f32_e32 v2, v2
	v_readfirstlane_b32 s4, v2
	v_mov_b32_e32 v2, 0
	v_mov_b32_e32 v3, 0
	s_delay_alu instid0(VALU_DEP_3) | instskip(NEXT) | instid1(VALU_DEP_1)
	s_mul_i32 s5, s5, s4
	v_dual_mov_b32 v5, v3 :: v_dual_mov_b32 v4, v2
	s_mul_hi_u32 s5, s4, s5
	v_dual_mov_b32 v7, v3 :: v_dual_mov_b32 v6, v2
	s_add_i32 s4, s4, s5
	v_dual_mov_b32 v9, v3 :: v_dual_mov_b32 v8, v2
	s_mul_hi_u32 s4, s56, s4
	s_delay_alu instid0(SALU_CYCLE_1) | instskip(NEXT) | instid1(SALU_CYCLE_1)
	s_mul_i32 s4, s4, s48
	s_sub_i32 s4, s56, s4
	s_delay_alu instid0(SALU_CYCLE_1) | instskip(SKIP_2) | instid1(SALU_CYCLE_1)
	s_sub_i32 s5, s4, s48
	s_cmp_ge_u32 s4, s48
	s_cselect_b32 s4, s5, s4
	s_sub_i32 s5, s4, s48
	s_cmp_ge_u32 s4, s48
	s_cselect_b32 s4, s5, s4
	s_delay_alu instid0(SALU_CYCLE_1) | instskip(NEXT) | instid1(SALU_CYCLE_1)
	s_sub_i32 s44, s56, s4
	v_cmpx_gt_u32_e64 s44, v14
	s_cbranch_execz .LBB60_61
; %bb.58:                               ;   in Loop: Header=BB60_8 Depth=1
	v_mov_b32_e32 v24, v15
	v_dual_mov_b32 v23, v14 :: v_dual_lshlrev_b32 v12, 3, v25
	v_mov_b32_e32 v26, v33
	s_and_b32 s66, s82, 0xfe
	s_mov_b32 s67, 0
	s_mov_b64 s[60:61], 0
	s_mov_b64 s[62:63], 0
	;; [unrolled: 1-line block ×3, first 2 shown]
.LBB60_59:                              ;   Parent Loop BB60_8 Depth=1
                                        ; =>  This Inner Loop Header: Depth=2
	ds_load_b64 v[2:3], v26
	v_add_co_u32 v23, vcc_lo, v23, s48
	v_add_co_ci_u32_e32 v24, vcc_lo, 0, v24, vcc_lo
	s_delay_alu instid0(VALU_DEP_1)
	v_cmp_le_u64_e32 vcc_lo, s[44:45], v[23:24]
	s_waitcnt lgkmcnt(0)
	v_cmp_lt_i16_e64 s4, -1, v2
	v_lshrrev_b32_e32 v4, 16, v2
	v_lshrrev_b32_e32 v9, 16, v3
	v_and_b32_e32 v5, 0xffff, v2
	v_and_b32_e32 v7, 0xffff, v3
	v_cndmask_b32_e64 v6, 0xffff, v39, s4
	v_cmp_lt_i16_e64 s4, -1, v3
	v_cmp_lt_i16_e64 s5, -1, v9
	s_delay_alu instid0(VALU_DEP_3) | instskip(NEXT) | instid1(VALU_DEP_3)
	v_xor_b32_e32 v5, v6, v5
	v_cndmask_b32_e64 v8, 0xffff, v39, s4
	v_cmp_lt_i16_e64 s4, -1, v4
	s_delay_alu instid0(VALU_DEP_2) | instskip(NEXT) | instid1(VALU_DEP_2)
	v_xor_b32_e32 v7, v8, v7
	v_cndmask_b32_e64 v6, 0xffff, v39, s4
	v_cmp_o_f16_e64 s4, v3, v3
	v_cndmask_b32_e64 v3, 0xffff, v39, s5
	v_cmp_o_f16_e64 s5, v2, v2
	s_delay_alu instid0(VALU_DEP_2) | instskip(NEXT) | instid1(VALU_DEP_2)
	v_xor_b32_e32 v3, v3, v9
	v_cndmask_b32_e64 v2, 0xffff, v5, s5
	v_xor_b32_e32 v5, v6, v4
	v_cmp_o_f16_e64 s5, v4, v4
	v_cndmask_b32_e64 v6, 0xffff, v7, s4
	v_cmp_o_f16_e64 s4, v9, v9
	s_delay_alu instid0(VALU_DEP_3) | instskip(SKIP_1) | instid1(VALU_DEP_3)
	v_cndmask_b32_e64 v4, 0xffff, v5, s5
	v_and_b32_e32 v5, s88, v2
	v_cndmask_b32_e64 v3, 0xffff, v3, s4
	v_and_b32_e32 v7, s88, v6
	v_bfe_u32 v2, v2, s66, 2
	v_bfe_u32 v6, v6, s66, 2
	v_cmp_eq_u32_e64 s4, s89, v5
	v_and_b32_e32 v5, s88, v4
	v_bfe_u32 v4, v4, s66, 2
	v_cmp_eq_u32_e64 s5, s89, v7
	v_and_b32_e32 v7, s88, v3
	v_bfe_u32 v3, v3, s66, 2
	v_cmp_eq_u32_e64 s6, 0, v2
	v_cmp_eq_u32_e64 s14, s89, v5
	;; [unrolled: 1-line block ×6, first 2 shown]
	s_and_b32 s6, s4, s6
	s_and_b32 s16, s14, s16
	v_cmp_eq_u32_e64 s8, 1, v2
	v_cmp_eq_u32_e64 s10, 2, v2
	;; [unrolled: 1-line block ×3, first 2 shown]
	v_cndmask_b32_e64 v2, 0, 1, s6
	s_and_b32 s6, s5, s7
	v_cmp_eq_u32_e64 s7, 1, v3
	v_cmp_eq_u32_e64 s19, 2, v3
	;; [unrolled: 1-line block ×3, first 2 shown]
	v_cndmask_b32_e64 v3, 0, 1, s16
	v_cndmask_b32_e64 v5, 0, 1, s6
	s_and_b32 s16, s15, s17
	v_cmp_eq_u32_e64 s6, 1, v4
	v_cmp_eq_u32_e64 s18, 2, v4
	;; [unrolled: 1-line block ×3, first 2 shown]
	v_cndmask_b32_e64 v4, 0, 1, s16
	v_cmp_ne_u32_e64 s16, 0, v2
	v_cmp_ne_u32_e64 s22, 0, v3
	;; [unrolled: 1-line block ×3, first 2 shown]
	v_cmp_eq_u32_e64 s9, 1, v6
	v_cmp_ne_u32_e64 s23, 0, v4
	s_bcnt1_i32_b32 s16, s16
	s_bcnt1_i32_b32 s22, s22
	s_bcnt1_i32_b32 s17, s17
	s_add_i32 s16, s22, s16
	s_bcnt1_i32_b32 s23, s23
	s_add_i32 s16, s16, s17
	v_cmp_eq_u32_e64 s11, 2, v6
	s_add_i32 s16, s16, s23
	v_cmp_eq_u32_e64 s13, 3, v6
	s_add_u32 s64, s64, s16
	s_addc_u32 s65, s65, 0
	s_and_b32 s8, s4, s8
	s_and_b32 s6, s14, s6
	v_cndmask_b32_e64 v2, 0, 1, s8
	v_cndmask_b32_e64 v3, 0, 1, s6
	s_and_b32 s6, s5, s9
	v_add_nc_u32_e32 v26, v26, v12
	v_cndmask_b32_e64 v4, 0, 1, s6
	s_and_b32 s6, s15, s7
	v_cmp_ne_u32_e64 s7, 0, v3
	v_cndmask_b32_e64 v5, 0, 1, s6
	v_cmp_ne_u32_e64 s6, 0, v2
	v_cmp_ne_u32_e64 s8, 0, v4
	s_delay_alu instid0(VALU_DEP_4) | instskip(NEXT) | instid1(VALU_DEP_3)
	s_bcnt1_i32_b32 s7, s7
	v_cmp_ne_u32_e64 s9, 0, v5
	s_delay_alu instid0(VALU_DEP_3) | instskip(NEXT) | instid1(VALU_DEP_2)
	s_bcnt1_i32_b32 s6, s6
	s_bcnt1_i32_b32 s8, s8
	s_add_i32 s6, s7, s6
	s_delay_alu instid0(VALU_DEP_1) | instskip(SKIP_1) | instid1(SALU_CYCLE_1)
	s_bcnt1_i32_b32 s9, s9
	s_add_i32 s6, s6, s8
	s_add_i32 s6, s6, s9
	s_delay_alu instid0(SALU_CYCLE_1) | instskip(SKIP_2) | instid1(SALU_CYCLE_1)
	s_add_u32 s62, s62, s6
	s_addc_u32 s63, s63, 0
	s_and_b32 s6, s4, s10
	v_cndmask_b32_e64 v2, 0, 1, s6
	s_and_b32 s6, s14, s18
	s_delay_alu instid0(SALU_CYCLE_1) | instskip(SKIP_1) | instid1(SALU_CYCLE_1)
	v_cndmask_b32_e64 v3, 0, 1, s6
	s_and_b32 s6, s5, s11
	v_cndmask_b32_e64 v4, 0, 1, s6
	s_and_b32 s6, s15, s19
	s_delay_alu instid0(VALU_DEP_2) | instskip(SKIP_3) | instid1(VALU_DEP_4)
	v_cmp_ne_u32_e64 s7, 0, v3
	v_cndmask_b32_e64 v5, 0, 1, s6
	v_cmp_ne_u32_e64 s6, 0, v2
	v_cmp_ne_u32_e64 s8, 0, v4
	s_bcnt1_i32_b32 s7, s7
	s_delay_alu instid0(VALU_DEP_3) | instskip(NEXT) | instid1(VALU_DEP_3)
	v_cmp_ne_u32_e64 s9, 0, v5
	s_bcnt1_i32_b32 s6, s6
	s_delay_alu instid0(VALU_DEP_2) | instskip(SKIP_1) | instid1(VALU_DEP_1)
	s_bcnt1_i32_b32 s8, s8
	s_add_i32 s6, s7, s6
	s_bcnt1_i32_b32 s9, s9
	s_add_i32 s6, s6, s8
	s_delay_alu instid0(SALU_CYCLE_1) | instskip(NEXT) | instid1(SALU_CYCLE_1)
	s_add_i32 s6, s6, s9
	s_add_u32 s60, s60, s6
	s_addc_u32 s61, s61, 0
	s_and_b32 s4, s4, s12
	v_mov_b32_e32 v6, s60
	v_cndmask_b32_e64 v2, 0, 1, s4
	s_and_b32 s4, s14, s20
	v_mov_b32_e32 v7, s61
	v_cndmask_b32_e64 v3, 0, 1, s4
	s_and_b32 s4, s5, s13
	s_delay_alu instid0(SALU_CYCLE_1) | instskip(SKIP_1) | instid1(VALU_DEP_2)
	v_cndmask_b32_e64 v4, 0, 1, s4
	s_and_b32 s4, s15, s21
	v_cmp_ne_u32_e64 s5, 0, v3
	v_cndmask_b32_e64 v5, 0, 1, s4
	v_cmp_ne_u32_e64 s4, 0, v2
	v_cmp_ne_u32_e64 s6, 0, v4
	v_dual_mov_b32 v2, s64 :: v_dual_mov_b32 v3, s65
	s_delay_alu instid0(VALU_DEP_4) | instskip(NEXT) | instid1(VALU_DEP_4)
	v_cmp_ne_u32_e64 s7, 0, v5
	s_bcnt1_i32_b32 s4, s4
	s_bcnt1_i32_b32 s5, s5
	;; [unrolled: 1-line block ×3, first 2 shown]
	s_add_i32 s4, s5, s4
	s_bcnt1_i32_b32 s5, s7
	s_add_i32 s4, s4, s6
	v_mov_b32_e32 v4, s62
	s_add_i32 s4, s4, s5
	v_mov_b32_e32 v5, s63
	s_add_u32 s58, s58, s4
	s_addc_u32 s59, s59, 0
	s_delay_alu instid0(SALU_CYCLE_1) | instskip(SKIP_1) | instid1(SALU_CYCLE_1)
	v_dual_mov_b32 v8, s58 :: v_dual_mov_b32 v9, s59
	s_or_b32 s67, vcc_lo, s67
	s_and_not1_b32 exec_lo, exec_lo, s67
	s_cbranch_execnz .LBB60_59
; %bb.60:                               ;   in Loop: Header=BB60_8 Depth=1
	s_or_b32 exec_lo, exec_lo, s67
.LBB60_61:                              ;   in Loop: Header=BB60_8 Depth=1
	s_delay_alu instid0(SALU_CYCLE_1) | instskip(SKIP_2) | instid1(VALU_DEP_1)
	s_or_b32 exec_lo, exec_lo, s57
	v_add_nc_u32_e32 v12, s44, v0
	s_mov_b32 s9, exec_lo
	v_cmpx_gt_u32_e64 s56, v12
	s_cbranch_execz .LBB60_65
; %bb.62:                               ;   in Loop: Header=BB60_8 Depth=1
	v_dual_mov_b32 v24, v13 :: v_dual_lshlrev_b32 v27, 1, v25
	v_dual_mov_b32 v23, v12 :: v_dual_lshlrev_b32 v26, 1, v12
	s_mov_b32 s11, 0
	s_and_b32 s10, s56, 0x7fffffff
	s_and_b32 s13, s82, 0xfe
	s_mov_b32 s12, s11
.LBB60_63:                              ;   Parent Loop BB60_8 Depth=1
                                        ; =>  This Inner Loop Header: Depth=2
	ds_load_u16 v12, v26
	v_add_co_u32 v23, vcc_lo, v23, v25
	v_add_co_ci_u32_e32 v24, vcc_lo, 0, v24, vcc_lo
	v_add_nc_u32_e32 v26, v26, v27
	s_delay_alu instid0(VALU_DEP_2) | instskip(SKIP_3) | instid1(VALU_DEP_2)
	v_cmp_le_u64_e32 vcc_lo, s[10:11], v[23:24]
	s_waitcnt lgkmcnt(0)
	v_cmp_lt_i16_e64 s4, -1, v12
	v_and_b32_e32 v28, 0xffff, v12
	v_cndmask_b32_e64 v42, 0xffff, v39, s4
	v_cmp_o_f16_e64 s4, v12, v12
	s_delay_alu instid0(VALU_DEP_2) | instskip(NEXT) | instid1(VALU_DEP_1)
	v_xor_b32_e32 v28, v42, v28
	v_cndmask_b32_e64 v12, 0xffff, v28, s4
	s_delay_alu instid0(VALU_DEP_1) | instskip(SKIP_1) | instid1(VALU_DEP_2)
	v_and_b32_e32 v28, s88, v12
	v_bfe_u32 v12, v12, s13, 2
	v_cmp_eq_u32_e64 s4, s89, v28
	s_delay_alu instid0(VALU_DEP_2) | instskip(SKIP_3) | instid1(VALU_DEP_4)
	v_cmp_eq_u32_e64 s5, 0, v12
	v_cmp_eq_u32_e64 s6, 1, v12
	;; [unrolled: 1-line block ×4, first 2 shown]
	s_and_b32 s5, s4, s5
	s_delay_alu instid0(SALU_CYCLE_1) | instskip(SKIP_1) | instid1(SALU_CYCLE_1)
	v_cndmask_b32_e64 v12, 0, 1, s5
	s_and_b32 s5, s4, s6
	v_cndmask_b32_e64 v28, 0, 1, s5
	s_and_b32 s5, s4, s7
	s_and_b32 s4, s4, s8
	v_cndmask_b32_e64 v42, 0, 1, s5
	v_cndmask_b32_e64 v43, 0, 1, s4
	v_cmp_ne_u32_e64 s4, 0, v12
	v_cmp_ne_u32_e64 s5, 0, v28
	s_delay_alu instid0(VALU_DEP_4) | instskip(NEXT) | instid1(VALU_DEP_4)
	v_cmp_ne_u32_e64 s6, 0, v42
	v_cmp_ne_u32_e64 s7, 0, v43
	s_delay_alu instid0(VALU_DEP_4) | instskip(NEXT) | instid1(VALU_DEP_3)
	s_bcnt1_i32_b32 s4, s4
	s_bcnt1_i32_b32 s5, s5
	v_add_co_u32 v2, s4, v2, s4
	s_delay_alu instid0(VALU_DEP_1)
	v_add_co_ci_u32_e64 v3, s4, 0, v3, s4
	v_add_co_u32 v4, s4, v4, s5
	s_bcnt1_i32_b32 s6, s6
	v_add_co_ci_u32_e64 v5, s4, 0, v5, s4
	v_add_co_u32 v6, s4, v6, s6
	s_bcnt1_i32_b32 s7, s7
	v_add_co_ci_u32_e64 v7, s4, 0, v7, s4
	v_add_co_u32 v8, s4, v8, s7
	s_delay_alu instid0(VALU_DEP_1) | instskip(SKIP_1) | instid1(SALU_CYCLE_1)
	v_add_co_ci_u32_e64 v9, s4, 0, v9, s4
	s_or_b32 s12, vcc_lo, s12
	s_and_not1_b32 exec_lo, exec_lo, s12
	s_cbranch_execnz .LBB60_63
; %bb.64:                               ;   in Loop: Header=BB60_8 Depth=1
	s_or_b32 exec_lo, exec_lo, s12
.LBB60_65:                              ;   in Loop: Header=BB60_8 Depth=1
	s_delay_alu instid0(SALU_CYCLE_1)
	s_or_b32 exec_lo, exec_lo, s9
.LBB60_66:                              ;   in Loop: Header=BB60_8 Depth=1
	s_lshl_b32 s4, s84, 7
	s_and_saveexec_b32 s5, s3
	s_cbranch_execz .LBB60_68
; %bb.67:                               ;   in Loop: Header=BB60_8 Depth=1
	s_waitcnt vmcnt(0)
	v_or_b32_e32 v12, s4, v32
	s_delay_alu instid0(VALU_DEP_1)
	v_lshlrev_b32_e32 v12, 3, v12
	ds_store_b128 v12, v[2:5] offset:3072
	ds_store_b128 v12, v[6:9] offset:3088
.LBB60_68:                              ;   in Loop: Header=BB60_8 Depth=1
	s_or_b32 exec_lo, exec_lo, s5
	s_waitcnt vmcnt(0) lgkmcnt(0)
	s_barrier
	buffer_gl0_inv
	s_and_saveexec_b32 s5, s68
	s_cbranch_execz .LBB60_79
; %bb.69:                               ;   in Loop: Header=BB60_8 Depth=1
	v_mov_b32_e32 v2, 0
	v_mov_b32_e32 v3, 0
	s_and_not1_b32 vcc_lo, exec_lo, s75
	s_cbranch_vccnz .LBB60_78
; %bb.70:                               ;   in Loop: Header=BB60_8 Depth=1
	v_mov_b32_e32 v2, 0
	v_mov_b32_e32 v3, 0
	s_and_not1_b32 vcc_lo, exec_lo, s73
	s_cbranch_vccnz .LBB60_75
; %bb.71:                               ;   in Loop: Header=BB60_8 Depth=1
	v_lshl_add_u32 v4, s84, 10, v38
	s_mov_b32 s6, 0
	s_set_inst_prefetch_distance 0x1
	.p2align	6
.LBB60_72:                              ;   Parent Loop BB60_8 Depth=1
                                        ; =>  This Inner Loop Header: Depth=2
	ds_load_2addr_b64 v[5:8], v4 offset1:4
	ds_load_2addr_b64 v[23:26], v4 offset0:8 offset1:12
	ds_load_2addr_b64 v[42:45], v4 offset0:16 offset1:20
	s_add_i32 s6, s6, 8
	s_delay_alu instid0(SALU_CYCLE_1) | instskip(SKIP_3) | instid1(VALU_DEP_2)
	s_cmp_eq_u32 s74, s6
	s_waitcnt lgkmcnt(2)
	v_add_co_u32 v2, vcc_lo, v5, v2
	v_add_co_ci_u32_e32 v3, vcc_lo, v6, v3, vcc_lo
	v_add_co_u32 v2, vcc_lo, v7, v2
	s_delay_alu instid0(VALU_DEP_2)
	v_add_co_ci_u32_e32 v3, vcc_lo, v8, v3, vcc_lo
	ds_load_2addr_b64 v[5:8], v4 offset0:24 offset1:28
	s_waitcnt lgkmcnt(2)
	v_add_co_u32 v2, vcc_lo, v23, v2
	v_add_co_ci_u32_e32 v3, vcc_lo, v24, v3, vcc_lo
	v_add_nc_u32_e32 v4, 0x100, v4
	s_delay_alu instid0(VALU_DEP_3) | instskip(NEXT) | instid1(VALU_DEP_3)
	v_add_co_u32 v2, vcc_lo, v25, v2
	v_add_co_ci_u32_e32 v3, vcc_lo, v26, v3, vcc_lo
	s_waitcnt lgkmcnt(1)
	s_delay_alu instid0(VALU_DEP_2) | instskip(NEXT) | instid1(VALU_DEP_2)
	v_add_co_u32 v2, vcc_lo, v42, v2
	v_add_co_ci_u32_e32 v3, vcc_lo, v43, v3, vcc_lo
	s_delay_alu instid0(VALU_DEP_2) | instskip(NEXT) | instid1(VALU_DEP_2)
	v_add_co_u32 v2, vcc_lo, v44, v2
	v_add_co_ci_u32_e32 v3, vcc_lo, v45, v3, vcc_lo
	s_waitcnt lgkmcnt(0)
	s_delay_alu instid0(VALU_DEP_2) | instskip(NEXT) | instid1(VALU_DEP_2)
	v_add_co_u32 v2, vcc_lo, v5, v2
	v_add_co_ci_u32_e32 v3, vcc_lo, v6, v3, vcc_lo
	s_delay_alu instid0(VALU_DEP_2) | instskip(NEXT) | instid1(VALU_DEP_2)
	v_add_co_u32 v2, vcc_lo, v7, v2
	v_add_co_ci_u32_e32 v3, vcc_lo, v8, v3, vcc_lo
	s_cbranch_scc0 .LBB60_72
; %bb.73:                               ;   in Loop: Header=BB60_8 Depth=1
	s_set_inst_prefetch_distance 0x2
	s_mov_b32 s6, s74
	s_and_not1_b32 vcc_lo, exec_lo, s76
	s_cbranch_vccz .LBB60_76
	s_branch .LBB60_78
.LBB60_74:                              ;   in Loop: Header=BB60_8 Depth=1
                                        ; implicit-def: $vgpr23_vgpr24
	s_branch .LBB60_42
.LBB60_75:                              ;   in Loop: Header=BB60_8 Depth=1
	s_mov_b32 s6, 0
	s_and_not1_b32 vcc_lo, exec_lo, s76
	s_cbranch_vccnz .LBB60_78
.LBB60_76:                              ;   in Loop: Header=BB60_8 Depth=1
	s_lshl_b32 s7, s84, 10
	s_lshl_b32 s6, s6, 5
	s_delay_alu instid0(SALU_CYCLE_1)
	v_add3_u32 v4, s7, s6, v38
	s_mov_b32 s6, s72
.LBB60_77:                              ;   Parent Loop BB60_8 Depth=1
                                        ; =>  This Inner Loop Header: Depth=2
	ds_load_b64 v[5:6], v4
	v_add_nc_u32_e32 v4, 32, v4
	s_add_i32 s6, s6, -1
	s_delay_alu instid0(SALU_CYCLE_1)
	s_cmp_lg_u32 s6, 0
	s_waitcnt lgkmcnt(0)
	v_add_co_u32 v2, vcc_lo, v5, v2
	v_add_co_ci_u32_e32 v3, vcc_lo, v6, v3, vcc_lo
	s_cbranch_scc1 .LBB60_77
.LBB60_78:                              ;   in Loop: Header=BB60_8 Depth=1
	v_add_lshl_u32 v4, s4, v29, 3
	ds_store_b64 v4, v[2:3] offset:3072
.LBB60_79:                              ;   in Loop: Header=BB60_8 Depth=1
	s_or_b32 exec_lo, exec_lo, s5
	s_lshl_b32 s4, s4, 3
	s_waitcnt lgkmcnt(0)
	v_mov_b32_e32 v6, s4
	s_barrier
	buffer_gl0_inv
	s_and_b32 s17, s82, 0xfe
	s_mov_b32 s19, -1
	ds_load_b128 v[2:5], v6 offset:3072
	ds_load_b128 v[6:9], v6 offset:3088
	s_lshl_b32 s16, 3, s17
	s_delay_alu instid0(SALU_CYCLE_1)
	s_not_b32 s18, s16
	s_waitcnt lgkmcnt(1)
	v_readfirstlane_b32 s13, v3
	v_readfirstlane_b32 s12, v2
	;; [unrolled: 1-line block ×4, first 2 shown]
	s_waitcnt lgkmcnt(0)
	v_readfirstlane_b32 s8, v6
	v_readfirstlane_b32 s9, v7
	s_cmp_eq_u64 s[12:13], 1
	v_readfirstlane_b32 s6, v8
	s_cselect_b32 s4, -1, 0
	s_cmp_eq_u64 s[26:27], 1
	v_readfirstlane_b32 s7, v9
	s_cselect_b32 s5, -1, 0
	s_delay_alu instid0(SALU_CYCLE_1) | instskip(NEXT) | instid1(SALU_CYCLE_1)
	s_and_b32 s20, s4, s5
	s_and_b32 vcc_lo, exec_lo, s20
	s_cbranch_vccz .LBB60_94
; %bb.80:                               ;   in Loop: Header=BB60_8 Depth=1
	ds_load_b64 v[2:3], v13 offset:5120
	s_waitcnt lgkmcnt(0)
	s_barrier
	buffer_gl0_inv
	v_readfirstlane_b32 s14, v2
	v_readfirstlane_b32 s15, v3
	s_and_saveexec_b32 s4, s2
	s_cbranch_execz .LBB60_82
; %bb.81:                               ;   in Loop: Header=BB60_8 Depth=1
	ds_store_b16 v31, v13
.LBB60_82:                              ;   in Loop: Header=BB60_8 Depth=1
	s_or_b32 exec_lo, exec_lo, s4
	s_delay_alu instid0(VALU_DEP_1)
	v_cmp_lt_i64_e64 s4, s[14:15], 1
	s_and_b32 s89, s89, s18
	s_or_b32 s88, s88, s16
	s_waitcnt lgkmcnt(0)
	s_barrier
	buffer_gl0_inv
	s_and_b32 vcc_lo, exec_lo, s4
	s_cbranch_vccz .LBB60_95
; %bb.83:                               ;   in Loop: Header=BB60_8 Depth=1
	s_mov_b32 s48, s45
	s_delay_alu instid0(SALU_CYCLE_1)
	s_cmp_lg_u64 s[48:49], 0
	s_cbranch_scc0 .LBB60_140
; %bb.84:                               ;   in Loop: Header=BB60_8 Depth=1
	v_cvt_f32_u32_e32 v2, s33
	s_sub_u32 s21, 0, s33
	s_subb_u32 s22, 0, 0
	s_delay_alu instid0(VALU_DEP_1) | instskip(NEXT) | instid1(VALU_DEP_1)
	v_fmac_f32_e32 v2, 0x4f800000, v40
	v_rcp_f32_e32 v2, v2
	s_waitcnt_depctr 0xfff
	v_mul_f32_e32 v2, 0x5f7ffffc, v2
	s_delay_alu instid0(VALU_DEP_1) | instskip(NEXT) | instid1(VALU_DEP_1)
	v_mul_f32_e32 v3, 0x2f800000, v2
	v_trunc_f32_e32 v3, v3
	s_delay_alu instid0(VALU_DEP_1) | instskip(SKIP_1) | instid1(VALU_DEP_2)
	v_fmac_f32_e32 v2, 0xcf800000, v3
	v_cvt_u32_f32_e32 v3, v3
	v_cvt_u32_f32_e32 v2, v2
	s_delay_alu instid0(VALU_DEP_2) | instskip(NEXT) | instid1(VALU_DEP_2)
	v_readfirstlane_b32 s4, v3
	v_readfirstlane_b32 s5, v2
	s_delay_alu instid0(VALU_DEP_2) | instskip(NEXT) | instid1(VALU_DEP_1)
	s_mul_i32 s23, s21, s4
	s_mul_hi_u32 s48, s21, s5
	s_mul_i32 s44, s22, s5
	s_add_i32 s23, s48, s23
	s_mul_i32 s56, s21, s5
	s_add_i32 s23, s23, s44
	s_mul_hi_u32 s48, s5, s56
	s_mul_hi_u32 s57, s4, s56
	s_mul_i32 s44, s4, s56
	s_mul_hi_u32 s56, s5, s23
	s_mul_i32 s5, s5, s23
	s_mul_hi_u32 s58, s4, s23
	s_add_u32 s5, s48, s5
	s_addc_u32 s48, 0, s56
	s_add_u32 s5, s5, s44
	s_mul_i32 s23, s4, s23
	s_addc_u32 s5, s48, s57
	s_addc_u32 s44, s58, 0
	s_add_u32 s5, s5, s23
	s_addc_u32 s23, 0, s44
	v_add_co_u32 v2, s5, v2, s5
	s_delay_alu instid0(VALU_DEP_1) | instskip(SKIP_1) | instid1(VALU_DEP_1)
	s_cmp_lg_u32 s5, 0
	s_addc_u32 s4, s4, s23
	v_readfirstlane_b32 s5, v2
	s_mul_i32 s23, s21, s4
	s_delay_alu instid0(VALU_DEP_1)
	s_mul_hi_u32 s44, s21, s5
	s_mul_i32 s22, s22, s5
	s_add_i32 s23, s44, s23
	s_mul_i32 s21, s21, s5
	s_add_i32 s23, s23, s22
	s_mul_hi_u32 s44, s4, s21
	s_mul_i32 s48, s4, s21
	s_mul_hi_u32 s21, s5, s21
	s_mul_hi_u32 s56, s5, s23
	s_mul_i32 s5, s5, s23
	s_mul_hi_u32 s22, s4, s23
	s_add_u32 s5, s21, s5
	s_addc_u32 s21, 0, s56
	s_add_u32 s5, s5, s48
	s_mul_i32 s23, s4, s23
	s_addc_u32 s5, s21, s44
	s_addc_u32 s21, s22, 0
	s_add_u32 s5, s5, s23
	s_addc_u32 s21, 0, s21
	v_add_co_u32 v2, s5, v2, s5
	s_delay_alu instid0(VALU_DEP_1) | instskip(SKIP_2) | instid1(VALU_DEP_1)
	s_cmp_lg_u32 s5, 0
	s_addc_u32 s21, s4, s21
	s_ashr_i32 s22, s49, 31
	v_readfirstlane_b32 s44, v2
	s_add_u32 s4, s71, s22
	s_mov_b32 s23, s22
	s_addc_u32 s5, s49, s22
	s_delay_alu instid0(SALU_CYCLE_1) | instskip(NEXT) | instid1(SALU_CYCLE_1)
	s_xor_b64 s[4:5], s[4:5], s[22:23]
	s_mul_i32 s48, s4, s21
	s_mul_hi_u32 s56, s4, s44
	s_mul_hi_u32 s23, s4, s21
	;; [unrolled: 1-line block ×3, first 2 shown]
	s_mul_i32 s44, s5, s44
	s_add_u32 s48, s56, s48
	s_addc_u32 s23, 0, s23
	s_mul_hi_u32 s57, s5, s21
	s_add_u32 s44, s48, s44
	s_mul_i32 s21, s5, s21
	s_addc_u32 s23, s23, s58
	s_addc_u32 s44, s57, 0
	s_add_u32 s21, s23, s21
	s_addc_u32 s23, 0, s44
	s_mul_hi_u32 s44, s33, s21
	s_mul_i32 s21, s33, s21
	s_mul_i32 s23, s33, s23
	v_sub_co_u32 v2, s4, s4, s21
	s_add_i32 s44, s44, s23
	s_cmp_lg_u32 s4, 0
	s_delay_alu instid0(VALU_DEP_1) | instskip(SKIP_2) | instid1(VALU_DEP_1)
	v_sub_co_u32 v3, s4, v2, s33
	s_subb_u32 s5, s5, s44
	s_cmp_lg_u32 s4, 0
	v_cmp_le_u32_e32 vcc_lo, s33, v3
	v_sub_co_u32 v4, s4, v3, s33
	s_subb_u32 s21, s5, 0
	s_cmp_lg_u32 s4, 0
	v_cndmask_b32_e64 v5, 0, -1, vcc_lo
	s_subb_u32 s4, s21, 0
	s_cmp_eq_u32 s21, 0
	v_mov_b32_e32 v7, s4
	s_cselect_b32 vcc_lo, -1, 0
	s_cmp_eq_u32 s5, 0
	v_cndmask_b32_e32 v5, -1, v5, vcc_lo
	v_cmp_le_u32_e32 vcc_lo, s33, v2
	s_cselect_b32 s4, -1, 0
	v_cndmask_b32_e64 v6, 0, -1, vcc_lo
	s_delay_alu instid0(VALU_DEP_3) | instskip(NEXT) | instid1(VALU_DEP_2)
	v_cmp_ne_u32_e32 vcc_lo, 0, v5
	v_cndmask_b32_e64 v5, -1, v6, s4
	v_cndmask_b32_e32 v3, v3, v4, vcc_lo
	v_cndmask_b32_e32 v6, s21, v7, vcc_lo
	s_delay_alu instid0(VALU_DEP_3) | instskip(NEXT) | instid1(VALU_DEP_3)
	v_cmp_ne_u32_e32 vcc_lo, 0, v5
	v_cndmask_b32_e32 v2, v2, v3, vcc_lo
	s_delay_alu instid0(VALU_DEP_3) | instskip(NEXT) | instid1(VALU_DEP_2)
	v_cndmask_b32_e32 v4, s5, v6, vcc_lo
	v_xor_b32_e32 v2, s22, v2
	s_delay_alu instid0(VALU_DEP_2) | instskip(NEXT) | instid1(VALU_DEP_2)
	v_xor_b32_e32 v3, s22, v4
	v_sub_co_u32 v2, vcc_lo, v2, s22
	s_delay_alu instid0(VALU_DEP_2)
	v_subrev_co_ci_u32_e32 v3, vcc_lo, s22, v3, vcc_lo
	s_cbranch_execnz .LBB60_86
.LBB60_85:                              ;   in Loop: Header=BB60_8 Depth=1
	v_cvt_f32_u32_e32 v2, s33
	s_sub_i32 s4, 0, s33
	s_delay_alu instid0(VALU_DEP_1) | instskip(SKIP_2) | instid1(VALU_DEP_1)
	v_rcp_iflag_f32_e32 v2, v2
	s_waitcnt_depctr 0xfff
	v_mul_f32_e32 v2, 0x4f7ffffe, v2
	v_cvt_u32_f32_e32 v2, v2
	s_delay_alu instid0(VALU_DEP_1) | instskip(NEXT) | instid1(VALU_DEP_1)
	v_mul_lo_u32 v3, s4, v2
	v_mul_hi_u32 v3, v2, v3
	s_delay_alu instid0(VALU_DEP_1) | instskip(NEXT) | instid1(VALU_DEP_1)
	v_add_nc_u32_e32 v2, v2, v3
	v_mul_hi_u32 v2, s71, v2
	s_delay_alu instid0(VALU_DEP_1) | instskip(NEXT) | instid1(VALU_DEP_1)
	v_mul_lo_u32 v2, v2, s33
	v_sub_nc_u32_e32 v2, s71, v2
	s_delay_alu instid0(VALU_DEP_1) | instskip(SKIP_1) | instid1(VALU_DEP_2)
	v_subrev_nc_u32_e32 v3, s33, v2
	v_cmp_le_u32_e32 vcc_lo, s33, v2
	v_cndmask_b32_e32 v2, v2, v3, vcc_lo
	s_delay_alu instid0(VALU_DEP_1) | instskip(SKIP_1) | instid1(VALU_DEP_2)
	v_subrev_nc_u32_e32 v3, s33, v2
	v_cmp_le_u32_e32 vcc_lo, s33, v2
	v_cndmask_b32_e32 v12, v2, v3, vcc_lo
	s_delay_alu instid0(VALU_DEP_1)
	v_dual_mov_b32 v2, v12 :: v_dual_mov_b32 v3, v13
.LBB60_86:                              ;   in Loop: Header=BB60_8 Depth=1
	s_delay_alu instid0(VALU_DEP_1) | instskip(NEXT) | instid1(VALU_DEP_2)
	v_sub_co_u32 v2, vcc_lo, s71, v2
	v_sub_co_ci_u32_e32 v3, vcc_lo, s49, v3, vcc_lo
	s_mov_b32 s4, 0
	s_mov_b32 s5, exec_lo
                                        ; implicit-def: $vgpr41
	s_delay_alu instid0(VALU_DEP_1)
	v_cmpx_gt_i64_e64 v[2:3], v[0:1]
	s_cbranch_execz .LBB60_97
; %bb.87:                               ;   in Loop: Header=BB60_8 Depth=1
	v_dual_mov_b32 v4, v10 :: v_dual_mov_b32 v5, v11
	v_dual_mov_b32 v7, v1 :: v_dual_mov_b32 v6, v0
	s_mov_b32 s21, 0
                                        ; implicit-def: $sgpr22
	s_branch .LBB60_89
.LBB60_88:                              ;   in Loop: Header=BB60_89 Depth=2
	s_or_b32 exec_lo, exec_lo, s4
	s_waitcnt vmcnt(0) lgkmcnt(0)
	s_barrier
	buffer_gl0_inv
	ds_load_b32 v8, v13 offset:3072
	v_add_co_u32 v6, vcc_lo, v6, s33
	v_add_co_ci_u32_e32 v7, vcc_lo, 0, v7, vcc_lo
	s_waitcnt lgkmcnt(0)
	s_barrier
	buffer_gl0_inv
	v_cmp_ge_i64_e32 vcc_lo, v[6:7], v[2:3]
	v_cmp_neq_f16_e64 s4, 0, v8
	s_delay_alu instid0(VALU_DEP_1)
	s_or_b32 s23, s4, vcc_lo
	v_add_co_u32 v4, vcc_lo, v4, s42
	s_and_b32 s23, exec_lo, s23
	v_add_co_ci_u32_e32 v5, vcc_lo, s43, v5, vcc_lo
	s_or_b32 s21, s23, s21
	s_and_not1_b32 s22, s22, exec_lo
	s_and_b32 s4, s4, exec_lo
	s_delay_alu instid0(SALU_CYCLE_1)
	s_or_b32 s22, s22, s4
	s_and_not1_b32 exec_lo, exec_lo, s21
	s_cbranch_execz .LBB60_96
.LBB60_89:                              ;   Parent Loop BB60_8 Depth=1
                                        ; =>  This Inner Loop Header: Depth=2
	s_delay_alu instid0(VALU_DEP_1)
	v_cmp_gt_i64_e32 vcc_lo, s[24:25], v[6:7]
	v_mov_b32_e32 v8, 0
	s_and_saveexec_b32 s4, vcc_lo
	s_cbranch_execz .LBB60_91
; %bb.90:                               ;   in Loop: Header=BB60_89 Depth=2
	global_load_u16 v8, v[4:5], off
.LBB60_91:                              ;   in Loop: Header=BB60_89 Depth=2
	s_or_b32 exec_lo, exec_lo, s4
	s_and_saveexec_b32 s4, vcc_lo
	s_cbranch_execz .LBB60_88
; %bb.92:                               ;   in Loop: Header=BB60_89 Depth=2
	s_waitcnt vmcnt(0)
	v_cmp_lt_i16_e32 vcc_lo, -1, v8
	v_dual_cndmask_b32 v12, 0xffff, v39 :: v_dual_and_b32 v9, 0xffff, v8
	v_cmp_o_f16_e32 vcc_lo, v8, v8
	s_delay_alu instid0(VALU_DEP_2) | instskip(NEXT) | instid1(VALU_DEP_1)
	v_xor_b32_e32 v9, v12, v9
	v_cndmask_b32_e32 v9, 0xffff, v9, vcc_lo
	s_delay_alu instid0(VALU_DEP_1) | instskip(NEXT) | instid1(VALU_DEP_1)
	v_and_b32_e32 v9, s88, v9
	v_cmp_eq_u32_e32 vcc_lo, s89, v9
	s_and_b32 exec_lo, exec_lo, vcc_lo
	s_cbranch_execz .LBB60_88
; %bb.93:                               ;   in Loop: Header=BB60_89 Depth=2
	v_perm_b32 v8, v8, s78, 0x5040100
	ds_store_b32 v13, v8 offset:3072
	s_branch .LBB60_88
.LBB60_94:                              ;   in Loop: Header=BB60_8 Depth=1
	s_mov_b32 s4, -1
                                        ; implicit-def: $sgpr5
                                        ; implicit-def: $sgpr22
                                        ; implicit-def: $sgpr21
	s_branch .LBB60_111
.LBB60_95:                              ;   in Loop: Header=BB60_8 Depth=1
	s_mov_b32 s5, -1
	s_mov_b32 s4, 0
                                        ; implicit-def: $sgpr21
                                        ; implicit-def: $vgpr41
	s_mov_b32 s22, s5
	s_cbranch_execnz .LBB60_98
	s_branch .LBB60_111
.LBB60_96:                              ;   in Loop: Header=BB60_8 Depth=1
	s_or_b32 exec_lo, exec_lo, s21
	v_lshrrev_b32_e32 v41, 16, v8
	s_and_b32 s4, s22, exec_lo
.LBB60_97:                              ;   in Loop: Header=BB60_8 Depth=1
	s_or_b32 exec_lo, exec_lo, s5
	s_mov_b32 s21, -1
	s_mov_b32 s5, 0
	s_delay_alu instid0(SALU_CYCLE_1)
	s_mov_b32 s22, s5
	s_branch .LBB60_111
.LBB60_98:                              ;   in Loop: Header=BB60_8 Depth=1
	s_add_u32 s21, s69, s14
	s_addc_u32 s5, s70, s15
	s_mov_b32 s4, s45
	s_delay_alu instid0(SALU_CYCLE_1)
	s_cmp_lg_u64 s[4:5], 0
	s_cbranch_scc0 .LBB60_141
; %bb.99:                               ;   in Loop: Header=BB60_8 Depth=1
	v_cvt_f32_u32_e32 v2, s33
	s_sub_u32 s23, 0, s33
	s_subb_u32 s44, 0, 0
	s_delay_alu instid0(VALU_DEP_1) | instskip(NEXT) | instid1(VALU_DEP_1)
	v_fmac_f32_e32 v2, 0x4f800000, v40
	v_rcp_f32_e32 v2, v2
	s_waitcnt_depctr 0xfff
	v_mul_f32_e32 v2, 0x5f7ffffc, v2
	s_delay_alu instid0(VALU_DEP_1) | instskip(NEXT) | instid1(VALU_DEP_1)
	v_mul_f32_e32 v3, 0x2f800000, v2
	v_trunc_f32_e32 v3, v3
	s_delay_alu instid0(VALU_DEP_1) | instskip(SKIP_1) | instid1(VALU_DEP_2)
	v_fmac_f32_e32 v2, 0xcf800000, v3
	v_cvt_u32_f32_e32 v3, v3
	v_cvt_u32_f32_e32 v2, v2
	s_delay_alu instid0(VALU_DEP_2) | instskip(NEXT) | instid1(VALU_DEP_2)
	v_readfirstlane_b32 s4, v3
	v_readfirstlane_b32 s22, v2
	s_delay_alu instid0(VALU_DEP_2) | instskip(NEXT) | instid1(VALU_DEP_1)
	s_mul_i32 s48, s23, s4
	s_mul_hi_u32 s57, s23, s22
	s_mul_i32 s56, s44, s22
	s_add_i32 s48, s57, s48
	s_mul_i32 s58, s23, s22
	s_add_i32 s48, s48, s56
	s_mul_hi_u32 s57, s22, s58
	s_mul_hi_u32 s59, s4, s58
	s_mul_i32 s56, s4, s58
	s_mul_hi_u32 s58, s22, s48
	s_mul_i32 s22, s22, s48
	s_mul_hi_u32 s60, s4, s48
	s_add_u32 s22, s57, s22
	s_addc_u32 s57, 0, s58
	s_add_u32 s22, s22, s56
	s_mul_i32 s48, s4, s48
	s_addc_u32 s22, s57, s59
	s_addc_u32 s56, s60, 0
	s_add_u32 s22, s22, s48
	s_addc_u32 s48, 0, s56
	v_add_co_u32 v2, s22, v2, s22
	s_delay_alu instid0(VALU_DEP_1) | instskip(SKIP_1) | instid1(VALU_DEP_1)
	s_cmp_lg_u32 s22, 0
	s_addc_u32 s4, s4, s48
	v_readfirstlane_b32 s22, v2
	s_mul_i32 s48, s23, s4
	s_delay_alu instid0(VALU_DEP_1)
	s_mul_hi_u32 s56, s23, s22
	s_mul_i32 s44, s44, s22
	s_add_i32 s48, s56, s48
	s_mul_i32 s23, s23, s22
	s_add_i32 s48, s48, s44
	s_mul_hi_u32 s56, s4, s23
	s_mul_i32 s57, s4, s23
	s_mul_hi_u32 s23, s22, s23
	s_mul_hi_u32 s58, s22, s48
	s_mul_i32 s22, s22, s48
	s_mul_hi_u32 s44, s4, s48
	s_add_u32 s22, s23, s22
	s_addc_u32 s23, 0, s58
	s_add_u32 s22, s22, s57
	s_mul_i32 s48, s4, s48
	s_addc_u32 s22, s23, s56
	s_addc_u32 s23, s44, 0
	s_add_u32 s22, s22, s48
	s_addc_u32 s23, 0, s23
	v_add_co_u32 v2, s22, v2, s22
	s_delay_alu instid0(VALU_DEP_1) | instskip(SKIP_2) | instid1(VALU_DEP_1)
	s_cmp_lg_u32 s22, 0
	s_addc_u32 s4, s4, s23
	s_ashr_i32 s22, s5, 31
	v_readfirstlane_b32 s44, v2
	s_add_u32 s56, s21, s22
	s_mov_b32 s23, s22
	s_addc_u32 s57, s5, s22
	s_delay_alu instid0(SALU_CYCLE_1) | instskip(NEXT) | instid1(SALU_CYCLE_1)
	s_xor_b64 s[56:57], s[56:57], s[22:23]
	s_mul_i32 s48, s56, s4
	s_mul_hi_u32 s58, s56, s44
	s_mul_hi_u32 s23, s56, s4
	;; [unrolled: 1-line block ×3, first 2 shown]
	s_mul_i32 s44, s57, s44
	s_add_u32 s48, s58, s48
	s_addc_u32 s23, 0, s23
	s_mul_hi_u32 s59, s57, s4
	s_add_u32 s44, s48, s44
	s_mul_i32 s4, s57, s4
	s_addc_u32 s23, s23, s60
	s_addc_u32 s44, s59, 0
	s_add_u32 s4, s23, s4
	s_addc_u32 s23, 0, s44
	s_mul_hi_u32 s44, s33, s4
	s_mul_i32 s4, s33, s4
	s_mul_i32 s23, s33, s23
	v_sub_co_u32 v2, s4, s56, s4
	s_add_i32 s44, s44, s23
	s_cmp_lg_u32 s4, 0
	s_delay_alu instid0(VALU_DEP_1) | instskip(SKIP_2) | instid1(VALU_DEP_1)
	v_sub_co_u32 v3, s4, v2, s33
	s_subb_u32 s23, s57, s44
	s_cmp_lg_u32 s4, 0
	v_cmp_le_u32_e32 vcc_lo, s33, v3
	v_sub_co_u32 v4, s4, v3, s33
	s_subb_u32 s44, s23, 0
	s_cmp_lg_u32 s4, 0
	v_cndmask_b32_e64 v5, 0, -1, vcc_lo
	s_subb_u32 s4, s44, 0
	s_cmp_eq_u32 s44, 0
	v_mov_b32_e32 v7, s4
	s_cselect_b32 vcc_lo, -1, 0
	s_cmp_eq_u32 s23, 0
	v_cndmask_b32_e32 v5, -1, v5, vcc_lo
	v_cmp_le_u32_e32 vcc_lo, s33, v2
	s_cselect_b32 s4, -1, 0
	v_cndmask_b32_e64 v6, 0, -1, vcc_lo
	s_delay_alu instid0(VALU_DEP_3) | instskip(NEXT) | instid1(VALU_DEP_2)
	v_cmp_ne_u32_e32 vcc_lo, 0, v5
	v_cndmask_b32_e64 v5, -1, v6, s4
	v_cndmask_b32_e32 v3, v3, v4, vcc_lo
	v_cndmask_b32_e32 v6, s44, v7, vcc_lo
	s_delay_alu instid0(VALU_DEP_3) | instskip(NEXT) | instid1(VALU_DEP_3)
	v_cmp_ne_u32_e32 vcc_lo, 0, v5
	v_cndmask_b32_e32 v2, v2, v3, vcc_lo
	s_delay_alu instid0(VALU_DEP_3) | instskip(NEXT) | instid1(VALU_DEP_2)
	v_cndmask_b32_e32 v4, s23, v6, vcc_lo
	v_xor_b32_e32 v2, s22, v2
	s_delay_alu instid0(VALU_DEP_2) | instskip(NEXT) | instid1(VALU_DEP_2)
	v_xor_b32_e32 v3, s22, v4
	v_sub_co_u32 v2, vcc_lo, v2, s22
	s_delay_alu instid0(VALU_DEP_2)
	v_subrev_co_ci_u32_e32 v3, vcc_lo, s22, v3, vcc_lo
	s_cbranch_execnz .LBB60_101
.LBB60_100:                             ;   in Loop: Header=BB60_8 Depth=1
	v_cvt_f32_u32_e32 v2, s33
	s_sub_i32 s4, 0, s33
	s_delay_alu instid0(VALU_DEP_1) | instskip(SKIP_2) | instid1(VALU_DEP_1)
	v_rcp_iflag_f32_e32 v2, v2
	s_waitcnt_depctr 0xfff
	v_mul_f32_e32 v2, 0x4f7ffffe, v2
	v_cvt_u32_f32_e32 v2, v2
	s_delay_alu instid0(VALU_DEP_1) | instskip(NEXT) | instid1(VALU_DEP_1)
	v_mul_lo_u32 v3, s4, v2
	v_mul_hi_u32 v3, v2, v3
	s_delay_alu instid0(VALU_DEP_1) | instskip(NEXT) | instid1(VALU_DEP_1)
	v_add_nc_u32_e32 v2, v2, v3
	v_mul_hi_u32 v2, s21, v2
	s_delay_alu instid0(VALU_DEP_1) | instskip(NEXT) | instid1(VALU_DEP_1)
	v_mul_lo_u32 v2, v2, s33
	v_sub_nc_u32_e32 v2, s21, v2
	s_delay_alu instid0(VALU_DEP_1) | instskip(SKIP_1) | instid1(VALU_DEP_2)
	v_subrev_nc_u32_e32 v3, s33, v2
	v_cmp_le_u32_e32 vcc_lo, s33, v2
	v_cndmask_b32_e32 v2, v2, v3, vcc_lo
	s_delay_alu instid0(VALU_DEP_1) | instskip(SKIP_1) | instid1(VALU_DEP_2)
	v_subrev_nc_u32_e32 v3, s33, v2
	v_cmp_le_u32_e32 vcc_lo, s33, v2
	v_cndmask_b32_e32 v12, v2, v3, vcc_lo
	s_delay_alu instid0(VALU_DEP_1)
	v_dual_mov_b32 v2, v12 :: v_dual_mov_b32 v3, v13
.LBB60_101:                             ;   in Loop: Header=BB60_8 Depth=1
	s_delay_alu instid0(VALU_DEP_1) | instskip(NEXT) | instid1(VALU_DEP_2)
	v_sub_co_u32 v2, vcc_lo, s21, v2
	v_sub_co_ci_u32_e32 v3, vcc_lo, s5, v3, vcc_lo
	s_mov_b32 s4, 0
	s_mov_b32 s5, exec_lo
                                        ; implicit-def: $vgpr41
	s_delay_alu instid0(VALU_DEP_1)
	v_cmpx_gt_i64_e64 v[2:3], v[0:1]
	s_cbranch_execz .LBB60_110
; %bb.102:                              ;   in Loop: Header=BB60_8 Depth=1
	v_dual_mov_b32 v6, v30 :: v_dual_mov_b32 v5, v1
	v_mov_b32_e32 v4, v0
	s_mov_b32 s21, 0
                                        ; implicit-def: $sgpr22
	s_set_inst_prefetch_distance 0x1
	s_branch .LBB60_104
	.p2align	6
.LBB60_103:                             ;   in Loop: Header=BB60_104 Depth=2
	s_or_b32 exec_lo, exec_lo, s4
	s_waitcnt lgkmcnt(0)
	s_barrier
	buffer_gl0_inv
	ds_load_b32 v7, v13 offset:3072
	v_add_co_u32 v4, vcc_lo, v4, s33
	v_add_co_ci_u32_e32 v5, vcc_lo, 0, v5, vcc_lo
	v_add_nc_u32_e32 v6, s77, v6
	s_waitcnt lgkmcnt(0)
	s_barrier
	s_delay_alu instid0(VALU_DEP_2) | instskip(SKIP_2) | instid1(VALU_DEP_1)
	v_cmp_ge_i64_e32 vcc_lo, v[4:5], v[2:3]
	buffer_gl0_inv
	v_cmp_neq_f16_e64 s4, 0, v7
	s_or_b32 s23, s4, vcc_lo
	s_delay_alu instid0(SALU_CYCLE_1) | instskip(NEXT) | instid1(SALU_CYCLE_1)
	s_and_b32 s23, exec_lo, s23
	s_or_b32 s21, s23, s21
	s_and_not1_b32 s22, s22, exec_lo
	s_and_b32 s4, s4, exec_lo
	s_delay_alu instid0(SALU_CYCLE_1)
	s_or_b32 s22, s22, s4
	s_and_not1_b32 exec_lo, exec_lo, s21
	s_cbranch_execz .LBB60_109
.LBB60_104:                             ;   Parent Loop BB60_8 Depth=1
                                        ; =>  This Inner Loop Header: Depth=2
	s_delay_alu instid0(VALU_DEP_1)
	v_cmp_gt_i64_e32 vcc_lo, s[14:15], v[4:5]
	v_mov_b32_e32 v7, 0
	s_and_saveexec_b32 s4, vcc_lo
	s_cbranch_execz .LBB60_106
; %bb.105:                              ;   in Loop: Header=BB60_104 Depth=2
	ds_load_u16 v7, v6
.LBB60_106:                             ;   in Loop: Header=BB60_104 Depth=2
	s_or_b32 exec_lo, exec_lo, s4
	s_and_saveexec_b32 s4, vcc_lo
	s_cbranch_execz .LBB60_103
; %bb.107:                              ;   in Loop: Header=BB60_104 Depth=2
	s_waitcnt lgkmcnt(0)
	v_cmp_lt_i16_e32 vcc_lo, -1, v7
	v_and_b32_e32 v8, 0xffff, v7
	v_cndmask_b32_e32 v9, 0xffff, v39, vcc_lo
	v_cmp_o_f16_e32 vcc_lo, v7, v7
	s_delay_alu instid0(VALU_DEP_2) | instskip(NEXT) | instid1(VALU_DEP_1)
	v_xor_b32_e32 v8, v9, v8
	v_cndmask_b32_e32 v8, 0xffff, v8, vcc_lo
	s_delay_alu instid0(VALU_DEP_1) | instskip(NEXT) | instid1(VALU_DEP_1)
	v_and_b32_e32 v8, s88, v8
	v_cmp_eq_u32_e32 vcc_lo, s89, v8
	s_and_b32 exec_lo, exec_lo, vcc_lo
	s_cbranch_execz .LBB60_103
; %bb.108:                              ;   in Loop: Header=BB60_104 Depth=2
	v_perm_b32 v7, v7, s78, 0x5040100
	ds_store_b32 v13, v7 offset:3072
	s_branch .LBB60_103
.LBB60_109:                             ;   in Loop: Header=BB60_8 Depth=1
	s_set_inst_prefetch_distance 0x2
	s_or_b32 exec_lo, exec_lo, s21
	v_lshrrev_b32_e32 v41, 16, v7
	s_and_b32 s4, s22, exec_lo
.LBB60_110:                             ;   in Loop: Header=BB60_8 Depth=1
	s_or_b32 exec_lo, exec_lo, s5
	s_mov_b32 s22, -1
	s_mov_b32 s5, 0
	s_mov_b32 s21, 0
.LBB60_111:                             ;   in Loop: Header=BB60_8 Depth=1
	s_and_not1_b32 s14, s85, exec_lo
	s_and_b32 s5, s5, exec_lo
	s_and_not1_b32 s15, s86, exec_lo
	s_or_b32 s85, s14, s5
	s_and_not1_b32 s5, s87, exec_lo
	s_and_b32 s14, s22, exec_lo
	s_and_b32 s21, s21, exec_lo
	s_or_b32 s87, s5, s14
	s_or_b32 s86, s15, s21
	s_and_saveexec_b32 s14, s4
	s_cbranch_execz .LBB60_7
; %bb.112:                              ;   in Loop: Header=BB60_8 Depth=1
	s_xor_b32 s4, s20, -1
	s_mov_b32 s48, 1
	s_and_not1_b32 vcc_lo, exec_lo, s4
	s_cbranch_vccnz .LBB60_123
; %bb.113:                              ;   in Loop: Header=BB60_8 Depth=1
	v_cmp_gt_i64_e64 s4, s[26:27], s[12:13]
                                        ; implicit-def: $sgpr48
                                        ; implicit-def: $sgpr5
                                        ; implicit-def: $sgpr15
	s_delay_alu instid0(VALU_DEP_1)
	s_and_b32 vcc_lo, exec_lo, s4
	s_mov_b32 s4, -1
	s_cbranch_vccnz .LBB60_119
; %bb.114:                              ;   in Loop: Header=BB60_8 Depth=1
	ds_load_b64 v[2:3], v13 offset:5120
	s_waitcnt lgkmcnt(0)
	v_cmp_ne_u64_e32 vcc_lo, 0, v[2:3]
	s_cbranch_vccnz .LBB60_118
; %bb.115:                              ;   in Loop: Header=BB60_8 Depth=1
	s_and_saveexec_b32 s4, s0
	s_cbranch_execz .LBB60_117
; %bb.116:                              ;   in Loop: Header=BB60_8 Depth=1
	v_dual_mov_b32 v2, s12 :: v_dual_mov_b32 v3, s13
	ds_store_b64 v13, v[2:3] offset:5128
.LBB60_117:                             ;   in Loop: Header=BB60_8 Depth=1
	s_or_b32 exec_lo, exec_lo, s4
	s_waitcnt lgkmcnt(0)
	s_barrier
	buffer_gl0_inv
.LBB60_118:                             ;   in Loop: Header=BB60_8 Depth=1
	s_and_b32 s5, s89, s18
	s_or_b32 s15, s88, s16
	s_mov_b32 s4, 0
	s_mov_b32 s48, 8
.LBB60_119:                             ;   in Loop: Header=BB60_8 Depth=1
	s_and_not1_b32 vcc_lo, exec_lo, s4
	s_cbranch_vccnz .LBB60_121
; %bb.120:                              ;   in Loop: Header=BB60_8 Depth=1
	s_sub_u32 s26, s26, s12
	s_subb_u32 s27, s27, s13
	s_mov_b32 s4, -1
	s_mov_b32 s48, 0
	s_mov_b32 s5, s89
	;; [unrolled: 1-line block ×3, first 2 shown]
.LBB60_121:                             ;   in Loop: Header=BB60_8 Depth=1
	s_delay_alu instid0(SALU_CYCLE_1)
	s_mov_b32 s88, s15
	s_mov_b32 s89, s5
	s_and_b32 vcc_lo, exec_lo, s4
	s_mov_b32 s15, -1
	s_cbranch_vccnz .LBB60_124
.LBB60_122:                             ;   in Loop: Header=BB60_8 Depth=1
	s_mov_b32 s5, -1
                                        ; implicit-def: $sgpr19
                                        ; implicit-def: $sgpr21
                                        ; implicit-def: $sgpr20
	s_delay_alu instid0(SALU_CYCLE_1) | instskip(NEXT) | instid1(SALU_CYCLE_1)
	s_and_saveexec_b32 s4, s5
	s_xor_b32 s4, exec_lo, s4
	s_cbranch_execz .LBB60_6
	s_branch .LBB60_270
.LBB60_123:                             ;   in Loop: Header=BB60_8 Depth=1
	s_mov_b64 s[26:27], 1
	s_mov_b32 s15, -1
	s_branch .LBB60_122
.LBB60_124:                             ;   in Loop: Header=BB60_8 Depth=1
	s_cmp_eq_u64 s[10:11], 1
	s_cselect_b32 s4, -1, 0
	s_cmp_eq_u64 s[26:27], 1
	s_cselect_b32 s5, -1, 0
	s_delay_alu instid0(SALU_CYCLE_1)
	s_and_b32 s22, s4, s5
	s_mov_b32 s4, -1
	s_and_b32 vcc_lo, exec_lo, s22
	s_cbranch_vccz .LBB60_139
; %bb.125:                              ;   in Loop: Header=BB60_8 Depth=1
	ds_load_b64 v[2:3], v13 offset:5120
	s_waitcnt lgkmcnt(0)
	s_barrier
	buffer_gl0_inv
	v_readfirstlane_b32 s12, v2
	v_readfirstlane_b32 s13, v3
	s_and_saveexec_b32 s4, s2
	s_cbranch_execz .LBB60_127
; %bb.126:                              ;   in Loop: Header=BB60_8 Depth=1
	ds_store_b16 v31, v13
.LBB60_127:                             ;   in Loop: Header=BB60_8 Depth=1
	s_or_b32 exec_lo, exec_lo, s4
	s_delay_alu instid0(VALU_DEP_1)
	v_cmp_gt_i64_e64 s19, s[12:13], 0
	s_lshl_b32 s4, 1, s17
	s_and_b32 s5, s89, s18
	s_or_b32 s88, s88, s16
	s_or_b32 s89, s5, s4
	s_waitcnt lgkmcnt(0)
	s_and_b32 vcc_lo, exec_lo, s19
	s_barrier
	buffer_gl0_inv
	s_cbranch_vccnz .LBB60_142
; %bb.128:                              ;   in Loop: Header=BB60_8 Depth=1
	s_mov_b32 s48, s45
	s_delay_alu instid0(SALU_CYCLE_1)
	s_cmp_lg_u64 s[48:49], 0
	s_cbranch_scc0 .LBB60_187
; %bb.129:                              ;   in Loop: Header=BB60_8 Depth=1
	v_cvt_f32_u32_e32 v2, s33
	s_sub_u32 s19, 0, s33
	s_subb_u32 s20, 0, 0
	s_delay_alu instid0(VALU_DEP_1) | instskip(NEXT) | instid1(VALU_DEP_1)
	v_fmac_f32_e32 v2, 0x4f800000, v40
	v_rcp_f32_e32 v2, v2
	s_waitcnt_depctr 0xfff
	v_mul_f32_e32 v2, 0x5f7ffffc, v2
	s_delay_alu instid0(VALU_DEP_1) | instskip(NEXT) | instid1(VALU_DEP_1)
	v_mul_f32_e32 v3, 0x2f800000, v2
	v_trunc_f32_e32 v3, v3
	s_delay_alu instid0(VALU_DEP_1) | instskip(SKIP_1) | instid1(VALU_DEP_2)
	v_fmac_f32_e32 v2, 0xcf800000, v3
	v_cvt_u32_f32_e32 v3, v3
	v_cvt_u32_f32_e32 v2, v2
	s_delay_alu instid0(VALU_DEP_2) | instskip(NEXT) | instid1(VALU_DEP_2)
	v_readfirstlane_b32 s4, v3
	v_readfirstlane_b32 s5, v2
	s_delay_alu instid0(VALU_DEP_2) | instskip(NEXT) | instid1(VALU_DEP_1)
	s_mul_i32 s21, s19, s4
	s_mul_hi_u32 s44, s19, s5
	s_mul_i32 s23, s20, s5
	s_add_i32 s21, s44, s21
	s_mul_i32 s48, s19, s5
	s_add_i32 s21, s21, s23
	s_mul_hi_u32 s44, s5, s48
	s_mul_hi_u32 s56, s4, s48
	s_mul_i32 s23, s4, s48
	s_mul_hi_u32 s48, s5, s21
	s_mul_i32 s5, s5, s21
	s_mul_hi_u32 s57, s4, s21
	s_add_u32 s5, s44, s5
	s_addc_u32 s44, 0, s48
	s_add_u32 s5, s5, s23
	s_mul_i32 s21, s4, s21
	s_addc_u32 s5, s44, s56
	s_addc_u32 s23, s57, 0
	s_add_u32 s5, s5, s21
	s_addc_u32 s21, 0, s23
	v_add_co_u32 v2, s5, v2, s5
	s_delay_alu instid0(VALU_DEP_1) | instskip(SKIP_1) | instid1(VALU_DEP_1)
	s_cmp_lg_u32 s5, 0
	s_addc_u32 s4, s4, s21
	v_readfirstlane_b32 s5, v2
	s_mul_i32 s21, s19, s4
	s_delay_alu instid0(VALU_DEP_1)
	s_mul_hi_u32 s23, s19, s5
	s_mul_i32 s20, s20, s5
	s_add_i32 s21, s23, s21
	s_mul_i32 s19, s19, s5
	s_add_i32 s21, s21, s20
	s_mul_hi_u32 s23, s4, s19
	s_mul_i32 s44, s4, s19
	s_mul_hi_u32 s19, s5, s19
	s_mul_hi_u32 s48, s5, s21
	s_mul_i32 s5, s5, s21
	s_mul_hi_u32 s20, s4, s21
	s_add_u32 s5, s19, s5
	s_addc_u32 s19, 0, s48
	s_add_u32 s5, s5, s44
	s_mul_i32 s21, s4, s21
	s_addc_u32 s5, s19, s23
	s_addc_u32 s19, s20, 0
	s_add_u32 s5, s5, s21
	s_addc_u32 s19, 0, s19
	v_add_co_u32 v2, s5, v2, s5
	s_delay_alu instid0(VALU_DEP_1) | instskip(SKIP_2) | instid1(VALU_DEP_1)
	s_cmp_lg_u32 s5, 0
	s_addc_u32 s19, s4, s19
	s_ashr_i32 s20, s49, 31
	v_readfirstlane_b32 s23, v2
	s_add_u32 s4, s71, s20
	s_mov_b32 s21, s20
	s_addc_u32 s5, s49, s20
	s_delay_alu instid0(SALU_CYCLE_1) | instskip(NEXT) | instid1(SALU_CYCLE_1)
	s_xor_b64 s[4:5], s[4:5], s[20:21]
	s_mul_i32 s44, s4, s19
	s_mul_hi_u32 s48, s4, s23
	s_mul_hi_u32 s21, s4, s19
	;; [unrolled: 1-line block ×3, first 2 shown]
	s_mul_i32 s23, s5, s23
	s_add_u32 s44, s48, s44
	s_addc_u32 s21, 0, s21
	s_mul_hi_u32 s56, s5, s19
	s_add_u32 s23, s44, s23
	s_mul_i32 s19, s5, s19
	s_addc_u32 s21, s21, s57
	s_addc_u32 s23, s56, 0
	s_add_u32 s19, s21, s19
	s_addc_u32 s21, 0, s23
	s_mul_hi_u32 s23, s33, s19
	s_mul_i32 s19, s33, s19
	s_mul_i32 s21, s33, s21
	v_sub_co_u32 v2, s4, s4, s19
	s_add_i32 s23, s23, s21
	s_cmp_lg_u32 s4, 0
	s_delay_alu instid0(VALU_DEP_1) | instskip(SKIP_2) | instid1(VALU_DEP_1)
	v_sub_co_u32 v3, s4, v2, s33
	s_subb_u32 s5, s5, s23
	s_cmp_lg_u32 s4, 0
	v_cmp_le_u32_e32 vcc_lo, s33, v3
	v_sub_co_u32 v4, s4, v3, s33
	s_subb_u32 s19, s5, 0
	s_cmp_lg_u32 s4, 0
	v_cndmask_b32_e64 v5, 0, -1, vcc_lo
	s_subb_u32 s4, s19, 0
	s_cmp_eq_u32 s19, 0
	v_mov_b32_e32 v7, s4
	s_cselect_b32 vcc_lo, -1, 0
	s_cmp_eq_u32 s5, 0
	v_cndmask_b32_e32 v5, -1, v5, vcc_lo
	v_cmp_le_u32_e32 vcc_lo, s33, v2
	s_cselect_b32 s4, -1, 0
	v_cndmask_b32_e64 v6, 0, -1, vcc_lo
	s_delay_alu instid0(VALU_DEP_3) | instskip(NEXT) | instid1(VALU_DEP_2)
	v_cmp_ne_u32_e32 vcc_lo, 0, v5
	v_cndmask_b32_e64 v5, -1, v6, s4
	v_cndmask_b32_e32 v3, v3, v4, vcc_lo
	v_cndmask_b32_e32 v6, s19, v7, vcc_lo
	s_delay_alu instid0(VALU_DEP_3) | instskip(NEXT) | instid1(VALU_DEP_3)
	v_cmp_ne_u32_e32 vcc_lo, 0, v5
	v_cndmask_b32_e32 v2, v2, v3, vcc_lo
	s_delay_alu instid0(VALU_DEP_3) | instskip(NEXT) | instid1(VALU_DEP_2)
	v_cndmask_b32_e32 v4, s5, v6, vcc_lo
	v_xor_b32_e32 v2, s20, v2
	s_delay_alu instid0(VALU_DEP_2) | instskip(NEXT) | instid1(VALU_DEP_2)
	v_xor_b32_e32 v3, s20, v4
	v_sub_co_u32 v2, vcc_lo, v2, s20
	s_delay_alu instid0(VALU_DEP_2)
	v_subrev_co_ci_u32_e32 v3, vcc_lo, s20, v3, vcc_lo
	s_cbranch_execnz .LBB60_131
.LBB60_130:                             ;   in Loop: Header=BB60_8 Depth=1
	v_cvt_f32_u32_e32 v2, s33
	s_sub_i32 s4, 0, s33
	s_delay_alu instid0(VALU_DEP_1) | instskip(SKIP_2) | instid1(VALU_DEP_1)
	v_rcp_iflag_f32_e32 v2, v2
	s_waitcnt_depctr 0xfff
	v_mul_f32_e32 v2, 0x4f7ffffe, v2
	v_cvt_u32_f32_e32 v2, v2
	s_delay_alu instid0(VALU_DEP_1) | instskip(NEXT) | instid1(VALU_DEP_1)
	v_mul_lo_u32 v3, s4, v2
	v_mul_hi_u32 v3, v2, v3
	s_delay_alu instid0(VALU_DEP_1) | instskip(NEXT) | instid1(VALU_DEP_1)
	v_add_nc_u32_e32 v2, v2, v3
	v_mul_hi_u32 v2, s71, v2
	s_delay_alu instid0(VALU_DEP_1) | instskip(NEXT) | instid1(VALU_DEP_1)
	v_mul_lo_u32 v2, v2, s33
	v_sub_nc_u32_e32 v2, s71, v2
	s_delay_alu instid0(VALU_DEP_1) | instskip(SKIP_1) | instid1(VALU_DEP_2)
	v_subrev_nc_u32_e32 v3, s33, v2
	v_cmp_le_u32_e32 vcc_lo, s33, v2
	v_cndmask_b32_e32 v2, v2, v3, vcc_lo
	s_delay_alu instid0(VALU_DEP_1) | instskip(SKIP_1) | instid1(VALU_DEP_2)
	v_subrev_nc_u32_e32 v3, s33, v2
	v_cmp_le_u32_e32 vcc_lo, s33, v2
	v_cndmask_b32_e32 v12, v2, v3, vcc_lo
	s_delay_alu instid0(VALU_DEP_1)
	v_dual_mov_b32 v2, v12 :: v_dual_mov_b32 v3, v13
.LBB60_131:                             ;   in Loop: Header=BB60_8 Depth=1
	s_delay_alu instid0(VALU_DEP_1) | instskip(NEXT) | instid1(VALU_DEP_2)
	v_sub_co_u32 v2, vcc_lo, s71, v2
	v_sub_co_ci_u32_e32 v3, vcc_lo, s49, v3, vcc_lo
	s_mov_b32 s4, 0
	s_mov_b32 s5, exec_lo
                                        ; implicit-def: $vgpr41
	s_delay_alu instid0(VALU_DEP_1)
	v_cmpx_gt_i64_e64 v[2:3], v[0:1]
	s_cbranch_execz .LBB60_144
; %bb.132:                              ;   in Loop: Header=BB60_8 Depth=1
	v_dual_mov_b32 v4, v10 :: v_dual_mov_b32 v5, v11
	v_dual_mov_b32 v7, v1 :: v_dual_mov_b32 v6, v0
	s_mov_b32 s19, 0
                                        ; implicit-def: $sgpr20
	s_branch .LBB60_134
.LBB60_133:                             ;   in Loop: Header=BB60_134 Depth=2
	s_or_b32 exec_lo, exec_lo, s4
	s_waitcnt vmcnt(0) lgkmcnt(0)
	s_barrier
	buffer_gl0_inv
	ds_load_b32 v8, v13 offset:3072
	v_add_co_u32 v6, vcc_lo, v6, s33
	v_add_co_ci_u32_e32 v7, vcc_lo, 0, v7, vcc_lo
	s_waitcnt lgkmcnt(0)
	s_barrier
	buffer_gl0_inv
	v_cmp_ge_i64_e32 vcc_lo, v[6:7], v[2:3]
	v_cmp_neq_f16_e64 s4, 0, v8
	s_delay_alu instid0(VALU_DEP_1)
	s_or_b32 s21, s4, vcc_lo
	v_add_co_u32 v4, vcc_lo, v4, s42
	s_and_b32 s21, exec_lo, s21
	v_add_co_ci_u32_e32 v5, vcc_lo, s43, v5, vcc_lo
	s_or_b32 s19, s21, s19
	s_and_not1_b32 s20, s20, exec_lo
	s_and_b32 s4, s4, exec_lo
	s_delay_alu instid0(SALU_CYCLE_1)
	s_or_b32 s20, s20, s4
	s_and_not1_b32 exec_lo, exec_lo, s19
	s_cbranch_execz .LBB60_143
.LBB60_134:                             ;   Parent Loop BB60_8 Depth=1
                                        ; =>  This Inner Loop Header: Depth=2
	s_delay_alu instid0(VALU_DEP_1)
	v_cmp_gt_i64_e32 vcc_lo, s[24:25], v[6:7]
	v_mov_b32_e32 v8, 0
	s_and_saveexec_b32 s4, vcc_lo
	s_cbranch_execz .LBB60_136
; %bb.135:                              ;   in Loop: Header=BB60_134 Depth=2
	global_load_u16 v8, v[4:5], off
.LBB60_136:                             ;   in Loop: Header=BB60_134 Depth=2
	s_or_b32 exec_lo, exec_lo, s4
	s_and_saveexec_b32 s4, vcc_lo
	s_cbranch_execz .LBB60_133
; %bb.137:                              ;   in Loop: Header=BB60_134 Depth=2
	s_waitcnt vmcnt(0)
	v_cmp_lt_i16_e32 vcc_lo, -1, v8
	v_dual_cndmask_b32 v12, 0xffff, v39 :: v_dual_and_b32 v9, 0xffff, v8
	v_cmp_o_f16_e32 vcc_lo, v8, v8
	s_delay_alu instid0(VALU_DEP_2) | instskip(NEXT) | instid1(VALU_DEP_1)
	v_xor_b32_e32 v9, v12, v9
	v_cndmask_b32_e32 v9, 0xffff, v9, vcc_lo
	s_delay_alu instid0(VALU_DEP_1) | instskip(NEXT) | instid1(VALU_DEP_1)
	v_and_b32_e32 v9, s88, v9
	v_cmp_eq_u32_e32 vcc_lo, s89, v9
	s_and_b32 exec_lo, exec_lo, vcc_lo
	s_cbranch_execz .LBB60_133
; %bb.138:                              ;   in Loop: Header=BB60_134 Depth=2
	v_perm_b32 v8, v8, s78, 0x5040100
	ds_store_b32 v13, v8 offset:3072
	s_branch .LBB60_133
.LBB60_139:                             ;   in Loop: Header=BB60_8 Depth=1
                                        ; implicit-def: $sgpr20
                                        ; implicit-def: $sgpr21
                                        ; implicit-def: $sgpr19
	s_branch .LBB60_158
.LBB60_140:                             ;   in Loop: Header=BB60_8 Depth=1
                                        ; implicit-def: $vgpr2_vgpr3
	s_branch .LBB60_85
.LBB60_141:                             ;   in Loop: Header=BB60_8 Depth=1
                                        ; implicit-def: $vgpr2_vgpr3
	s_branch .LBB60_100
.LBB60_142:                             ;   in Loop: Header=BB60_8 Depth=1
	s_mov_b32 s20, -1
	s_mov_b32 s4, 0
                                        ; implicit-def: $sgpr19
                                        ; implicit-def: $vgpr41
	s_mov_b32 s21, s20
	s_cbranch_execnz .LBB60_145
	s_branch .LBB60_158
.LBB60_143:                             ;   in Loop: Header=BB60_8 Depth=1
	s_or_b32 exec_lo, exec_lo, s19
	v_lshrrev_b32_e32 v41, 16, v8
	s_and_b32 s4, s20, exec_lo
.LBB60_144:                             ;   in Loop: Header=BB60_8 Depth=1
	s_or_b32 exec_lo, exec_lo, s5
	s_mov_b32 s19, -1
	s_mov_b32 s20, 0
	s_delay_alu instid0(SALU_CYCLE_1)
	s_mov_b32 s21, s20
	s_branch .LBB60_158
.LBB60_145:                             ;   in Loop: Header=BB60_8 Depth=1
	s_add_u32 s19, s69, s12
	s_addc_u32 s5, s70, s13
	s_mov_b32 s4, s45
	s_delay_alu instid0(SALU_CYCLE_1)
	s_cmp_lg_u64 s[4:5], 0
	s_cbranch_scc0 .LBB60_188
; %bb.146:                              ;   in Loop: Header=BB60_8 Depth=1
	v_cvt_f32_u32_e32 v2, s33
	s_sub_u32 s21, 0, s33
	s_subb_u32 s23, 0, 0
	s_delay_alu instid0(VALU_DEP_1) | instskip(NEXT) | instid1(VALU_DEP_1)
	v_fmac_f32_e32 v2, 0x4f800000, v40
	v_rcp_f32_e32 v2, v2
	s_waitcnt_depctr 0xfff
	v_mul_f32_e32 v2, 0x5f7ffffc, v2
	s_delay_alu instid0(VALU_DEP_1) | instskip(NEXT) | instid1(VALU_DEP_1)
	v_mul_f32_e32 v3, 0x2f800000, v2
	v_trunc_f32_e32 v3, v3
	s_delay_alu instid0(VALU_DEP_1) | instskip(SKIP_1) | instid1(VALU_DEP_2)
	v_fmac_f32_e32 v2, 0xcf800000, v3
	v_cvt_u32_f32_e32 v3, v3
	v_cvt_u32_f32_e32 v2, v2
	s_delay_alu instid0(VALU_DEP_2) | instskip(NEXT) | instid1(VALU_DEP_2)
	v_readfirstlane_b32 s4, v3
	v_readfirstlane_b32 s20, v2
	s_delay_alu instid0(VALU_DEP_2) | instskip(NEXT) | instid1(VALU_DEP_1)
	s_mul_i32 s44, s21, s4
	s_mul_hi_u32 s56, s21, s20
	s_mul_i32 s48, s23, s20
	s_add_i32 s44, s56, s44
	s_mul_i32 s57, s21, s20
	s_add_i32 s44, s44, s48
	s_mul_hi_u32 s56, s20, s57
	s_mul_hi_u32 s58, s4, s57
	s_mul_i32 s48, s4, s57
	s_mul_hi_u32 s57, s20, s44
	s_mul_i32 s20, s20, s44
	s_mul_hi_u32 s59, s4, s44
	s_add_u32 s20, s56, s20
	s_addc_u32 s56, 0, s57
	s_add_u32 s20, s20, s48
	s_mul_i32 s44, s4, s44
	s_addc_u32 s20, s56, s58
	s_addc_u32 s48, s59, 0
	s_add_u32 s20, s20, s44
	s_addc_u32 s44, 0, s48
	v_add_co_u32 v2, s20, v2, s20
	s_delay_alu instid0(VALU_DEP_1) | instskip(SKIP_1) | instid1(VALU_DEP_1)
	s_cmp_lg_u32 s20, 0
	s_addc_u32 s4, s4, s44
	v_readfirstlane_b32 s20, v2
	s_mul_i32 s44, s21, s4
	s_delay_alu instid0(VALU_DEP_1)
	s_mul_hi_u32 s48, s21, s20
	s_mul_i32 s23, s23, s20
	s_add_i32 s44, s48, s44
	s_mul_i32 s21, s21, s20
	s_add_i32 s44, s44, s23
	s_mul_hi_u32 s48, s4, s21
	s_mul_i32 s56, s4, s21
	s_mul_hi_u32 s21, s20, s21
	s_mul_hi_u32 s57, s20, s44
	s_mul_i32 s20, s20, s44
	s_mul_hi_u32 s23, s4, s44
	s_add_u32 s20, s21, s20
	s_addc_u32 s21, 0, s57
	s_add_u32 s20, s20, s56
	s_mul_i32 s44, s4, s44
	s_addc_u32 s20, s21, s48
	s_addc_u32 s21, s23, 0
	s_add_u32 s20, s20, s44
	s_addc_u32 s21, 0, s21
	v_add_co_u32 v2, s20, v2, s20
	s_delay_alu instid0(VALU_DEP_1) | instskip(SKIP_2) | instid1(VALU_DEP_1)
	s_cmp_lg_u32 s20, 0
	s_addc_u32 s4, s4, s21
	s_ashr_i32 s20, s5, 31
	v_readfirstlane_b32 s23, v2
	s_add_u32 s56, s19, s20
	s_mov_b32 s21, s20
	s_addc_u32 s57, s5, s20
	s_delay_alu instid0(SALU_CYCLE_1) | instskip(NEXT) | instid1(SALU_CYCLE_1)
	s_xor_b64 s[56:57], s[56:57], s[20:21]
	s_mul_i32 s44, s56, s4
	s_mul_hi_u32 s48, s56, s23
	s_mul_hi_u32 s21, s56, s4
	;; [unrolled: 1-line block ×3, first 2 shown]
	s_mul_i32 s23, s57, s23
	s_add_u32 s44, s48, s44
	s_addc_u32 s21, 0, s21
	s_mul_hi_u32 s58, s57, s4
	s_add_u32 s23, s44, s23
	s_mul_i32 s4, s57, s4
	s_addc_u32 s21, s21, s59
	s_addc_u32 s23, s58, 0
	s_add_u32 s4, s21, s4
	s_addc_u32 s21, 0, s23
	s_mul_hi_u32 s23, s33, s4
	s_mul_i32 s4, s33, s4
	s_mul_i32 s21, s33, s21
	v_sub_co_u32 v2, s4, s56, s4
	s_add_i32 s23, s23, s21
	s_cmp_lg_u32 s4, 0
	s_delay_alu instid0(VALU_DEP_1) | instskip(SKIP_2) | instid1(VALU_DEP_1)
	v_sub_co_u32 v3, s4, v2, s33
	s_subb_u32 s21, s57, s23
	s_cmp_lg_u32 s4, 0
	v_cmp_le_u32_e32 vcc_lo, s33, v3
	v_sub_co_u32 v4, s4, v3, s33
	s_subb_u32 s23, s21, 0
	s_cmp_lg_u32 s4, 0
	v_cndmask_b32_e64 v5, 0, -1, vcc_lo
	s_subb_u32 s4, s23, 0
	s_cmp_eq_u32 s23, 0
	v_mov_b32_e32 v7, s4
	s_cselect_b32 vcc_lo, -1, 0
	s_cmp_eq_u32 s21, 0
	v_cndmask_b32_e32 v5, -1, v5, vcc_lo
	v_cmp_le_u32_e32 vcc_lo, s33, v2
	s_cselect_b32 s4, -1, 0
	v_cndmask_b32_e64 v6, 0, -1, vcc_lo
	s_delay_alu instid0(VALU_DEP_3) | instskip(NEXT) | instid1(VALU_DEP_2)
	v_cmp_ne_u32_e32 vcc_lo, 0, v5
	v_cndmask_b32_e64 v5, -1, v6, s4
	v_cndmask_b32_e32 v3, v3, v4, vcc_lo
	v_cndmask_b32_e32 v6, s23, v7, vcc_lo
	s_delay_alu instid0(VALU_DEP_3) | instskip(NEXT) | instid1(VALU_DEP_3)
	v_cmp_ne_u32_e32 vcc_lo, 0, v5
	v_cndmask_b32_e32 v2, v2, v3, vcc_lo
	s_delay_alu instid0(VALU_DEP_3) | instskip(NEXT) | instid1(VALU_DEP_2)
	v_cndmask_b32_e32 v4, s21, v6, vcc_lo
	v_xor_b32_e32 v2, s20, v2
	s_delay_alu instid0(VALU_DEP_2) | instskip(NEXT) | instid1(VALU_DEP_2)
	v_xor_b32_e32 v3, s20, v4
	v_sub_co_u32 v2, vcc_lo, v2, s20
	s_delay_alu instid0(VALU_DEP_2)
	v_subrev_co_ci_u32_e32 v3, vcc_lo, s20, v3, vcc_lo
	s_cbranch_execnz .LBB60_148
.LBB60_147:                             ;   in Loop: Header=BB60_8 Depth=1
	v_cvt_f32_u32_e32 v2, s33
	s_sub_i32 s4, 0, s33
	s_delay_alu instid0(VALU_DEP_1) | instskip(SKIP_2) | instid1(VALU_DEP_1)
	v_rcp_iflag_f32_e32 v2, v2
	s_waitcnt_depctr 0xfff
	v_mul_f32_e32 v2, 0x4f7ffffe, v2
	v_cvt_u32_f32_e32 v2, v2
	s_delay_alu instid0(VALU_DEP_1) | instskip(NEXT) | instid1(VALU_DEP_1)
	v_mul_lo_u32 v3, s4, v2
	v_mul_hi_u32 v3, v2, v3
	s_delay_alu instid0(VALU_DEP_1) | instskip(NEXT) | instid1(VALU_DEP_1)
	v_add_nc_u32_e32 v2, v2, v3
	v_mul_hi_u32 v2, s19, v2
	s_delay_alu instid0(VALU_DEP_1) | instskip(NEXT) | instid1(VALU_DEP_1)
	v_mul_lo_u32 v2, v2, s33
	v_sub_nc_u32_e32 v2, s19, v2
	s_delay_alu instid0(VALU_DEP_1) | instskip(SKIP_1) | instid1(VALU_DEP_2)
	v_subrev_nc_u32_e32 v3, s33, v2
	v_cmp_le_u32_e32 vcc_lo, s33, v2
	v_cndmask_b32_e32 v2, v2, v3, vcc_lo
	s_delay_alu instid0(VALU_DEP_1) | instskip(SKIP_1) | instid1(VALU_DEP_2)
	v_subrev_nc_u32_e32 v3, s33, v2
	v_cmp_le_u32_e32 vcc_lo, s33, v2
	v_cndmask_b32_e32 v12, v2, v3, vcc_lo
	s_delay_alu instid0(VALU_DEP_1)
	v_dual_mov_b32 v2, v12 :: v_dual_mov_b32 v3, v13
.LBB60_148:                             ;   in Loop: Header=BB60_8 Depth=1
	s_delay_alu instid0(VALU_DEP_1) | instskip(NEXT) | instid1(VALU_DEP_2)
	v_sub_co_u32 v2, vcc_lo, s19, v2
	v_sub_co_ci_u32_e32 v3, vcc_lo, s5, v3, vcc_lo
	s_mov_b32 s4, 0
	s_mov_b32 s5, exec_lo
                                        ; implicit-def: $vgpr41
	s_delay_alu instid0(VALU_DEP_1)
	v_cmpx_gt_i64_e64 v[2:3], v[0:1]
	s_cbranch_execz .LBB60_157
; %bb.149:                              ;   in Loop: Header=BB60_8 Depth=1
	v_dual_mov_b32 v6, v30 :: v_dual_mov_b32 v5, v1
	v_mov_b32_e32 v4, v0
	s_mov_b32 s19, 0
                                        ; implicit-def: $sgpr20
	s_set_inst_prefetch_distance 0x1
	s_branch .LBB60_151
	.p2align	6
.LBB60_150:                             ;   in Loop: Header=BB60_151 Depth=2
	s_or_b32 exec_lo, exec_lo, s4
	s_waitcnt lgkmcnt(0)
	s_barrier
	buffer_gl0_inv
	ds_load_b32 v7, v13 offset:3072
	v_add_co_u32 v4, vcc_lo, v4, s33
	v_add_co_ci_u32_e32 v5, vcc_lo, 0, v5, vcc_lo
	v_add_nc_u32_e32 v6, s77, v6
	s_waitcnt lgkmcnt(0)
	s_barrier
	s_delay_alu instid0(VALU_DEP_2) | instskip(SKIP_2) | instid1(VALU_DEP_1)
	v_cmp_ge_i64_e32 vcc_lo, v[4:5], v[2:3]
	buffer_gl0_inv
	v_cmp_neq_f16_e64 s4, 0, v7
	s_or_b32 s21, s4, vcc_lo
	s_delay_alu instid0(SALU_CYCLE_1) | instskip(NEXT) | instid1(SALU_CYCLE_1)
	s_and_b32 s21, exec_lo, s21
	s_or_b32 s19, s21, s19
	s_and_not1_b32 s20, s20, exec_lo
	s_and_b32 s4, s4, exec_lo
	s_delay_alu instid0(SALU_CYCLE_1)
	s_or_b32 s20, s20, s4
	s_and_not1_b32 exec_lo, exec_lo, s19
	s_cbranch_execz .LBB60_156
.LBB60_151:                             ;   Parent Loop BB60_8 Depth=1
                                        ; =>  This Inner Loop Header: Depth=2
	s_delay_alu instid0(VALU_DEP_1)
	v_cmp_gt_i64_e32 vcc_lo, s[12:13], v[4:5]
	v_mov_b32_e32 v7, 0
	s_and_saveexec_b32 s4, vcc_lo
	s_cbranch_execz .LBB60_153
; %bb.152:                              ;   in Loop: Header=BB60_151 Depth=2
	ds_load_u16 v7, v6
.LBB60_153:                             ;   in Loop: Header=BB60_151 Depth=2
	s_or_b32 exec_lo, exec_lo, s4
	s_and_saveexec_b32 s4, vcc_lo
	s_cbranch_execz .LBB60_150
; %bb.154:                              ;   in Loop: Header=BB60_151 Depth=2
	s_waitcnt lgkmcnt(0)
	v_cmp_lt_i16_e32 vcc_lo, -1, v7
	v_and_b32_e32 v8, 0xffff, v7
	v_cndmask_b32_e32 v9, 0xffff, v39, vcc_lo
	v_cmp_o_f16_e32 vcc_lo, v7, v7
	s_delay_alu instid0(VALU_DEP_2) | instskip(NEXT) | instid1(VALU_DEP_1)
	v_xor_b32_e32 v8, v9, v8
	v_cndmask_b32_e32 v8, 0xffff, v8, vcc_lo
	s_delay_alu instid0(VALU_DEP_1) | instskip(NEXT) | instid1(VALU_DEP_1)
	v_and_b32_e32 v8, s88, v8
	v_cmp_eq_u32_e32 vcc_lo, s89, v8
	s_and_b32 exec_lo, exec_lo, vcc_lo
	s_cbranch_execz .LBB60_150
; %bb.155:                              ;   in Loop: Header=BB60_151 Depth=2
	v_perm_b32 v7, v7, s78, 0x5040100
	ds_store_b32 v13, v7 offset:3072
	s_branch .LBB60_150
.LBB60_156:                             ;   in Loop: Header=BB60_8 Depth=1
	s_set_inst_prefetch_distance 0x2
	s_or_b32 exec_lo, exec_lo, s19
	v_lshrrev_b32_e32 v41, 16, v7
	s_and_b32 s4, s20, exec_lo
.LBB60_157:                             ;   in Loop: Header=BB60_8 Depth=1
	s_or_b32 exec_lo, exec_lo, s5
	s_mov_b32 s21, -1
	s_mov_b32 s20, 0
	s_mov_b32 s19, 0
.LBB60_158:                             ;   in Loop: Header=BB60_8 Depth=1
	s_mov_b32 s5, 0
                                        ; implicit-def: $sgpr48
	s_and_saveexec_b32 s12, s4
	s_cbranch_execz .LBB60_269
; %bb.159:                              ;   in Loop: Header=BB60_8 Depth=1
	s_xor_b32 s4, s22, -1
	s_mov_b32 s48, 1
	s_and_not1_b32 vcc_lo, exec_lo, s4
	s_cbranch_vccnz .LBB60_170
; %bb.160:                              ;   in Loop: Header=BB60_8 Depth=1
	v_cmp_gt_i64_e64 s4, s[26:27], s[10:11]
                                        ; implicit-def: $sgpr48
                                        ; implicit-def: $sgpr5
                                        ; implicit-def: $sgpr13
	s_delay_alu instid0(VALU_DEP_1)
	s_and_b32 vcc_lo, exec_lo, s4
	s_mov_b32 s4, -1
	s_cbranch_vccnz .LBB60_166
; %bb.161:                              ;   in Loop: Header=BB60_8 Depth=1
	ds_load_b64 v[2:3], v13 offset:5120
	s_waitcnt lgkmcnt(0)
	v_cmp_ne_u64_e32 vcc_lo, 0, v[2:3]
	s_cbranch_vccnz .LBB60_165
; %bb.162:                              ;   in Loop: Header=BB60_8 Depth=1
	s_and_saveexec_b32 s4, s0
	s_cbranch_execz .LBB60_164
; %bb.163:                              ;   in Loop: Header=BB60_8 Depth=1
	v_dual_mov_b32 v2, s10 :: v_dual_mov_b32 v3, s11
	ds_store_b64 v13, v[2:3] offset:5128
.LBB60_164:                             ;   in Loop: Header=BB60_8 Depth=1
	s_or_b32 exec_lo, exec_lo, s4
	s_waitcnt lgkmcnt(0)
	s_barrier
	buffer_gl0_inv
.LBB60_165:                             ;   in Loop: Header=BB60_8 Depth=1
	s_lshl_b32 s4, 1, s17
	s_and_b32 s5, s89, s18
	s_or_b32 s13, s88, s16
	s_or_b32 s5, s5, s4
	s_mov_b32 s4, 0
	s_mov_b32 s48, 8
.LBB60_166:                             ;   in Loop: Header=BB60_8 Depth=1
	s_and_not1_b32 vcc_lo, exec_lo, s4
	s_cbranch_vccnz .LBB60_168
; %bb.167:                              ;   in Loop: Header=BB60_8 Depth=1
	s_sub_u32 s26, s26, s10
	s_subb_u32 s27, s27, s11
	s_mov_b32 s4, -1
	s_mov_b32 s48, 0
	s_mov_b32 s5, s89
	;; [unrolled: 1-line block ×3, first 2 shown]
.LBB60_168:                             ;   in Loop: Header=BB60_8 Depth=1
	s_delay_alu instid0(SALU_CYCLE_1)
	s_mov_b32 s88, s13
	s_mov_b32 s89, s5
	s_and_not1_b32 vcc_lo, exec_lo, s4
	s_mov_b32 s5, -1
	s_cbranch_vccz .LBB60_171
.LBB60_169:                             ;   in Loop: Header=BB60_8 Depth=1
                                        ; implicit-def: $sgpr22
                                        ; implicit-def: $sgpr23
                                        ; implicit-def: $sgpr13
	s_branch .LBB60_268
.LBB60_170:                             ;   in Loop: Header=BB60_8 Depth=1
	s_mov_b64 s[26:27], 1
	s_mov_b32 s5, -1
	s_cbranch_execnz .LBB60_169
.LBB60_171:                             ;   in Loop: Header=BB60_8 Depth=1
	s_cmp_eq_u64 s[8:9], 1
	s_cselect_b32 s4, -1, 0
	s_cmp_eq_u64 s[26:27], 1
	s_cselect_b32 s5, -1, 0
	s_delay_alu instid0(SALU_CYCLE_1)
	s_and_b32 s44, s4, s5
	s_mov_b32 s4, -1
	s_and_b32 vcc_lo, exec_lo, s44
	s_cbranch_vccz .LBB60_186
; %bb.172:                              ;   in Loop: Header=BB60_8 Depth=1
	ds_load_b64 v[2:3], v13 offset:5120
	s_waitcnt lgkmcnt(0)
	s_barrier
	buffer_gl0_inv
	v_readfirstlane_b32 s10, v2
	v_readfirstlane_b32 s11, v3
	s_and_saveexec_b32 s4, s2
	s_cbranch_execz .LBB60_174
; %bb.173:                              ;   in Loop: Header=BB60_8 Depth=1
	ds_store_b16 v31, v13
.LBB60_174:                             ;   in Loop: Header=BB60_8 Depth=1
	s_or_b32 exec_lo, exec_lo, s4
	s_delay_alu instid0(VALU_DEP_1)
	v_cmp_gt_i64_e64 s13, s[10:11], 0
	s_lshl_b32 s4, 2, s17
	s_and_b32 s5, s89, s18
	s_or_b32 s88, s88, s16
	s_or_b32 s89, s5, s4
	s_waitcnt lgkmcnt(0)
	s_and_b32 vcc_lo, exec_lo, s13
	s_barrier
	buffer_gl0_inv
	s_cbranch_vccnz .LBB60_189
; %bb.175:                              ;   in Loop: Header=BB60_8 Depth=1
	s_mov_b32 s48, s45
	s_delay_alu instid0(SALU_CYCLE_1)
	s_cmp_lg_u64 s[48:49], 0
	s_cbranch_scc0 .LBB60_234
; %bb.176:                              ;   in Loop: Header=BB60_8 Depth=1
	v_cvt_f32_u32_e32 v2, s33
	s_sub_u32 s13, 0, s33
	s_subb_u32 s22, 0, 0
	s_delay_alu instid0(VALU_DEP_1) | instskip(NEXT) | instid1(VALU_DEP_1)
	v_fmac_f32_e32 v2, 0x4f800000, v40
	v_rcp_f32_e32 v2, v2
	s_waitcnt_depctr 0xfff
	v_mul_f32_e32 v2, 0x5f7ffffc, v2
	s_delay_alu instid0(VALU_DEP_1) | instskip(NEXT) | instid1(VALU_DEP_1)
	v_mul_f32_e32 v3, 0x2f800000, v2
	v_trunc_f32_e32 v3, v3
	s_delay_alu instid0(VALU_DEP_1) | instskip(SKIP_1) | instid1(VALU_DEP_2)
	v_fmac_f32_e32 v2, 0xcf800000, v3
	v_cvt_u32_f32_e32 v3, v3
	v_cvt_u32_f32_e32 v2, v2
	s_delay_alu instid0(VALU_DEP_2) | instskip(NEXT) | instid1(VALU_DEP_2)
	v_readfirstlane_b32 s4, v3
	v_readfirstlane_b32 s5, v2
	s_delay_alu instid0(VALU_DEP_2) | instskip(NEXT) | instid1(VALU_DEP_1)
	s_mul_i32 s23, s13, s4
	s_mul_hi_u32 s56, s13, s5
	s_mul_i32 s48, s22, s5
	s_add_i32 s23, s56, s23
	s_mul_i32 s57, s13, s5
	s_add_i32 s23, s23, s48
	s_mul_hi_u32 s56, s5, s57
	s_mul_hi_u32 s58, s4, s57
	s_mul_i32 s48, s4, s57
	s_mul_hi_u32 s57, s5, s23
	s_mul_i32 s5, s5, s23
	s_mul_hi_u32 s59, s4, s23
	s_add_u32 s5, s56, s5
	s_addc_u32 s56, 0, s57
	s_add_u32 s5, s5, s48
	s_mul_i32 s23, s4, s23
	s_addc_u32 s5, s56, s58
	s_addc_u32 s48, s59, 0
	s_add_u32 s5, s5, s23
	s_addc_u32 s23, 0, s48
	v_add_co_u32 v2, s5, v2, s5
	s_delay_alu instid0(VALU_DEP_1) | instskip(SKIP_1) | instid1(VALU_DEP_1)
	s_cmp_lg_u32 s5, 0
	s_addc_u32 s4, s4, s23
	v_readfirstlane_b32 s5, v2
	s_mul_i32 s23, s13, s4
	s_delay_alu instid0(VALU_DEP_1)
	s_mul_hi_u32 s48, s13, s5
	s_mul_i32 s22, s22, s5
	s_add_i32 s23, s48, s23
	s_mul_i32 s13, s13, s5
	s_add_i32 s23, s23, s22
	s_mul_hi_u32 s48, s4, s13
	s_mul_i32 s56, s4, s13
	s_mul_hi_u32 s13, s5, s13
	s_mul_hi_u32 s57, s5, s23
	s_mul_i32 s5, s5, s23
	s_mul_hi_u32 s22, s4, s23
	s_add_u32 s5, s13, s5
	s_addc_u32 s13, 0, s57
	s_add_u32 s5, s5, s56
	s_mul_i32 s23, s4, s23
	s_addc_u32 s5, s13, s48
	s_addc_u32 s13, s22, 0
	s_add_u32 s5, s5, s23
	s_addc_u32 s13, 0, s13
	v_add_co_u32 v2, s5, v2, s5
	s_delay_alu instid0(VALU_DEP_1) | instskip(SKIP_2) | instid1(VALU_DEP_1)
	s_cmp_lg_u32 s5, 0
	s_addc_u32 s13, s4, s13
	s_ashr_i32 s22, s49, 31
	v_readfirstlane_b32 s48, v2
	s_add_u32 s4, s71, s22
	s_mov_b32 s23, s22
	s_addc_u32 s5, s49, s22
	s_delay_alu instid0(SALU_CYCLE_1) | instskip(NEXT) | instid1(SALU_CYCLE_1)
	s_xor_b64 s[4:5], s[4:5], s[22:23]
	s_mul_i32 s56, s4, s13
	s_mul_hi_u32 s57, s4, s48
	s_mul_hi_u32 s23, s4, s13
	;; [unrolled: 1-line block ×3, first 2 shown]
	s_mul_i32 s48, s5, s48
	s_add_u32 s56, s57, s56
	s_addc_u32 s23, 0, s23
	s_mul_hi_u32 s58, s5, s13
	s_add_u32 s48, s56, s48
	s_mul_i32 s13, s5, s13
	s_addc_u32 s23, s23, s59
	s_addc_u32 s48, s58, 0
	s_add_u32 s13, s23, s13
	s_addc_u32 s23, 0, s48
	s_mul_hi_u32 s48, s33, s13
	s_mul_i32 s13, s33, s13
	s_mul_i32 s23, s33, s23
	v_sub_co_u32 v2, s4, s4, s13
	s_add_i32 s48, s48, s23
	s_cmp_lg_u32 s4, 0
	s_delay_alu instid0(VALU_DEP_1) | instskip(SKIP_2) | instid1(VALU_DEP_1)
	v_sub_co_u32 v3, s4, v2, s33
	s_subb_u32 s5, s5, s48
	s_cmp_lg_u32 s4, 0
	v_cmp_le_u32_e32 vcc_lo, s33, v3
	v_sub_co_u32 v4, s4, v3, s33
	s_subb_u32 s13, s5, 0
	s_cmp_lg_u32 s4, 0
	v_cndmask_b32_e64 v5, 0, -1, vcc_lo
	s_subb_u32 s4, s13, 0
	s_cmp_eq_u32 s13, 0
	v_mov_b32_e32 v7, s4
	s_cselect_b32 vcc_lo, -1, 0
	s_cmp_eq_u32 s5, 0
	v_cndmask_b32_e32 v5, -1, v5, vcc_lo
	v_cmp_le_u32_e32 vcc_lo, s33, v2
	s_cselect_b32 s4, -1, 0
	v_cndmask_b32_e64 v6, 0, -1, vcc_lo
	s_delay_alu instid0(VALU_DEP_3) | instskip(NEXT) | instid1(VALU_DEP_2)
	v_cmp_ne_u32_e32 vcc_lo, 0, v5
	v_cndmask_b32_e64 v5, -1, v6, s4
	v_cndmask_b32_e32 v3, v3, v4, vcc_lo
	v_cndmask_b32_e32 v6, s13, v7, vcc_lo
	s_delay_alu instid0(VALU_DEP_3) | instskip(NEXT) | instid1(VALU_DEP_3)
	v_cmp_ne_u32_e32 vcc_lo, 0, v5
	v_cndmask_b32_e32 v2, v2, v3, vcc_lo
	s_delay_alu instid0(VALU_DEP_3) | instskip(NEXT) | instid1(VALU_DEP_2)
	v_cndmask_b32_e32 v4, s5, v6, vcc_lo
	v_xor_b32_e32 v2, s22, v2
	s_delay_alu instid0(VALU_DEP_2) | instskip(NEXT) | instid1(VALU_DEP_2)
	v_xor_b32_e32 v3, s22, v4
	v_sub_co_u32 v2, vcc_lo, v2, s22
	s_delay_alu instid0(VALU_DEP_2)
	v_subrev_co_ci_u32_e32 v3, vcc_lo, s22, v3, vcc_lo
	s_cbranch_execnz .LBB60_178
.LBB60_177:                             ;   in Loop: Header=BB60_8 Depth=1
	v_cvt_f32_u32_e32 v2, s33
	s_sub_i32 s4, 0, s33
	s_delay_alu instid0(VALU_DEP_1) | instskip(SKIP_2) | instid1(VALU_DEP_1)
	v_rcp_iflag_f32_e32 v2, v2
	s_waitcnt_depctr 0xfff
	v_mul_f32_e32 v2, 0x4f7ffffe, v2
	v_cvt_u32_f32_e32 v2, v2
	s_delay_alu instid0(VALU_DEP_1) | instskip(NEXT) | instid1(VALU_DEP_1)
	v_mul_lo_u32 v3, s4, v2
	v_mul_hi_u32 v3, v2, v3
	s_delay_alu instid0(VALU_DEP_1) | instskip(NEXT) | instid1(VALU_DEP_1)
	v_add_nc_u32_e32 v2, v2, v3
	v_mul_hi_u32 v2, s71, v2
	s_delay_alu instid0(VALU_DEP_1) | instskip(NEXT) | instid1(VALU_DEP_1)
	v_mul_lo_u32 v2, v2, s33
	v_sub_nc_u32_e32 v2, s71, v2
	s_delay_alu instid0(VALU_DEP_1) | instskip(SKIP_1) | instid1(VALU_DEP_2)
	v_subrev_nc_u32_e32 v3, s33, v2
	v_cmp_le_u32_e32 vcc_lo, s33, v2
	v_cndmask_b32_e32 v2, v2, v3, vcc_lo
	s_delay_alu instid0(VALU_DEP_1) | instskip(SKIP_1) | instid1(VALU_DEP_2)
	v_subrev_nc_u32_e32 v3, s33, v2
	v_cmp_le_u32_e32 vcc_lo, s33, v2
	v_cndmask_b32_e32 v12, v2, v3, vcc_lo
	s_delay_alu instid0(VALU_DEP_1)
	v_dual_mov_b32 v2, v12 :: v_dual_mov_b32 v3, v13
.LBB60_178:                             ;   in Loop: Header=BB60_8 Depth=1
	s_delay_alu instid0(VALU_DEP_1) | instskip(NEXT) | instid1(VALU_DEP_2)
	v_sub_co_u32 v2, vcc_lo, s71, v2
	v_sub_co_ci_u32_e32 v3, vcc_lo, s49, v3, vcc_lo
	s_mov_b32 s4, 0
	s_mov_b32 s5, exec_lo
                                        ; implicit-def: $vgpr41
	s_delay_alu instid0(VALU_DEP_1)
	v_cmpx_gt_i64_e64 v[2:3], v[0:1]
	s_cbranch_execz .LBB60_191
; %bb.179:                              ;   in Loop: Header=BB60_8 Depth=1
	v_dual_mov_b32 v4, v10 :: v_dual_mov_b32 v5, v11
	v_dual_mov_b32 v7, v1 :: v_dual_mov_b32 v6, v0
	s_mov_b32 s13, 0
                                        ; implicit-def: $sgpr22
	s_branch .LBB60_181
.LBB60_180:                             ;   in Loop: Header=BB60_181 Depth=2
	s_or_b32 exec_lo, exec_lo, s4
	s_waitcnt vmcnt(0) lgkmcnt(0)
	s_barrier
	buffer_gl0_inv
	ds_load_b32 v8, v13 offset:3072
	v_add_co_u32 v6, vcc_lo, v6, s33
	v_add_co_ci_u32_e32 v7, vcc_lo, 0, v7, vcc_lo
	s_waitcnt lgkmcnt(0)
	s_barrier
	buffer_gl0_inv
	v_cmp_ge_i64_e32 vcc_lo, v[6:7], v[2:3]
	v_cmp_neq_f16_e64 s4, 0, v8
	s_delay_alu instid0(VALU_DEP_1)
	s_or_b32 s23, s4, vcc_lo
	v_add_co_u32 v4, vcc_lo, v4, s42
	s_and_b32 s23, exec_lo, s23
	v_add_co_ci_u32_e32 v5, vcc_lo, s43, v5, vcc_lo
	s_or_b32 s13, s23, s13
	s_and_not1_b32 s22, s22, exec_lo
	s_and_b32 s4, s4, exec_lo
	s_delay_alu instid0(SALU_CYCLE_1)
	s_or_b32 s22, s22, s4
	s_and_not1_b32 exec_lo, exec_lo, s13
	s_cbranch_execz .LBB60_190
.LBB60_181:                             ;   Parent Loop BB60_8 Depth=1
                                        ; =>  This Inner Loop Header: Depth=2
	s_delay_alu instid0(VALU_DEP_1)
	v_cmp_gt_i64_e32 vcc_lo, s[24:25], v[6:7]
	v_mov_b32_e32 v8, 0
	s_and_saveexec_b32 s4, vcc_lo
	s_cbranch_execz .LBB60_183
; %bb.182:                              ;   in Loop: Header=BB60_181 Depth=2
	global_load_u16 v8, v[4:5], off
.LBB60_183:                             ;   in Loop: Header=BB60_181 Depth=2
	s_or_b32 exec_lo, exec_lo, s4
	s_and_saveexec_b32 s4, vcc_lo
	s_cbranch_execz .LBB60_180
; %bb.184:                              ;   in Loop: Header=BB60_181 Depth=2
	s_waitcnt vmcnt(0)
	v_cmp_lt_i16_e32 vcc_lo, -1, v8
	v_dual_cndmask_b32 v12, 0xffff, v39 :: v_dual_and_b32 v9, 0xffff, v8
	v_cmp_o_f16_e32 vcc_lo, v8, v8
	s_delay_alu instid0(VALU_DEP_2) | instskip(NEXT) | instid1(VALU_DEP_1)
	v_xor_b32_e32 v9, v12, v9
	v_cndmask_b32_e32 v9, 0xffff, v9, vcc_lo
	s_delay_alu instid0(VALU_DEP_1) | instskip(NEXT) | instid1(VALU_DEP_1)
	v_and_b32_e32 v9, s88, v9
	v_cmp_eq_u32_e32 vcc_lo, s89, v9
	s_and_b32 exec_lo, exec_lo, vcc_lo
	s_cbranch_execz .LBB60_180
; %bb.185:                              ;   in Loop: Header=BB60_181 Depth=2
	v_perm_b32 v8, v8, s78, 0x5040100
	ds_store_b32 v13, v8 offset:3072
	s_branch .LBB60_180
.LBB60_186:                             ;   in Loop: Header=BB60_8 Depth=1
                                        ; implicit-def: $sgpr13
                                        ; implicit-def: $sgpr23
                                        ; implicit-def: $sgpr22
	s_branch .LBB60_205
.LBB60_187:                             ;   in Loop: Header=BB60_8 Depth=1
                                        ; implicit-def: $vgpr2_vgpr3
	s_branch .LBB60_130
.LBB60_188:                             ;   in Loop: Header=BB60_8 Depth=1
                                        ; implicit-def: $vgpr2_vgpr3
	s_branch .LBB60_147
.LBB60_189:                             ;   in Loop: Header=BB60_8 Depth=1
	s_mov_b32 s13, -1
	s_mov_b32 s4, 0
                                        ; implicit-def: $sgpr22
                                        ; implicit-def: $vgpr41
	s_mov_b32 s23, s13
	s_cbranch_execnz .LBB60_192
	s_branch .LBB60_205
.LBB60_190:                             ;   in Loop: Header=BB60_8 Depth=1
	s_or_b32 exec_lo, exec_lo, s13
	v_lshrrev_b32_e32 v41, 16, v8
	s_and_b32 s4, s22, exec_lo
.LBB60_191:                             ;   in Loop: Header=BB60_8 Depth=1
	s_or_b32 exec_lo, exec_lo, s5
	s_mov_b32 s22, -1
	s_mov_b32 s13, 0
	s_delay_alu instid0(SALU_CYCLE_1)
	s_mov_b32 s23, s13
	s_branch .LBB60_205
.LBB60_192:                             ;   in Loop: Header=BB60_8 Depth=1
	s_add_u32 s13, s69, s10
	s_addc_u32 s5, s70, s11
	s_mov_b32 s4, s45
	s_delay_alu instid0(SALU_CYCLE_1)
	s_cmp_lg_u64 s[4:5], 0
	s_cbranch_scc0 .LBB60_235
; %bb.193:                              ;   in Loop: Header=BB60_8 Depth=1
	v_cvt_f32_u32_e32 v2, s33
	s_sub_u32 s23, 0, s33
	s_subb_u32 s48, 0, 0
	s_delay_alu instid0(VALU_DEP_1) | instskip(NEXT) | instid1(VALU_DEP_1)
	v_fmac_f32_e32 v2, 0x4f800000, v40
	v_rcp_f32_e32 v2, v2
	s_waitcnt_depctr 0xfff
	v_mul_f32_e32 v2, 0x5f7ffffc, v2
	s_delay_alu instid0(VALU_DEP_1) | instskip(NEXT) | instid1(VALU_DEP_1)
	v_mul_f32_e32 v3, 0x2f800000, v2
	v_trunc_f32_e32 v3, v3
	s_delay_alu instid0(VALU_DEP_1) | instskip(SKIP_1) | instid1(VALU_DEP_2)
	v_fmac_f32_e32 v2, 0xcf800000, v3
	v_cvt_u32_f32_e32 v3, v3
	v_cvt_u32_f32_e32 v2, v2
	s_delay_alu instid0(VALU_DEP_2) | instskip(NEXT) | instid1(VALU_DEP_2)
	v_readfirstlane_b32 s4, v3
	v_readfirstlane_b32 s22, v2
	s_delay_alu instid0(VALU_DEP_2) | instskip(NEXT) | instid1(VALU_DEP_1)
	s_mul_i32 s56, s23, s4
	s_mul_hi_u32 s58, s23, s22
	s_mul_i32 s57, s48, s22
	s_add_i32 s56, s58, s56
	s_mul_i32 s59, s23, s22
	s_add_i32 s56, s56, s57
	s_mul_hi_u32 s58, s22, s59
	s_mul_hi_u32 s60, s4, s59
	s_mul_i32 s57, s4, s59
	s_mul_hi_u32 s59, s22, s56
	s_mul_i32 s22, s22, s56
	s_mul_hi_u32 s61, s4, s56
	s_add_u32 s22, s58, s22
	s_addc_u32 s58, 0, s59
	s_add_u32 s22, s22, s57
	s_mul_i32 s56, s4, s56
	s_addc_u32 s22, s58, s60
	s_addc_u32 s57, s61, 0
	s_add_u32 s22, s22, s56
	s_addc_u32 s56, 0, s57
	v_add_co_u32 v2, s22, v2, s22
	s_delay_alu instid0(VALU_DEP_1) | instskip(SKIP_1) | instid1(VALU_DEP_1)
	s_cmp_lg_u32 s22, 0
	s_addc_u32 s4, s4, s56
	v_readfirstlane_b32 s22, v2
	s_mul_i32 s56, s23, s4
	s_delay_alu instid0(VALU_DEP_1)
	s_mul_hi_u32 s57, s23, s22
	s_mul_i32 s48, s48, s22
	s_add_i32 s56, s57, s56
	s_mul_i32 s23, s23, s22
	s_add_i32 s56, s56, s48
	s_mul_hi_u32 s57, s4, s23
	s_mul_i32 s58, s4, s23
	s_mul_hi_u32 s23, s22, s23
	s_mul_hi_u32 s59, s22, s56
	s_mul_i32 s22, s22, s56
	s_mul_hi_u32 s48, s4, s56
	s_add_u32 s22, s23, s22
	s_addc_u32 s23, 0, s59
	s_add_u32 s22, s22, s58
	s_mul_i32 s56, s4, s56
	s_addc_u32 s22, s23, s57
	s_addc_u32 s23, s48, 0
	s_add_u32 s22, s22, s56
	s_addc_u32 s23, 0, s23
	v_add_co_u32 v2, s22, v2, s22
	s_delay_alu instid0(VALU_DEP_1) | instskip(SKIP_2) | instid1(VALU_DEP_1)
	s_cmp_lg_u32 s22, 0
	s_addc_u32 s4, s4, s23
	s_ashr_i32 s22, s5, 31
	v_readfirstlane_b32 s48, v2
	s_add_u32 s56, s13, s22
	s_mov_b32 s23, s22
	s_addc_u32 s57, s5, s22
	s_delay_alu instid0(SALU_CYCLE_1) | instskip(NEXT) | instid1(SALU_CYCLE_1)
	s_xor_b64 s[56:57], s[56:57], s[22:23]
	s_mul_i32 s58, s56, s4
	s_mul_hi_u32 s59, s56, s48
	s_mul_hi_u32 s23, s56, s4
	;; [unrolled: 1-line block ×3, first 2 shown]
	s_mul_i32 s48, s57, s48
	s_add_u32 s58, s59, s58
	s_addc_u32 s23, 0, s23
	s_mul_hi_u32 s60, s57, s4
	s_add_u32 s48, s58, s48
	s_mul_i32 s4, s57, s4
	s_addc_u32 s23, s23, s61
	s_addc_u32 s48, s60, 0
	s_add_u32 s4, s23, s4
	s_addc_u32 s23, 0, s48
	s_mul_hi_u32 s48, s33, s4
	s_mul_i32 s4, s33, s4
	s_mul_i32 s23, s33, s23
	v_sub_co_u32 v2, s4, s56, s4
	s_add_i32 s48, s48, s23
	s_cmp_lg_u32 s4, 0
	s_delay_alu instid0(VALU_DEP_1) | instskip(SKIP_2) | instid1(VALU_DEP_1)
	v_sub_co_u32 v3, s4, v2, s33
	s_subb_u32 s23, s57, s48
	s_cmp_lg_u32 s4, 0
	v_cmp_le_u32_e32 vcc_lo, s33, v3
	v_sub_co_u32 v4, s4, v3, s33
	s_subb_u32 s48, s23, 0
	s_cmp_lg_u32 s4, 0
	v_cndmask_b32_e64 v5, 0, -1, vcc_lo
	s_subb_u32 s4, s48, 0
	s_cmp_eq_u32 s48, 0
	v_mov_b32_e32 v7, s4
	s_cselect_b32 vcc_lo, -1, 0
	s_cmp_eq_u32 s23, 0
	v_cndmask_b32_e32 v5, -1, v5, vcc_lo
	v_cmp_le_u32_e32 vcc_lo, s33, v2
	s_cselect_b32 s4, -1, 0
	v_cndmask_b32_e64 v6, 0, -1, vcc_lo
	s_delay_alu instid0(VALU_DEP_3) | instskip(NEXT) | instid1(VALU_DEP_2)
	v_cmp_ne_u32_e32 vcc_lo, 0, v5
	v_cndmask_b32_e64 v5, -1, v6, s4
	v_cndmask_b32_e32 v3, v3, v4, vcc_lo
	v_cndmask_b32_e32 v6, s48, v7, vcc_lo
	s_delay_alu instid0(VALU_DEP_3) | instskip(NEXT) | instid1(VALU_DEP_3)
	v_cmp_ne_u32_e32 vcc_lo, 0, v5
	v_cndmask_b32_e32 v2, v2, v3, vcc_lo
	s_delay_alu instid0(VALU_DEP_3) | instskip(NEXT) | instid1(VALU_DEP_2)
	v_cndmask_b32_e32 v4, s23, v6, vcc_lo
	v_xor_b32_e32 v2, s22, v2
	s_delay_alu instid0(VALU_DEP_2) | instskip(NEXT) | instid1(VALU_DEP_2)
	v_xor_b32_e32 v3, s22, v4
	v_sub_co_u32 v2, vcc_lo, v2, s22
	s_delay_alu instid0(VALU_DEP_2)
	v_subrev_co_ci_u32_e32 v3, vcc_lo, s22, v3, vcc_lo
	s_cbranch_execnz .LBB60_195
.LBB60_194:                             ;   in Loop: Header=BB60_8 Depth=1
	v_cvt_f32_u32_e32 v2, s33
	s_sub_i32 s4, 0, s33
	s_delay_alu instid0(VALU_DEP_1) | instskip(SKIP_2) | instid1(VALU_DEP_1)
	v_rcp_iflag_f32_e32 v2, v2
	s_waitcnt_depctr 0xfff
	v_mul_f32_e32 v2, 0x4f7ffffe, v2
	v_cvt_u32_f32_e32 v2, v2
	s_delay_alu instid0(VALU_DEP_1) | instskip(NEXT) | instid1(VALU_DEP_1)
	v_mul_lo_u32 v3, s4, v2
	v_mul_hi_u32 v3, v2, v3
	s_delay_alu instid0(VALU_DEP_1) | instskip(NEXT) | instid1(VALU_DEP_1)
	v_add_nc_u32_e32 v2, v2, v3
	v_mul_hi_u32 v2, s13, v2
	s_delay_alu instid0(VALU_DEP_1) | instskip(NEXT) | instid1(VALU_DEP_1)
	v_mul_lo_u32 v2, v2, s33
	v_sub_nc_u32_e32 v2, s13, v2
	s_delay_alu instid0(VALU_DEP_1) | instskip(SKIP_1) | instid1(VALU_DEP_2)
	v_subrev_nc_u32_e32 v3, s33, v2
	v_cmp_le_u32_e32 vcc_lo, s33, v2
	v_cndmask_b32_e32 v2, v2, v3, vcc_lo
	s_delay_alu instid0(VALU_DEP_1) | instskip(SKIP_1) | instid1(VALU_DEP_2)
	v_subrev_nc_u32_e32 v3, s33, v2
	v_cmp_le_u32_e32 vcc_lo, s33, v2
	v_cndmask_b32_e32 v12, v2, v3, vcc_lo
	s_delay_alu instid0(VALU_DEP_1)
	v_dual_mov_b32 v2, v12 :: v_dual_mov_b32 v3, v13
.LBB60_195:                             ;   in Loop: Header=BB60_8 Depth=1
	s_delay_alu instid0(VALU_DEP_1) | instskip(NEXT) | instid1(VALU_DEP_2)
	v_sub_co_u32 v2, vcc_lo, s13, v2
	v_sub_co_ci_u32_e32 v3, vcc_lo, s5, v3, vcc_lo
	s_mov_b32 s4, 0
	s_mov_b32 s5, exec_lo
                                        ; implicit-def: $vgpr41
	s_delay_alu instid0(VALU_DEP_1)
	v_cmpx_gt_i64_e64 v[2:3], v[0:1]
	s_cbranch_execz .LBB60_204
; %bb.196:                              ;   in Loop: Header=BB60_8 Depth=1
	v_dual_mov_b32 v6, v30 :: v_dual_mov_b32 v5, v1
	v_mov_b32_e32 v4, v0
	s_mov_b32 s13, 0
                                        ; implicit-def: $sgpr22
	s_set_inst_prefetch_distance 0x1
	s_branch .LBB60_198
	.p2align	6
.LBB60_197:                             ;   in Loop: Header=BB60_198 Depth=2
	s_or_b32 exec_lo, exec_lo, s4
	s_waitcnt lgkmcnt(0)
	s_barrier
	buffer_gl0_inv
	ds_load_b32 v7, v13 offset:3072
	v_add_co_u32 v4, vcc_lo, v4, s33
	v_add_co_ci_u32_e32 v5, vcc_lo, 0, v5, vcc_lo
	v_add_nc_u32_e32 v6, s77, v6
	s_waitcnt lgkmcnt(0)
	s_barrier
	s_delay_alu instid0(VALU_DEP_2) | instskip(SKIP_2) | instid1(VALU_DEP_1)
	v_cmp_ge_i64_e32 vcc_lo, v[4:5], v[2:3]
	buffer_gl0_inv
	v_cmp_neq_f16_e64 s4, 0, v7
	s_or_b32 s23, s4, vcc_lo
	s_delay_alu instid0(SALU_CYCLE_1) | instskip(NEXT) | instid1(SALU_CYCLE_1)
	s_and_b32 s23, exec_lo, s23
	s_or_b32 s13, s23, s13
	s_and_not1_b32 s22, s22, exec_lo
	s_and_b32 s4, s4, exec_lo
	s_delay_alu instid0(SALU_CYCLE_1)
	s_or_b32 s22, s22, s4
	s_and_not1_b32 exec_lo, exec_lo, s13
	s_cbranch_execz .LBB60_203
.LBB60_198:                             ;   Parent Loop BB60_8 Depth=1
                                        ; =>  This Inner Loop Header: Depth=2
	s_delay_alu instid0(VALU_DEP_1)
	v_cmp_gt_i64_e32 vcc_lo, s[10:11], v[4:5]
	v_mov_b32_e32 v7, 0
	s_and_saveexec_b32 s4, vcc_lo
	s_cbranch_execz .LBB60_200
; %bb.199:                              ;   in Loop: Header=BB60_198 Depth=2
	ds_load_u16 v7, v6
.LBB60_200:                             ;   in Loop: Header=BB60_198 Depth=2
	s_or_b32 exec_lo, exec_lo, s4
	s_and_saveexec_b32 s4, vcc_lo
	s_cbranch_execz .LBB60_197
; %bb.201:                              ;   in Loop: Header=BB60_198 Depth=2
	s_waitcnt lgkmcnt(0)
	v_cmp_lt_i16_e32 vcc_lo, -1, v7
	v_and_b32_e32 v8, 0xffff, v7
	v_cndmask_b32_e32 v9, 0xffff, v39, vcc_lo
	v_cmp_o_f16_e32 vcc_lo, v7, v7
	s_delay_alu instid0(VALU_DEP_2) | instskip(NEXT) | instid1(VALU_DEP_1)
	v_xor_b32_e32 v8, v9, v8
	v_cndmask_b32_e32 v8, 0xffff, v8, vcc_lo
	s_delay_alu instid0(VALU_DEP_1) | instskip(NEXT) | instid1(VALU_DEP_1)
	v_and_b32_e32 v8, s88, v8
	v_cmp_eq_u32_e32 vcc_lo, s89, v8
	s_and_b32 exec_lo, exec_lo, vcc_lo
	s_cbranch_execz .LBB60_197
; %bb.202:                              ;   in Loop: Header=BB60_198 Depth=2
	v_perm_b32 v7, v7, s78, 0x5040100
	ds_store_b32 v13, v7 offset:3072
	s_branch .LBB60_197
.LBB60_203:                             ;   in Loop: Header=BB60_8 Depth=1
	s_set_inst_prefetch_distance 0x2
	s_or_b32 exec_lo, exec_lo, s13
	v_lshrrev_b32_e32 v41, 16, v7
	s_and_b32 s4, s22, exec_lo
.LBB60_204:                             ;   in Loop: Header=BB60_8 Depth=1
	s_or_b32 exec_lo, exec_lo, s5
	s_mov_b32 s23, -1
	s_mov_b32 s13, 0
	s_mov_b32 s22, 0
.LBB60_205:                             ;   in Loop: Header=BB60_8 Depth=1
	s_mov_b32 s5, 0
                                        ; implicit-def: $sgpr48
	s_and_saveexec_b32 s10, s4
	s_cbranch_execz .LBB60_267
; %bb.206:                              ;   in Loop: Header=BB60_8 Depth=1
	s_xor_b32 s4, s44, -1
	s_mov_b32 s48, 1
	s_and_not1_b32 vcc_lo, exec_lo, s4
	s_cbranch_vccnz .LBB60_217
; %bb.207:                              ;   in Loop: Header=BB60_8 Depth=1
	v_cmp_gt_i64_e64 s4, s[26:27], s[8:9]
                                        ; implicit-def: $sgpr48
                                        ; implicit-def: $sgpr5
                                        ; implicit-def: $sgpr11
	s_delay_alu instid0(VALU_DEP_1)
	s_and_b32 vcc_lo, exec_lo, s4
	s_mov_b32 s4, -1
	s_cbranch_vccnz .LBB60_213
; %bb.208:                              ;   in Loop: Header=BB60_8 Depth=1
	ds_load_b64 v[2:3], v13 offset:5120
	s_waitcnt lgkmcnt(0)
	v_cmp_ne_u64_e32 vcc_lo, 0, v[2:3]
	s_cbranch_vccnz .LBB60_212
; %bb.209:                              ;   in Loop: Header=BB60_8 Depth=1
	s_and_saveexec_b32 s4, s0
	s_cbranch_execz .LBB60_211
; %bb.210:                              ;   in Loop: Header=BB60_8 Depth=1
	v_dual_mov_b32 v2, s8 :: v_dual_mov_b32 v3, s9
	ds_store_b64 v13, v[2:3] offset:5128
.LBB60_211:                             ;   in Loop: Header=BB60_8 Depth=1
	s_or_b32 exec_lo, exec_lo, s4
	s_waitcnt lgkmcnt(0)
	s_barrier
	buffer_gl0_inv
.LBB60_212:                             ;   in Loop: Header=BB60_8 Depth=1
	s_lshl_b32 s4, 2, s17
	s_and_b32 s5, s89, s18
	s_or_b32 s11, s88, s16
	s_or_b32 s5, s5, s4
	s_mov_b32 s4, 0
	s_mov_b32 s48, 8
.LBB60_213:                             ;   in Loop: Header=BB60_8 Depth=1
	s_and_not1_b32 vcc_lo, exec_lo, s4
	s_cbranch_vccnz .LBB60_215
; %bb.214:                              ;   in Loop: Header=BB60_8 Depth=1
	s_sub_u32 s26, s26, s8
	s_subb_u32 s27, s27, s9
	s_mov_b32 s4, -1
	s_mov_b32 s48, 0
	s_mov_b32 s5, s89
	;; [unrolled: 1-line block ×3, first 2 shown]
.LBB60_215:                             ;   in Loop: Header=BB60_8 Depth=1
	s_delay_alu instid0(SALU_CYCLE_1)
	s_mov_b32 s88, s11
	s_mov_b32 s89, s5
	s_and_not1_b32 vcc_lo, exec_lo, s4
	s_mov_b32 s9, -1
	s_cbranch_vccz .LBB60_218
.LBB60_216:                             ;   in Loop: Header=BB60_8 Depth=1
                                        ; implicit-def: $sgpr17
                                        ; implicit-def: $sgpr44
                                        ; implicit-def: $sgpr18
	s_branch .LBB60_266
.LBB60_217:                             ;   in Loop: Header=BB60_8 Depth=1
	s_mov_b64 s[26:27], 1
	s_mov_b32 s9, -1
	s_cbranch_execnz .LBB60_216
.LBB60_218:                             ;   in Loop: Header=BB60_8 Depth=1
	s_cmp_eq_u64 s[6:7], 1
	s_mov_b32 s56, -1
	s_cselect_b32 s4, -1, 0
	s_cmp_eq_u64 s[26:27], 1
	s_cselect_b32 s5, -1, 0
	s_delay_alu instid0(SALU_CYCLE_1) | instskip(NEXT) | instid1(SALU_CYCLE_1)
	s_and_b32 s11, s4, s5
	s_and_b32 vcc_lo, exec_lo, s11
	s_cbranch_vccz .LBB60_233
; %bb.219:                              ;   in Loop: Header=BB60_8 Depth=1
	ds_load_b64 v[2:3], v13 offset:5120
	s_waitcnt lgkmcnt(0)
	s_barrier
	buffer_gl0_inv
	v_readfirstlane_b32 s8, v2
	v_readfirstlane_b32 s9, v3
	s_and_saveexec_b32 s4, s2
	s_cbranch_execz .LBB60_221
; %bb.220:                              ;   in Loop: Header=BB60_8 Depth=1
	ds_store_b16 v31, v13
.LBB60_221:                             ;   in Loop: Header=BB60_8 Depth=1
	s_or_b32 exec_lo, exec_lo, s4
	s_delay_alu instid0(VALU_DEP_1)
	v_cmp_gt_i64_e64 s4, s[8:9], 0
	s_or_b32 s89, s89, s16
	s_or_b32 s88, s88, s16
	s_waitcnt lgkmcnt(0)
	s_barrier
	buffer_gl0_inv
	s_and_b32 vcc_lo, exec_lo, s4
	s_cbranch_vccnz .LBB60_236
; %bb.222:                              ;   in Loop: Header=BB60_8 Depth=1
	s_mov_b32 s48, s45
	s_delay_alu instid0(SALU_CYCLE_1)
	s_cmp_lg_u64 s[48:49], 0
	s_cbranch_scc0 .LBB60_272
; %bb.223:                              ;   in Loop: Header=BB60_8 Depth=1
	v_cvt_f32_u32_e32 v2, s33
	s_sub_u32 s17, 0, s33
	s_subb_u32 s18, 0, 0
	s_delay_alu instid0(VALU_DEP_1) | instskip(NEXT) | instid1(VALU_DEP_1)
	v_fmac_f32_e32 v2, 0x4f800000, v40
	v_rcp_f32_e32 v2, v2
	s_waitcnt_depctr 0xfff
	v_mul_f32_e32 v2, 0x5f7ffffc, v2
	s_delay_alu instid0(VALU_DEP_1) | instskip(NEXT) | instid1(VALU_DEP_1)
	v_mul_f32_e32 v3, 0x2f800000, v2
	v_trunc_f32_e32 v3, v3
	s_delay_alu instid0(VALU_DEP_1) | instskip(SKIP_1) | instid1(VALU_DEP_2)
	v_fmac_f32_e32 v2, 0xcf800000, v3
	v_cvt_u32_f32_e32 v3, v3
	v_cvt_u32_f32_e32 v2, v2
	s_delay_alu instid0(VALU_DEP_2) | instskip(NEXT) | instid1(VALU_DEP_2)
	v_readfirstlane_b32 s4, v3
	v_readfirstlane_b32 s5, v2
	s_delay_alu instid0(VALU_DEP_2) | instskip(NEXT) | instid1(VALU_DEP_1)
	s_mul_i32 s44, s17, s4
	s_mul_hi_u32 s56, s17, s5
	s_mul_i32 s48, s18, s5
	s_add_i32 s44, s56, s44
	s_mul_i32 s57, s17, s5
	s_add_i32 s44, s44, s48
	s_mul_hi_u32 s56, s5, s57
	s_mul_hi_u32 s58, s4, s57
	s_mul_i32 s48, s4, s57
	s_mul_hi_u32 s57, s5, s44
	s_mul_i32 s5, s5, s44
	s_mul_hi_u32 s59, s4, s44
	s_add_u32 s5, s56, s5
	s_addc_u32 s56, 0, s57
	s_add_u32 s5, s5, s48
	s_mul_i32 s44, s4, s44
	s_addc_u32 s5, s56, s58
	s_addc_u32 s48, s59, 0
	s_add_u32 s5, s5, s44
	s_addc_u32 s44, 0, s48
	v_add_co_u32 v2, s5, v2, s5
	s_delay_alu instid0(VALU_DEP_1) | instskip(SKIP_1) | instid1(VALU_DEP_1)
	s_cmp_lg_u32 s5, 0
	s_addc_u32 s4, s4, s44
	v_readfirstlane_b32 s5, v2
	s_mul_i32 s44, s17, s4
	s_delay_alu instid0(VALU_DEP_1)
	s_mul_hi_u32 s48, s17, s5
	s_mul_i32 s18, s18, s5
	s_add_i32 s44, s48, s44
	s_mul_i32 s17, s17, s5
	s_add_i32 s44, s44, s18
	s_mul_hi_u32 s48, s4, s17
	s_mul_i32 s56, s4, s17
	s_mul_hi_u32 s17, s5, s17
	s_mul_hi_u32 s57, s5, s44
	s_mul_i32 s5, s5, s44
	s_mul_hi_u32 s18, s4, s44
	s_add_u32 s5, s17, s5
	s_addc_u32 s17, 0, s57
	s_add_u32 s5, s5, s56
	s_mul_i32 s44, s4, s44
	s_addc_u32 s5, s17, s48
	s_addc_u32 s17, s18, 0
	s_add_u32 s5, s5, s44
	s_addc_u32 s17, 0, s17
	v_add_co_u32 v2, s5, v2, s5
	s_delay_alu instid0(VALU_DEP_1) | instskip(SKIP_2) | instid1(VALU_DEP_1)
	s_cmp_lg_u32 s5, 0
	s_addc_u32 s17, s4, s17
	s_ashr_i32 s56, s49, 31
	v_readfirstlane_b32 s18, v2
	s_add_u32 s4, s71, s56
	s_mov_b32 s57, s56
	s_addc_u32 s5, s49, s56
	s_delay_alu instid0(SALU_CYCLE_1) | instskip(NEXT) | instid1(SALU_CYCLE_1)
	s_xor_b64 s[4:5], s[4:5], s[56:57]
	s_mul_i32 s48, s4, s17
	s_mul_hi_u32 s57, s4, s18
	s_mul_hi_u32 s44, s4, s17
	;; [unrolled: 1-line block ×3, first 2 shown]
	s_mul_i32 s18, s5, s18
	s_add_u32 s48, s57, s48
	s_addc_u32 s44, 0, s44
	s_mul_hi_u32 s58, s5, s17
	s_add_u32 s18, s48, s18
	s_mul_i32 s17, s5, s17
	s_addc_u32 s18, s44, s59
	s_addc_u32 s44, s58, 0
	s_add_u32 s17, s18, s17
	s_addc_u32 s18, 0, s44
	s_mul_hi_u32 s44, s33, s17
	s_mul_i32 s17, s33, s17
	s_mul_i32 s18, s33, s18
	v_sub_co_u32 v2, s4, s4, s17
	s_add_i32 s44, s44, s18
	s_cmp_lg_u32 s4, 0
	s_delay_alu instid0(VALU_DEP_1) | instskip(SKIP_2) | instid1(VALU_DEP_1)
	v_sub_co_u32 v3, s4, v2, s33
	s_subb_u32 s5, s5, s44
	s_cmp_lg_u32 s4, 0
	v_cmp_le_u32_e32 vcc_lo, s33, v3
	v_sub_co_u32 v4, s4, v3, s33
	s_subb_u32 s17, s5, 0
	s_cmp_lg_u32 s4, 0
	v_cndmask_b32_e64 v5, 0, -1, vcc_lo
	s_subb_u32 s4, s17, 0
	s_cmp_eq_u32 s17, 0
	v_mov_b32_e32 v7, s4
	s_cselect_b32 vcc_lo, -1, 0
	s_cmp_eq_u32 s5, 0
	v_cndmask_b32_e32 v5, -1, v5, vcc_lo
	v_cmp_le_u32_e32 vcc_lo, s33, v2
	s_cselect_b32 s4, -1, 0
	v_cndmask_b32_e64 v6, 0, -1, vcc_lo
	s_delay_alu instid0(VALU_DEP_3) | instskip(NEXT) | instid1(VALU_DEP_2)
	v_cmp_ne_u32_e32 vcc_lo, 0, v5
	v_cndmask_b32_e64 v5, -1, v6, s4
	v_cndmask_b32_e32 v3, v3, v4, vcc_lo
	v_cndmask_b32_e32 v6, s17, v7, vcc_lo
	s_delay_alu instid0(VALU_DEP_3) | instskip(NEXT) | instid1(VALU_DEP_3)
	v_cmp_ne_u32_e32 vcc_lo, 0, v5
	v_cndmask_b32_e32 v2, v2, v3, vcc_lo
	s_delay_alu instid0(VALU_DEP_3) | instskip(NEXT) | instid1(VALU_DEP_2)
	v_cndmask_b32_e32 v4, s5, v6, vcc_lo
	v_xor_b32_e32 v2, s56, v2
	s_delay_alu instid0(VALU_DEP_2) | instskip(NEXT) | instid1(VALU_DEP_2)
	v_xor_b32_e32 v3, s56, v4
	v_sub_co_u32 v2, vcc_lo, v2, s56
	s_delay_alu instid0(VALU_DEP_2)
	v_subrev_co_ci_u32_e32 v3, vcc_lo, s56, v3, vcc_lo
	s_cbranch_execnz .LBB60_225
.LBB60_224:                             ;   in Loop: Header=BB60_8 Depth=1
	v_cvt_f32_u32_e32 v2, s33
	s_sub_i32 s4, 0, s33
	s_delay_alu instid0(VALU_DEP_1) | instskip(SKIP_2) | instid1(VALU_DEP_1)
	v_rcp_iflag_f32_e32 v2, v2
	s_waitcnt_depctr 0xfff
	v_mul_f32_e32 v2, 0x4f7ffffe, v2
	v_cvt_u32_f32_e32 v2, v2
	s_delay_alu instid0(VALU_DEP_1) | instskip(NEXT) | instid1(VALU_DEP_1)
	v_mul_lo_u32 v3, s4, v2
	v_mul_hi_u32 v3, v2, v3
	s_delay_alu instid0(VALU_DEP_1) | instskip(NEXT) | instid1(VALU_DEP_1)
	v_add_nc_u32_e32 v2, v2, v3
	v_mul_hi_u32 v2, s71, v2
	s_delay_alu instid0(VALU_DEP_1) | instskip(NEXT) | instid1(VALU_DEP_1)
	v_mul_lo_u32 v2, v2, s33
	v_sub_nc_u32_e32 v2, s71, v2
	s_delay_alu instid0(VALU_DEP_1) | instskip(SKIP_1) | instid1(VALU_DEP_2)
	v_subrev_nc_u32_e32 v3, s33, v2
	v_cmp_le_u32_e32 vcc_lo, s33, v2
	v_cndmask_b32_e32 v2, v2, v3, vcc_lo
	s_delay_alu instid0(VALU_DEP_1) | instskip(SKIP_1) | instid1(VALU_DEP_2)
	v_subrev_nc_u32_e32 v3, s33, v2
	v_cmp_le_u32_e32 vcc_lo, s33, v2
	v_cndmask_b32_e32 v12, v2, v3, vcc_lo
	s_delay_alu instid0(VALU_DEP_1)
	v_dual_mov_b32 v2, v12 :: v_dual_mov_b32 v3, v13
.LBB60_225:                             ;   in Loop: Header=BB60_8 Depth=1
	s_delay_alu instid0(VALU_DEP_1) | instskip(NEXT) | instid1(VALU_DEP_2)
	v_sub_co_u32 v2, vcc_lo, s71, v2
	v_sub_co_ci_u32_e32 v3, vcc_lo, s49, v3, vcc_lo
	s_mov_b32 s56, 0
	s_mov_b32 s5, exec_lo
                                        ; implicit-def: $vgpr41
	s_delay_alu instid0(VALU_DEP_1)
	v_cmpx_gt_i64_e64 v[2:3], v[0:1]
	s_cbranch_execz .LBB60_238
; %bb.226:                              ;   in Loop: Header=BB60_8 Depth=1
	v_dual_mov_b32 v4, v10 :: v_dual_mov_b32 v5, v11
	v_dual_mov_b32 v7, v1 :: v_dual_mov_b32 v6, v0
	s_mov_b32 s17, 0
                                        ; implicit-def: $sgpr18
	s_branch .LBB60_228
.LBB60_227:                             ;   in Loop: Header=BB60_228 Depth=2
	s_or_b32 exec_lo, exec_lo, s4
	s_waitcnt vmcnt(0) lgkmcnt(0)
	s_barrier
	buffer_gl0_inv
	ds_load_b32 v8, v13 offset:3072
	v_add_co_u32 v6, vcc_lo, v6, s33
	v_add_co_ci_u32_e32 v7, vcc_lo, 0, v7, vcc_lo
	s_waitcnt lgkmcnt(0)
	s_barrier
	buffer_gl0_inv
	v_cmp_ge_i64_e32 vcc_lo, v[6:7], v[2:3]
	v_cmp_neq_f16_e64 s4, 0, v8
	s_delay_alu instid0(VALU_DEP_1)
	s_or_b32 s44, s4, vcc_lo
	v_add_co_u32 v4, vcc_lo, v4, s42
	s_and_b32 s44, exec_lo, s44
	v_add_co_ci_u32_e32 v5, vcc_lo, s43, v5, vcc_lo
	s_or_b32 s17, s44, s17
	s_and_not1_b32 s18, s18, exec_lo
	s_and_b32 s4, s4, exec_lo
	s_delay_alu instid0(SALU_CYCLE_1)
	s_or_b32 s18, s18, s4
	s_and_not1_b32 exec_lo, exec_lo, s17
	s_cbranch_execz .LBB60_237
.LBB60_228:                             ;   Parent Loop BB60_8 Depth=1
                                        ; =>  This Inner Loop Header: Depth=2
	s_delay_alu instid0(VALU_DEP_1)
	v_cmp_gt_i64_e32 vcc_lo, s[24:25], v[6:7]
	v_mov_b32_e32 v8, 0
	s_and_saveexec_b32 s4, vcc_lo
	s_cbranch_execz .LBB60_230
; %bb.229:                              ;   in Loop: Header=BB60_228 Depth=2
	global_load_u16 v8, v[4:5], off
.LBB60_230:                             ;   in Loop: Header=BB60_228 Depth=2
	s_or_b32 exec_lo, exec_lo, s4
	s_and_saveexec_b32 s4, vcc_lo
	s_cbranch_execz .LBB60_227
; %bb.231:                              ;   in Loop: Header=BB60_228 Depth=2
	s_waitcnt vmcnt(0)
	v_cmp_lt_i16_e32 vcc_lo, -1, v8
	v_dual_cndmask_b32 v12, 0xffff, v39 :: v_dual_and_b32 v9, 0xffff, v8
	v_cmp_o_f16_e32 vcc_lo, v8, v8
	s_delay_alu instid0(VALU_DEP_2) | instskip(NEXT) | instid1(VALU_DEP_1)
	v_xor_b32_e32 v9, v12, v9
	v_cndmask_b32_e32 v9, 0xffff, v9, vcc_lo
	s_delay_alu instid0(VALU_DEP_1) | instskip(NEXT) | instid1(VALU_DEP_1)
	v_and_b32_e32 v9, s88, v9
	v_cmp_eq_u32_e32 vcc_lo, s89, v9
	s_and_b32 exec_lo, exec_lo, vcc_lo
	s_cbranch_execz .LBB60_227
; %bb.232:                              ;   in Loop: Header=BB60_228 Depth=2
	v_perm_b32 v8, v8, s78, 0x5040100
	ds_store_b32 v13, v8 offset:3072
	s_branch .LBB60_227
.LBB60_233:                             ;   in Loop: Header=BB60_8 Depth=1
                                        ; implicit-def: $sgpr17
                                        ; implicit-def: $sgpr44
                                        ; implicit-def: $sgpr18
	s_branch .LBB60_252
.LBB60_234:                             ;   in Loop: Header=BB60_8 Depth=1
                                        ; implicit-def: $vgpr2_vgpr3
	s_branch .LBB60_177
.LBB60_235:                             ;   in Loop: Header=BB60_8 Depth=1
                                        ; implicit-def: $vgpr2_vgpr3
	s_branch .LBB60_194
.LBB60_236:                             ;   in Loop: Header=BB60_8 Depth=1
	s_mov_b32 s17, -1
	s_mov_b32 s56, 0
                                        ; implicit-def: $sgpr18
                                        ; implicit-def: $vgpr41
	s_mov_b32 s44, s17
	s_cbranch_execnz .LBB60_239
	s_branch .LBB60_252
.LBB60_237:                             ;   in Loop: Header=BB60_8 Depth=1
	s_or_b32 exec_lo, exec_lo, s17
	v_lshrrev_b32_e32 v41, 16, v8
	s_and_b32 s56, s18, exec_lo
.LBB60_238:                             ;   in Loop: Header=BB60_8 Depth=1
	s_or_b32 exec_lo, exec_lo, s5
	s_mov_b32 s18, -1
	s_mov_b32 s17, 0
	s_delay_alu instid0(SALU_CYCLE_1)
	s_mov_b32 s44, s17
	s_branch .LBB60_252
.LBB60_239:                             ;   in Loop: Header=BB60_8 Depth=1
	s_add_u32 s17, s69, s8
	s_addc_u32 s5, s70, s9
	s_mov_b32 s4, s45
	s_delay_alu instid0(SALU_CYCLE_1)
	s_cmp_lg_u64 s[4:5], 0
	s_cbranch_scc0 .LBB60_273
; %bb.240:                              ;   in Loop: Header=BB60_8 Depth=1
	v_cvt_f32_u32_e32 v2, s33
	s_sub_u32 s44, 0, s33
	s_subb_u32 s48, 0, 0
	s_delay_alu instid0(VALU_DEP_1) | instskip(NEXT) | instid1(VALU_DEP_1)
	v_fmac_f32_e32 v2, 0x4f800000, v40
	v_rcp_f32_e32 v2, v2
	s_waitcnt_depctr 0xfff
	v_mul_f32_e32 v2, 0x5f7ffffc, v2
	s_delay_alu instid0(VALU_DEP_1) | instskip(NEXT) | instid1(VALU_DEP_1)
	v_mul_f32_e32 v3, 0x2f800000, v2
	v_trunc_f32_e32 v3, v3
	s_delay_alu instid0(VALU_DEP_1) | instskip(SKIP_1) | instid1(VALU_DEP_2)
	v_fmac_f32_e32 v2, 0xcf800000, v3
	v_cvt_u32_f32_e32 v3, v3
	v_cvt_u32_f32_e32 v2, v2
	s_delay_alu instid0(VALU_DEP_2) | instskip(NEXT) | instid1(VALU_DEP_2)
	v_readfirstlane_b32 s4, v3
	v_readfirstlane_b32 s18, v2
	s_delay_alu instid0(VALU_DEP_2) | instskip(NEXT) | instid1(VALU_DEP_1)
	s_mul_i32 s56, s44, s4
	s_mul_hi_u32 s58, s44, s18
	s_mul_i32 s57, s48, s18
	s_add_i32 s56, s58, s56
	s_mul_i32 s59, s44, s18
	s_add_i32 s56, s56, s57
	s_mul_hi_u32 s58, s18, s59
	s_mul_hi_u32 s60, s4, s59
	s_mul_i32 s57, s4, s59
	s_mul_hi_u32 s59, s18, s56
	s_mul_i32 s18, s18, s56
	s_mul_hi_u32 s61, s4, s56
	s_add_u32 s18, s58, s18
	s_addc_u32 s58, 0, s59
	s_add_u32 s18, s18, s57
	s_mul_i32 s56, s4, s56
	s_addc_u32 s18, s58, s60
	s_addc_u32 s57, s61, 0
	s_add_u32 s18, s18, s56
	s_addc_u32 s56, 0, s57
	v_add_co_u32 v2, s18, v2, s18
	s_delay_alu instid0(VALU_DEP_1) | instskip(SKIP_1) | instid1(VALU_DEP_1)
	s_cmp_lg_u32 s18, 0
	s_addc_u32 s4, s4, s56
	v_readfirstlane_b32 s18, v2
	s_mul_i32 s56, s44, s4
	s_delay_alu instid0(VALU_DEP_1)
	s_mul_hi_u32 s57, s44, s18
	s_mul_i32 s48, s48, s18
	s_add_i32 s56, s57, s56
	s_mul_i32 s44, s44, s18
	s_add_i32 s56, s56, s48
	s_mul_hi_u32 s57, s4, s44
	s_mul_i32 s58, s4, s44
	s_mul_hi_u32 s44, s18, s44
	s_mul_hi_u32 s59, s18, s56
	s_mul_i32 s18, s18, s56
	s_mul_hi_u32 s48, s4, s56
	s_add_u32 s18, s44, s18
	s_addc_u32 s44, 0, s59
	s_add_u32 s18, s18, s58
	s_mul_i32 s56, s4, s56
	s_addc_u32 s18, s44, s57
	s_addc_u32 s44, s48, 0
	s_add_u32 s18, s18, s56
	s_addc_u32 s44, 0, s44
	v_add_co_u32 v2, s18, v2, s18
	s_delay_alu instid0(VALU_DEP_1) | instskip(SKIP_2) | instid1(VALU_DEP_1)
	s_cmp_lg_u32 s18, 0
	s_addc_u32 s4, s4, s44
	s_ashr_i32 s56, s5, 31
	v_readfirstlane_b32 s18, v2
	s_add_u32 s58, s17, s56
	s_mov_b32 s57, s56
	s_addc_u32 s59, s5, s56
	s_delay_alu instid0(SALU_CYCLE_1) | instskip(NEXT) | instid1(SALU_CYCLE_1)
	s_xor_b64 s[58:59], s[58:59], s[56:57]
	s_mul_i32 s48, s58, s4
	s_mul_hi_u32 s57, s58, s18
	s_mul_hi_u32 s44, s58, s4
	;; [unrolled: 1-line block ×3, first 2 shown]
	s_mul_i32 s18, s59, s18
	s_add_u32 s48, s57, s48
	s_addc_u32 s44, 0, s44
	s_mul_hi_u32 s60, s59, s4
	s_add_u32 s18, s48, s18
	s_mul_i32 s4, s59, s4
	s_addc_u32 s18, s44, s61
	s_addc_u32 s44, s60, 0
	s_add_u32 s4, s18, s4
	s_addc_u32 s18, 0, s44
	s_mul_hi_u32 s44, s33, s4
	s_mul_i32 s4, s33, s4
	s_mul_i32 s18, s33, s18
	v_sub_co_u32 v2, s4, s58, s4
	s_add_i32 s44, s44, s18
	s_cmp_lg_u32 s4, 0
	s_delay_alu instid0(VALU_DEP_1) | instskip(SKIP_2) | instid1(VALU_DEP_1)
	v_sub_co_u32 v3, s4, v2, s33
	s_subb_u32 s18, s59, s44
	s_cmp_lg_u32 s4, 0
	v_cmp_le_u32_e32 vcc_lo, s33, v3
	v_sub_co_u32 v4, s4, v3, s33
	s_subb_u32 s44, s18, 0
	s_cmp_lg_u32 s4, 0
	v_cndmask_b32_e64 v5, 0, -1, vcc_lo
	s_subb_u32 s4, s44, 0
	s_cmp_eq_u32 s44, 0
	v_mov_b32_e32 v7, s4
	s_cselect_b32 vcc_lo, -1, 0
	s_cmp_eq_u32 s18, 0
	v_cndmask_b32_e32 v5, -1, v5, vcc_lo
	v_cmp_le_u32_e32 vcc_lo, s33, v2
	s_cselect_b32 s4, -1, 0
	v_cndmask_b32_e64 v6, 0, -1, vcc_lo
	s_delay_alu instid0(VALU_DEP_3) | instskip(NEXT) | instid1(VALU_DEP_2)
	v_cmp_ne_u32_e32 vcc_lo, 0, v5
	v_cndmask_b32_e64 v5, -1, v6, s4
	v_cndmask_b32_e32 v3, v3, v4, vcc_lo
	v_cndmask_b32_e32 v6, s44, v7, vcc_lo
	s_delay_alu instid0(VALU_DEP_3) | instskip(NEXT) | instid1(VALU_DEP_3)
	v_cmp_ne_u32_e32 vcc_lo, 0, v5
	v_cndmask_b32_e32 v2, v2, v3, vcc_lo
	s_delay_alu instid0(VALU_DEP_3) | instskip(NEXT) | instid1(VALU_DEP_2)
	v_cndmask_b32_e32 v4, s18, v6, vcc_lo
	v_xor_b32_e32 v2, s56, v2
	s_delay_alu instid0(VALU_DEP_2) | instskip(NEXT) | instid1(VALU_DEP_2)
	v_xor_b32_e32 v3, s56, v4
	v_sub_co_u32 v2, vcc_lo, v2, s56
	s_delay_alu instid0(VALU_DEP_2)
	v_subrev_co_ci_u32_e32 v3, vcc_lo, s56, v3, vcc_lo
	s_cbranch_execnz .LBB60_242
.LBB60_241:                             ;   in Loop: Header=BB60_8 Depth=1
	v_cvt_f32_u32_e32 v2, s33
	s_sub_i32 s4, 0, s33
	s_delay_alu instid0(VALU_DEP_1) | instskip(SKIP_2) | instid1(VALU_DEP_1)
	v_rcp_iflag_f32_e32 v2, v2
	s_waitcnt_depctr 0xfff
	v_mul_f32_e32 v2, 0x4f7ffffe, v2
	v_cvt_u32_f32_e32 v2, v2
	s_delay_alu instid0(VALU_DEP_1) | instskip(NEXT) | instid1(VALU_DEP_1)
	v_mul_lo_u32 v3, s4, v2
	v_mul_hi_u32 v3, v2, v3
	s_delay_alu instid0(VALU_DEP_1) | instskip(NEXT) | instid1(VALU_DEP_1)
	v_add_nc_u32_e32 v2, v2, v3
	v_mul_hi_u32 v2, s17, v2
	s_delay_alu instid0(VALU_DEP_1) | instskip(NEXT) | instid1(VALU_DEP_1)
	v_mul_lo_u32 v2, v2, s33
	v_sub_nc_u32_e32 v2, s17, v2
	s_delay_alu instid0(VALU_DEP_1) | instskip(SKIP_1) | instid1(VALU_DEP_2)
	v_subrev_nc_u32_e32 v3, s33, v2
	v_cmp_le_u32_e32 vcc_lo, s33, v2
	v_cndmask_b32_e32 v2, v2, v3, vcc_lo
	s_delay_alu instid0(VALU_DEP_1) | instskip(SKIP_1) | instid1(VALU_DEP_2)
	v_subrev_nc_u32_e32 v3, s33, v2
	v_cmp_le_u32_e32 vcc_lo, s33, v2
	v_cndmask_b32_e32 v12, v2, v3, vcc_lo
	s_delay_alu instid0(VALU_DEP_1)
	v_dual_mov_b32 v2, v12 :: v_dual_mov_b32 v3, v13
.LBB60_242:                             ;   in Loop: Header=BB60_8 Depth=1
	s_delay_alu instid0(VALU_DEP_1) | instskip(NEXT) | instid1(VALU_DEP_2)
	v_sub_co_u32 v2, vcc_lo, s17, v2
	v_sub_co_ci_u32_e32 v3, vcc_lo, s5, v3, vcc_lo
	s_mov_b32 s56, 0
	s_mov_b32 s5, exec_lo
                                        ; implicit-def: $vgpr41
	s_delay_alu instid0(VALU_DEP_1)
	v_cmpx_gt_i64_e64 v[2:3], v[0:1]
	s_cbranch_execz .LBB60_251
; %bb.243:                              ;   in Loop: Header=BB60_8 Depth=1
	v_dual_mov_b32 v6, v30 :: v_dual_mov_b32 v5, v1
	v_mov_b32_e32 v4, v0
	s_mov_b32 s17, 0
                                        ; implicit-def: $sgpr18
	s_set_inst_prefetch_distance 0x1
	s_branch .LBB60_245
	.p2align	6
.LBB60_244:                             ;   in Loop: Header=BB60_245 Depth=2
	s_or_b32 exec_lo, exec_lo, s4
	s_waitcnt lgkmcnt(0)
	s_barrier
	buffer_gl0_inv
	ds_load_b32 v7, v13 offset:3072
	v_add_co_u32 v4, vcc_lo, v4, s33
	v_add_co_ci_u32_e32 v5, vcc_lo, 0, v5, vcc_lo
	v_add_nc_u32_e32 v6, s77, v6
	s_waitcnt lgkmcnt(0)
	s_barrier
	s_delay_alu instid0(VALU_DEP_2) | instskip(SKIP_2) | instid1(VALU_DEP_1)
	v_cmp_ge_i64_e32 vcc_lo, v[4:5], v[2:3]
	buffer_gl0_inv
	v_cmp_neq_f16_e64 s4, 0, v7
	s_or_b32 s44, s4, vcc_lo
	s_delay_alu instid0(SALU_CYCLE_1) | instskip(NEXT) | instid1(SALU_CYCLE_1)
	s_and_b32 s44, exec_lo, s44
	s_or_b32 s17, s44, s17
	s_and_not1_b32 s18, s18, exec_lo
	s_and_b32 s4, s4, exec_lo
	s_delay_alu instid0(SALU_CYCLE_1)
	s_or_b32 s18, s18, s4
	s_and_not1_b32 exec_lo, exec_lo, s17
	s_cbranch_execz .LBB60_250
.LBB60_245:                             ;   Parent Loop BB60_8 Depth=1
                                        ; =>  This Inner Loop Header: Depth=2
	s_delay_alu instid0(VALU_DEP_1)
	v_cmp_gt_i64_e32 vcc_lo, s[8:9], v[4:5]
	v_mov_b32_e32 v7, 0
	s_and_saveexec_b32 s4, vcc_lo
	s_cbranch_execz .LBB60_247
; %bb.246:                              ;   in Loop: Header=BB60_245 Depth=2
	ds_load_u16 v7, v6
.LBB60_247:                             ;   in Loop: Header=BB60_245 Depth=2
	s_or_b32 exec_lo, exec_lo, s4
	s_and_saveexec_b32 s4, vcc_lo
	s_cbranch_execz .LBB60_244
; %bb.248:                              ;   in Loop: Header=BB60_245 Depth=2
	s_waitcnt lgkmcnt(0)
	v_cmp_lt_i16_e32 vcc_lo, -1, v7
	v_and_b32_e32 v8, 0xffff, v7
	v_cndmask_b32_e32 v9, 0xffff, v39, vcc_lo
	v_cmp_o_f16_e32 vcc_lo, v7, v7
	s_delay_alu instid0(VALU_DEP_2) | instskip(NEXT) | instid1(VALU_DEP_1)
	v_xor_b32_e32 v8, v9, v8
	v_cndmask_b32_e32 v8, 0xffff, v8, vcc_lo
	s_delay_alu instid0(VALU_DEP_1) | instskip(NEXT) | instid1(VALU_DEP_1)
	v_and_b32_e32 v8, s88, v8
	v_cmp_eq_u32_e32 vcc_lo, s89, v8
	s_and_b32 exec_lo, exec_lo, vcc_lo
	s_cbranch_execz .LBB60_244
; %bb.249:                              ;   in Loop: Header=BB60_245 Depth=2
	v_perm_b32 v7, v7, s78, 0x5040100
	ds_store_b32 v13, v7 offset:3072
	s_branch .LBB60_244
.LBB60_250:                             ;   in Loop: Header=BB60_8 Depth=1
	s_set_inst_prefetch_distance 0x2
	s_or_b32 exec_lo, exec_lo, s17
	v_lshrrev_b32_e32 v41, 16, v7
	s_and_b32 s56, s18, exec_lo
.LBB60_251:                             ;   in Loop: Header=BB60_8 Depth=1
	s_or_b32 exec_lo, exec_lo, s5
	s_mov_b32 s44, -1
	s_mov_b32 s17, 0
	s_mov_b32 s18, 0
.LBB60_252:                             ;   in Loop: Header=BB60_8 Depth=1
	s_mov_b32 s9, 0
                                        ; implicit-def: $sgpr48
                                        ; implicit-def: $sgpr4_sgpr5
	s_and_saveexec_b32 s8, s56
	s_cbranch_execz .LBB60_265
; %bb.253:                              ;   in Loop: Header=BB60_8 Depth=1
	s_xor_b32 s9, s11, -1
	s_mov_b64 s[4:5], 1
	s_and_not1_b32 vcc_lo, exec_lo, s9
	s_mov_b32 s48, 1
	s_cbranch_vccnz .LBB60_264
; %bb.254:                              ;   in Loop: Header=BB60_8 Depth=1
	v_cmp_gt_i64_e64 s4, s[26:27], s[6:7]
	s_delay_alu instid0(VALU_DEP_1)
	s_and_b32 vcc_lo, exec_lo, s4
	s_cbranch_vccnz .LBB60_260
; %bb.255:                              ;   in Loop: Header=BB60_8 Depth=1
	ds_load_b64 v[2:3], v13 offset:5120
	s_waitcnt lgkmcnt(0)
	v_cmp_ne_u64_e32 vcc_lo, 0, v[2:3]
	s_cbranch_vccnz .LBB60_259
; %bb.256:                              ;   in Loop: Header=BB60_8 Depth=1
	s_and_saveexec_b32 s4, s0
	s_cbranch_execz .LBB60_258
; %bb.257:                              ;   in Loop: Header=BB60_8 Depth=1
	v_dual_mov_b32 v2, s6 :: v_dual_mov_b32 v3, s7
	ds_store_b64 v13, v[2:3] offset:5128
.LBB60_258:                             ;   in Loop: Header=BB60_8 Depth=1
	s_or_b32 exec_lo, exec_lo, s4
	s_waitcnt lgkmcnt(0)
	s_barrier
	buffer_gl0_inv
.LBB60_259:                             ;   in Loop: Header=BB60_8 Depth=1
	s_or_b32 s9, s89, s16
	s_or_b32 s11, s88, s16
	s_mov_b32 s4, 0
	s_mov_b32 s48, 8
	s_branch .LBB60_261
.LBB60_260:                             ;   in Loop: Header=BB60_8 Depth=1
	s_mov_b32 s4, -1
                                        ; implicit-def: $sgpr48
                                        ; implicit-def: $sgpr9
                                        ; implicit-def: $sgpr11
.LBB60_261:                             ;   in Loop: Header=BB60_8 Depth=1
	s_delay_alu instid0(SALU_CYCLE_1)
	s_and_not1_b32 vcc_lo, exec_lo, s4
	s_cbranch_vccnz .LBB60_263
; %bb.262:                              ;   in Loop: Header=BB60_8 Depth=1
	s_sub_u32 s26, s26, s6
	s_subb_u32 s27, s27, s7
	s_mov_b32 s48, 8
	s_mov_b32 s9, s89
	;; [unrolled: 1-line block ×3, first 2 shown]
.LBB60_263:                             ;   in Loop: Header=BB60_8 Depth=1
	s_mov_b64 s[4:5], s[26:27]
	s_mov_b32 s89, s9
	s_mov_b32 s88, s11
.LBB60_264:                             ;   in Loop: Header=BB60_8 Depth=1
	s_mov_b32 s9, exec_lo
.LBB60_265:                             ;   in Loop: Header=BB60_8 Depth=1
	s_or_b32 exec_lo, exec_lo, s8
	s_mov_b64 s[26:27], s[4:5]
.LBB60_266:                             ;   in Loop: Header=BB60_8 Depth=1
	s_and_not1_b32 s4, s13, exec_lo
	s_and_b32 s5, s17, exec_lo
	s_and_not1_b32 s6, s22, exec_lo
	s_or_b32 s13, s4, s5
	s_and_not1_b32 s4, s23, exec_lo
	s_and_b32 s5, s44, exec_lo
	s_and_b32 s7, s18, exec_lo
	s_or_b32 s23, s4, s5
	s_or_b32 s22, s6, s7
	s_and_b32 s5, s9, exec_lo
.LBB60_267:                             ;   in Loop: Header=BB60_8 Depth=1
	s_or_b32 exec_lo, exec_lo, s10
.LBB60_268:                             ;   in Loop: Header=BB60_8 Depth=1
	s_delay_alu instid0(SALU_CYCLE_1)
	s_and_not1_b32 s4, s20, exec_lo
	s_and_b32 s6, s13, exec_lo
	s_and_not1_b32 s7, s19, exec_lo
	s_or_b32 s20, s4, s6
	s_and_not1_b32 s4, s21, exec_lo
	s_and_b32 s6, s23, exec_lo
	s_and_b32 s8, s22, exec_lo
	s_or_b32 s21, s4, s6
	s_or_b32 s19, s7, s8
	s_and_b32 s5, s5, exec_lo
.LBB60_269:                             ;   in Loop: Header=BB60_8 Depth=1
	s_or_b32 exec_lo, exec_lo, s12
	s_and_saveexec_b32 s4, s5
	s_delay_alu instid0(SALU_CYCLE_1)
	s_xor_b32 s4, exec_lo, s4
	s_cbranch_execz .LBB60_6
.LBB60_270:                             ;   in Loop: Header=BB60_8 Depth=1
	s_and_b32 s5, s48, -9
	s_delay_alu instid0(SALU_CYCLE_1)
	s_cmp_eq_u32 s5, 0
	s_cbranch_scc1 .LBB60_4
; %bb.271:                              ;   in Loop: Header=BB60_8 Depth=1
	s_mov_b32 s5, -1
	s_mov_b32 s6, -1
                                        ; implicit-def: $sgpr88
                                        ; implicit-def: $sgpr82
                                        ; implicit-def: $sgpr84
	s_branch .LBB60_5
.LBB60_272:                             ;   in Loop: Header=BB60_8 Depth=1
                                        ; implicit-def: $vgpr2_vgpr3
	s_branch .LBB60_224
.LBB60_273:                             ;   in Loop: Header=BB60_8 Depth=1
                                        ; implicit-def: $vgpr2_vgpr3
	s_branch .LBB60_241
.LBB60_274:
	s_or_b32 exec_lo, exec_lo, s79
	s_xor_b32 s5, s83, -1
	s_xor_b32 s2, s80, -1
	;; [unrolled: 1-line block ×3, first 2 shown]
	s_mov_b32 s3, 0
	s_and_saveexec_b32 s6, s2
	s_delay_alu instid0(SALU_CYCLE_1)
	s_xor_b32 s2, exec_lo, s6
	s_cbranch_execz .LBB60_297
; %bb.275:
	s_and_saveexec_b32 s3, s5
	s_delay_alu instid0(SALU_CYCLE_1)
	s_xor_b32 s3, exec_lo, s3
	s_cbranch_execz .LBB60_295
; %bb.276:
	s_and_saveexec_b32 s5, s4
	s_delay_alu instid0(SALU_CYCLE_1)
	s_xor_b32 s4, exec_lo, s5
; %bb.277:
	v_and_b32_e32 v3, 0x8000, v2
	v_mov_b32_e32 v4, 0xffff
	s_delay_alu instid0(VALU_DEP_2) | instskip(NEXT) | instid1(VALU_DEP_2)
	v_cmp_eq_u32_e32 vcc_lo, 0, v3
	v_cndmask_b32_e32 v3, 0x8000, v4, vcc_lo
	s_delay_alu instid0(VALU_DEP_1)
	v_xor_b32_e32 v41, v3, v2
; %bb.278:
	s_or_b32 exec_lo, exec_lo, s4
	s_and_saveexec_b32 s4, s0
	s_cbranch_execz .LBB60_280
; %bb.279:
	v_dual_mov_b32 v2, 0 :: v_dual_mov_b32 v3, s24
	ds_store_b32 v2, v3 offset:5140
.LBB60_280:
	s_or_b32 exec_lo, exec_lo, s4
	s_waitcnt lgkmcnt(0)
	s_barrier
	buffer_gl0_inv
	s_and_saveexec_b32 s4, s1
	s_cbranch_execz .LBB60_292
; %bb.281:
	v_mov_b32_e32 v2, 0
	v_cmp_u_f16_e32 vcc_lo, v41, v41
	s_mov_b32 s5, 0
                                        ; implicit-def: $sgpr7
                                        ; implicit-def: $sgpr8
                                        ; implicit-def: $sgpr9
	ds_load_b32 v4, v2 offset:5140
	s_xor_b32 s6, vcc_lo, -1
	s_waitcnt lgkmcnt(0)
	v_ashrrev_i32_e32 v5, 31, v4
	s_set_inst_prefetch_distance 0x1
	s_branch .LBB60_284
	.p2align	6
.LBB60_282:                             ;   in Loop: Header=BB60_284 Depth=1
	s_or_b32 exec_lo, exec_lo, s13
	s_delay_alu instid0(SALU_CYCLE_1)
	s_and_not1_b32 s1, s9, exec_lo
	s_and_b32 s9, s11, exec_lo
	s_and_not1_b32 s8, s8, exec_lo
	s_and_b32 s11, s12, exec_lo
	s_or_b32 s9, s1, s9
	s_or_b32 s8, s8, s11
.LBB60_283:                             ;   in Loop: Header=BB60_284 Depth=1
	s_or_b32 exec_lo, exec_lo, s10
	s_delay_alu instid0(SALU_CYCLE_1) | instskip(NEXT) | instid1(SALU_CYCLE_1)
	s_and_b32 s1, exec_lo, s8
	s_or_b32 s5, s1, s5
	s_and_not1_b32 s1, s7, exec_lo
	s_and_b32 s7, s9, exec_lo
	s_delay_alu instid0(SALU_CYCLE_1)
	s_or_b32 s7, s1, s7
	s_and_not1_b32 exec_lo, exec_lo, s5
	s_cbranch_execz .LBB60_287
.LBB60_284:                             ; =>This Inner Loop Header: Depth=1
	v_dual_mov_b32 v3, v1 :: v_dual_mov_b32 v2, v0
	s_or_b32 s9, s9, exec_lo
	s_or_b32 s8, s8, exec_lo
	s_mov_b32 s10, exec_lo
                                        ; implicit-def: $vgpr0_vgpr1
	s_delay_alu instid0(VALU_DEP_1)
	v_cmpx_lt_i64_e64 v[2:3], v[4:5]
	s_cbranch_execz .LBB60_283
; %bb.285:                              ;   in Loop: Header=BB60_284 Depth=1
	global_load_u16 v0, v[10:11], off
	s_mov_b32 s12, -1
	s_waitcnt vmcnt(0)
	v_cmp_o_f16_e32 vcc_lo, v0, v0
	v_cmp_neq_f16_e64 s1, v0, v41
                                        ; implicit-def: $vgpr0_vgpr1
	s_or_b32 s11, s6, vcc_lo
	s_delay_alu instid0(VALU_DEP_1) | instid1(SALU_CYCLE_1)
	s_and_b32 s1, s1, s11
	s_mov_b32 s11, 0
	s_and_saveexec_b32 s13, s1
	s_cbranch_execz .LBB60_282
; %bb.286:                              ;   in Loop: Header=BB60_284 Depth=1
	v_add_co_u32 v0, vcc_lo, v2, s33
	v_add_co_ci_u32_e32 v1, vcc_lo, 0, v3, vcc_lo
	v_add_co_u32 v10, s1, v10, s42
	s_mov_b32 s11, exec_lo
	s_delay_alu instid0(VALU_DEP_2)
	v_cmp_le_i64_e32 vcc_lo, s[24:25], v[0:1]
	v_add_co_ci_u32_e64 v11, s1, s43, v11, s1
	s_or_not1_b32 s12, vcc_lo, exec_lo
	s_branch .LBB60_282
.LBB60_287:
	s_set_inst_prefetch_distance 0x2
	s_or_b32 exec_lo, exec_lo, s5
	s_xor_b32 s1, s7, -1
	s_delay_alu instid0(SALU_CYCLE_1) | instskip(NEXT) | instid1(SALU_CYCLE_1)
	s_and_saveexec_b32 s5, s1
	s_xor_b32 s5, exec_lo, s5
	s_cbranch_execz .LBB60_292
; %bb.288:
	s_mov_b32 s5, exec_lo
	s_brev_b32 s1, -2
.LBB60_289:                             ; =>This Inner Loop Header: Depth=1
	s_ctz_i32_b32 s6, s5
	s_delay_alu instid0(SALU_CYCLE_1) | instskip(SKIP_1) | instid1(SALU_CYCLE_1)
	v_readlane_b32 s7, v2, s6
	s_lshl_b32 s6, 1, s6
	s_and_not1_b32 s5, s5, s6
	s_delay_alu instid0(VALU_DEP_1)
	s_min_i32 s1, s1, s7
	s_cmp_lg_u32 s5, 0
	s_cbranch_scc1 .LBB60_289
; %bb.290:
	v_mbcnt_lo_u32_b32 v0, exec_lo, 0
	s_mov_b32 s5, exec_lo
	s_delay_alu instid0(VALU_DEP_1)
	v_cmpx_eq_u32_e32 0, v0
	s_xor_b32 s5, exec_lo, s5
	s_cbranch_execz .LBB60_292
; %bb.291:
	v_dual_mov_b32 v0, 0 :: v_dual_mov_b32 v1, s1
	ds_min_i32 v0, v1 offset:5140
.LBB60_292:
	s_or_b32 exec_lo, exec_lo, s4
	s_waitcnt lgkmcnt(0)
	s_barrier
	buffer_gl0_inv
	s_and_saveexec_b32 s1, s0
	s_cbranch_execz .LBB60_294
; %bb.293:
	v_mov_b32_e32 v2, 0
	s_mul_i32 s0, s41, s34
	s_mul_hi_u32 s5, s40, s34
	s_mul_i32 s4, s40, s34
	s_add_i32 s5, s5, s0
	ds_load_b32 v0, v2 offset:5140
	s_mul_i32 s7, s39, s34
	s_mul_hi_u32 s8, s38, s34
	s_lshl_b64 s[4:5], s[4:5], 1
	s_mul_i32 s6, s38, s34
	s_add_i32 s7, s8, s7
	s_add_u32 s4, s36, s4
	s_addc_u32 s5, s37, s5
	s_lshl_b64 s[6:7], s[6:7], 3
	s_delay_alu instid0(SALU_CYCLE_1)
	s_add_u32 s6, s28, s6
	s_addc_u32 s7, s29, s7
	s_waitcnt lgkmcnt(0)
	v_ashrrev_i32_e32 v1, 31, v0
	s_clause 0x1
	global_store_b64 v2, v[0:1], s[6:7]
	global_store_b16 v2, v41, s[4:5]
.LBB60_294:
	s_or_b32 exec_lo, exec_lo, s1
.LBB60_295:
	s_or_saveexec_b32 s0, s3
	s_mov_b32 s1, 0
	s_xor_b32 exec_lo, exec_lo, s0
	s_cbranch_execnz .LBB60_303
.LBB60_296:
	s_or_b32 exec_lo, exec_lo, s0
	s_delay_alu instid0(SALU_CYCLE_1)
	s_and_b32 s3, s1, exec_lo
.LBB60_297:
	s_and_not1_saveexec_b32 s0, s2
	s_cbranch_execnz .LBB60_301
; %bb.298:
	s_or_b32 exec_lo, exec_lo, s0
	s_and_saveexec_b32 s0, s3
.LBB60_299:
	; divergent unreachable
.LBB60_300:
	s_nop 0
	s_sendmsg sendmsg(MSG_DEALLOC_VGPRS)
	s_endpgm
.LBB60_301:
	s_cbranch_execnz .LBB60_305
; %bb.302:
	s_or_b32 s3, s3, exec_lo
	s_or_b32 exec_lo, exec_lo, s0
	s_and_saveexec_b32 s0, s3
	s_cbranch_execnz .LBB60_299
	s_branch .LBB60_300
.LBB60_303:
	s_cbranch_execnz .LBB60_307
; %bb.304:
	s_mov_b32 s1, exec_lo
	s_branch .LBB60_296
.LBB60_305:
	s_trap 2
	s_sendmsg_rtn_b32 s0, sendmsg(MSG_RTN_GET_DOORBELL)
	s_mov_b32 ttmp2, m0
	s_waitcnt lgkmcnt(0)
	s_and_b32 s0, s0, 0x3ff
	s_delay_alu instid0(SALU_CYCLE_1) | instskip(NEXT) | instid1(SALU_CYCLE_1)
	s_bitset1_b32 s0, 10
	s_mov_b32 m0, s0
	s_sendmsg sendmsg(MSG_INTERRUPT)
	s_mov_b32 m0, ttmp2
.LBB60_306:                             ; =>This Inner Loop Header: Depth=1
	s_sethalt 5
	s_branch .LBB60_306
.LBB60_307:
	s_trap 2
	s_sendmsg_rtn_b32 s0, sendmsg(MSG_RTN_GET_DOORBELL)
	s_mov_b32 ttmp2, m0
	s_waitcnt lgkmcnt(0)
	s_and_b32 s0, s0, 0x3ff
	s_delay_alu instid0(SALU_CYCLE_1) | instskip(NEXT) | instid1(SALU_CYCLE_1)
	s_bitset1_b32 s0, 10
	s_mov_b32 m0, s0
	s_sendmsg sendmsg(MSG_INTERRUPT)
	s_mov_b32 m0, ttmp2
.LBB60_308:                             ; =>This Inner Loop Header: Depth=1
	s_sethalt 5
	s_branch .LBB60_308
	.section	.rodata,"a",@progbits
	.p2align	6, 0x0
	.amdhsa_kernel _ZN2at6native12_GLOBAL__N_114gatherKthValueIN3c104HalfElLi1EEEvNS_4cuda6detail10TensorInfoIKT_T0_EESA_SA_SA_SA_NS7_IS8_SA_EENS7_IlSA_EE
		.amdhsa_group_segment_fixed_size 5144
		.amdhsa_private_segment_fixed_size 0
		.amdhsa_kernarg_size 1536
		.amdhsa_user_sgpr_count 13
		.amdhsa_user_sgpr_dispatch_ptr 0
		.amdhsa_user_sgpr_queue_ptr 0
		.amdhsa_user_sgpr_kernarg_segment_ptr 1
		.amdhsa_user_sgpr_dispatch_id 0
		.amdhsa_user_sgpr_private_segment_size 0
		.amdhsa_wavefront_size32 1
		.amdhsa_uses_dynamic_stack 0
		.amdhsa_enable_private_segment 0
		.amdhsa_system_sgpr_workgroup_id_x 1
		.amdhsa_system_sgpr_workgroup_id_y 1
		.amdhsa_system_sgpr_workgroup_id_z 1
		.amdhsa_system_sgpr_workgroup_info 0
		.amdhsa_system_vgpr_workitem_id 0
		.amdhsa_next_free_vgpr 46
		.amdhsa_next_free_sgpr 94
		.amdhsa_reserve_vcc 1
		.amdhsa_float_round_mode_32 0
		.amdhsa_float_round_mode_16_64 0
		.amdhsa_float_denorm_mode_32 3
		.amdhsa_float_denorm_mode_16_64 3
		.amdhsa_dx10_clamp 1
		.amdhsa_ieee_mode 1
		.amdhsa_fp16_overflow 0
		.amdhsa_workgroup_processor_mode 1
		.amdhsa_memory_ordered 1
		.amdhsa_forward_progress 0
		.amdhsa_shared_vgpr_count 0
		.amdhsa_exception_fp_ieee_invalid_op 0
		.amdhsa_exception_fp_denorm_src 0
		.amdhsa_exception_fp_ieee_div_zero 0
		.amdhsa_exception_fp_ieee_overflow 0
		.amdhsa_exception_fp_ieee_underflow 0
		.amdhsa_exception_fp_ieee_inexact 0
		.amdhsa_exception_int_div_zero 0
	.end_amdhsa_kernel
	.section	.text._ZN2at6native12_GLOBAL__N_114gatherKthValueIN3c104HalfElLi1EEEvNS_4cuda6detail10TensorInfoIKT_T0_EESA_SA_SA_SA_NS7_IS8_SA_EENS7_IlSA_EE,"axG",@progbits,_ZN2at6native12_GLOBAL__N_114gatherKthValueIN3c104HalfElLi1EEEvNS_4cuda6detail10TensorInfoIKT_T0_EESA_SA_SA_SA_NS7_IS8_SA_EENS7_IlSA_EE,comdat
.Lfunc_end60:
	.size	_ZN2at6native12_GLOBAL__N_114gatherKthValueIN3c104HalfElLi1EEEvNS_4cuda6detail10TensorInfoIKT_T0_EESA_SA_SA_SA_NS7_IS8_SA_EENS7_IlSA_EE, .Lfunc_end60-_ZN2at6native12_GLOBAL__N_114gatherKthValueIN3c104HalfElLi1EEEvNS_4cuda6detail10TensorInfoIKT_T0_EESA_SA_SA_SA_NS7_IS8_SA_EENS7_IlSA_EE
                                        ; -- End function
	.section	.AMDGPU.csdata,"",@progbits
; Kernel info:
; codeLenInByte = 17744
; NumSgprs: 96
; NumVgprs: 46
; ScratchSize: 0
; MemoryBound: 0
; FloatMode: 240
; IeeeMode: 1
; LDSByteSize: 5144 bytes/workgroup (compile time only)
; SGPRBlocks: 11
; VGPRBlocks: 5
; NumSGPRsForWavesPerEU: 96
; NumVGPRsForWavesPerEU: 46
; Occupancy: 16
; WaveLimiterHint : 1
; COMPUTE_PGM_RSRC2:SCRATCH_EN: 0
; COMPUTE_PGM_RSRC2:USER_SGPR: 13
; COMPUTE_PGM_RSRC2:TRAP_HANDLER: 0
; COMPUTE_PGM_RSRC2:TGID_X_EN: 1
; COMPUTE_PGM_RSRC2:TGID_Y_EN: 1
; COMPUTE_PGM_RSRC2:TGID_Z_EN: 1
; COMPUTE_PGM_RSRC2:TIDIG_COMP_CNT: 0
	.section	.text._ZN2at6native12_GLOBAL__N_114gatherKthValueIN3c104HalfElLi2EEEvNS_4cuda6detail10TensorInfoIKT_T0_EESA_SA_SA_SA_NS7_IS8_SA_EENS7_IlSA_EE,"axG",@progbits,_ZN2at6native12_GLOBAL__N_114gatherKthValueIN3c104HalfElLi2EEEvNS_4cuda6detail10TensorInfoIKT_T0_EESA_SA_SA_SA_NS7_IS8_SA_EENS7_IlSA_EE,comdat
	.globl	_ZN2at6native12_GLOBAL__N_114gatherKthValueIN3c104HalfElLi2EEEvNS_4cuda6detail10TensorInfoIKT_T0_EESA_SA_SA_SA_NS7_IS8_SA_EENS7_IlSA_EE ; -- Begin function _ZN2at6native12_GLOBAL__N_114gatherKthValueIN3c104HalfElLi2EEEvNS_4cuda6detail10TensorInfoIKT_T0_EESA_SA_SA_SA_NS7_IS8_SA_EENS7_IlSA_EE
	.p2align	8
	.type	_ZN2at6native12_GLOBAL__N_114gatherKthValueIN3c104HalfElLi2EEEvNS_4cuda6detail10TensorInfoIKT_T0_EESA_SA_SA_SA_NS7_IS8_SA_EENS7_IlSA_EE,@function
_ZN2at6native12_GLOBAL__N_114gatherKthValueIN3c104HalfElLi2EEEvNS_4cuda6detail10TensorInfoIKT_T0_EESA_SA_SA_SA_NS7_IS8_SA_EENS7_IlSA_EE: ; @_ZN2at6native12_GLOBAL__N_114gatherKthValueIN3c104HalfElLi2EEEvNS_4cuda6detail10TensorInfoIKT_T0_EESA_SA_SA_SA_NS7_IS8_SA_EENS7_IlSA_EE
; %bb.0:
	s_clause 0x1
	s_load_b64 s[10:11], s[0:1], 0x500
	s_load_b256 s[24:31], s[0:1], 0x1a0
	s_add_u32 s8, s0, 0x500
	s_addc_u32 s9, s1, 0
	s_mov_b32 s35, 0
	s_waitcnt lgkmcnt(0)
	s_mul_i32 s2, s11, s15
	s_delay_alu instid0(SALU_CYCLE_1) | instskip(NEXT) | instid1(SALU_CYCLE_1)
	s_add_i32 s2, s2, s14
	s_mul_i32 s2, s2, s10
	s_delay_alu instid0(SALU_CYCLE_1) | instskip(NEXT) | instid1(SALU_CYCLE_1)
	s_add_i32 s34, s2, s13
	v_cmp_ge_i64_e64 s2, s[34:35], s[28:29]
	s_delay_alu instid0(VALU_DEP_1)
	s_and_b32 vcc_lo, exec_lo, s2
	s_cbranch_vccnz .LBB61_312
; %bb.1:
	s_clause 0x1
	s_load_b64 s[14:15], s[0:1], 0x10
	s_load_b64 s[28:29], s[0:1], 0x1d0
	s_mov_b32 s2, s35
	s_waitcnt lgkmcnt(0)
	s_mov_b32 s3, s15
	s_delay_alu instid0(SALU_CYCLE_1)
	s_cmp_lg_u64 s[2:3], 0
	s_cbranch_scc0 .LBB61_296
; %bb.2:
	s_ashr_i32 s2, s15, 31
	s_delay_alu instid0(SALU_CYCLE_1) | instskip(SKIP_2) | instid1(SALU_CYCLE_1)
	s_add_u32 s4, s14, s2
	s_mov_b32 s3, s2
	s_addc_u32 s5, s15, s2
	s_xor_b64 s[4:5], s[4:5], s[2:3]
	s_delay_alu instid0(SALU_CYCLE_1) | instskip(SKIP_3) | instid1(VALU_DEP_1)
	v_cvt_f32_u32_e32 v1, s4
	v_cvt_f32_u32_e32 v2, s5
	s_sub_u32 s11, 0, s4
	s_subb_u32 s12, 0, s5
	v_fmamk_f32 v1, v2, 0x4f800000, v1
	s_delay_alu instid0(VALU_DEP_1) | instskip(SKIP_2) | instid1(VALU_DEP_1)
	v_rcp_f32_e32 v1, v1
	s_waitcnt_depctr 0xfff
	v_mul_f32_e32 v1, 0x5f7ffffc, v1
	v_mul_f32_e32 v2, 0x2f800000, v1
	s_delay_alu instid0(VALU_DEP_1) | instskip(NEXT) | instid1(VALU_DEP_1)
	v_trunc_f32_e32 v2, v2
	v_fmamk_f32 v1, v2, 0xcf800000, v1
	v_cvt_u32_f32_e32 v2, v2
	s_delay_alu instid0(VALU_DEP_2) | instskip(NEXT) | instid1(VALU_DEP_2)
	v_cvt_u32_f32_e32 v1, v1
	v_readfirstlane_b32 s6, v2
	s_delay_alu instid0(VALU_DEP_2) | instskip(NEXT) | instid1(VALU_DEP_2)
	v_readfirstlane_b32 s7, v1
	s_mul_i32 s16, s11, s6
	s_delay_alu instid0(VALU_DEP_1)
	s_mul_hi_u32 s18, s11, s7
	s_mul_i32 s17, s12, s7
	s_add_i32 s16, s18, s16
	s_mul_i32 s19, s11, s7
	s_add_i32 s16, s16, s17
	s_mul_hi_u32 s18, s7, s19
	s_mul_hi_u32 s20, s6, s19
	s_mul_i32 s17, s6, s19
	s_mul_hi_u32 s19, s7, s16
	s_mul_i32 s7, s7, s16
	s_mul_hi_u32 s21, s6, s16
	s_add_u32 s7, s18, s7
	s_addc_u32 s18, 0, s19
	s_add_u32 s7, s7, s17
	s_mul_i32 s16, s6, s16
	s_addc_u32 s7, s18, s20
	s_addc_u32 s17, s21, 0
	s_add_u32 s7, s7, s16
	s_addc_u32 s16, 0, s17
	v_add_co_u32 v1, s7, v1, s7
	s_delay_alu instid0(VALU_DEP_1) | instskip(SKIP_1) | instid1(VALU_DEP_1)
	s_cmp_lg_u32 s7, 0
	s_addc_u32 s6, s6, s16
	v_readfirstlane_b32 s7, v1
	s_mul_i32 s16, s11, s6
	s_delay_alu instid0(VALU_DEP_1)
	s_mul_hi_u32 s17, s11, s7
	s_mul_i32 s12, s12, s7
	s_add_i32 s16, s17, s16
	s_mul_i32 s11, s11, s7
	s_add_i32 s16, s16, s12
	s_mul_hi_u32 s17, s6, s11
	s_mul_i32 s18, s6, s11
	s_mul_hi_u32 s11, s7, s11
	s_mul_hi_u32 s19, s7, s16
	s_mul_i32 s7, s7, s16
	s_mul_hi_u32 s12, s6, s16
	s_add_u32 s7, s11, s7
	s_addc_u32 s11, 0, s19
	s_add_u32 s7, s7, s18
	s_mul_i32 s16, s6, s16
	s_addc_u32 s7, s11, s17
	s_addc_u32 s11, s12, 0
	s_add_u32 s7, s7, s16
	s_addc_u32 s11, 0, s11
	v_add_co_u32 v1, s7, v1, s7
	s_delay_alu instid0(VALU_DEP_1) | instskip(SKIP_2) | instid1(VALU_DEP_1)
	s_cmp_lg_u32 s7, 0
	s_addc_u32 s11, s6, s11
	s_ashr_i32 s6, 0, 31
	v_readfirstlane_b32 s12, v1
	s_add_u32 s16, s34, s6
	s_mov_b32 s7, s6
	s_addc_u32 s17, 0, s6
	s_delay_alu instid0(SALU_CYCLE_1) | instskip(NEXT) | instid1(SALU_CYCLE_1)
	s_xor_b64 s[16:17], s[16:17], s[6:7]
	s_mul_i32 s19, s16, s11
	s_mul_hi_u32 s20, s16, s12
	s_mul_hi_u32 s18, s16, s11
	;; [unrolled: 1-line block ×3, first 2 shown]
	s_mul_i32 s12, s17, s12
	s_add_u32 s19, s20, s19
	s_addc_u32 s18, 0, s18
	s_mul_hi_u32 s21, s17, s11
	s_add_u32 s12, s19, s12
	s_mul_i32 s11, s17, s11
	s_addc_u32 s12, s18, s22
	s_addc_u32 s18, s21, 0
	s_add_u32 s11, s12, s11
	s_addc_u32 s12, 0, s18
	s_mul_i32 s21, s4, s11
	s_mul_hi_u32 s18, s4, s11
	s_mul_i32 s20, s4, s12
	v_sub_co_u32 v1, s16, s16, s21
	s_mul_i32 s19, s5, s11
	s_add_i32 s18, s18, s20
	s_delay_alu instid0(SALU_CYCLE_1) | instskip(NEXT) | instid1(VALU_DEP_1)
	s_add_i32 s18, s18, s19
	v_sub_co_u32 v2, s20, v1, s4
	s_sub_i32 s19, s17, s18
	s_cmp_lg_u32 s16, 0
	s_subb_u32 s19, s19, s5
	s_cmp_lg_u32 s20, 0
	v_readfirstlane_b32 s20, v2
	s_subb_u32 s19, s19, 0
	s_delay_alu instid0(SALU_CYCLE_1) | instskip(SKIP_1) | instid1(VALU_DEP_1)
	s_cmp_ge_u32 s19, s5
	s_cselect_b32 s21, -1, 0
	s_cmp_ge_u32 s20, s4
	s_cselect_b32 s20, -1, 0
	s_cmp_eq_u32 s19, s5
	s_cselect_b32 s19, s20, s21
	s_add_u32 s20, s11, 1
	s_addc_u32 s21, s12, 0
	s_add_u32 s22, s11, 2
	s_addc_u32 s23, s12, 0
	s_cmp_lg_u32 s19, 0
	s_cselect_b32 s19, s22, s20
	s_cselect_b32 s20, s23, s21
	s_cmp_lg_u32 s16, 0
	v_readfirstlane_b32 s16, v1
	s_subb_u32 s17, s17, s18
	s_delay_alu instid0(SALU_CYCLE_1) | instskip(SKIP_1) | instid1(VALU_DEP_1)
	s_cmp_ge_u32 s17, s5
	s_cselect_b32 s18, -1, 0
	s_cmp_ge_u32 s16, s4
	s_cselect_b32 s4, -1, 0
	s_cmp_eq_u32 s17, s5
	s_cselect_b32 s4, s4, s18
	s_delay_alu instid0(SALU_CYCLE_1) | instskip(SKIP_3) | instid1(SALU_CYCLE_1)
	s_cmp_lg_u32 s4, 0
	s_cselect_b32 s5, s20, s12
	s_cselect_b32 s4, s19, s11
	s_xor_b64 s[6:7], s[6:7], s[2:3]
	s_xor_b64 s[4:5], s[4:5], s[6:7]
	s_delay_alu instid0(SALU_CYCLE_1)
	s_sub_u32 s16, s4, s6
	s_subb_u32 s17, s5, s7
	s_cbranch_execnz .LBB61_4
.LBB61_3:
	v_cvt_f32_u32_e32 v1, s14
	s_sub_i32 s3, 0, s14
	s_mov_b32 s17, 0
	s_delay_alu instid0(VALU_DEP_1) | instskip(SKIP_2) | instid1(VALU_DEP_1)
	v_rcp_iflag_f32_e32 v1, v1
	s_waitcnt_depctr 0xfff
	v_mul_f32_e32 v1, 0x4f7ffffe, v1
	v_cvt_u32_f32_e32 v1, v1
	s_delay_alu instid0(VALU_DEP_1) | instskip(NEXT) | instid1(VALU_DEP_1)
	v_readfirstlane_b32 s2, v1
	s_mul_i32 s3, s3, s2
	s_delay_alu instid0(SALU_CYCLE_1) | instskip(NEXT) | instid1(SALU_CYCLE_1)
	s_mul_hi_u32 s3, s2, s3
	s_add_i32 s2, s2, s3
	s_delay_alu instid0(SALU_CYCLE_1) | instskip(NEXT) | instid1(SALU_CYCLE_1)
	s_mul_hi_u32 s2, s34, s2
	s_mul_i32 s3, s2, s14
	s_add_i32 s4, s2, 1
	s_sub_i32 s3, s34, s3
	s_delay_alu instid0(SALU_CYCLE_1)
	s_sub_i32 s5, s3, s14
	s_cmp_ge_u32 s3, s14
	s_cselect_b32 s2, s4, s2
	s_cselect_b32 s3, s5, s3
	s_add_i32 s4, s2, 1
	s_cmp_ge_u32 s3, s14
	s_cselect_b32 s16, s4, s2
.LBB61_4:
	s_load_b64 s[44:45], s[0:1], 0x370
	s_mov_b32 s2, 0
	s_mov_b32 s3, s29
	s_delay_alu instid0(SALU_CYCLE_1)
	s_cmp_lg_u64 s[2:3], 0
	s_cbranch_scc0 .LBB61_297
; %bb.5:
	s_ashr_i32 s4, s29, 31
	s_delay_alu instid0(SALU_CYCLE_1) | instskip(SKIP_2) | instid1(SALU_CYCLE_1)
	s_add_u32 s6, s28, s4
	s_mov_b32 s5, s4
	s_addc_u32 s7, s29, s4
	s_xor_b64 s[6:7], s[6:7], s[4:5]
	s_delay_alu instid0(SALU_CYCLE_1) | instskip(SKIP_3) | instid1(VALU_DEP_1)
	v_cvt_f32_u32_e32 v1, s6
	v_cvt_f32_u32_e32 v2, s7
	s_sub_u32 s12, 0, s6
	s_subb_u32 s18, 0, s7
	v_fmamk_f32 v1, v2, 0x4f800000, v1
	s_delay_alu instid0(VALU_DEP_1) | instskip(SKIP_2) | instid1(VALU_DEP_1)
	v_rcp_f32_e32 v1, v1
	s_waitcnt_depctr 0xfff
	v_mul_f32_e32 v1, 0x5f7ffffc, v1
	v_mul_f32_e32 v2, 0x2f800000, v1
	s_delay_alu instid0(VALU_DEP_1) | instskip(NEXT) | instid1(VALU_DEP_1)
	v_trunc_f32_e32 v2, v2
	v_fmamk_f32 v1, v2, 0xcf800000, v1
	v_cvt_u32_f32_e32 v2, v2
	s_delay_alu instid0(VALU_DEP_2) | instskip(NEXT) | instid1(VALU_DEP_2)
	v_cvt_u32_f32_e32 v1, v1
	v_readfirstlane_b32 s3, v2
	s_delay_alu instid0(VALU_DEP_2) | instskip(NEXT) | instid1(VALU_DEP_2)
	v_readfirstlane_b32 s11, v1
	s_mul_i32 s19, s12, s3
	s_delay_alu instid0(VALU_DEP_1)
	s_mul_hi_u32 s21, s12, s11
	s_mul_i32 s20, s18, s11
	s_add_i32 s19, s21, s19
	s_mul_i32 s22, s12, s11
	s_add_i32 s19, s19, s20
	s_mul_hi_u32 s21, s11, s22
	s_mul_hi_u32 s23, s3, s22
	s_mul_i32 s20, s3, s22
	s_mul_hi_u32 s22, s11, s19
	s_mul_i32 s11, s11, s19
	s_mul_hi_u32 s33, s3, s19
	s_add_u32 s11, s21, s11
	s_addc_u32 s21, 0, s22
	s_add_u32 s11, s11, s20
	s_mul_i32 s19, s3, s19
	s_addc_u32 s11, s21, s23
	s_addc_u32 s20, s33, 0
	s_add_u32 s11, s11, s19
	s_addc_u32 s19, 0, s20
	v_add_co_u32 v1, s11, v1, s11
	s_delay_alu instid0(VALU_DEP_1) | instskip(SKIP_1) | instid1(VALU_DEP_1)
	s_cmp_lg_u32 s11, 0
	s_addc_u32 s3, s3, s19
	v_readfirstlane_b32 s11, v1
	s_mul_i32 s19, s12, s3
	s_delay_alu instid0(VALU_DEP_1)
	s_mul_hi_u32 s20, s12, s11
	s_mul_i32 s18, s18, s11
	s_add_i32 s19, s20, s19
	s_mul_i32 s12, s12, s11
	s_add_i32 s19, s19, s18
	s_mul_hi_u32 s20, s3, s12
	s_mul_i32 s21, s3, s12
	s_mul_hi_u32 s12, s11, s12
	s_mul_hi_u32 s22, s11, s19
	s_mul_i32 s11, s11, s19
	s_mul_hi_u32 s18, s3, s19
	s_add_u32 s11, s12, s11
	s_addc_u32 s12, 0, s22
	s_add_u32 s11, s11, s21
	s_mul_i32 s19, s3, s19
	s_addc_u32 s11, s12, s20
	s_addc_u32 s12, s18, 0
	s_add_u32 s11, s11, s19
	s_addc_u32 s12, 0, s12
	v_add_co_u32 v1, s11, v1, s11
	s_delay_alu instid0(VALU_DEP_1) | instskip(SKIP_2) | instid1(VALU_DEP_1)
	s_cmp_lg_u32 s11, 0
	s_addc_u32 s3, s3, s12
	s_ashr_i32 s18, 0, 31
	v_readfirstlane_b32 s11, v1
	s_add_u32 s20, s34, s18
	s_mov_b32 s19, s18
	s_addc_u32 s21, 0, s18
	s_delay_alu instid0(SALU_CYCLE_1) | instskip(NEXT) | instid1(SALU_CYCLE_1)
	s_xor_b64 s[20:21], s[20:21], s[18:19]
	s_mul_i32 s22, s20, s3
	s_mul_hi_u32 s23, s20, s11
	s_mul_hi_u32 s12, s20, s3
	;; [unrolled: 1-line block ×3, first 2 shown]
	s_mul_i32 s11, s21, s11
	s_add_u32 s22, s23, s22
	s_addc_u32 s12, 0, s12
	s_mul_hi_u32 s33, s21, s3
	s_add_u32 s11, s22, s11
	s_mul_i32 s3, s21, s3
	s_addc_u32 s11, s12, s35
	s_addc_u32 s12, s33, 0
	s_add_u32 s3, s11, s3
	s_addc_u32 s11, 0, s12
	s_mul_i32 s33, s6, s3
	s_mul_hi_u32 s12, s6, s3
	s_mul_i32 s23, s6, s11
	v_sub_co_u32 v1, s20, s20, s33
	s_mul_i32 s22, s7, s3
	s_add_i32 s12, s12, s23
	s_delay_alu instid0(SALU_CYCLE_1) | instskip(NEXT) | instid1(VALU_DEP_1)
	s_add_i32 s12, s12, s22
	v_sub_co_u32 v2, s23, v1, s6
	s_sub_i32 s22, s21, s12
	s_cmp_lg_u32 s20, 0
	s_subb_u32 s22, s22, s7
	s_cmp_lg_u32 s23, 0
	v_readfirstlane_b32 s23, v2
	s_subb_u32 s22, s22, 0
	s_delay_alu instid0(SALU_CYCLE_1) | instskip(SKIP_1) | instid1(VALU_DEP_1)
	s_cmp_ge_u32 s22, s7
	s_cselect_b32 s33, -1, 0
	s_cmp_ge_u32 s23, s6
	s_cselect_b32 s23, -1, 0
	s_cmp_eq_u32 s22, s7
	s_cselect_b32 s22, s23, s33
	s_add_u32 s23, s3, 1
	s_addc_u32 s33, s11, 0
	s_add_u32 s35, s3, 2
	s_addc_u32 s36, s11, 0
	s_cmp_lg_u32 s22, 0
	s_cselect_b32 s22, s35, s23
	s_cselect_b32 s23, s36, s33
	s_cmp_lg_u32 s20, 0
	v_readfirstlane_b32 s20, v1
	s_subb_u32 s12, s21, s12
	s_delay_alu instid0(SALU_CYCLE_1) | instskip(SKIP_1) | instid1(VALU_DEP_1)
	s_cmp_ge_u32 s12, s7
	s_cselect_b32 s21, -1, 0
	s_cmp_ge_u32 s20, s6
	s_cselect_b32 s6, -1, 0
	s_cmp_eq_u32 s12, s7
	s_cselect_b32 s6, s6, s21
	s_delay_alu instid0(SALU_CYCLE_1) | instskip(SKIP_3) | instid1(SALU_CYCLE_1)
	s_cmp_lg_u32 s6, 0
	s_cselect_b32 s7, s23, s11
	s_cselect_b32 s6, s22, s3
	s_xor_b64 s[4:5], s[18:19], s[4:5]
	s_xor_b64 s[6:7], s[6:7], s[4:5]
	s_delay_alu instid0(SALU_CYCLE_1)
	s_sub_u32 s46, s6, s4
	s_subb_u32 s47, s7, s5
	s_and_not1_b32 vcc_lo, exec_lo, s2
	s_cbranch_vccnz .LBB61_7
.LBB61_6:
	v_cvt_f32_u32_e32 v1, s28
	s_sub_i32 s3, 0, s28
	s_mov_b32 s47, 0
	s_delay_alu instid0(VALU_DEP_1) | instskip(SKIP_2) | instid1(VALU_DEP_1)
	v_rcp_iflag_f32_e32 v1, v1
	s_waitcnt_depctr 0xfff
	v_mul_f32_e32 v1, 0x4f7ffffe, v1
	v_cvt_u32_f32_e32 v1, v1
	s_delay_alu instid0(VALU_DEP_1) | instskip(NEXT) | instid1(VALU_DEP_1)
	v_readfirstlane_b32 s2, v1
	s_mul_i32 s3, s3, s2
	s_delay_alu instid0(SALU_CYCLE_1) | instskip(NEXT) | instid1(SALU_CYCLE_1)
	s_mul_hi_u32 s3, s2, s3
	s_add_i32 s2, s2, s3
	s_delay_alu instid0(SALU_CYCLE_1) | instskip(NEXT) | instid1(SALU_CYCLE_1)
	s_mul_hi_u32 s2, s34, s2
	s_mul_i32 s3, s2, s28
	s_add_i32 s4, s2, 1
	s_sub_i32 s3, s34, s3
	s_delay_alu instid0(SALU_CYCLE_1)
	s_sub_i32 s5, s3, s28
	s_cmp_ge_u32 s3, s28
	s_cselect_b32 s2, s4, s2
	s_cselect_b32 s3, s5, s3
	s_add_i32 s4, s2, 1
	s_cmp_ge_u32 s3, s28
	s_cselect_b32 s46, s4, s2
.LBB61_7:
	s_mov_b32 s2, 0
	s_waitcnt lgkmcnt(0)
	s_mov_b32 s3, s45
	s_delay_alu instid0(SALU_CYCLE_1)
	s_cmp_lg_u64 s[2:3], 0
	s_cbranch_scc0 .LBB61_298
; %bb.8:
	s_ashr_i32 s4, s45, 31
	s_delay_alu instid0(SALU_CYCLE_1) | instskip(SKIP_2) | instid1(SALU_CYCLE_1)
	s_add_u32 s6, s44, s4
	s_mov_b32 s5, s4
	s_addc_u32 s7, s45, s4
	s_xor_b64 s[6:7], s[6:7], s[4:5]
	s_delay_alu instid0(SALU_CYCLE_1) | instskip(SKIP_3) | instid1(VALU_DEP_1)
	v_cvt_f32_u32_e32 v1, s6
	v_cvt_f32_u32_e32 v2, s7
	s_sub_u32 s12, 0, s6
	s_subb_u32 s18, 0, s7
	v_fmamk_f32 v1, v2, 0x4f800000, v1
	s_delay_alu instid0(VALU_DEP_1) | instskip(SKIP_2) | instid1(VALU_DEP_1)
	v_rcp_f32_e32 v1, v1
	s_waitcnt_depctr 0xfff
	v_mul_f32_e32 v1, 0x5f7ffffc, v1
	v_mul_f32_e32 v2, 0x2f800000, v1
	s_delay_alu instid0(VALU_DEP_1) | instskip(NEXT) | instid1(VALU_DEP_1)
	v_trunc_f32_e32 v2, v2
	v_fmamk_f32 v1, v2, 0xcf800000, v1
	v_cvt_u32_f32_e32 v2, v2
	s_delay_alu instid0(VALU_DEP_2) | instskip(NEXT) | instid1(VALU_DEP_2)
	v_cvt_u32_f32_e32 v1, v1
	v_readfirstlane_b32 s3, v2
	s_delay_alu instid0(VALU_DEP_2) | instskip(NEXT) | instid1(VALU_DEP_2)
	v_readfirstlane_b32 s11, v1
	s_mul_i32 s19, s12, s3
	s_delay_alu instid0(VALU_DEP_1)
	s_mul_hi_u32 s21, s12, s11
	s_mul_i32 s20, s18, s11
	s_add_i32 s19, s21, s19
	s_mul_i32 s22, s12, s11
	s_add_i32 s19, s19, s20
	s_mul_hi_u32 s21, s11, s22
	s_mul_hi_u32 s23, s3, s22
	s_mul_i32 s20, s3, s22
	s_mul_hi_u32 s22, s11, s19
	s_mul_i32 s11, s11, s19
	s_mul_hi_u32 s33, s3, s19
	s_add_u32 s11, s21, s11
	s_addc_u32 s21, 0, s22
	s_add_u32 s11, s11, s20
	s_mul_i32 s19, s3, s19
	s_addc_u32 s11, s21, s23
	s_addc_u32 s20, s33, 0
	s_add_u32 s11, s11, s19
	s_addc_u32 s19, 0, s20
	v_add_co_u32 v1, s11, v1, s11
	s_delay_alu instid0(VALU_DEP_1) | instskip(SKIP_1) | instid1(VALU_DEP_1)
	s_cmp_lg_u32 s11, 0
	s_addc_u32 s3, s3, s19
	v_readfirstlane_b32 s11, v1
	s_mul_i32 s19, s12, s3
	s_delay_alu instid0(VALU_DEP_1)
	s_mul_hi_u32 s20, s12, s11
	s_mul_i32 s18, s18, s11
	s_add_i32 s19, s20, s19
	s_mul_i32 s12, s12, s11
	s_add_i32 s19, s19, s18
	s_mul_hi_u32 s20, s3, s12
	s_mul_i32 s21, s3, s12
	s_mul_hi_u32 s12, s11, s12
	s_mul_hi_u32 s22, s11, s19
	s_mul_i32 s11, s11, s19
	s_mul_hi_u32 s18, s3, s19
	s_add_u32 s11, s12, s11
	s_addc_u32 s12, 0, s22
	s_add_u32 s11, s11, s21
	s_mul_i32 s19, s3, s19
	s_addc_u32 s11, s12, s20
	s_addc_u32 s12, s18, 0
	s_add_u32 s11, s11, s19
	s_addc_u32 s12, 0, s12
	v_add_co_u32 v1, s11, v1, s11
	s_delay_alu instid0(VALU_DEP_1) | instskip(SKIP_2) | instid1(VALU_DEP_1)
	s_cmp_lg_u32 s11, 0
	s_addc_u32 s3, s3, s12
	s_ashr_i32 s18, 0, 31
	v_readfirstlane_b32 s11, v1
	s_add_u32 s20, s34, s18
	s_mov_b32 s19, s18
	s_addc_u32 s21, 0, s18
	s_delay_alu instid0(SALU_CYCLE_1) | instskip(NEXT) | instid1(SALU_CYCLE_1)
	s_xor_b64 s[20:21], s[20:21], s[18:19]
	s_mul_i32 s22, s20, s3
	s_mul_hi_u32 s23, s20, s11
	s_mul_hi_u32 s12, s20, s3
	;; [unrolled: 1-line block ×3, first 2 shown]
	s_mul_i32 s11, s21, s11
	s_add_u32 s22, s23, s22
	s_addc_u32 s12, 0, s12
	s_mul_hi_u32 s33, s21, s3
	s_add_u32 s11, s22, s11
	s_mul_i32 s3, s21, s3
	s_addc_u32 s11, s12, s35
	s_addc_u32 s12, s33, 0
	s_add_u32 s3, s11, s3
	s_addc_u32 s11, 0, s12
	s_mul_i32 s33, s6, s3
	s_mul_hi_u32 s12, s6, s3
	s_mul_i32 s23, s6, s11
	v_sub_co_u32 v1, s20, s20, s33
	s_mul_i32 s22, s7, s3
	s_add_i32 s12, s12, s23
	s_delay_alu instid0(SALU_CYCLE_1) | instskip(NEXT) | instid1(VALU_DEP_1)
	s_add_i32 s12, s12, s22
	v_sub_co_u32 v2, s23, v1, s6
	s_sub_i32 s22, s21, s12
	s_cmp_lg_u32 s20, 0
	s_subb_u32 s22, s22, s7
	s_cmp_lg_u32 s23, 0
	v_readfirstlane_b32 s23, v2
	s_subb_u32 s22, s22, 0
	s_delay_alu instid0(SALU_CYCLE_1) | instskip(SKIP_1) | instid1(VALU_DEP_1)
	s_cmp_ge_u32 s22, s7
	s_cselect_b32 s33, -1, 0
	s_cmp_ge_u32 s23, s6
	s_cselect_b32 s23, -1, 0
	s_cmp_eq_u32 s22, s7
	s_cselect_b32 s22, s23, s33
	s_add_u32 s23, s3, 1
	s_addc_u32 s33, s11, 0
	s_add_u32 s35, s3, 2
	s_addc_u32 s36, s11, 0
	s_cmp_lg_u32 s22, 0
	s_cselect_b32 s22, s35, s23
	s_cselect_b32 s23, s36, s33
	s_cmp_lg_u32 s20, 0
	v_readfirstlane_b32 s20, v1
	s_subb_u32 s12, s21, s12
	s_delay_alu instid0(SALU_CYCLE_1) | instskip(SKIP_1) | instid1(VALU_DEP_1)
	s_cmp_ge_u32 s12, s7
	s_cselect_b32 s21, -1, 0
	s_cmp_ge_u32 s20, s6
	s_cselect_b32 s6, -1, 0
	s_cmp_eq_u32 s12, s7
	s_cselect_b32 s6, s6, s21
	s_delay_alu instid0(SALU_CYCLE_1) | instskip(SKIP_3) | instid1(SALU_CYCLE_1)
	s_cmp_lg_u32 s6, 0
	s_cselect_b32 s7, s23, s11
	s_cselect_b32 s6, s22, s3
	s_xor_b64 s[4:5], s[18:19], s[4:5]
	s_xor_b64 s[6:7], s[6:7], s[4:5]
	s_delay_alu instid0(SALU_CYCLE_1)
	s_sub_u32 s48, s6, s4
	s_subb_u32 s49, s7, s5
	s_load_b64 s[18:19], s[0:1], 0x0
	s_and_not1_b32 vcc_lo, exec_lo, s2
	s_cbranch_vccnz .LBB61_10
.LBB61_9:
	v_cvt_f32_u32_e32 v1, s44
	s_sub_i32 s3, 0, s44
	s_mov_b32 s49, 0
	s_delay_alu instid0(VALU_DEP_1) | instskip(SKIP_2) | instid1(VALU_DEP_1)
	v_rcp_iflag_f32_e32 v1, v1
	s_waitcnt_depctr 0xfff
	v_mul_f32_e32 v1, 0x4f7ffffe, v1
	v_cvt_u32_f32_e32 v1, v1
	s_delay_alu instid0(VALU_DEP_1) | instskip(NEXT) | instid1(VALU_DEP_1)
	v_readfirstlane_b32 s2, v1
	s_mul_i32 s3, s3, s2
	s_delay_alu instid0(SALU_CYCLE_1) | instskip(NEXT) | instid1(SALU_CYCLE_1)
	s_mul_hi_u32 s3, s2, s3
	s_add_i32 s2, s2, s3
	s_delay_alu instid0(SALU_CYCLE_1) | instskip(NEXT) | instid1(SALU_CYCLE_1)
	s_mul_hi_u32 s2, s34, s2
	s_mul_i32 s3, s2, s44
	s_add_i32 s4, s2, 1
	s_sub_i32 s3, s34, s3
	s_delay_alu instid0(SALU_CYCLE_1)
	s_sub_i32 s5, s3, s44
	s_cmp_ge_u32 s3, s44
	s_cselect_b32 s2, s4, s2
	s_cselect_b32 s3, s5, s3
	s_add_i32 s4, s2, 1
	s_cmp_ge_u32 s3, s44
	s_cselect_b32 s48, s4, s2
.LBB61_10:
	s_clause 0x2
	s_load_b64 s[50:51], s[0:1], 0x360
	s_load_b64 s[52:53], s[0:1], 0x1c0
	s_load_b128 s[4:7], s[0:1], 0xd0
	v_cmp_eq_u32_e64 s2, 0, v0
	s_mov_b32 s55, 0
	s_delay_alu instid0(VALU_DEP_1)
	s_and_saveexec_b32 s3, s2
	s_cbranch_execz .LBB61_12
; %bb.11:
	v_dual_mov_b32 v1, 0 :: v_dual_mov_b32 v4, s25
	s_delay_alu instid0(VALU_DEP_1)
	v_dual_mov_b32 v3, s24 :: v_dual_mov_b32 v2, v1
	ds_store_b32 v1, v1 offset:5136
	ds_store_b128 v1, v[1:4] offset:5120
.LBB61_12:
	s_or_b32 exec_lo, exec_lo, s3
	v_mad_u64_u32 v[2:3], null, v0, s30, 0
	s_mul_i32 s3, s16, s15
	s_mul_hi_u32 s11, s16, s14
	v_lshlrev_b32_e32 v35, 3, v0
	s_add_i32 s3, s11, s3
	s_mul_i32 s11, s17, s14
	s_mul_i32 s12, s16, s14
	s_add_i32 s3, s3, s11
	s_sub_u32 s11, s34, s12
	v_dual_mov_b32 v1, v3 :: v_dual_lshlrev_b32 v32, 1, v0
	s_waitcnt lgkmcnt(0)
	s_mul_i32 s7, s11, s7
	s_mul_hi_u32 s12, s11, s6
	v_or_b32_e32 v22, 2, v35
	s_subb_u32 s3, 0, s3
	s_add_i32 s7, s12, s7
	s_mul_i32 s5, s16, s5
	s_mul_hi_u32 s12, s16, s4
	s_mul_i32 s3, s3, s6
	s_add_i32 s12, s12, s5
	s_mul_i32 s14, s17, s4
	v_mad_u64_u32 v[3:4], null, v0, s31, v[1:2]
	v_mad_u64_u32 v[20:21], null, s30, v22, 0
	s_add_i32 s5, s7, s3
	s_add_i32 s15, s12, s14
	s_mul_i32 s14, s16, s4
	s_mul_i32 s4, s11, s6
	s_lshl_b64 s[6:7], s[14:15], 1
	s_lshl_b64 s[4:5], s[4:5], 1
	v_mbcnt_lo_u32_b32 v31, -1, 0
	v_dual_mov_b32 v13, 0 :: v_dual_lshlrev_b32 v14, 2, v0
	v_lshrrev_b32_e32 v6, 3, v0
	s_clause 0x1
	s_load_b128 s[36:39], s[0:1], 0x430
	s_load_b128 s[40:43], s[0:1], 0x290
	s_add_u32 s0, s6, s4
	s_waitcnt lgkmcnt(0)
	s_barrier
	buffer_gl0_inv
	s_load_b32 s4, s[8:9], 0xc
	s_addc_u32 s1, s7, s5
	v_lshlrev_b64 v[4:5], 1, v[2:3]
	s_add_u32 s58, s18, s0
	v_cmp_gt_u32_e32 vcc_lo, 32, v0
	v_cmp_gt_i32_e64 s0, 4, v31
	v_dual_mov_b32 v1, v13 :: v_dual_and_b32 v34, 0x7c, v6
	v_mov_b32_e32 v6, v21
	v_or_b32_e32 v9, 6, v35
	v_or_b32_e32 v12, 4, v35
	s_addc_u32 s59, s19, s1
	s_and_b32 s35, vcc_lo, s0
	v_add_co_u32 v10, vcc_lo, s58, v4
	v_mad_u64_u32 v[16:17], null, s30, v9, 0
	v_mad_u64_u32 v[18:19], null, s30, v12, 0
	v_add_co_ci_u32_e32 v11, vcc_lo, s59, v5, vcc_lo
	v_lshlrev_b64 v[4:5], v31, -1
	v_add_nc_u32_e32 v33, 0xc00, v32
	s_waitcnt lgkmcnt(0)
	s_and_b32 s33, s4, 0xffff
	s_bfe_u32 s5, s4, 0xb0005
	s_delay_alu instid0(VALU_DEP_4)
	v_mov_b32_e32 v5, v19
	s_add_u32 s79, s33, -1
	v_not_b32_e32 v36, v4
	v_mov_b32_e32 v4, v17
	s_addc_u32 s80, 0, -1
	s_add_u32 s81, s79, s24
	s_addc_u32 s61, s80, s25
	s_cmp_lt_u32 s13, s10
	v_mad_u64_u32 v[7:8], null, s31, v9, v[4:5]
	s_cselect_b32 s6, 12, 18
	v_mad_u64_u32 v[8:9], null, s31, v12, v[5:6]
	s_add_u32 s62, s8, s6
	s_addc_u32 s63, s9, 0
	s_add_i32 s6, s5, -1
	s_delay_alu instid0(VALU_DEP_2)
	v_mad_u64_u32 v[4:5], null, s31, v22, v[6:7]
	s_bfe_u32 s82, s33, 0x30005
	s_cmp_gt_u32 s6, 6
	v_add_co_u32 v38, s6, s24, v0
	s_cselect_b32 s83, -1, 0
	s_and_b32 s84, s5, 0x7f8
	v_cmp_lt_i64_e64 s78, 0x600, s[24:25]
	v_cmp_gt_i64_e64 s0, s[24:25], v[0:1]
	s_cmp_lg_u32 s82, 0
	v_cmp_gt_u16_e64 s85, s4, 31
	v_lshlrev_b64 v[21:22], 3, v[2:3]
	s_mul_i32 s4, s31, s33
	s_mul_hi_u32 s5, s30, s33
	v_cmp_eq_u32_e64 s1, 0, v31
	v_cmp_gt_u32_e64 s3, 2, v0
	v_mov_b32_e32 v15, v13
	v_mov_b32_e32 v17, v7
	v_mov_b32_e32 v19, v8
	v_mov_b32_e32 v37, v4
	v_add_co_ci_u32_e64 v39, null, s25, 0, s6
	v_lshl_or_b32 v40, v31, 3, 0xc00
	v_mov_b32_e32 v41, 0x8000
	v_cvt_f32_ubyte0_e32 v42, 0
	v_mov_b32_e32 v43, 0
	s_cselect_b32 s86, -1, 0
	s_add_i32 s5, s5, s4
	s_mul_i32 s4, s30, s33
	s_lshl_b64 s[64:65], s[30:31], 1
	s_lshl_b64 s[66:67], s[30:31], 3
	s_lshl_b64 s[56:57], s[4:5], 1
	s_lshl_b32 s87, s33, 1
	s_mov_b32 s92, 14
	s_movk_i32 s88, 0x3c00
	s_mov_b32 s89, 0
	s_mov_b32 s94, 0
	;; [unrolled: 1-line block ×4, first 2 shown]
                                        ; implicit-def: $sgpr90
                                        ; implicit-def: $sgpr93
                                        ; implicit-def: $sgpr91
                                        ; implicit-def: $sgpr96
                                        ; implicit-def: $sgpr97
                                        ; implicit-def: $sgpr95
	s_branch .LBB61_17
.LBB61_13:                              ;   in Loop: Header=BB61_17 Depth=1
	s_xor_b32 s94, s94, 1
	s_add_i32 s7, s92, -2
	s_cmp_eq_u32 s92, 0
	s_mov_b32 s5, 0
	s_cselect_b32 s6, -1, 0
	s_mov_b32 s92, s7
.LBB61_14:                              ;   in Loop: Header=BB61_17 Depth=1
	s_and_not1_b32 s7, s20, exec_lo
	s_and_b32 s5, s5, exec_lo
	s_and_not1_b32 s21, s21, exec_lo
	s_or_b32 s20, s7, s5
	s_and_not1_b32 s19, s19, exec_lo
	s_or_not1_b32 s15, s6, exec_lo
.LBB61_15:                              ;   in Loop: Header=BB61_17 Depth=1
	s_or_b32 exec_lo, exec_lo, s4
	s_delay_alu instid0(SALU_CYCLE_1)
	s_and_not1_b32 s4, s95, exec_lo
	s_and_b32 s5, s20, exec_lo
	s_and_not1_b32 s6, s96, exec_lo
	s_or_b32 s95, s4, s5
	s_and_not1_b32 s4, s97, exec_lo
	s_and_b32 s5, s21, exec_lo
	s_and_b32 s7, s19, exec_lo
	s_or_b32 s97, s4, s5
	s_or_b32 s96, s6, s7
	s_or_not1_b32 s19, s15, exec_lo
.LBB61_16:                              ;   in Loop: Header=BB61_17 Depth=1
	s_or_b32 exec_lo, exec_lo, s14
	s_delay_alu instid0(SALU_CYCLE_1)
	s_and_b32 s4, exec_lo, s19
	v_mov_b32_e32 v2, s99
	s_or_b32 s89, s4, s89
	s_and_not1_b32 s4, s91, exec_lo
	s_and_b32 s5, s95, exec_lo
	s_and_not1_b32 s6, s90, exec_lo
	s_or_b32 s91, s4, s5
	s_and_not1_b32 s4, s93, exec_lo
	s_and_b32 s5, s97, exec_lo
	s_and_b32 s7, s96, exec_lo
	s_or_b32 s93, s4, s5
	s_or_b32 s90, s6, s7
	s_and_not1_b32 exec_lo, exec_lo, s89
	s_cbranch_execz .LBB61_283
.LBB61_17:                              ; =>This Loop Header: Depth=1
                                        ;     Child Loop BB61_22 Depth 2
                                        ;     Child Loop BB61_41 Depth 2
	;; [unrolled: 1-line block ×16, first 2 shown]
	ds_load_b128 v[2:5], v13 offset:5120
	s_waitcnt lgkmcnt(0)
	v_readfirstlane_b32 s69, v3
	v_readfirstlane_b32 s68, v2
	s_delay_alu instid0(VALU_DEP_1) | instskip(NEXT) | instid1(VALU_DEP_1)
	v_cmp_gt_i64_e64 s4, s[68:69], 0
	s_and_b32 vcc_lo, exec_lo, s4
	s_cbranch_vccnz .LBB61_48
; %bb.18:                               ;   in Loop: Header=BB61_17 Depth=1
	s_and_b32 vcc_lo, exec_lo, s78
	s_cbranch_vccz .LBB61_30
; %bb.19:                               ;   in Loop: Header=BB61_17 Depth=1
	v_cmp_gt_i64_e32 vcc_lo, 0x601, v[4:5]
	s_mov_b32 s6, 0
	s_mov_b32 s4, 0
	s_cbranch_vccz .LBB61_35
; %bb.20:                               ;   in Loop: Header=BB61_17 Depth=1
	global_load_u16 v6, v13, s[62:63]
	global_load_u16 v7, v[10:11], off
	s_mov_b32 s8, 0
	s_waitcnt vmcnt(1)
	v_readfirstlane_b32 s4, v6
	v_and_b32_e32 v6, 0xffff, v6
	s_delay_alu instid0(VALU_DEP_2) | instskip(NEXT) | instid1(SALU_CYCLE_1)
	s_and_b32 s4, 0xffff, s4
	v_add_nc_u32_e32 v8, s4, v0
	s_mul_i32 s5, s65, s4
	s_mul_hi_u32 s7, s64, s4
	s_mul_i32 s9, s64, s4
	s_add_i32 s7, s7, s5
	v_mad_u64_u32 v[2:3], null, s64, v8, s[58:59]
	s_delay_alu instid0(VALU_DEP_1) | instskip(NEXT) | instid1(VALU_DEP_1)
	v_mad_u64_u32 v[4:5], null, s65, v8, v[3:4]
	v_mov_b32_e32 v3, v4
	v_dual_mov_b32 v5, v1 :: v_dual_mov_b32 v4, v0
	s_branch .LBB61_22
.LBB61_21:                              ;   in Loop: Header=BB61_22 Depth=2
	s_or_b32 exec_lo, exec_lo, s5
	v_add_co_u32 v2, vcc_lo, v2, s9
	v_add_co_ci_u32_e32 v3, vcc_lo, s7, v3, vcc_lo
	v_mov_b32_e32 v7, v8
	s_and_not1_b32 exec_lo, exec_lo, s8
	s_cbranch_execz .LBB61_31
.LBB61_22:                              ;   Parent Loop BB61_17 Depth=1
                                        ; =>  This Inner Loop Header: Depth=2
	s_delay_alu instid0(VALU_DEP_1) | instskip(NEXT) | instid1(VALU_DEP_2)
	v_add_co_u32 v4, vcc_lo, v4, v6
	v_add_co_ci_u32_e32 v5, vcc_lo, 0, v5, vcc_lo
	s_waitcnt lgkmcnt(0)
	v_dual_mov_b32 v9, 0 :: v_dual_mov_b32 v8, 0
	s_mov_b32 s5, exec_lo
	s_delay_alu instid0(VALU_DEP_2)
	v_cmp_le_i64_e32 vcc_lo, s[24:25], v[4:5]
	v_cmpx_gt_i64_e64 s[24:25], v[4:5]
	s_cbranch_execz .LBB61_24
; %bb.23:                               ;   in Loop: Header=BB61_22 Depth=2
	global_load_u16 v8, v[2:3], off
.LBB61_24:                              ;   in Loop: Header=BB61_22 Depth=2
	s_or_b32 exec_lo, exec_lo, s5
	s_waitcnt vmcnt(0)
	v_cmp_lt_i16_e64 s4, -1, v7
	v_and_b32_e32 v12, 0xffff, v7
	s_delay_alu instid0(VALU_DEP_2) | instskip(SKIP_1) | instid1(VALU_DEP_2)
	v_cndmask_b32_e64 v23, 0xffff, v41, s4
	v_cmp_o_f16_e64 s4, v7, v7
	v_xor_b32_e32 v12, v23, v12
	s_delay_alu instid0(VALU_DEP_1) | instskip(NEXT) | instid1(VALU_DEP_1)
	v_cndmask_b32_e64 v12, 0xffff, v12, s4
	v_and_b32_e32 v12, s98, v12
	s_delay_alu instid0(VALU_DEP_1) | instskip(NEXT) | instid1(VALU_DEP_1)
	v_cmp_eq_u32_e64 s4, s99, v12
	s_cmp_lg_u32 s4, 0
	s_cselect_b32 s5, -1, 0
	s_delay_alu instid0(SALU_CYCLE_1) | instskip(NEXT) | instid1(SALU_CYCLE_1)
	s_and_b32 s5, s1, s5
	s_and_saveexec_b32 s10, s5
	s_cbranch_execz .LBB61_28
; %bb.25:                               ;   in Loop: Header=BB61_22 Depth=2
	s_mov_b32 s13, exec_lo
	s_bcnt1_i32_b32 s11, s4
	v_mbcnt_lo_u32_b32 v9, s13, 0
	s_mov_b32 s12, exec_lo
                                        ; implicit-def: $vgpr12
	s_delay_alu instid0(VALU_DEP_1)
	v_cmpx_eq_u32_e32 0, v9
	s_cbranch_execz .LBB61_27
; %bb.26:                               ;   in Loop: Header=BB61_22 Depth=2
	s_bcnt1_i32_b32 s5, s13
	s_delay_alu instid0(SALU_CYCLE_1) | instskip(NEXT) | instid1(SALU_CYCLE_1)
	s_mul_i32 s5, s11, s5
	v_mov_b32_e32 v12, s5
	ds_add_rtn_u32 v12, v13, v12 offset:5136
.LBB61_27:                              ;   in Loop: Header=BB61_22 Depth=2
	s_or_b32 exec_lo, exec_lo, s12
	s_waitcnt lgkmcnt(0)
	v_readfirstlane_b32 s5, v12
	s_delay_alu instid0(VALU_DEP_1)
	v_mad_u32_u24 v9, s11, v9, s5
.LBB61_28:                              ;   in Loop: Header=BB61_22 Depth=2
	s_or_b32 exec_lo, exec_lo, s10
	ds_bpermute_b32 v9, v13, v9
	s_and_b32 s5, exec_lo, vcc_lo
	s_delay_alu instid0(SALU_CYCLE_1)
	s_or_b32 s8, s5, s8
	s_and_saveexec_b32 s5, s4
	s_cbranch_execz .LBB61_21
; %bb.29:                               ;   in Loop: Header=BB61_22 Depth=2
	v_and_b32_e32 v12, s4, v36
	s_delay_alu instid0(VALU_DEP_1) | instskip(NEXT) | instid1(VALU_DEP_1)
	v_bcnt_u32_b32 v12, v12, 0
	v_lshlrev_b32_e32 v12, 1, v12
	s_waitcnt lgkmcnt(0)
	s_delay_alu instid0(VALU_DEP_1)
	v_lshl_add_u32 v9, v9, 1, v12
	ds_store_b16 v9, v7
	s_branch .LBB61_21
.LBB61_30:                              ;   in Loop: Header=BB61_17 Depth=1
	s_mov_b32 s6, -1
	s_mov_b32 s4, 0
	s_branch .LBB61_34
.LBB61_31:                              ;   in Loop: Header=BB61_17 Depth=1
	s_or_b32 exec_lo, exec_lo, s8
	s_waitcnt lgkmcnt(0)
	s_barrier
	buffer_gl0_inv
	s_and_saveexec_b32 s4, s2
	s_cbranch_execz .LBB61_33
; %bb.32:                               ;   in Loop: Header=BB61_17 Depth=1
	ds_load_b32 v2, v13 offset:5136
	s_waitcnt lgkmcnt(0)
	v_ashrrev_i32_e32 v3, 31, v2
	ds_store_b64 v13, v[2:3] offset:5120
.LBB61_33:                              ;   in Loop: Header=BB61_17 Depth=1
	s_or_b32 exec_lo, exec_lo, s4
	s_waitcnt lgkmcnt(0)
	s_mov_b32 s4, -1
	s_barrier
.LBB61_34:                              ;   in Loop: Header=BB61_17 Depth=1
                                        ; implicit-def: $sgpr68_sgpr69
.LBB61_35:                              ;   in Loop: Header=BB61_17 Depth=1
	s_and_b32 vcc_lo, exec_lo, s6
	s_cbranch_vccz .LBB61_46
; %bb.36:                               ;   in Loop: Header=BB61_17 Depth=1
	v_mov_b32_e32 v6, 0
	s_and_saveexec_b32 s4, s0
	s_cbranch_execz .LBB61_38
; %bb.37:                               ;   in Loop: Header=BB61_17 Depth=1
	global_load_u16 v6, v[10:11], off
.LBB61_38:                              ;   in Loop: Header=BB61_17 Depth=1
	s_or_b32 exec_lo, exec_lo, s4
	s_and_saveexec_b32 s5, s0
	s_cbranch_execz .LBB61_43
; %bb.39:                               ;   in Loop: Header=BB61_17 Depth=1
	global_load_u16 v8, v13, s[62:63]
	s_mov_b32 s9, 0
	s_waitcnt vmcnt(0)
	v_readfirstlane_b32 s4, v8
	v_and_b32_e32 v8, 0xffff, v8
	s_delay_alu instid0(VALU_DEP_2) | instskip(NEXT) | instid1(SALU_CYCLE_1)
	s_and_b32 s4, 0xffff, s4
	v_add_nc_u32_e32 v7, s4, v0
	s_mul_i32 s7, s65, s4
	s_mul_hi_u32 s8, s64, s4
	s_lshl_b32 s6, s4, 1
	s_add_i32 s7, s8, s7
	v_mad_u64_u32 v[2:3], null, s64, v7, s[58:59]
	s_mul_i32 s8, s64, s4
	s_delay_alu instid0(VALU_DEP_1) | instskip(SKIP_1) | instid1(VALU_DEP_2)
	v_mad_u64_u32 v[4:5], null, s65, v7, v[3:4]
	v_mov_b32_e32 v7, v32
	v_mov_b32_e32 v3, v4
	v_dual_mov_b32 v5, v1 :: v_dual_mov_b32 v4, v0
	s_branch .LBB61_41
	.p2align	6
.LBB61_40:                              ;   in Loop: Header=BB61_41 Depth=2
	s_or_b32 exec_lo, exec_lo, s10
	s_delay_alu instid0(SALU_CYCLE_1)
	s_and_b32 s4, exec_lo, vcc_lo
	v_add_co_u32 v2, vcc_lo, v2, s8
	ds_store_b16 v7, v6
	s_waitcnt vmcnt(0)
	v_dual_mov_b32 v6, v9 :: v_dual_add_nc_u32 v7, s6, v7
	v_add_co_ci_u32_e32 v3, vcc_lo, s7, v3, vcc_lo
	s_or_b32 s9, s4, s9
	s_delay_alu instid0(SALU_CYCLE_1)
	s_and_not1_b32 exec_lo, exec_lo, s9
	s_cbranch_execz .LBB61_43
.LBB61_41:                              ;   Parent Loop BB61_17 Depth=1
                                        ; =>  This Inner Loop Header: Depth=2
	s_delay_alu instid0(VALU_DEP_1) | instskip(NEXT) | instid1(VALU_DEP_2)
	v_add_co_u32 v4, vcc_lo, v4, v8
	v_add_co_ci_u32_e32 v5, vcc_lo, 0, v5, vcc_lo
	v_mov_b32_e32 v9, 0
	s_mov_b32 s10, exec_lo
	s_delay_alu instid0(VALU_DEP_2)
	v_cmp_le_i64_e32 vcc_lo, s[24:25], v[4:5]
	v_cmpx_gt_i64_e64 s[24:25], v[4:5]
	s_cbranch_execz .LBB61_40
; %bb.42:                               ;   in Loop: Header=BB61_41 Depth=2
	global_load_u16 v9, v[2:3], off
	s_branch .LBB61_40
.LBB61_43:                              ;   in Loop: Header=BB61_17 Depth=1
	s_or_b32 exec_lo, exec_lo, s5
	s_waitcnt vmcnt(0) lgkmcnt(0)
	s_barrier
	buffer_gl0_inv
	s_and_saveexec_b32 s4, s2
	s_cbranch_execz .LBB61_45
; %bb.44:                               ;   in Loop: Header=BB61_17 Depth=1
	v_dual_mov_b32 v2, s24 :: v_dual_mov_b32 v3, s25
	ds_store_b64 v13, v[2:3] offset:5120
.LBB61_45:                              ;   in Loop: Header=BB61_17 Depth=1
	s_or_b32 exec_lo, exec_lo, s4
	s_mov_b32 s4, -1
	s_waitcnt lgkmcnt(0)
	s_barrier
                                        ; implicit-def: $sgpr68_sgpr69
.LBB61_46:                              ;   in Loop: Header=BB61_17 Depth=1
	s_and_b32 vcc_lo, exec_lo, s4
	s_cbranch_vccz .LBB61_48
; %bb.47:                               ;   in Loop: Header=BB61_17 Depth=1
	buffer_gl0_inv
	ds_load_b64 v[2:3], v13 offset:5120
	s_waitcnt lgkmcnt(0)
	v_readfirstlane_b32 s68, v2
.LBB61_48:                              ;   in Loop: Header=BB61_17 Depth=1
	s_delay_alu instid0(VALU_DEP_1)
	s_cmp_lt_i32 s68, 1
	s_cbranch_scc0 .LBB61_63
; %bb.49:                               ;   in Loop: Header=BB61_17 Depth=1
	global_load_u16 v4, v13, s[62:63]
	s_mov_b32 s5, s25
	s_waitcnt vmcnt(0)
	v_readfirstlane_b32 s4, v4
	s_delay_alu instid0(VALU_DEP_1)
	s_and_b32 s6, 0xffff, s4
	s_mov_b32 s4, s55
	s_lshl_b32 s54, s6, 2
	s_cmp_lg_u64 s[4:5], 0
	s_cbranch_scc0 .LBB61_83
; %bb.50:                               ;   in Loop: Header=BB61_17 Depth=1
	v_cvt_f32_u32_e32 v2, s54
	s_sub_u32 s6, 0, s54
	s_subb_u32 s7, 0, 0
	s_delay_alu instid0(VALU_DEP_1) | instskip(NEXT) | instid1(VALU_DEP_1)
	v_fmac_f32_e32 v2, 0x4f800000, v42
	v_rcp_f32_e32 v2, v2
	s_waitcnt_depctr 0xfff
	v_mul_f32_e32 v2, 0x5f7ffffc, v2
	s_delay_alu instid0(VALU_DEP_1) | instskip(NEXT) | instid1(VALU_DEP_1)
	v_mul_f32_e32 v3, 0x2f800000, v2
	v_trunc_f32_e32 v3, v3
	s_delay_alu instid0(VALU_DEP_1) | instskip(SKIP_1) | instid1(VALU_DEP_2)
	v_fmac_f32_e32 v2, 0xcf800000, v3
	v_cvt_u32_f32_e32 v3, v3
	v_cvt_u32_f32_e32 v2, v2
	s_delay_alu instid0(VALU_DEP_2) | instskip(NEXT) | instid1(VALU_DEP_2)
	v_readfirstlane_b32 s4, v3
	v_readfirstlane_b32 s5, v2
	s_delay_alu instid0(VALU_DEP_2) | instskip(NEXT) | instid1(VALU_DEP_1)
	s_mul_i32 s8, s6, s4
	s_mul_hi_u32 s10, s6, s5
	s_mul_i32 s9, s7, s5
	s_add_i32 s8, s10, s8
	s_mul_i32 s11, s6, s5
	s_add_i32 s8, s8, s9
	s_mul_hi_u32 s10, s5, s11
	s_mul_hi_u32 s12, s4, s11
	s_mul_i32 s9, s4, s11
	s_mul_hi_u32 s11, s5, s8
	s_mul_i32 s5, s5, s8
	s_mul_hi_u32 s13, s4, s8
	s_add_u32 s5, s10, s5
	s_addc_u32 s10, 0, s11
	s_add_u32 s5, s5, s9
	s_mul_i32 s8, s4, s8
	s_addc_u32 s5, s10, s12
	s_addc_u32 s9, s13, 0
	s_add_u32 s5, s5, s8
	s_addc_u32 s8, 0, s9
	v_add_co_u32 v2, s5, v2, s5
	s_delay_alu instid0(VALU_DEP_1) | instskip(SKIP_1) | instid1(VALU_DEP_1)
	s_cmp_lg_u32 s5, 0
	s_addc_u32 s4, s4, s8
	v_readfirstlane_b32 s5, v2
	s_mul_i32 s8, s6, s4
	s_delay_alu instid0(VALU_DEP_1)
	s_mul_hi_u32 s9, s6, s5
	s_mul_i32 s7, s7, s5
	s_add_i32 s8, s9, s8
	s_mul_i32 s6, s6, s5
	s_add_i32 s8, s8, s7
	s_mul_hi_u32 s9, s4, s6
	s_mul_i32 s10, s4, s6
	s_mul_hi_u32 s6, s5, s6
	s_mul_hi_u32 s11, s5, s8
	s_mul_i32 s5, s5, s8
	s_mul_hi_u32 s7, s4, s8
	s_add_u32 s5, s6, s5
	s_addc_u32 s6, 0, s11
	s_add_u32 s5, s5, s10
	s_mul_i32 s8, s4, s8
	s_addc_u32 s5, s6, s9
	s_addc_u32 s6, s7, 0
	s_add_u32 s5, s5, s8
	s_addc_u32 s6, 0, s6
	v_add_co_u32 v2, s5, v2, s5
	s_delay_alu instid0(VALU_DEP_1) | instskip(SKIP_2) | instid1(VALU_DEP_1)
	s_cmp_lg_u32 s5, 0
	s_addc_u32 s8, s4, s6
	s_ashr_i32 s6, s25, 31
	v_readfirstlane_b32 s9, v2
	s_add_u32 s4, s24, s6
	s_mov_b32 s7, s6
	s_addc_u32 s5, s25, s6
	s_delay_alu instid0(SALU_CYCLE_1) | instskip(NEXT) | instid1(SALU_CYCLE_1)
	s_xor_b64 s[4:5], s[4:5], s[6:7]
	s_mul_i32 s10, s4, s8
	s_mul_hi_u32 s11, s4, s9
	s_mul_hi_u32 s7, s4, s8
	;; [unrolled: 1-line block ×3, first 2 shown]
	s_mul_i32 s9, s5, s9
	s_add_u32 s10, s11, s10
	s_addc_u32 s7, 0, s7
	s_mul_hi_u32 s12, s5, s8
	s_add_u32 s9, s10, s9
	s_mul_i32 s8, s5, s8
	s_addc_u32 s7, s7, s13
	s_addc_u32 s9, s12, 0
	s_add_u32 s7, s7, s8
	s_addc_u32 s8, 0, s9
	s_mul_hi_u32 s9, s54, s7
	s_mul_i32 s7, s54, s7
	s_mul_i32 s8, s54, s8
	v_sub_co_u32 v2, s4, s4, s7
	s_add_i32 s9, s9, s8
	s_cmp_lg_u32 s4, 0
	s_delay_alu instid0(VALU_DEP_1) | instskip(SKIP_2) | instid1(VALU_DEP_1)
	v_sub_co_u32 v3, s4, v2, s54
	s_subb_u32 s5, s5, s9
	s_cmp_lg_u32 s4, 0
	v_cmp_le_u32_e32 vcc_lo, s54, v3
	v_sub_co_u32 v5, s4, v3, s54
	s_subb_u32 s7, s5, 0
	s_cmp_lg_u32 s4, 0
	v_cndmask_b32_e64 v6, 0, -1, vcc_lo
	s_subb_u32 s4, s7, 0
	s_cmp_eq_u32 s7, 0
	v_mov_b32_e32 v8, s4
	s_cselect_b32 vcc_lo, -1, 0
	s_cmp_eq_u32 s5, 0
	v_cndmask_b32_e32 v6, -1, v6, vcc_lo
	v_cmp_le_u32_e32 vcc_lo, s54, v2
	s_cselect_b32 s4, -1, 0
	v_cndmask_b32_e64 v7, 0, -1, vcc_lo
	s_delay_alu instid0(VALU_DEP_3) | instskip(NEXT) | instid1(VALU_DEP_2)
	v_cmp_ne_u32_e32 vcc_lo, 0, v6
	v_cndmask_b32_e64 v6, -1, v7, s4
	v_cndmask_b32_e32 v7, s7, v8, vcc_lo
	v_cndmask_b32_e32 v3, v3, v5, vcc_lo
	s_delay_alu instid0(VALU_DEP_3) | instskip(NEXT) | instid1(VALU_DEP_2)
	v_cmp_ne_u32_e32 vcc_lo, 0, v6
	v_cndmask_b32_e32 v2, v2, v3, vcc_lo
	s_delay_alu instid0(VALU_DEP_4) | instskip(NEXT) | instid1(VALU_DEP_2)
	v_cndmask_b32_e32 v5, s5, v7, vcc_lo
	v_xor_b32_e32 v2, s6, v2
	s_delay_alu instid0(VALU_DEP_2) | instskip(NEXT) | instid1(VALU_DEP_2)
	v_xor_b32_e32 v3, s6, v5
	v_sub_co_u32 v23, vcc_lo, v2, s6
	s_delay_alu instid0(VALU_DEP_2)
	v_subrev_co_ci_u32_e32 v24, vcc_lo, s6, v3, vcc_lo
	s_cbranch_execnz .LBB61_52
.LBB61_51:                              ;   in Loop: Header=BB61_17 Depth=1
	v_cvt_f32_u32_e32 v2, s54
	s_sub_i32 s4, 0, s54
	s_delay_alu instid0(VALU_DEP_1) | instskip(SKIP_2) | instid1(VALU_DEP_1)
	v_rcp_iflag_f32_e32 v2, v2
	s_waitcnt_depctr 0xfff
	v_mul_f32_e32 v2, 0x4f7ffffe, v2
	v_cvt_u32_f32_e32 v2, v2
	s_delay_alu instid0(VALU_DEP_1) | instskip(NEXT) | instid1(VALU_DEP_1)
	v_mul_lo_u32 v3, s4, v2
	v_mul_hi_u32 v3, v2, v3
	s_delay_alu instid0(VALU_DEP_1) | instskip(NEXT) | instid1(VALU_DEP_1)
	v_add_nc_u32_e32 v2, v2, v3
	v_mul_hi_u32 v2, s24, v2
	s_delay_alu instid0(VALU_DEP_1) | instskip(NEXT) | instid1(VALU_DEP_1)
	v_mul_lo_u32 v2, v2, s54
	v_sub_nc_u32_e32 v2, s24, v2
	s_delay_alu instid0(VALU_DEP_1) | instskip(SKIP_1) | instid1(VALU_DEP_2)
	v_subrev_nc_u32_e32 v3, s54, v2
	v_cmp_le_u32_e32 vcc_lo, s54, v2
	v_cndmask_b32_e32 v2, v2, v3, vcc_lo
	s_delay_alu instid0(VALU_DEP_1) | instskip(SKIP_1) | instid1(VALU_DEP_2)
	v_subrev_nc_u32_e32 v3, s54, v2
	v_cmp_le_u32_e32 vcc_lo, s54, v2
	v_cndmask_b32_e32 v12, v2, v3, vcc_lo
	s_delay_alu instid0(VALU_DEP_1)
	v_dual_mov_b32 v24, v13 :: v_dual_mov_b32 v23, v12
.LBB61_52:                              ;   in Loop: Header=BB61_17 Depth=1
	v_mov_b32_e32 v2, 0
	v_dual_mov_b32 v3, 0 :: v_dual_and_b32 v12, 0xffff, v4
	s_delay_alu instid0(VALU_DEP_3) | instskip(NEXT) | instid1(VALU_DEP_4)
	v_sub_co_u32 v25, vcc_lo, s24, v23
	v_sub_co_ci_u32_e32 v26, vcc_lo, s25, v24, vcc_lo
	s_delay_alu instid0(VALU_DEP_3)
	v_dual_mov_b32 v5, v3 :: v_dual_mov_b32 v4, v2
	v_dual_mov_b32 v7, v3 :: v_dual_mov_b32 v6, v2
	;; [unrolled: 1-line block ×3, first 2 shown]
	s_mov_b64 s[70:71], 0
	s_mov_b32 s60, exec_lo
	v_cmpx_gt_i64_e64 v[25:26], v[14:15]
	s_cbranch_execz .LBB61_56
; %bb.53:                               ;   in Loop: Header=BB61_17 Depth=1
	v_mul_lo_u32 v2, s67, v12
	v_mul_hi_u32 v3, s66, v12
	v_mul_lo_u32 v44, s66, v12
	v_dual_mov_b32 v27, s58 :: v_dual_mov_b32 v28, s59
	v_dual_mov_b32 v30, v15 :: v_dual_mov_b32 v29, v14
	s_and_b32 s69, s92, 0xfe
	s_mov_b32 s100, 0
	s_delay_alu instid0(VALU_DEP_4)
	v_add_nc_u32_e32 v45, v3, v2
	s_mov_b64 s[72:73], 0
	s_mov_b64 s[74:75], 0
	s_mov_b64 s[76:77], 0
.LBB61_54:                              ;   Parent Loop BB61_17 Depth=1
                                        ; =>  This Inner Loop Header: Depth=2
	v_add_co_u32 v2, vcc_lo, v27, v21
	v_add_co_ci_u32_e32 v3, vcc_lo, v28, v22, vcc_lo
	v_add_co_u32 v4, vcc_lo, v27, v20
	v_add_co_ci_u32_e32 v5, vcc_lo, v28, v37, vcc_lo
	;; [unrolled: 2-line block ×4, first 2 shown]
	s_clause 0x3
	global_load_u16 v2, v[2:3], off
	global_load_u16 v3, v[4:5], off
	;; [unrolled: 1-line block ×4, first 2 shown]
	v_add_co_u32 v29, vcc_lo, v29, s54
	v_add_co_ci_u32_e32 v30, vcc_lo, 0, v30, vcc_lo
	v_add_co_u32 v27, vcc_lo, v27, v44
	v_add_co_ci_u32_e32 v28, vcc_lo, v28, v45, vcc_lo
	s_delay_alu instid0(VALU_DEP_3)
	v_cmp_ge_i64_e32 vcc_lo, v[29:30], v[25:26]
	s_waitcnt vmcnt(3)
	v_cmp_lt_i16_e64 s4, -1, v2
	v_and_b32_e32 v6, 0xffff, v2
	s_waitcnt vmcnt(2)
	v_and_b32_e32 v8, 0xffff, v3
	s_waitcnt vmcnt(1)
	v_and_b32_e32 v46, 0xffff, v4
	v_cmp_o_f16_e64 s7, v2, v2
	v_cndmask_b32_e64 v7, 0xffff, v41, s4
	v_cmp_lt_i16_e64 s4, -1, v3
	s_waitcnt vmcnt(0)
	v_and_b32_e32 v48, 0xffff, v5
	v_cmp_o_f16_e64 s5, v4, v4
	v_cmp_o_f16_e64 s6, v5, v5
	v_xor_b32_e32 v6, v7, v6
	v_cndmask_b32_e64 v9, 0xffff, v41, s4
	v_cmp_lt_i16_e64 s4, -1, v4
	s_delay_alu instid0(VALU_DEP_3) | instskip(NEXT) | instid1(VALU_DEP_3)
	v_cndmask_b32_e64 v2, 0xffff, v6, s7
	v_xor_b32_e32 v7, v9, v8
	s_delay_alu instid0(VALU_DEP_3) | instskip(SKIP_1) | instid1(VALU_DEP_4)
	v_cndmask_b32_e64 v47, 0xffff, v41, s4
	v_cmp_lt_i16_e64 s4, -1, v5
	v_and_b32_e32 v6, s98, v2
	v_bfe_u32 v2, v2, s69, 2
	s_delay_alu instid0(VALU_DEP_3) | instskip(SKIP_2) | instid1(VALU_DEP_4)
	v_cndmask_b32_e64 v49, 0xffff, v41, s4
	v_cmp_o_f16_e64 s4, v3, v3
	v_xor_b32_e32 v3, v47, v46
	v_cmp_eq_u32_e64 s8, 0, v2
	v_cmp_eq_u32_e64 s12, 1, v2
	v_xor_b32_e32 v4, v49, v48
	v_cndmask_b32_e64 v5, 0xffff, v7, s4
	v_cndmask_b32_e64 v3, 0xffff, v3, s5
	v_cmp_eq_u32_e64 s4, s99, v6
	v_cmp_eq_u32_e64 s16, 2, v2
	v_cndmask_b32_e64 v4, 0xffff, v4, s6
	v_and_b32_e32 v7, s98, v5
	v_bfe_u32 v5, v5, s69, 2
	v_and_b32_e32 v8, s98, v3
	v_bfe_u32 v3, v3, s69, 2
	;; [unrolled: 2-line block ×3, first 2 shown]
	v_cmp_eq_u32_e64 s5, s99, v7
	v_cmp_eq_u32_e64 s9, 0, v5
	v_cmp_eq_u32_e64 s6, s99, v8
	v_cmp_eq_u32_e64 s10, 0, v3
	s_and_b32 s8, s4, s8
	v_cmp_eq_u32_e64 s7, s99, v9
	v_cmp_eq_u32_e64 s11, 0, v4
	v_cmp_eq_u32_e64 s20, 3, v2
	v_cndmask_b32_e64 v2, 0, 1, s8
	s_and_b32 s8, s5, s9
	v_cmp_eq_u32_e64 s14, 1, v3
	v_cmp_eq_u32_e64 s18, 2, v3
	v_cmp_eq_u32_e64 s22, 3, v3
	v_cndmask_b32_e64 v3, 0, 1, s8
	;; [unrolled: 5-line block ×4, first 2 shown]
	v_cmp_ne_u32_e64 s8, 0, v2
	v_cmp_ne_u32_e64 s9, 0, v3
	;; [unrolled: 1-line block ×3, first 2 shown]
	s_delay_alu instid0(VALU_DEP_4) | instskip(NEXT) | instid1(VALU_DEP_4)
	v_cmp_ne_u32_e64 s11, 0, v5
	s_bcnt1_i32_b32 s8, s8
	s_delay_alu instid0(VALU_DEP_3) | instskip(NEXT) | instid1(VALU_DEP_2)
	s_bcnt1_i32_b32 s9, s9
	s_bcnt1_i32_b32 s10, s10
	s_add_i32 s8, s9, s8
	s_bcnt1_i32_b32 s11, s11
	s_add_i32 s8, s8, s10
	s_delay_alu instid0(SALU_CYCLE_1) | instskip(NEXT) | instid1(SALU_CYCLE_1)
	s_add_i32 s8, s8, s11
	s_add_u32 s76, s76, s8
	s_addc_u32 s77, s77, 0
	s_and_b32 s8, s4, s12
	s_delay_alu instid0(SALU_CYCLE_1) | instskip(SKIP_1) | instid1(SALU_CYCLE_1)
	v_cndmask_b32_e64 v2, 0, 1, s8
	s_and_b32 s8, s5, s13
	v_cndmask_b32_e64 v3, 0, 1, s8
	s_and_b32 s8, s6, s14
	s_delay_alu instid0(SALU_CYCLE_1) | instskip(SKIP_1) | instid1(VALU_DEP_2)
	v_cndmask_b32_e64 v4, 0, 1, s8
	s_and_b32 s8, s7, s15
	v_cmp_ne_u32_e64 s9, 0, v3
	v_cndmask_b32_e64 v5, 0, 1, s8
	v_cmp_ne_u32_e64 s8, 0, v2
	v_cmp_ne_u32_e64 s10, 0, v4
	s_delay_alu instid0(VALU_DEP_4) | instskip(NEXT) | instid1(VALU_DEP_3)
	s_bcnt1_i32_b32 s9, s9
	v_cmp_ne_u32_e64 s11, 0, v5
	s_delay_alu instid0(VALU_DEP_3) | instskip(NEXT) | instid1(VALU_DEP_2)
	s_bcnt1_i32_b32 s8, s8
	s_bcnt1_i32_b32 s10, s10
	s_add_i32 s8, s9, s8
	s_delay_alu instid0(VALU_DEP_1) | instskip(SKIP_1) | instid1(SALU_CYCLE_1)
	s_bcnt1_i32_b32 s11, s11
	s_add_i32 s8, s8, s10
	s_add_i32 s8, s8, s11
	s_delay_alu instid0(SALU_CYCLE_1) | instskip(SKIP_2) | instid1(SALU_CYCLE_1)
	s_add_u32 s74, s74, s8
	s_addc_u32 s75, s75, 0
	s_and_b32 s8, s4, s16
	v_cndmask_b32_e64 v2, 0, 1, s8
	s_and_b32 s8, s5, s17
	s_delay_alu instid0(SALU_CYCLE_1) | instskip(SKIP_1) | instid1(SALU_CYCLE_1)
	v_cndmask_b32_e64 v3, 0, 1, s8
	s_and_b32 s8, s6, s18
	v_cndmask_b32_e64 v4, 0, 1, s8
	s_and_b32 s8, s7, s19
	s_delay_alu instid0(VALU_DEP_2) | instskip(SKIP_3) | instid1(VALU_DEP_4)
	v_cmp_ne_u32_e64 s9, 0, v3
	v_cndmask_b32_e64 v5, 0, 1, s8
	v_cmp_ne_u32_e64 s8, 0, v2
	v_cmp_ne_u32_e64 s10, 0, v4
	s_bcnt1_i32_b32 s9, s9
	s_delay_alu instid0(VALU_DEP_3) | instskip(NEXT) | instid1(VALU_DEP_3)
	v_cmp_ne_u32_e64 s11, 0, v5
	s_bcnt1_i32_b32 s8, s8
	s_delay_alu instid0(VALU_DEP_2) | instskip(SKIP_1) | instid1(VALU_DEP_1)
	s_bcnt1_i32_b32 s10, s10
	s_add_i32 s8, s9, s8
	s_bcnt1_i32_b32 s11, s11
	s_add_i32 s8, s8, s10
	s_delay_alu instid0(SALU_CYCLE_1) | instskip(NEXT) | instid1(SALU_CYCLE_1)
	s_add_i32 s8, s8, s11
	s_add_u32 s72, s72, s8
	s_addc_u32 s73, s73, 0
	s_and_b32 s4, s4, s20
	v_mov_b32_e32 v6, s72
	v_cndmask_b32_e64 v2, 0, 1, s4
	s_and_b32 s4, s5, s21
	v_mov_b32_e32 v7, s73
	v_cndmask_b32_e64 v3, 0, 1, s4
	s_and_b32 s4, s6, s22
	s_delay_alu instid0(SALU_CYCLE_1) | instskip(SKIP_1) | instid1(VALU_DEP_2)
	v_cndmask_b32_e64 v4, 0, 1, s4
	s_and_b32 s4, s7, s23
	v_cmp_ne_u32_e64 s5, 0, v3
	v_cndmask_b32_e64 v5, 0, 1, s4
	v_cmp_ne_u32_e64 s4, 0, v2
	v_cmp_ne_u32_e64 s6, 0, v4
	v_mov_b32_e32 v2, s76
	s_bcnt1_i32_b32 s5, s5
	v_cmp_ne_u32_e64 s7, 0, v5
	v_mov_b32_e32 v4, s74
	s_bcnt1_i32_b32 s4, s4
	s_bcnt1_i32_b32 s6, s6
	s_add_i32 s4, s5, s4
	s_bcnt1_i32_b32 s5, s7
	s_add_i32 s4, s4, s6
	v_mov_b32_e32 v3, s77
	s_add_i32 s4, s4, s5
	v_mov_b32_e32 v5, s75
	s_add_u32 s70, s70, s4
	s_addc_u32 s71, s71, 0
	s_delay_alu instid0(SALU_CYCLE_1) | instskip(SKIP_1) | instid1(SALU_CYCLE_1)
	v_dual_mov_b32 v8, s70 :: v_dual_mov_b32 v9, s71
	s_or_b32 s100, vcc_lo, s100
	s_and_not1_b32 exec_lo, exec_lo, s100
	s_cbranch_execnz .LBB61_54
; %bb.55:                               ;   in Loop: Header=BB61_17 Depth=1
	s_or_b32 exec_lo, exec_lo, s100
.LBB61_56:                              ;   in Loop: Header=BB61_17 Depth=1
	s_delay_alu instid0(SALU_CYCLE_1) | instskip(SKIP_3) | instid1(VALU_DEP_2)
	s_or_b32 exec_lo, exec_lo, s60
	v_add_co_u32 v25, vcc_lo, v25, v0
	v_add_co_ci_u32_e32 v26, vcc_lo, 0, v26, vcc_lo
	v_mov_b32_e32 v30, 0
	v_cmp_gt_i64_e32 vcc_lo, s[24:25], v[25:26]
	s_and_saveexec_b32 s5, vcc_lo
	s_cbranch_execz .LBB61_58
; %bb.57:                               ;   in Loop: Header=BB61_17 Depth=1
	v_mul_lo_u32 v29, v26, s30
	v_mul_lo_u32 v30, v25, s31
	v_mad_u64_u32 v[27:28], null, v25, s30, 0
	s_delay_alu instid0(VALU_DEP_1) | instskip(NEXT) | instid1(VALU_DEP_1)
	v_add3_u32 v28, v28, v30, v29
	v_lshlrev_b64 v[27:28], 1, v[27:28]
	s_delay_alu instid0(VALU_DEP_1) | instskip(NEXT) | instid1(VALU_DEP_1)
	v_add_co_u32 v27, s4, s58, v27
	v_add_co_ci_u32_e64 v28, s4, s59, v28, s4
	global_load_u16 v30, v[27:28], off
.LBB61_58:                              ;   in Loop: Header=BB61_17 Depth=1
	s_or_b32 exec_lo, exec_lo, s5
	s_and_saveexec_b32 s8, vcc_lo
	s_cbranch_execz .LBB61_65
; %bb.59:                               ;   in Loop: Header=BB61_17 Depth=1
	v_add_co_u32 v27, vcc_lo, v38, v12
	v_add_co_ci_u32_e32 v28, vcc_lo, 0, v39, vcc_lo
	v_mul_lo_u32 v44, s65, v12
	s_delay_alu instid0(VALU_DEP_3) | instskip(NEXT) | instid1(VALU_DEP_3)
	v_sub_co_u32 v27, vcc_lo, v27, v23
	v_sub_co_ci_u32_e32 v23, vcc_lo, v28, v24, vcc_lo
	v_mul_hi_u32 v45, s64, v12
	s_delay_alu instid0(VALU_DEP_3) | instskip(SKIP_1) | instid1(VALU_DEP_3)
	v_mul_lo_u32 v29, s65, v27
	s_and_b32 s10, s92, 0xfe
	v_mul_lo_u32 v28, s64, v23
	v_mad_u64_u32 v[23:24], null, s64, v27, s[58:59]
	v_mul_lo_u32 v27, s64, v12
	s_mov_b32 s9, 0
	s_delay_alu instid0(VALU_DEP_2)
	v_add3_u32 v24, v29, v24, v28
	v_add_nc_u32_e32 v28, v45, v44
	s_branch .LBB61_61
.LBB61_60:                              ;   in Loop: Header=BB61_61 Depth=2
	s_or_b32 exec_lo, exec_lo, s5
	s_waitcnt vmcnt(0)
	v_cmp_lt_i16_e64 s4, -1, v30
	v_and_b32_e32 v44, 0xffff, v30
	s_and_b32 s5, exec_lo, vcc_lo
	s_delay_alu instid0(SALU_CYCLE_1) | instskip(NEXT) | instid1(VALU_DEP_2)
	s_or_b32 s9, s5, s9
	v_cndmask_b32_e64 v45, 0xffff, v41, s4
	v_cmp_o_f16_e64 s4, v30, v30
	s_delay_alu instid0(VALU_DEP_2) | instskip(NEXT) | instid1(VALU_DEP_1)
	v_xor_b32_e32 v44, v45, v44
	v_cndmask_b32_e64 v30, 0xffff, v44, s4
	s_delay_alu instid0(VALU_DEP_1) | instskip(SKIP_1) | instid1(VALU_DEP_2)
	v_and_b32_e32 v44, s98, v30
	v_bfe_u32 v30, v30, s10, 2
	v_cmp_eq_u32_e32 vcc_lo, s99, v44
	s_delay_alu instid0(VALU_DEP_2) | instskip(SKIP_3) | instid1(VALU_DEP_4)
	v_cmp_eq_u32_e64 s4, 0, v30
	v_cmp_eq_u32_e64 s5, 1, v30
	;; [unrolled: 1-line block ×4, first 2 shown]
	s_and_b32 s4, vcc_lo, s4
	s_delay_alu instid0(SALU_CYCLE_1) | instskip(SKIP_1) | instid1(SALU_CYCLE_1)
	v_cndmask_b32_e64 v30, 0, 1, s4
	s_and_b32 s4, vcc_lo, s5
	v_cndmask_b32_e64 v44, 0, 1, s4
	s_and_b32 s4, vcc_lo, s6
	s_delay_alu instid0(SALU_CYCLE_1)
	v_cndmask_b32_e64 v45, 0, 1, s4
	s_and_b32 s4, vcc_lo, s7
	v_cmp_ne_u32_e32 vcc_lo, 0, v30
	v_cndmask_b32_e64 v46, 0, 1, s4
	v_cmp_ne_u32_e64 s4, 0, v44
	v_cmp_ne_u32_e64 s5, 0, v45
	v_mov_b32_e32 v30, v29
	s_bcnt1_i32_b32 s7, vcc_lo
	v_cmp_ne_u32_e64 s6, 0, v46
	v_add_co_u32 v2, vcc_lo, v2, s7
	s_bcnt1_i32_b32 s4, s4
	v_add_co_ci_u32_e32 v3, vcc_lo, 0, v3, vcc_lo
	v_add_co_u32 v4, vcc_lo, v4, s4
	s_bcnt1_i32_b32 s5, s5
	v_add_co_ci_u32_e32 v5, vcc_lo, 0, v5, vcc_lo
	;; [unrolled: 3-line block ×3, first 2 shown]
	v_add_co_u32 v8, vcc_lo, v8, s4
	v_add_co_ci_u32_e32 v9, vcc_lo, 0, v9, vcc_lo
	v_add_co_u32 v23, vcc_lo, v23, v27
	v_add_co_ci_u32_e32 v24, vcc_lo, v24, v28, vcc_lo
	s_and_not1_b32 exec_lo, exec_lo, s9
	s_cbranch_execz .LBB61_64
.LBB61_61:                              ;   Parent Loop BB61_17 Depth=1
                                        ; =>  This Inner Loop Header: Depth=2
	v_add_co_u32 v25, vcc_lo, v25, v12
	v_add_co_ci_u32_e32 v26, vcc_lo, 0, v26, vcc_lo
	v_mov_b32_e32 v29, 0
	s_mov_b32 s5, exec_lo
	s_delay_alu instid0(VALU_DEP_2)
	v_cmp_le_i64_e32 vcc_lo, s[24:25], v[25:26]
	v_cmpx_gt_i64_e64 s[24:25], v[25:26]
	s_cbranch_execz .LBB61_60
; %bb.62:                               ;   in Loop: Header=BB61_61 Depth=2
	global_load_u16 v29, v[23:24], off
	s_branch .LBB61_60
.LBB61_63:                              ;   in Loop: Header=BB61_17 Depth=1
                                        ; implicit-def: $vgpr8_vgpr9
                                        ; implicit-def: $vgpr4_vgpr5
	s_cbranch_execnz .LBB61_66
	s_branch .LBB61_75
.LBB61_64:                              ;   in Loop: Header=BB61_17 Depth=1
	s_or_b32 exec_lo, exec_lo, s9
.LBB61_65:                              ;   in Loop: Header=BB61_17 Depth=1
	s_delay_alu instid0(SALU_CYCLE_1)
	s_or_b32 exec_lo, exec_lo, s8
	s_branch .LBB61_75
.LBB61_66:                              ;   in Loop: Header=BB61_17 Depth=1
	global_load_u16 v8, v13, s[62:63]
	s_mov_b64 s[70:71], 0
	s_mov_b32 s69, exec_lo
	s_waitcnt vmcnt(0)
	v_readfirstlane_b32 s4, v8
	v_and_b32_e32 v25, 0xffff, v8
	s_delay_alu instid0(VALU_DEP_2) | instskip(NEXT) | instid1(SALU_CYCLE_1)
	s_and_b32 s4, 0xffff, s4
	s_lshl_b32 s60, s4, 2
	s_delay_alu instid0(SALU_CYCLE_1) | instskip(SKIP_1) | instid1(VALU_DEP_1)
	v_cvt_f32_u32_e32 v2, s60
	s_sub_i32 s5, 0, s60
	v_rcp_iflag_f32_e32 v2, v2
	s_waitcnt_depctr 0xfff
	v_mul_f32_e32 v2, 0x4f7ffffe, v2
	s_delay_alu instid0(VALU_DEP_1) | instskip(NEXT) | instid1(VALU_DEP_1)
	v_cvt_u32_f32_e32 v2, v2
	v_readfirstlane_b32 s4, v2
	v_mov_b32_e32 v2, 0
	v_mov_b32_e32 v3, 0
	s_delay_alu instid0(VALU_DEP_3) | instskip(NEXT) | instid1(VALU_DEP_1)
	s_mul_i32 s5, s5, s4
	v_dual_mov_b32 v5, v3 :: v_dual_mov_b32 v4, v2
	s_mul_hi_u32 s5, s4, s5
	v_dual_mov_b32 v7, v3 :: v_dual_mov_b32 v6, v2
	s_add_i32 s4, s4, s5
	v_dual_mov_b32 v9, v3 :: v_dual_mov_b32 v8, v2
	s_mul_hi_u32 s4, s68, s4
	s_delay_alu instid0(SALU_CYCLE_1) | instskip(NEXT) | instid1(SALU_CYCLE_1)
	s_mul_i32 s4, s4, s60
	s_sub_i32 s4, s68, s4
	s_delay_alu instid0(SALU_CYCLE_1) | instskip(SKIP_2) | instid1(SALU_CYCLE_1)
	s_sub_i32 s5, s4, s60
	s_cmp_ge_u32 s4, s60
	s_cselect_b32 s4, s5, s4
	s_sub_i32 s5, s4, s60
	s_cmp_ge_u32 s4, s60
	s_cselect_b32 s4, s5, s4
	s_delay_alu instid0(SALU_CYCLE_1) | instskip(NEXT) | instid1(SALU_CYCLE_1)
	s_sub_i32 s54, s68, s4
	v_cmpx_gt_u32_e64 s54, v14
	s_cbranch_execz .LBB61_70
; %bb.67:                               ;   in Loop: Header=BB61_17 Depth=1
	v_mov_b32_e32 v24, v15
	v_dual_mov_b32 v23, v14 :: v_dual_lshlrev_b32 v12, 3, v25
	v_mov_b32_e32 v26, v35
	s_and_b32 s100, s92, 0xfe
	s_mov_b32 s101, 0
	s_mov_b64 s[72:73], 0
	s_mov_b64 s[74:75], 0
	;; [unrolled: 1-line block ×3, first 2 shown]
.LBB61_68:                              ;   Parent Loop BB61_17 Depth=1
                                        ; =>  This Inner Loop Header: Depth=2
	ds_load_b64 v[2:3], v26
	v_add_co_u32 v23, vcc_lo, v23, s60
	v_add_co_ci_u32_e32 v24, vcc_lo, 0, v24, vcc_lo
	s_delay_alu instid0(VALU_DEP_1)
	v_cmp_le_u64_e32 vcc_lo, s[54:55], v[23:24]
	s_waitcnt lgkmcnt(0)
	v_cmp_lt_i16_e64 s4, -1, v2
	v_lshrrev_b32_e32 v4, 16, v2
	v_lshrrev_b32_e32 v9, 16, v3
	v_and_b32_e32 v5, 0xffff, v2
	v_and_b32_e32 v7, 0xffff, v3
	v_cndmask_b32_e64 v6, 0xffff, v41, s4
	v_cmp_lt_i16_e64 s4, -1, v3
	v_cmp_lt_i16_e64 s5, -1, v9
	s_delay_alu instid0(VALU_DEP_3) | instskip(NEXT) | instid1(VALU_DEP_3)
	v_xor_b32_e32 v5, v6, v5
	v_cndmask_b32_e64 v8, 0xffff, v41, s4
	v_cmp_lt_i16_e64 s4, -1, v4
	s_delay_alu instid0(VALU_DEP_2) | instskip(NEXT) | instid1(VALU_DEP_2)
	v_xor_b32_e32 v7, v8, v7
	v_cndmask_b32_e64 v6, 0xffff, v41, s4
	v_cmp_o_f16_e64 s4, v3, v3
	v_cndmask_b32_e64 v3, 0xffff, v41, s5
	v_cmp_o_f16_e64 s5, v2, v2
	s_delay_alu instid0(VALU_DEP_2) | instskip(NEXT) | instid1(VALU_DEP_2)
	v_xor_b32_e32 v3, v3, v9
	v_cndmask_b32_e64 v2, 0xffff, v5, s5
	v_xor_b32_e32 v5, v6, v4
	v_cmp_o_f16_e64 s5, v4, v4
	v_cndmask_b32_e64 v6, 0xffff, v7, s4
	v_cmp_o_f16_e64 s4, v9, v9
	s_delay_alu instid0(VALU_DEP_3) | instskip(SKIP_1) | instid1(VALU_DEP_3)
	v_cndmask_b32_e64 v4, 0xffff, v5, s5
	v_and_b32_e32 v5, s98, v2
	v_cndmask_b32_e64 v3, 0xffff, v3, s4
	v_and_b32_e32 v7, s98, v6
	v_bfe_u32 v2, v2, s100, 2
	v_bfe_u32 v6, v6, s100, 2
	v_cmp_eq_u32_e64 s4, s99, v5
	v_and_b32_e32 v5, s98, v4
	v_bfe_u32 v4, v4, s100, 2
	v_cmp_eq_u32_e64 s5, s99, v7
	v_and_b32_e32 v7, s98, v3
	v_bfe_u32 v3, v3, s100, 2
	v_cmp_eq_u32_e64 s6, 0, v2
	v_cmp_eq_u32_e64 s14, s99, v5
	;; [unrolled: 1-line block ×6, first 2 shown]
	s_and_b32 s6, s4, s6
	s_and_b32 s16, s14, s16
	v_cmp_eq_u32_e64 s8, 1, v2
	v_cmp_eq_u32_e64 s10, 2, v2
	;; [unrolled: 1-line block ×3, first 2 shown]
	v_cndmask_b32_e64 v2, 0, 1, s6
	s_and_b32 s6, s5, s7
	v_cmp_eq_u32_e64 s7, 1, v3
	v_cmp_eq_u32_e64 s19, 2, v3
	v_cmp_eq_u32_e64 s21, 3, v3
	v_cndmask_b32_e64 v3, 0, 1, s16
	v_cndmask_b32_e64 v5, 0, 1, s6
	s_and_b32 s16, s15, s17
	v_cmp_eq_u32_e64 s6, 1, v4
	v_cmp_eq_u32_e64 s18, 2, v4
	;; [unrolled: 1-line block ×3, first 2 shown]
	v_cndmask_b32_e64 v4, 0, 1, s16
	v_cmp_ne_u32_e64 s16, 0, v2
	v_cmp_ne_u32_e64 s22, 0, v3
	;; [unrolled: 1-line block ×3, first 2 shown]
	v_cmp_eq_u32_e64 s9, 1, v6
	v_cmp_ne_u32_e64 s23, 0, v4
	s_bcnt1_i32_b32 s16, s16
	s_bcnt1_i32_b32 s22, s22
	;; [unrolled: 1-line block ×3, first 2 shown]
	s_add_i32 s16, s22, s16
	s_bcnt1_i32_b32 s23, s23
	s_add_i32 s16, s16, s17
	v_cmp_eq_u32_e64 s11, 2, v6
	s_add_i32 s16, s16, s23
	v_cmp_eq_u32_e64 s13, 3, v6
	s_add_u32 s76, s76, s16
	s_addc_u32 s77, s77, 0
	s_and_b32 s8, s4, s8
	s_and_b32 s6, s14, s6
	v_cndmask_b32_e64 v2, 0, 1, s8
	v_cndmask_b32_e64 v3, 0, 1, s6
	s_and_b32 s6, s5, s9
	v_add_nc_u32_e32 v26, v26, v12
	v_cndmask_b32_e64 v4, 0, 1, s6
	s_and_b32 s6, s15, s7
	v_cmp_ne_u32_e64 s7, 0, v3
	v_cndmask_b32_e64 v5, 0, 1, s6
	v_cmp_ne_u32_e64 s6, 0, v2
	v_cmp_ne_u32_e64 s8, 0, v4
	s_delay_alu instid0(VALU_DEP_4) | instskip(NEXT) | instid1(VALU_DEP_3)
	s_bcnt1_i32_b32 s7, s7
	v_cmp_ne_u32_e64 s9, 0, v5
	s_delay_alu instid0(VALU_DEP_3) | instskip(NEXT) | instid1(VALU_DEP_2)
	s_bcnt1_i32_b32 s6, s6
	s_bcnt1_i32_b32 s8, s8
	s_add_i32 s6, s7, s6
	s_delay_alu instid0(VALU_DEP_1) | instskip(SKIP_1) | instid1(SALU_CYCLE_1)
	s_bcnt1_i32_b32 s9, s9
	s_add_i32 s6, s6, s8
	s_add_i32 s6, s6, s9
	s_delay_alu instid0(SALU_CYCLE_1) | instskip(SKIP_2) | instid1(SALU_CYCLE_1)
	s_add_u32 s74, s74, s6
	s_addc_u32 s75, s75, 0
	s_and_b32 s6, s4, s10
	v_cndmask_b32_e64 v2, 0, 1, s6
	s_and_b32 s6, s14, s18
	s_delay_alu instid0(SALU_CYCLE_1) | instskip(SKIP_1) | instid1(SALU_CYCLE_1)
	v_cndmask_b32_e64 v3, 0, 1, s6
	s_and_b32 s6, s5, s11
	v_cndmask_b32_e64 v4, 0, 1, s6
	s_and_b32 s6, s15, s19
	s_delay_alu instid0(VALU_DEP_2) | instskip(SKIP_3) | instid1(VALU_DEP_4)
	v_cmp_ne_u32_e64 s7, 0, v3
	v_cndmask_b32_e64 v5, 0, 1, s6
	v_cmp_ne_u32_e64 s6, 0, v2
	v_cmp_ne_u32_e64 s8, 0, v4
	s_bcnt1_i32_b32 s7, s7
	s_delay_alu instid0(VALU_DEP_3) | instskip(NEXT) | instid1(VALU_DEP_3)
	v_cmp_ne_u32_e64 s9, 0, v5
	s_bcnt1_i32_b32 s6, s6
	s_delay_alu instid0(VALU_DEP_2) | instskip(SKIP_1) | instid1(VALU_DEP_1)
	s_bcnt1_i32_b32 s8, s8
	s_add_i32 s6, s7, s6
	s_bcnt1_i32_b32 s9, s9
	s_add_i32 s6, s6, s8
	s_delay_alu instid0(SALU_CYCLE_1) | instskip(NEXT) | instid1(SALU_CYCLE_1)
	s_add_i32 s6, s6, s9
	s_add_u32 s72, s72, s6
	s_addc_u32 s73, s73, 0
	s_and_b32 s4, s4, s12
	v_mov_b32_e32 v6, s72
	v_cndmask_b32_e64 v2, 0, 1, s4
	s_and_b32 s4, s14, s20
	v_mov_b32_e32 v7, s73
	v_cndmask_b32_e64 v3, 0, 1, s4
	s_and_b32 s4, s5, s13
	s_delay_alu instid0(SALU_CYCLE_1) | instskip(SKIP_1) | instid1(VALU_DEP_2)
	v_cndmask_b32_e64 v4, 0, 1, s4
	s_and_b32 s4, s15, s21
	v_cmp_ne_u32_e64 s5, 0, v3
	v_cndmask_b32_e64 v5, 0, 1, s4
	v_cmp_ne_u32_e64 s4, 0, v2
	v_cmp_ne_u32_e64 s6, 0, v4
	v_dual_mov_b32 v2, s76 :: v_dual_mov_b32 v3, s77
	s_delay_alu instid0(VALU_DEP_4) | instskip(NEXT) | instid1(VALU_DEP_4)
	v_cmp_ne_u32_e64 s7, 0, v5
	s_bcnt1_i32_b32 s4, s4
	s_bcnt1_i32_b32 s5, s5
	;; [unrolled: 1-line block ×3, first 2 shown]
	s_add_i32 s4, s5, s4
	s_bcnt1_i32_b32 s5, s7
	s_add_i32 s4, s4, s6
	v_mov_b32_e32 v4, s74
	s_add_i32 s4, s4, s5
	v_mov_b32_e32 v5, s75
	s_add_u32 s70, s70, s4
	s_addc_u32 s71, s71, 0
	s_delay_alu instid0(SALU_CYCLE_1) | instskip(SKIP_1) | instid1(SALU_CYCLE_1)
	v_dual_mov_b32 v8, s70 :: v_dual_mov_b32 v9, s71
	s_or_b32 s101, vcc_lo, s101
	s_and_not1_b32 exec_lo, exec_lo, s101
	s_cbranch_execnz .LBB61_68
; %bb.69:                               ;   in Loop: Header=BB61_17 Depth=1
	s_or_b32 exec_lo, exec_lo, s101
.LBB61_70:                              ;   in Loop: Header=BB61_17 Depth=1
	s_delay_alu instid0(SALU_CYCLE_1) | instskip(SKIP_2) | instid1(VALU_DEP_1)
	s_or_b32 exec_lo, exec_lo, s69
	v_add_nc_u32_e32 v12, s54, v0
	s_mov_b32 s9, exec_lo
	v_cmpx_gt_u32_e64 s68, v12
	s_cbranch_execz .LBB61_74
; %bb.71:                               ;   in Loop: Header=BB61_17 Depth=1
	v_dual_mov_b32 v24, v13 :: v_dual_lshlrev_b32 v27, 1, v25
	v_dual_mov_b32 v23, v12 :: v_dual_lshlrev_b32 v26, 1, v12
	s_mov_b32 s11, 0
	s_and_b32 s10, s68, 0x7fffffff
	s_and_b32 s13, s92, 0xfe
	s_mov_b32 s12, s11
.LBB61_72:                              ;   Parent Loop BB61_17 Depth=1
                                        ; =>  This Inner Loop Header: Depth=2
	ds_load_u16 v12, v26
	v_add_co_u32 v23, vcc_lo, v23, v25
	v_add_co_ci_u32_e32 v24, vcc_lo, 0, v24, vcc_lo
	v_add_nc_u32_e32 v26, v26, v27
	s_delay_alu instid0(VALU_DEP_2) | instskip(SKIP_3) | instid1(VALU_DEP_2)
	v_cmp_le_u64_e32 vcc_lo, s[10:11], v[23:24]
	s_waitcnt lgkmcnt(0)
	v_cmp_lt_i16_e64 s4, -1, v12
	v_and_b32_e32 v28, 0xffff, v12
	v_cndmask_b32_e64 v29, 0xffff, v41, s4
	v_cmp_o_f16_e64 s4, v12, v12
	s_delay_alu instid0(VALU_DEP_2) | instskip(NEXT) | instid1(VALU_DEP_1)
	v_xor_b32_e32 v28, v29, v28
	v_cndmask_b32_e64 v12, 0xffff, v28, s4
	s_delay_alu instid0(VALU_DEP_1) | instskip(SKIP_1) | instid1(VALU_DEP_2)
	v_and_b32_e32 v28, s98, v12
	v_bfe_u32 v12, v12, s13, 2
	v_cmp_eq_u32_e64 s4, s99, v28
	s_delay_alu instid0(VALU_DEP_2) | instskip(SKIP_3) | instid1(VALU_DEP_4)
	v_cmp_eq_u32_e64 s5, 0, v12
	v_cmp_eq_u32_e64 s6, 1, v12
	;; [unrolled: 1-line block ×4, first 2 shown]
	s_and_b32 s5, s4, s5
	s_delay_alu instid0(SALU_CYCLE_1) | instskip(SKIP_1) | instid1(SALU_CYCLE_1)
	v_cndmask_b32_e64 v12, 0, 1, s5
	s_and_b32 s5, s4, s6
	v_cndmask_b32_e64 v28, 0, 1, s5
	s_and_b32 s5, s4, s7
	s_and_b32 s4, s4, s8
	v_cndmask_b32_e64 v29, 0, 1, s5
	v_cndmask_b32_e64 v30, 0, 1, s4
	v_cmp_ne_u32_e64 s4, 0, v12
	v_cmp_ne_u32_e64 s5, 0, v28
	s_delay_alu instid0(VALU_DEP_4) | instskip(NEXT) | instid1(VALU_DEP_4)
	v_cmp_ne_u32_e64 s6, 0, v29
	v_cmp_ne_u32_e64 s7, 0, v30
	s_delay_alu instid0(VALU_DEP_4) | instskip(NEXT) | instid1(VALU_DEP_3)
	s_bcnt1_i32_b32 s4, s4
	s_bcnt1_i32_b32 s5, s5
	v_add_co_u32 v2, s4, v2, s4
	s_delay_alu instid0(VALU_DEP_1)
	v_add_co_ci_u32_e64 v3, s4, 0, v3, s4
	v_add_co_u32 v4, s4, v4, s5
	s_bcnt1_i32_b32 s6, s6
	v_add_co_ci_u32_e64 v5, s4, 0, v5, s4
	v_add_co_u32 v6, s4, v6, s6
	s_bcnt1_i32_b32 s7, s7
	v_add_co_ci_u32_e64 v7, s4, 0, v7, s4
	v_add_co_u32 v8, s4, v8, s7
	s_delay_alu instid0(VALU_DEP_1) | instskip(SKIP_1) | instid1(SALU_CYCLE_1)
	v_add_co_ci_u32_e64 v9, s4, 0, v9, s4
	s_or_b32 s12, vcc_lo, s12
	s_and_not1_b32 exec_lo, exec_lo, s12
	s_cbranch_execnz .LBB61_72
; %bb.73:                               ;   in Loop: Header=BB61_17 Depth=1
	s_or_b32 exec_lo, exec_lo, s12
.LBB61_74:                              ;   in Loop: Header=BB61_17 Depth=1
	s_delay_alu instid0(SALU_CYCLE_1)
	s_or_b32 exec_lo, exec_lo, s9
.LBB61_75:                              ;   in Loop: Header=BB61_17 Depth=1
	s_lshl_b32 s4, s94, 7
	s_and_saveexec_b32 s5, s1
	s_cbranch_execz .LBB61_77
; %bb.76:                               ;   in Loop: Header=BB61_17 Depth=1
	v_or_b32_e32 v12, s4, v34
	s_delay_alu instid0(VALU_DEP_1)
	v_lshlrev_b32_e32 v12, 3, v12
	ds_store_b128 v12, v[2:5] offset:3072
	ds_store_b128 v12, v[6:9] offset:3088
.LBB61_77:                              ;   in Loop: Header=BB61_17 Depth=1
	s_or_b32 exec_lo, exec_lo, s5
	s_waitcnt vmcnt(0) lgkmcnt(0)
	s_barrier
	buffer_gl0_inv
	s_and_saveexec_b32 s5, s35
	s_cbranch_execz .LBB61_88
; %bb.78:                               ;   in Loop: Header=BB61_17 Depth=1
	v_mov_b32_e32 v2, 0
	v_mov_b32_e32 v3, 0
	s_and_not1_b32 vcc_lo, exec_lo, s85
	s_cbranch_vccnz .LBB61_87
; %bb.79:                               ;   in Loop: Header=BB61_17 Depth=1
	v_mov_b32_e32 v2, 0
	v_mov_b32_e32 v3, 0
	s_and_not1_b32 vcc_lo, exec_lo, s83
	s_cbranch_vccnz .LBB61_84
; %bb.80:                               ;   in Loop: Header=BB61_17 Depth=1
	v_lshl_add_u32 v4, s94, 10, v40
	s_mov_b32 s6, 0
	s_set_inst_prefetch_distance 0x1
	.p2align	6
.LBB61_81:                              ;   Parent Loop BB61_17 Depth=1
                                        ; =>  This Inner Loop Header: Depth=2
	ds_load_2addr_b64 v[5:8], v4 offset1:4
	ds_load_2addr_b64 v[23:26], v4 offset0:8 offset1:12
	ds_load_2addr_b64 v[27:30], v4 offset0:16 offset1:20
	s_add_i32 s6, s6, 8
	s_delay_alu instid0(SALU_CYCLE_1) | instskip(SKIP_3) | instid1(VALU_DEP_2)
	s_cmp_eq_u32 s84, s6
	s_waitcnt lgkmcnt(2)
	v_add_co_u32 v2, vcc_lo, v5, v2
	v_add_co_ci_u32_e32 v3, vcc_lo, v6, v3, vcc_lo
	v_add_co_u32 v2, vcc_lo, v7, v2
	s_delay_alu instid0(VALU_DEP_2)
	v_add_co_ci_u32_e32 v3, vcc_lo, v8, v3, vcc_lo
	ds_load_2addr_b64 v[5:8], v4 offset0:24 offset1:28
	s_waitcnt lgkmcnt(2)
	v_add_co_u32 v2, vcc_lo, v23, v2
	v_add_co_ci_u32_e32 v3, vcc_lo, v24, v3, vcc_lo
	v_add_nc_u32_e32 v4, 0x100, v4
	s_delay_alu instid0(VALU_DEP_3) | instskip(NEXT) | instid1(VALU_DEP_3)
	v_add_co_u32 v2, vcc_lo, v25, v2
	v_add_co_ci_u32_e32 v3, vcc_lo, v26, v3, vcc_lo
	s_waitcnt lgkmcnt(1)
	s_delay_alu instid0(VALU_DEP_2) | instskip(NEXT) | instid1(VALU_DEP_2)
	v_add_co_u32 v2, vcc_lo, v27, v2
	v_add_co_ci_u32_e32 v3, vcc_lo, v28, v3, vcc_lo
	s_delay_alu instid0(VALU_DEP_2) | instskip(NEXT) | instid1(VALU_DEP_2)
	v_add_co_u32 v2, vcc_lo, v29, v2
	v_add_co_ci_u32_e32 v3, vcc_lo, v30, v3, vcc_lo
	s_waitcnt lgkmcnt(0)
	s_delay_alu instid0(VALU_DEP_2) | instskip(NEXT) | instid1(VALU_DEP_2)
	v_add_co_u32 v2, vcc_lo, v5, v2
	v_add_co_ci_u32_e32 v3, vcc_lo, v6, v3, vcc_lo
	s_delay_alu instid0(VALU_DEP_2) | instskip(NEXT) | instid1(VALU_DEP_2)
	v_add_co_u32 v2, vcc_lo, v7, v2
	v_add_co_ci_u32_e32 v3, vcc_lo, v8, v3, vcc_lo
	s_cbranch_scc0 .LBB61_81
; %bb.82:                               ;   in Loop: Header=BB61_17 Depth=1
	s_set_inst_prefetch_distance 0x2
	s_mov_b32 s6, s84
	s_and_not1_b32 vcc_lo, exec_lo, s86
	s_cbranch_vccz .LBB61_85
	s_branch .LBB61_87
.LBB61_83:                              ;   in Loop: Header=BB61_17 Depth=1
                                        ; implicit-def: $vgpr23_vgpr24
	s_branch .LBB61_51
.LBB61_84:                              ;   in Loop: Header=BB61_17 Depth=1
	s_mov_b32 s6, 0
	s_and_not1_b32 vcc_lo, exec_lo, s86
	s_cbranch_vccnz .LBB61_87
.LBB61_85:                              ;   in Loop: Header=BB61_17 Depth=1
	s_lshl_b32 s7, s94, 10
	s_lshl_b32 s6, s6, 5
	s_delay_alu instid0(SALU_CYCLE_1)
	v_add3_u32 v4, s7, s6, v40
	s_mov_b32 s6, s82
.LBB61_86:                              ;   Parent Loop BB61_17 Depth=1
                                        ; =>  This Inner Loop Header: Depth=2
	ds_load_b64 v[5:6], v4
	v_add_nc_u32_e32 v4, 32, v4
	s_add_i32 s6, s6, -1
	s_delay_alu instid0(SALU_CYCLE_1)
	s_cmp_lg_u32 s6, 0
	s_waitcnt lgkmcnt(0)
	v_add_co_u32 v2, vcc_lo, v5, v2
	v_add_co_ci_u32_e32 v3, vcc_lo, v6, v3, vcc_lo
	s_cbranch_scc1 .LBB61_86
.LBB61_87:                              ;   in Loop: Header=BB61_17 Depth=1
	v_add_lshl_u32 v4, s4, v31, 3
	ds_store_b64 v4, v[2:3] offset:3072
.LBB61_88:                              ;   in Loop: Header=BB61_17 Depth=1
	s_or_b32 exec_lo, exec_lo, s5
	s_lshl_b32 s4, s4, 3
	s_waitcnt lgkmcnt(0)
	v_mov_b32_e32 v6, s4
	s_barrier
	buffer_gl0_inv
	s_and_b32 s17, s92, 0xfe
	s_mov_b32 s19, -1
	ds_load_b128 v[2:5], v6 offset:3072
	ds_load_b128 v[6:9], v6 offset:3088
	s_lshl_b32 s16, 3, s17
	s_delay_alu instid0(SALU_CYCLE_1)
	s_not_b32 s18, s16
	s_waitcnt lgkmcnt(1)
	v_readfirstlane_b32 s13, v3
	v_readfirstlane_b32 s12, v2
	;; [unrolled: 1-line block ×4, first 2 shown]
	s_waitcnt lgkmcnt(0)
	v_readfirstlane_b32 s8, v6
	v_readfirstlane_b32 s9, v7
	s_cmp_eq_u64 s[12:13], 1
	v_readfirstlane_b32 s6, v8
	s_cselect_b32 s4, -1, 0
	s_cmp_eq_u64 s[26:27], 1
	v_readfirstlane_b32 s7, v9
	s_cselect_b32 s5, -1, 0
	s_delay_alu instid0(SALU_CYCLE_1) | instskip(NEXT) | instid1(SALU_CYCLE_1)
	s_and_b32 s20, s4, s5
	s_and_b32 vcc_lo, exec_lo, s20
	s_cbranch_vccz .LBB61_103
; %bb.89:                               ;   in Loop: Header=BB61_17 Depth=1
	ds_load_b64 v[2:3], v13 offset:5120
	s_waitcnt lgkmcnt(0)
	s_barrier
	buffer_gl0_inv
	v_readfirstlane_b32 s14, v2
	v_readfirstlane_b32 s15, v3
	s_and_saveexec_b32 s4, s3
	s_cbranch_execz .LBB61_91
; %bb.90:                               ;   in Loop: Header=BB61_17 Depth=1
	ds_store_b16 v33, v13
.LBB61_91:                              ;   in Loop: Header=BB61_17 Depth=1
	s_or_b32 exec_lo, exec_lo, s4
	s_delay_alu instid0(VALU_DEP_1)
	v_cmp_lt_i64_e64 s4, s[14:15], 1
	s_and_b32 s99, s99, s18
	s_or_b32 s98, s98, s16
	s_waitcnt lgkmcnt(0)
	s_barrier
	buffer_gl0_inv
	s_and_b32 vcc_lo, exec_lo, s4
	s_cbranch_vccz .LBB61_104
; %bb.92:                               ;   in Loop: Header=BB61_17 Depth=1
	s_mov_b32 s60, s55
	s_delay_alu instid0(SALU_CYCLE_1)
	s_cmp_lg_u64 s[60:61], 0
	s_cbranch_scc0 .LBB61_149
; %bb.93:                               ;   in Loop: Header=BB61_17 Depth=1
	v_cvt_f32_u32_e32 v2, s33
	s_sub_u32 s21, 0, s33
	s_subb_u32 s22, 0, 0
	s_delay_alu instid0(VALU_DEP_1) | instskip(NEXT) | instid1(VALU_DEP_1)
	v_fmac_f32_e32 v2, 0x4f800000, v42
	v_rcp_f32_e32 v2, v2
	s_waitcnt_depctr 0xfff
	v_mul_f32_e32 v2, 0x5f7ffffc, v2
	s_delay_alu instid0(VALU_DEP_1) | instskip(NEXT) | instid1(VALU_DEP_1)
	v_mul_f32_e32 v3, 0x2f800000, v2
	v_trunc_f32_e32 v3, v3
	s_delay_alu instid0(VALU_DEP_1) | instskip(SKIP_1) | instid1(VALU_DEP_2)
	v_fmac_f32_e32 v2, 0xcf800000, v3
	v_cvt_u32_f32_e32 v3, v3
	v_cvt_u32_f32_e32 v2, v2
	s_delay_alu instid0(VALU_DEP_2) | instskip(NEXT) | instid1(VALU_DEP_2)
	v_readfirstlane_b32 s4, v3
	v_readfirstlane_b32 s5, v2
	s_delay_alu instid0(VALU_DEP_2) | instskip(NEXT) | instid1(VALU_DEP_1)
	s_mul_i32 s23, s21, s4
	s_mul_hi_u32 s60, s21, s5
	s_mul_i32 s54, s22, s5
	s_add_i32 s23, s60, s23
	s_mul_i32 s68, s21, s5
	s_add_i32 s23, s23, s54
	s_mul_hi_u32 s60, s5, s68
	s_mul_hi_u32 s69, s4, s68
	s_mul_i32 s54, s4, s68
	s_mul_hi_u32 s68, s5, s23
	s_mul_i32 s5, s5, s23
	s_mul_hi_u32 s70, s4, s23
	s_add_u32 s5, s60, s5
	s_addc_u32 s60, 0, s68
	s_add_u32 s5, s5, s54
	s_mul_i32 s23, s4, s23
	s_addc_u32 s5, s60, s69
	s_addc_u32 s54, s70, 0
	s_add_u32 s5, s5, s23
	s_addc_u32 s23, 0, s54
	v_add_co_u32 v2, s5, v2, s5
	s_delay_alu instid0(VALU_DEP_1) | instskip(SKIP_1) | instid1(VALU_DEP_1)
	s_cmp_lg_u32 s5, 0
	s_addc_u32 s4, s4, s23
	v_readfirstlane_b32 s5, v2
	s_mul_i32 s23, s21, s4
	s_delay_alu instid0(VALU_DEP_1)
	s_mul_hi_u32 s54, s21, s5
	s_mul_i32 s22, s22, s5
	s_add_i32 s23, s54, s23
	s_mul_i32 s21, s21, s5
	s_add_i32 s23, s23, s22
	s_mul_hi_u32 s54, s4, s21
	s_mul_i32 s60, s4, s21
	s_mul_hi_u32 s21, s5, s21
	s_mul_hi_u32 s68, s5, s23
	s_mul_i32 s5, s5, s23
	s_mul_hi_u32 s22, s4, s23
	s_add_u32 s5, s21, s5
	s_addc_u32 s21, 0, s68
	s_add_u32 s5, s5, s60
	s_mul_i32 s23, s4, s23
	s_addc_u32 s5, s21, s54
	s_addc_u32 s21, s22, 0
	s_add_u32 s5, s5, s23
	s_addc_u32 s21, 0, s21
	v_add_co_u32 v2, s5, v2, s5
	s_delay_alu instid0(VALU_DEP_1) | instskip(SKIP_2) | instid1(VALU_DEP_1)
	s_cmp_lg_u32 s5, 0
	s_addc_u32 s21, s4, s21
	s_ashr_i32 s22, s61, 31
	v_readfirstlane_b32 s54, v2
	s_add_u32 s4, s81, s22
	s_mov_b32 s23, s22
	s_addc_u32 s5, s61, s22
	s_delay_alu instid0(SALU_CYCLE_1) | instskip(NEXT) | instid1(SALU_CYCLE_1)
	s_xor_b64 s[4:5], s[4:5], s[22:23]
	s_mul_i32 s60, s4, s21
	s_mul_hi_u32 s68, s4, s54
	s_mul_hi_u32 s23, s4, s21
	;; [unrolled: 1-line block ×3, first 2 shown]
	s_mul_i32 s54, s5, s54
	s_add_u32 s60, s68, s60
	s_addc_u32 s23, 0, s23
	s_mul_hi_u32 s69, s5, s21
	s_add_u32 s54, s60, s54
	s_mul_i32 s21, s5, s21
	s_addc_u32 s23, s23, s70
	s_addc_u32 s54, s69, 0
	s_add_u32 s21, s23, s21
	s_addc_u32 s23, 0, s54
	s_mul_hi_u32 s54, s33, s21
	s_mul_i32 s21, s33, s21
	s_mul_i32 s23, s33, s23
	v_sub_co_u32 v2, s4, s4, s21
	s_add_i32 s54, s54, s23
	s_cmp_lg_u32 s4, 0
	s_delay_alu instid0(VALU_DEP_1) | instskip(SKIP_2) | instid1(VALU_DEP_1)
	v_sub_co_u32 v3, s4, v2, s33
	s_subb_u32 s5, s5, s54
	s_cmp_lg_u32 s4, 0
	v_cmp_le_u32_e32 vcc_lo, s33, v3
	v_sub_co_u32 v4, s4, v3, s33
	s_subb_u32 s21, s5, 0
	s_cmp_lg_u32 s4, 0
	v_cndmask_b32_e64 v5, 0, -1, vcc_lo
	s_subb_u32 s4, s21, 0
	s_cmp_eq_u32 s21, 0
	v_mov_b32_e32 v7, s4
	s_cselect_b32 vcc_lo, -1, 0
	s_cmp_eq_u32 s5, 0
	v_cndmask_b32_e32 v5, -1, v5, vcc_lo
	v_cmp_le_u32_e32 vcc_lo, s33, v2
	s_cselect_b32 s4, -1, 0
	v_cndmask_b32_e64 v6, 0, -1, vcc_lo
	s_delay_alu instid0(VALU_DEP_3) | instskip(NEXT) | instid1(VALU_DEP_2)
	v_cmp_ne_u32_e32 vcc_lo, 0, v5
	v_cndmask_b32_e64 v5, -1, v6, s4
	v_cndmask_b32_e32 v3, v3, v4, vcc_lo
	v_cndmask_b32_e32 v6, s21, v7, vcc_lo
	s_delay_alu instid0(VALU_DEP_3) | instskip(NEXT) | instid1(VALU_DEP_3)
	v_cmp_ne_u32_e32 vcc_lo, 0, v5
	v_cndmask_b32_e32 v2, v2, v3, vcc_lo
	s_delay_alu instid0(VALU_DEP_3) | instskip(NEXT) | instid1(VALU_DEP_2)
	v_cndmask_b32_e32 v4, s5, v6, vcc_lo
	v_xor_b32_e32 v2, s22, v2
	s_delay_alu instid0(VALU_DEP_2) | instskip(NEXT) | instid1(VALU_DEP_2)
	v_xor_b32_e32 v3, s22, v4
	v_sub_co_u32 v2, vcc_lo, v2, s22
	s_delay_alu instid0(VALU_DEP_2)
	v_subrev_co_ci_u32_e32 v3, vcc_lo, s22, v3, vcc_lo
	s_cbranch_execnz .LBB61_95
.LBB61_94:                              ;   in Loop: Header=BB61_17 Depth=1
	v_cvt_f32_u32_e32 v2, s33
	s_sub_i32 s4, 0, s33
	s_delay_alu instid0(VALU_DEP_1) | instskip(SKIP_2) | instid1(VALU_DEP_1)
	v_rcp_iflag_f32_e32 v2, v2
	s_waitcnt_depctr 0xfff
	v_mul_f32_e32 v2, 0x4f7ffffe, v2
	v_cvt_u32_f32_e32 v2, v2
	s_delay_alu instid0(VALU_DEP_1) | instskip(NEXT) | instid1(VALU_DEP_1)
	v_mul_lo_u32 v3, s4, v2
	v_mul_hi_u32 v3, v2, v3
	s_delay_alu instid0(VALU_DEP_1) | instskip(NEXT) | instid1(VALU_DEP_1)
	v_add_nc_u32_e32 v2, v2, v3
	v_mul_hi_u32 v2, s81, v2
	s_delay_alu instid0(VALU_DEP_1) | instskip(NEXT) | instid1(VALU_DEP_1)
	v_mul_lo_u32 v2, v2, s33
	v_sub_nc_u32_e32 v2, s81, v2
	s_delay_alu instid0(VALU_DEP_1) | instskip(SKIP_1) | instid1(VALU_DEP_2)
	v_subrev_nc_u32_e32 v3, s33, v2
	v_cmp_le_u32_e32 vcc_lo, s33, v2
	v_cndmask_b32_e32 v2, v2, v3, vcc_lo
	s_delay_alu instid0(VALU_DEP_1) | instskip(SKIP_1) | instid1(VALU_DEP_2)
	v_subrev_nc_u32_e32 v3, s33, v2
	v_cmp_le_u32_e32 vcc_lo, s33, v2
	v_cndmask_b32_e32 v12, v2, v3, vcc_lo
	s_delay_alu instid0(VALU_DEP_1)
	v_dual_mov_b32 v2, v12 :: v_dual_mov_b32 v3, v13
.LBB61_95:                              ;   in Loop: Header=BB61_17 Depth=1
	s_delay_alu instid0(VALU_DEP_1) | instskip(NEXT) | instid1(VALU_DEP_2)
	v_sub_co_u32 v2, vcc_lo, s81, v2
	v_sub_co_ci_u32_e32 v3, vcc_lo, s61, v3, vcc_lo
	s_mov_b32 s4, 0
	s_mov_b32 s5, exec_lo
                                        ; implicit-def: $vgpr43
	s_delay_alu instid0(VALU_DEP_1)
	v_cmpx_gt_i64_e64 v[2:3], v[0:1]
	s_cbranch_execz .LBB61_106
; %bb.96:                               ;   in Loop: Header=BB61_17 Depth=1
	v_dual_mov_b32 v4, v10 :: v_dual_mov_b32 v5, v11
	v_dual_mov_b32 v7, v1 :: v_dual_mov_b32 v6, v0
	s_mov_b32 s21, 0
                                        ; implicit-def: $sgpr22
	s_branch .LBB61_98
.LBB61_97:                              ;   in Loop: Header=BB61_98 Depth=2
	s_or_b32 exec_lo, exec_lo, s4
	s_waitcnt vmcnt(0) lgkmcnt(0)
	s_barrier
	buffer_gl0_inv
	ds_load_b32 v8, v13 offset:3072
	v_add_co_u32 v6, vcc_lo, v6, s33
	v_add_co_ci_u32_e32 v7, vcc_lo, 0, v7, vcc_lo
	s_waitcnt lgkmcnt(0)
	s_barrier
	buffer_gl0_inv
	v_cmp_ge_i64_e32 vcc_lo, v[6:7], v[2:3]
	v_cmp_neq_f16_e64 s4, 0, v8
	s_delay_alu instid0(VALU_DEP_1)
	s_or_b32 s23, s4, vcc_lo
	v_add_co_u32 v4, vcc_lo, v4, s56
	s_and_b32 s23, exec_lo, s23
	v_add_co_ci_u32_e32 v5, vcc_lo, s57, v5, vcc_lo
	s_or_b32 s21, s23, s21
	s_and_not1_b32 s22, s22, exec_lo
	s_and_b32 s4, s4, exec_lo
	s_delay_alu instid0(SALU_CYCLE_1)
	s_or_b32 s22, s22, s4
	s_and_not1_b32 exec_lo, exec_lo, s21
	s_cbranch_execz .LBB61_105
.LBB61_98:                              ;   Parent Loop BB61_17 Depth=1
                                        ; =>  This Inner Loop Header: Depth=2
	s_delay_alu instid0(VALU_DEP_1)
	v_cmp_gt_i64_e32 vcc_lo, s[24:25], v[6:7]
	v_mov_b32_e32 v8, 0
	s_and_saveexec_b32 s4, vcc_lo
	s_cbranch_execz .LBB61_100
; %bb.99:                               ;   in Loop: Header=BB61_98 Depth=2
	global_load_u16 v8, v[4:5], off
.LBB61_100:                             ;   in Loop: Header=BB61_98 Depth=2
	s_or_b32 exec_lo, exec_lo, s4
	s_and_saveexec_b32 s4, vcc_lo
	s_cbranch_execz .LBB61_97
; %bb.101:                              ;   in Loop: Header=BB61_98 Depth=2
	s_waitcnt vmcnt(0)
	v_cmp_lt_i16_e32 vcc_lo, -1, v8
	v_dual_cndmask_b32 v12, 0xffff, v41 :: v_dual_and_b32 v9, 0xffff, v8
	v_cmp_o_f16_e32 vcc_lo, v8, v8
	s_delay_alu instid0(VALU_DEP_2) | instskip(NEXT) | instid1(VALU_DEP_1)
	v_xor_b32_e32 v9, v12, v9
	v_cndmask_b32_e32 v9, 0xffff, v9, vcc_lo
	s_delay_alu instid0(VALU_DEP_1) | instskip(NEXT) | instid1(VALU_DEP_1)
	v_and_b32_e32 v9, s98, v9
	v_cmp_eq_u32_e32 vcc_lo, s99, v9
	s_and_b32 exec_lo, exec_lo, vcc_lo
	s_cbranch_execz .LBB61_97
; %bb.102:                              ;   in Loop: Header=BB61_98 Depth=2
	v_perm_b32 v8, v8, s88, 0x5040100
	ds_store_b32 v13, v8 offset:3072
	s_branch .LBB61_97
.LBB61_103:                             ;   in Loop: Header=BB61_17 Depth=1
	s_mov_b32 s4, -1
                                        ; implicit-def: $sgpr5
                                        ; implicit-def: $sgpr22
                                        ; implicit-def: $sgpr21
	s_branch .LBB61_120
.LBB61_104:                             ;   in Loop: Header=BB61_17 Depth=1
	s_mov_b32 s5, -1
	s_mov_b32 s4, 0
                                        ; implicit-def: $sgpr21
                                        ; implicit-def: $vgpr43
	s_mov_b32 s22, s5
	s_cbranch_execnz .LBB61_107
	s_branch .LBB61_120
.LBB61_105:                             ;   in Loop: Header=BB61_17 Depth=1
	s_or_b32 exec_lo, exec_lo, s21
	v_lshrrev_b32_e32 v43, 16, v8
	s_and_b32 s4, s22, exec_lo
.LBB61_106:                             ;   in Loop: Header=BB61_17 Depth=1
	s_or_b32 exec_lo, exec_lo, s5
	s_mov_b32 s21, -1
	s_mov_b32 s5, 0
	s_delay_alu instid0(SALU_CYCLE_1)
	s_mov_b32 s22, s5
	s_branch .LBB61_120
.LBB61_107:                             ;   in Loop: Header=BB61_17 Depth=1
	s_add_u32 s21, s79, s14
	s_addc_u32 s5, s80, s15
	s_mov_b32 s4, s55
	s_delay_alu instid0(SALU_CYCLE_1)
	s_cmp_lg_u64 s[4:5], 0
	s_cbranch_scc0 .LBB61_150
; %bb.108:                              ;   in Loop: Header=BB61_17 Depth=1
	v_cvt_f32_u32_e32 v2, s33
	s_sub_u32 s23, 0, s33
	s_subb_u32 s54, 0, 0
	s_delay_alu instid0(VALU_DEP_1) | instskip(NEXT) | instid1(VALU_DEP_1)
	v_fmac_f32_e32 v2, 0x4f800000, v42
	v_rcp_f32_e32 v2, v2
	s_waitcnt_depctr 0xfff
	v_mul_f32_e32 v2, 0x5f7ffffc, v2
	s_delay_alu instid0(VALU_DEP_1) | instskip(NEXT) | instid1(VALU_DEP_1)
	v_mul_f32_e32 v3, 0x2f800000, v2
	v_trunc_f32_e32 v3, v3
	s_delay_alu instid0(VALU_DEP_1) | instskip(SKIP_1) | instid1(VALU_DEP_2)
	v_fmac_f32_e32 v2, 0xcf800000, v3
	v_cvt_u32_f32_e32 v3, v3
	v_cvt_u32_f32_e32 v2, v2
	s_delay_alu instid0(VALU_DEP_2) | instskip(NEXT) | instid1(VALU_DEP_2)
	v_readfirstlane_b32 s4, v3
	v_readfirstlane_b32 s22, v2
	s_delay_alu instid0(VALU_DEP_2) | instskip(NEXT) | instid1(VALU_DEP_1)
	s_mul_i32 s60, s23, s4
	s_mul_hi_u32 s69, s23, s22
	s_mul_i32 s68, s54, s22
	s_add_i32 s60, s69, s60
	s_mul_i32 s70, s23, s22
	s_add_i32 s60, s60, s68
	s_mul_hi_u32 s69, s22, s70
	s_mul_hi_u32 s71, s4, s70
	s_mul_i32 s68, s4, s70
	s_mul_hi_u32 s70, s22, s60
	s_mul_i32 s22, s22, s60
	s_mul_hi_u32 s72, s4, s60
	s_add_u32 s22, s69, s22
	s_addc_u32 s69, 0, s70
	s_add_u32 s22, s22, s68
	s_mul_i32 s60, s4, s60
	s_addc_u32 s22, s69, s71
	s_addc_u32 s68, s72, 0
	s_add_u32 s22, s22, s60
	s_addc_u32 s60, 0, s68
	v_add_co_u32 v2, s22, v2, s22
	s_delay_alu instid0(VALU_DEP_1) | instskip(SKIP_1) | instid1(VALU_DEP_1)
	s_cmp_lg_u32 s22, 0
	s_addc_u32 s4, s4, s60
	v_readfirstlane_b32 s22, v2
	s_mul_i32 s60, s23, s4
	s_delay_alu instid0(VALU_DEP_1)
	s_mul_hi_u32 s68, s23, s22
	s_mul_i32 s54, s54, s22
	s_add_i32 s60, s68, s60
	s_mul_i32 s23, s23, s22
	s_add_i32 s60, s60, s54
	s_mul_hi_u32 s68, s4, s23
	s_mul_i32 s69, s4, s23
	s_mul_hi_u32 s23, s22, s23
	s_mul_hi_u32 s70, s22, s60
	s_mul_i32 s22, s22, s60
	s_mul_hi_u32 s54, s4, s60
	s_add_u32 s22, s23, s22
	s_addc_u32 s23, 0, s70
	s_add_u32 s22, s22, s69
	s_mul_i32 s60, s4, s60
	s_addc_u32 s22, s23, s68
	s_addc_u32 s23, s54, 0
	s_add_u32 s22, s22, s60
	s_addc_u32 s23, 0, s23
	v_add_co_u32 v2, s22, v2, s22
	s_delay_alu instid0(VALU_DEP_1) | instskip(SKIP_2) | instid1(VALU_DEP_1)
	s_cmp_lg_u32 s22, 0
	s_addc_u32 s4, s4, s23
	s_ashr_i32 s22, s5, 31
	v_readfirstlane_b32 s54, v2
	s_add_u32 s68, s21, s22
	s_mov_b32 s23, s22
	s_addc_u32 s69, s5, s22
	s_delay_alu instid0(SALU_CYCLE_1) | instskip(NEXT) | instid1(SALU_CYCLE_1)
	s_xor_b64 s[68:69], s[68:69], s[22:23]
	s_mul_i32 s60, s68, s4
	s_mul_hi_u32 s70, s68, s54
	s_mul_hi_u32 s23, s68, s4
	;; [unrolled: 1-line block ×3, first 2 shown]
	s_mul_i32 s54, s69, s54
	s_add_u32 s60, s70, s60
	s_addc_u32 s23, 0, s23
	s_mul_hi_u32 s71, s69, s4
	s_add_u32 s54, s60, s54
	s_mul_i32 s4, s69, s4
	s_addc_u32 s23, s23, s72
	s_addc_u32 s54, s71, 0
	s_add_u32 s4, s23, s4
	s_addc_u32 s23, 0, s54
	s_mul_hi_u32 s54, s33, s4
	s_mul_i32 s4, s33, s4
	s_mul_i32 s23, s33, s23
	v_sub_co_u32 v2, s4, s68, s4
	s_add_i32 s54, s54, s23
	s_cmp_lg_u32 s4, 0
	s_delay_alu instid0(VALU_DEP_1) | instskip(SKIP_2) | instid1(VALU_DEP_1)
	v_sub_co_u32 v3, s4, v2, s33
	s_subb_u32 s23, s69, s54
	s_cmp_lg_u32 s4, 0
	v_cmp_le_u32_e32 vcc_lo, s33, v3
	v_sub_co_u32 v4, s4, v3, s33
	s_subb_u32 s54, s23, 0
	s_cmp_lg_u32 s4, 0
	v_cndmask_b32_e64 v5, 0, -1, vcc_lo
	s_subb_u32 s4, s54, 0
	s_cmp_eq_u32 s54, 0
	v_mov_b32_e32 v7, s4
	s_cselect_b32 vcc_lo, -1, 0
	s_cmp_eq_u32 s23, 0
	v_cndmask_b32_e32 v5, -1, v5, vcc_lo
	v_cmp_le_u32_e32 vcc_lo, s33, v2
	s_cselect_b32 s4, -1, 0
	v_cndmask_b32_e64 v6, 0, -1, vcc_lo
	s_delay_alu instid0(VALU_DEP_3) | instskip(NEXT) | instid1(VALU_DEP_2)
	v_cmp_ne_u32_e32 vcc_lo, 0, v5
	v_cndmask_b32_e64 v5, -1, v6, s4
	v_cndmask_b32_e32 v3, v3, v4, vcc_lo
	v_cndmask_b32_e32 v6, s54, v7, vcc_lo
	s_delay_alu instid0(VALU_DEP_3) | instskip(NEXT) | instid1(VALU_DEP_3)
	v_cmp_ne_u32_e32 vcc_lo, 0, v5
	v_cndmask_b32_e32 v2, v2, v3, vcc_lo
	s_delay_alu instid0(VALU_DEP_3) | instskip(NEXT) | instid1(VALU_DEP_2)
	v_cndmask_b32_e32 v4, s23, v6, vcc_lo
	v_xor_b32_e32 v2, s22, v2
	s_delay_alu instid0(VALU_DEP_2) | instskip(NEXT) | instid1(VALU_DEP_2)
	v_xor_b32_e32 v3, s22, v4
	v_sub_co_u32 v2, vcc_lo, v2, s22
	s_delay_alu instid0(VALU_DEP_2)
	v_subrev_co_ci_u32_e32 v3, vcc_lo, s22, v3, vcc_lo
	s_cbranch_execnz .LBB61_110
.LBB61_109:                             ;   in Loop: Header=BB61_17 Depth=1
	v_cvt_f32_u32_e32 v2, s33
	s_sub_i32 s4, 0, s33
	s_delay_alu instid0(VALU_DEP_1) | instskip(SKIP_2) | instid1(VALU_DEP_1)
	v_rcp_iflag_f32_e32 v2, v2
	s_waitcnt_depctr 0xfff
	v_mul_f32_e32 v2, 0x4f7ffffe, v2
	v_cvt_u32_f32_e32 v2, v2
	s_delay_alu instid0(VALU_DEP_1) | instskip(NEXT) | instid1(VALU_DEP_1)
	v_mul_lo_u32 v3, s4, v2
	v_mul_hi_u32 v3, v2, v3
	s_delay_alu instid0(VALU_DEP_1) | instskip(NEXT) | instid1(VALU_DEP_1)
	v_add_nc_u32_e32 v2, v2, v3
	v_mul_hi_u32 v2, s21, v2
	s_delay_alu instid0(VALU_DEP_1) | instskip(NEXT) | instid1(VALU_DEP_1)
	v_mul_lo_u32 v2, v2, s33
	v_sub_nc_u32_e32 v2, s21, v2
	s_delay_alu instid0(VALU_DEP_1) | instskip(SKIP_1) | instid1(VALU_DEP_2)
	v_subrev_nc_u32_e32 v3, s33, v2
	v_cmp_le_u32_e32 vcc_lo, s33, v2
	v_cndmask_b32_e32 v2, v2, v3, vcc_lo
	s_delay_alu instid0(VALU_DEP_1) | instskip(SKIP_1) | instid1(VALU_DEP_2)
	v_subrev_nc_u32_e32 v3, s33, v2
	v_cmp_le_u32_e32 vcc_lo, s33, v2
	v_cndmask_b32_e32 v12, v2, v3, vcc_lo
	s_delay_alu instid0(VALU_DEP_1)
	v_dual_mov_b32 v2, v12 :: v_dual_mov_b32 v3, v13
.LBB61_110:                             ;   in Loop: Header=BB61_17 Depth=1
	s_delay_alu instid0(VALU_DEP_1) | instskip(NEXT) | instid1(VALU_DEP_2)
	v_sub_co_u32 v2, vcc_lo, s21, v2
	v_sub_co_ci_u32_e32 v3, vcc_lo, s5, v3, vcc_lo
	s_mov_b32 s4, 0
	s_mov_b32 s5, exec_lo
                                        ; implicit-def: $vgpr43
	s_delay_alu instid0(VALU_DEP_1)
	v_cmpx_gt_i64_e64 v[2:3], v[0:1]
	s_cbranch_execz .LBB61_119
; %bb.111:                              ;   in Loop: Header=BB61_17 Depth=1
	v_dual_mov_b32 v6, v32 :: v_dual_mov_b32 v5, v1
	v_mov_b32_e32 v4, v0
	s_mov_b32 s21, 0
                                        ; implicit-def: $sgpr22
	s_set_inst_prefetch_distance 0x1
	s_branch .LBB61_113
	.p2align	6
.LBB61_112:                             ;   in Loop: Header=BB61_113 Depth=2
	s_or_b32 exec_lo, exec_lo, s4
	s_waitcnt lgkmcnt(0)
	s_barrier
	buffer_gl0_inv
	ds_load_b32 v7, v13 offset:3072
	v_add_co_u32 v4, vcc_lo, v4, s33
	v_add_co_ci_u32_e32 v5, vcc_lo, 0, v5, vcc_lo
	v_add_nc_u32_e32 v6, s87, v6
	s_waitcnt lgkmcnt(0)
	s_barrier
	s_delay_alu instid0(VALU_DEP_2) | instskip(SKIP_2) | instid1(VALU_DEP_1)
	v_cmp_ge_i64_e32 vcc_lo, v[4:5], v[2:3]
	buffer_gl0_inv
	v_cmp_neq_f16_e64 s4, 0, v7
	s_or_b32 s23, s4, vcc_lo
	s_delay_alu instid0(SALU_CYCLE_1) | instskip(NEXT) | instid1(SALU_CYCLE_1)
	s_and_b32 s23, exec_lo, s23
	s_or_b32 s21, s23, s21
	s_and_not1_b32 s22, s22, exec_lo
	s_and_b32 s4, s4, exec_lo
	s_delay_alu instid0(SALU_CYCLE_1)
	s_or_b32 s22, s22, s4
	s_and_not1_b32 exec_lo, exec_lo, s21
	s_cbranch_execz .LBB61_118
.LBB61_113:                             ;   Parent Loop BB61_17 Depth=1
                                        ; =>  This Inner Loop Header: Depth=2
	s_delay_alu instid0(VALU_DEP_1)
	v_cmp_gt_i64_e32 vcc_lo, s[14:15], v[4:5]
	v_mov_b32_e32 v7, 0
	s_and_saveexec_b32 s4, vcc_lo
	s_cbranch_execz .LBB61_115
; %bb.114:                              ;   in Loop: Header=BB61_113 Depth=2
	ds_load_u16 v7, v6
.LBB61_115:                             ;   in Loop: Header=BB61_113 Depth=2
	s_or_b32 exec_lo, exec_lo, s4
	s_and_saveexec_b32 s4, vcc_lo
	s_cbranch_execz .LBB61_112
; %bb.116:                              ;   in Loop: Header=BB61_113 Depth=2
	s_waitcnt lgkmcnt(0)
	v_cmp_lt_i16_e32 vcc_lo, -1, v7
	v_dual_cndmask_b32 v9, 0xffff, v41 :: v_dual_and_b32 v8, 0xffff, v7
	v_cmp_o_f16_e32 vcc_lo, v7, v7
	s_delay_alu instid0(VALU_DEP_2) | instskip(NEXT) | instid1(VALU_DEP_1)
	v_xor_b32_e32 v8, v9, v8
	v_cndmask_b32_e32 v8, 0xffff, v8, vcc_lo
	s_delay_alu instid0(VALU_DEP_1) | instskip(NEXT) | instid1(VALU_DEP_1)
	v_and_b32_e32 v8, s98, v8
	v_cmp_eq_u32_e32 vcc_lo, s99, v8
	s_and_b32 exec_lo, exec_lo, vcc_lo
	s_cbranch_execz .LBB61_112
; %bb.117:                              ;   in Loop: Header=BB61_113 Depth=2
	v_perm_b32 v7, v7, s88, 0x5040100
	ds_store_b32 v13, v7 offset:3072
	s_branch .LBB61_112
.LBB61_118:                             ;   in Loop: Header=BB61_17 Depth=1
	s_set_inst_prefetch_distance 0x2
	s_or_b32 exec_lo, exec_lo, s21
	v_lshrrev_b32_e32 v43, 16, v7
	s_and_b32 s4, s22, exec_lo
.LBB61_119:                             ;   in Loop: Header=BB61_17 Depth=1
	s_or_b32 exec_lo, exec_lo, s5
	s_mov_b32 s22, -1
	s_mov_b32 s5, 0
	s_mov_b32 s21, 0
.LBB61_120:                             ;   in Loop: Header=BB61_17 Depth=1
	s_and_not1_b32 s14, s95, exec_lo
	s_and_b32 s5, s5, exec_lo
	s_and_not1_b32 s15, s96, exec_lo
	s_or_b32 s95, s14, s5
	s_and_not1_b32 s5, s97, exec_lo
	s_and_b32 s14, s22, exec_lo
	s_and_b32 s21, s21, exec_lo
	s_or_b32 s97, s5, s14
	s_or_b32 s96, s15, s21
	s_and_saveexec_b32 s14, s4
	s_cbranch_execz .LBB61_16
; %bb.121:                              ;   in Loop: Header=BB61_17 Depth=1
	s_xor_b32 s4, s20, -1
	s_mov_b32 s60, 1
	s_and_not1_b32 vcc_lo, exec_lo, s4
	s_cbranch_vccnz .LBB61_132
; %bb.122:                              ;   in Loop: Header=BB61_17 Depth=1
	v_cmp_gt_i64_e64 s4, s[26:27], s[12:13]
                                        ; implicit-def: $sgpr60
                                        ; implicit-def: $sgpr5
                                        ; implicit-def: $sgpr15
	s_delay_alu instid0(VALU_DEP_1)
	s_and_b32 vcc_lo, exec_lo, s4
	s_mov_b32 s4, -1
	s_cbranch_vccnz .LBB61_128
; %bb.123:                              ;   in Loop: Header=BB61_17 Depth=1
	ds_load_b64 v[2:3], v13 offset:5120
	s_waitcnt lgkmcnt(0)
	v_cmp_ne_u64_e32 vcc_lo, 0, v[2:3]
	s_cbranch_vccnz .LBB61_127
; %bb.124:                              ;   in Loop: Header=BB61_17 Depth=1
	s_and_saveexec_b32 s4, s2
	s_cbranch_execz .LBB61_126
; %bb.125:                              ;   in Loop: Header=BB61_17 Depth=1
	v_dual_mov_b32 v2, s12 :: v_dual_mov_b32 v3, s13
	ds_store_b64 v13, v[2:3] offset:5128
.LBB61_126:                             ;   in Loop: Header=BB61_17 Depth=1
	s_or_b32 exec_lo, exec_lo, s4
	s_waitcnt lgkmcnt(0)
	s_barrier
	buffer_gl0_inv
.LBB61_127:                             ;   in Loop: Header=BB61_17 Depth=1
	s_and_b32 s5, s99, s18
	s_or_b32 s15, s98, s16
	s_mov_b32 s4, 0
	s_mov_b32 s60, 8
.LBB61_128:                             ;   in Loop: Header=BB61_17 Depth=1
	s_and_not1_b32 vcc_lo, exec_lo, s4
	s_cbranch_vccnz .LBB61_130
; %bb.129:                              ;   in Loop: Header=BB61_17 Depth=1
	s_sub_u32 s26, s26, s12
	s_subb_u32 s27, s27, s13
	s_mov_b32 s4, -1
	s_mov_b32 s60, 0
	s_mov_b32 s5, s99
	;; [unrolled: 1-line block ×3, first 2 shown]
.LBB61_130:                             ;   in Loop: Header=BB61_17 Depth=1
	s_delay_alu instid0(SALU_CYCLE_1)
	s_mov_b32 s98, s15
	s_mov_b32 s99, s5
	s_and_b32 vcc_lo, exec_lo, s4
	s_mov_b32 s15, -1
	s_cbranch_vccnz .LBB61_133
.LBB61_131:                             ;   in Loop: Header=BB61_17 Depth=1
	s_mov_b32 s5, -1
                                        ; implicit-def: $sgpr19
                                        ; implicit-def: $sgpr21
                                        ; implicit-def: $sgpr20
	s_delay_alu instid0(SALU_CYCLE_1) | instskip(NEXT) | instid1(SALU_CYCLE_1)
	s_and_saveexec_b32 s4, s5
	s_xor_b32 s4, exec_lo, s4
	s_cbranch_execz .LBB61_15
	s_branch .LBB61_279
.LBB61_132:                             ;   in Loop: Header=BB61_17 Depth=1
	s_mov_b64 s[26:27], 1
	s_mov_b32 s15, -1
	s_branch .LBB61_131
.LBB61_133:                             ;   in Loop: Header=BB61_17 Depth=1
	s_cmp_eq_u64 s[10:11], 1
	s_cselect_b32 s4, -1, 0
	s_cmp_eq_u64 s[26:27], 1
	s_cselect_b32 s5, -1, 0
	s_delay_alu instid0(SALU_CYCLE_1)
	s_and_b32 s22, s4, s5
	s_mov_b32 s4, -1
	s_and_b32 vcc_lo, exec_lo, s22
	s_cbranch_vccz .LBB61_148
; %bb.134:                              ;   in Loop: Header=BB61_17 Depth=1
	ds_load_b64 v[2:3], v13 offset:5120
	s_waitcnt lgkmcnt(0)
	s_barrier
	buffer_gl0_inv
	v_readfirstlane_b32 s12, v2
	v_readfirstlane_b32 s13, v3
	s_and_saveexec_b32 s4, s3
	s_cbranch_execz .LBB61_136
; %bb.135:                              ;   in Loop: Header=BB61_17 Depth=1
	ds_store_b16 v33, v13
.LBB61_136:                             ;   in Loop: Header=BB61_17 Depth=1
	s_or_b32 exec_lo, exec_lo, s4
	s_delay_alu instid0(VALU_DEP_1)
	v_cmp_gt_i64_e64 s19, s[12:13], 0
	s_lshl_b32 s4, 1, s17
	s_and_b32 s5, s99, s18
	s_or_b32 s98, s98, s16
	s_or_b32 s99, s5, s4
	s_waitcnt lgkmcnt(0)
	s_and_b32 vcc_lo, exec_lo, s19
	s_barrier
	buffer_gl0_inv
	s_cbranch_vccnz .LBB61_151
; %bb.137:                              ;   in Loop: Header=BB61_17 Depth=1
	s_mov_b32 s60, s55
	s_delay_alu instid0(SALU_CYCLE_1)
	s_cmp_lg_u64 s[60:61], 0
	s_cbranch_scc0 .LBB61_196
; %bb.138:                              ;   in Loop: Header=BB61_17 Depth=1
	v_cvt_f32_u32_e32 v2, s33
	s_sub_u32 s19, 0, s33
	s_subb_u32 s20, 0, 0
	s_delay_alu instid0(VALU_DEP_1) | instskip(NEXT) | instid1(VALU_DEP_1)
	v_fmac_f32_e32 v2, 0x4f800000, v42
	v_rcp_f32_e32 v2, v2
	s_waitcnt_depctr 0xfff
	v_mul_f32_e32 v2, 0x5f7ffffc, v2
	s_delay_alu instid0(VALU_DEP_1) | instskip(NEXT) | instid1(VALU_DEP_1)
	v_mul_f32_e32 v3, 0x2f800000, v2
	v_trunc_f32_e32 v3, v3
	s_delay_alu instid0(VALU_DEP_1) | instskip(SKIP_1) | instid1(VALU_DEP_2)
	v_fmac_f32_e32 v2, 0xcf800000, v3
	v_cvt_u32_f32_e32 v3, v3
	v_cvt_u32_f32_e32 v2, v2
	s_delay_alu instid0(VALU_DEP_2) | instskip(NEXT) | instid1(VALU_DEP_2)
	v_readfirstlane_b32 s4, v3
	v_readfirstlane_b32 s5, v2
	s_delay_alu instid0(VALU_DEP_2) | instskip(NEXT) | instid1(VALU_DEP_1)
	s_mul_i32 s21, s19, s4
	s_mul_hi_u32 s54, s19, s5
	s_mul_i32 s23, s20, s5
	s_add_i32 s21, s54, s21
	s_mul_i32 s60, s19, s5
	s_add_i32 s21, s21, s23
	s_mul_hi_u32 s54, s5, s60
	s_mul_hi_u32 s68, s4, s60
	s_mul_i32 s23, s4, s60
	s_mul_hi_u32 s60, s5, s21
	s_mul_i32 s5, s5, s21
	s_mul_hi_u32 s69, s4, s21
	s_add_u32 s5, s54, s5
	s_addc_u32 s54, 0, s60
	s_add_u32 s5, s5, s23
	s_mul_i32 s21, s4, s21
	s_addc_u32 s5, s54, s68
	s_addc_u32 s23, s69, 0
	s_add_u32 s5, s5, s21
	s_addc_u32 s21, 0, s23
	v_add_co_u32 v2, s5, v2, s5
	s_delay_alu instid0(VALU_DEP_1) | instskip(SKIP_1) | instid1(VALU_DEP_1)
	s_cmp_lg_u32 s5, 0
	s_addc_u32 s4, s4, s21
	v_readfirstlane_b32 s5, v2
	s_mul_i32 s21, s19, s4
	s_delay_alu instid0(VALU_DEP_1)
	s_mul_hi_u32 s23, s19, s5
	s_mul_i32 s20, s20, s5
	s_add_i32 s21, s23, s21
	s_mul_i32 s19, s19, s5
	s_add_i32 s21, s21, s20
	s_mul_hi_u32 s23, s4, s19
	s_mul_i32 s54, s4, s19
	s_mul_hi_u32 s19, s5, s19
	s_mul_hi_u32 s60, s5, s21
	s_mul_i32 s5, s5, s21
	s_mul_hi_u32 s20, s4, s21
	s_add_u32 s5, s19, s5
	s_addc_u32 s19, 0, s60
	s_add_u32 s5, s5, s54
	s_mul_i32 s21, s4, s21
	s_addc_u32 s5, s19, s23
	s_addc_u32 s19, s20, 0
	s_add_u32 s5, s5, s21
	s_addc_u32 s19, 0, s19
	v_add_co_u32 v2, s5, v2, s5
	s_delay_alu instid0(VALU_DEP_1) | instskip(SKIP_2) | instid1(VALU_DEP_1)
	s_cmp_lg_u32 s5, 0
	s_addc_u32 s19, s4, s19
	s_ashr_i32 s20, s61, 31
	v_readfirstlane_b32 s23, v2
	s_add_u32 s4, s81, s20
	s_mov_b32 s21, s20
	s_addc_u32 s5, s61, s20
	s_delay_alu instid0(SALU_CYCLE_1) | instskip(NEXT) | instid1(SALU_CYCLE_1)
	s_xor_b64 s[4:5], s[4:5], s[20:21]
	s_mul_i32 s54, s4, s19
	s_mul_hi_u32 s60, s4, s23
	s_mul_hi_u32 s21, s4, s19
	;; [unrolled: 1-line block ×3, first 2 shown]
	s_mul_i32 s23, s5, s23
	s_add_u32 s54, s60, s54
	s_addc_u32 s21, 0, s21
	s_mul_hi_u32 s68, s5, s19
	s_add_u32 s23, s54, s23
	s_mul_i32 s19, s5, s19
	s_addc_u32 s21, s21, s69
	s_addc_u32 s23, s68, 0
	s_add_u32 s19, s21, s19
	s_addc_u32 s21, 0, s23
	s_mul_hi_u32 s23, s33, s19
	s_mul_i32 s19, s33, s19
	s_mul_i32 s21, s33, s21
	v_sub_co_u32 v2, s4, s4, s19
	s_add_i32 s23, s23, s21
	s_cmp_lg_u32 s4, 0
	s_delay_alu instid0(VALU_DEP_1) | instskip(SKIP_2) | instid1(VALU_DEP_1)
	v_sub_co_u32 v3, s4, v2, s33
	s_subb_u32 s5, s5, s23
	s_cmp_lg_u32 s4, 0
	v_cmp_le_u32_e32 vcc_lo, s33, v3
	v_sub_co_u32 v4, s4, v3, s33
	s_subb_u32 s19, s5, 0
	s_cmp_lg_u32 s4, 0
	v_cndmask_b32_e64 v5, 0, -1, vcc_lo
	s_subb_u32 s4, s19, 0
	s_cmp_eq_u32 s19, 0
	v_mov_b32_e32 v7, s4
	s_cselect_b32 vcc_lo, -1, 0
	s_cmp_eq_u32 s5, 0
	v_cndmask_b32_e32 v5, -1, v5, vcc_lo
	v_cmp_le_u32_e32 vcc_lo, s33, v2
	s_cselect_b32 s4, -1, 0
	v_cndmask_b32_e64 v6, 0, -1, vcc_lo
	s_delay_alu instid0(VALU_DEP_3) | instskip(NEXT) | instid1(VALU_DEP_2)
	v_cmp_ne_u32_e32 vcc_lo, 0, v5
	v_cndmask_b32_e64 v5, -1, v6, s4
	v_cndmask_b32_e32 v3, v3, v4, vcc_lo
	v_cndmask_b32_e32 v6, s19, v7, vcc_lo
	s_delay_alu instid0(VALU_DEP_3) | instskip(NEXT) | instid1(VALU_DEP_3)
	v_cmp_ne_u32_e32 vcc_lo, 0, v5
	v_cndmask_b32_e32 v2, v2, v3, vcc_lo
	s_delay_alu instid0(VALU_DEP_3) | instskip(NEXT) | instid1(VALU_DEP_2)
	v_cndmask_b32_e32 v4, s5, v6, vcc_lo
	v_xor_b32_e32 v2, s20, v2
	s_delay_alu instid0(VALU_DEP_2) | instskip(NEXT) | instid1(VALU_DEP_2)
	v_xor_b32_e32 v3, s20, v4
	v_sub_co_u32 v2, vcc_lo, v2, s20
	s_delay_alu instid0(VALU_DEP_2)
	v_subrev_co_ci_u32_e32 v3, vcc_lo, s20, v3, vcc_lo
	s_cbranch_execnz .LBB61_140
.LBB61_139:                             ;   in Loop: Header=BB61_17 Depth=1
	v_cvt_f32_u32_e32 v2, s33
	s_sub_i32 s4, 0, s33
	s_delay_alu instid0(VALU_DEP_1) | instskip(SKIP_2) | instid1(VALU_DEP_1)
	v_rcp_iflag_f32_e32 v2, v2
	s_waitcnt_depctr 0xfff
	v_mul_f32_e32 v2, 0x4f7ffffe, v2
	v_cvt_u32_f32_e32 v2, v2
	s_delay_alu instid0(VALU_DEP_1) | instskip(NEXT) | instid1(VALU_DEP_1)
	v_mul_lo_u32 v3, s4, v2
	v_mul_hi_u32 v3, v2, v3
	s_delay_alu instid0(VALU_DEP_1) | instskip(NEXT) | instid1(VALU_DEP_1)
	v_add_nc_u32_e32 v2, v2, v3
	v_mul_hi_u32 v2, s81, v2
	s_delay_alu instid0(VALU_DEP_1) | instskip(NEXT) | instid1(VALU_DEP_1)
	v_mul_lo_u32 v2, v2, s33
	v_sub_nc_u32_e32 v2, s81, v2
	s_delay_alu instid0(VALU_DEP_1) | instskip(SKIP_1) | instid1(VALU_DEP_2)
	v_subrev_nc_u32_e32 v3, s33, v2
	v_cmp_le_u32_e32 vcc_lo, s33, v2
	v_cndmask_b32_e32 v2, v2, v3, vcc_lo
	s_delay_alu instid0(VALU_DEP_1) | instskip(SKIP_1) | instid1(VALU_DEP_2)
	v_subrev_nc_u32_e32 v3, s33, v2
	v_cmp_le_u32_e32 vcc_lo, s33, v2
	v_cndmask_b32_e32 v12, v2, v3, vcc_lo
	s_delay_alu instid0(VALU_DEP_1)
	v_dual_mov_b32 v2, v12 :: v_dual_mov_b32 v3, v13
.LBB61_140:                             ;   in Loop: Header=BB61_17 Depth=1
	s_delay_alu instid0(VALU_DEP_1) | instskip(NEXT) | instid1(VALU_DEP_2)
	v_sub_co_u32 v2, vcc_lo, s81, v2
	v_sub_co_ci_u32_e32 v3, vcc_lo, s61, v3, vcc_lo
	s_mov_b32 s4, 0
	s_mov_b32 s5, exec_lo
                                        ; implicit-def: $vgpr43
	s_delay_alu instid0(VALU_DEP_1)
	v_cmpx_gt_i64_e64 v[2:3], v[0:1]
	s_cbranch_execz .LBB61_153
; %bb.141:                              ;   in Loop: Header=BB61_17 Depth=1
	v_dual_mov_b32 v4, v10 :: v_dual_mov_b32 v5, v11
	v_dual_mov_b32 v7, v1 :: v_dual_mov_b32 v6, v0
	s_mov_b32 s19, 0
                                        ; implicit-def: $sgpr20
	s_branch .LBB61_143
.LBB61_142:                             ;   in Loop: Header=BB61_143 Depth=2
	s_or_b32 exec_lo, exec_lo, s4
	s_waitcnt vmcnt(0) lgkmcnt(0)
	s_barrier
	buffer_gl0_inv
	ds_load_b32 v8, v13 offset:3072
	v_add_co_u32 v6, vcc_lo, v6, s33
	v_add_co_ci_u32_e32 v7, vcc_lo, 0, v7, vcc_lo
	s_waitcnt lgkmcnt(0)
	s_barrier
	buffer_gl0_inv
	v_cmp_ge_i64_e32 vcc_lo, v[6:7], v[2:3]
	v_cmp_neq_f16_e64 s4, 0, v8
	s_delay_alu instid0(VALU_DEP_1)
	s_or_b32 s21, s4, vcc_lo
	v_add_co_u32 v4, vcc_lo, v4, s56
	s_and_b32 s21, exec_lo, s21
	v_add_co_ci_u32_e32 v5, vcc_lo, s57, v5, vcc_lo
	s_or_b32 s19, s21, s19
	s_and_not1_b32 s20, s20, exec_lo
	s_and_b32 s4, s4, exec_lo
	s_delay_alu instid0(SALU_CYCLE_1)
	s_or_b32 s20, s20, s4
	s_and_not1_b32 exec_lo, exec_lo, s19
	s_cbranch_execz .LBB61_152
.LBB61_143:                             ;   Parent Loop BB61_17 Depth=1
                                        ; =>  This Inner Loop Header: Depth=2
	s_delay_alu instid0(VALU_DEP_1)
	v_cmp_gt_i64_e32 vcc_lo, s[24:25], v[6:7]
	v_mov_b32_e32 v8, 0
	s_and_saveexec_b32 s4, vcc_lo
	s_cbranch_execz .LBB61_145
; %bb.144:                              ;   in Loop: Header=BB61_143 Depth=2
	global_load_u16 v8, v[4:5], off
.LBB61_145:                             ;   in Loop: Header=BB61_143 Depth=2
	s_or_b32 exec_lo, exec_lo, s4
	s_and_saveexec_b32 s4, vcc_lo
	s_cbranch_execz .LBB61_142
; %bb.146:                              ;   in Loop: Header=BB61_143 Depth=2
	s_waitcnt vmcnt(0)
	v_cmp_lt_i16_e32 vcc_lo, -1, v8
	v_dual_cndmask_b32 v12, 0xffff, v41 :: v_dual_and_b32 v9, 0xffff, v8
	v_cmp_o_f16_e32 vcc_lo, v8, v8
	s_delay_alu instid0(VALU_DEP_2) | instskip(NEXT) | instid1(VALU_DEP_1)
	v_xor_b32_e32 v9, v12, v9
	v_cndmask_b32_e32 v9, 0xffff, v9, vcc_lo
	s_delay_alu instid0(VALU_DEP_1) | instskip(NEXT) | instid1(VALU_DEP_1)
	v_and_b32_e32 v9, s98, v9
	v_cmp_eq_u32_e32 vcc_lo, s99, v9
	s_and_b32 exec_lo, exec_lo, vcc_lo
	s_cbranch_execz .LBB61_142
; %bb.147:                              ;   in Loop: Header=BB61_143 Depth=2
	v_perm_b32 v8, v8, s88, 0x5040100
	ds_store_b32 v13, v8 offset:3072
	s_branch .LBB61_142
.LBB61_148:                             ;   in Loop: Header=BB61_17 Depth=1
                                        ; implicit-def: $sgpr20
                                        ; implicit-def: $sgpr21
                                        ; implicit-def: $sgpr19
	s_branch .LBB61_167
.LBB61_149:                             ;   in Loop: Header=BB61_17 Depth=1
                                        ; implicit-def: $vgpr2_vgpr3
	s_branch .LBB61_94
.LBB61_150:                             ;   in Loop: Header=BB61_17 Depth=1
                                        ; implicit-def: $vgpr2_vgpr3
	s_branch .LBB61_109
.LBB61_151:                             ;   in Loop: Header=BB61_17 Depth=1
	s_mov_b32 s20, -1
	s_mov_b32 s4, 0
                                        ; implicit-def: $sgpr19
                                        ; implicit-def: $vgpr43
	s_mov_b32 s21, s20
	s_cbranch_execnz .LBB61_154
	s_branch .LBB61_167
.LBB61_152:                             ;   in Loop: Header=BB61_17 Depth=1
	s_or_b32 exec_lo, exec_lo, s19
	v_lshrrev_b32_e32 v43, 16, v8
	s_and_b32 s4, s20, exec_lo
.LBB61_153:                             ;   in Loop: Header=BB61_17 Depth=1
	s_or_b32 exec_lo, exec_lo, s5
	s_mov_b32 s19, -1
	s_mov_b32 s20, 0
	s_delay_alu instid0(SALU_CYCLE_1)
	s_mov_b32 s21, s20
	s_branch .LBB61_167
.LBB61_154:                             ;   in Loop: Header=BB61_17 Depth=1
	s_add_u32 s19, s79, s12
	s_addc_u32 s5, s80, s13
	s_mov_b32 s4, s55
	s_delay_alu instid0(SALU_CYCLE_1)
	s_cmp_lg_u64 s[4:5], 0
	s_cbranch_scc0 .LBB61_197
; %bb.155:                              ;   in Loop: Header=BB61_17 Depth=1
	v_cvt_f32_u32_e32 v2, s33
	s_sub_u32 s21, 0, s33
	s_subb_u32 s23, 0, 0
	s_delay_alu instid0(VALU_DEP_1) | instskip(NEXT) | instid1(VALU_DEP_1)
	v_fmac_f32_e32 v2, 0x4f800000, v42
	v_rcp_f32_e32 v2, v2
	s_waitcnt_depctr 0xfff
	v_mul_f32_e32 v2, 0x5f7ffffc, v2
	s_delay_alu instid0(VALU_DEP_1) | instskip(NEXT) | instid1(VALU_DEP_1)
	v_mul_f32_e32 v3, 0x2f800000, v2
	v_trunc_f32_e32 v3, v3
	s_delay_alu instid0(VALU_DEP_1) | instskip(SKIP_1) | instid1(VALU_DEP_2)
	v_fmac_f32_e32 v2, 0xcf800000, v3
	v_cvt_u32_f32_e32 v3, v3
	v_cvt_u32_f32_e32 v2, v2
	s_delay_alu instid0(VALU_DEP_2) | instskip(NEXT) | instid1(VALU_DEP_2)
	v_readfirstlane_b32 s4, v3
	v_readfirstlane_b32 s20, v2
	s_delay_alu instid0(VALU_DEP_2) | instskip(NEXT) | instid1(VALU_DEP_1)
	s_mul_i32 s54, s21, s4
	s_mul_hi_u32 s68, s21, s20
	s_mul_i32 s60, s23, s20
	s_add_i32 s54, s68, s54
	s_mul_i32 s69, s21, s20
	s_add_i32 s54, s54, s60
	s_mul_hi_u32 s68, s20, s69
	s_mul_hi_u32 s70, s4, s69
	s_mul_i32 s60, s4, s69
	s_mul_hi_u32 s69, s20, s54
	s_mul_i32 s20, s20, s54
	s_mul_hi_u32 s71, s4, s54
	s_add_u32 s20, s68, s20
	s_addc_u32 s68, 0, s69
	s_add_u32 s20, s20, s60
	s_mul_i32 s54, s4, s54
	s_addc_u32 s20, s68, s70
	s_addc_u32 s60, s71, 0
	s_add_u32 s20, s20, s54
	s_addc_u32 s54, 0, s60
	v_add_co_u32 v2, s20, v2, s20
	s_delay_alu instid0(VALU_DEP_1) | instskip(SKIP_1) | instid1(VALU_DEP_1)
	s_cmp_lg_u32 s20, 0
	s_addc_u32 s4, s4, s54
	v_readfirstlane_b32 s20, v2
	s_mul_i32 s54, s21, s4
	s_delay_alu instid0(VALU_DEP_1)
	s_mul_hi_u32 s60, s21, s20
	s_mul_i32 s23, s23, s20
	s_add_i32 s54, s60, s54
	s_mul_i32 s21, s21, s20
	s_add_i32 s54, s54, s23
	s_mul_hi_u32 s60, s4, s21
	s_mul_i32 s68, s4, s21
	s_mul_hi_u32 s21, s20, s21
	s_mul_hi_u32 s69, s20, s54
	s_mul_i32 s20, s20, s54
	s_mul_hi_u32 s23, s4, s54
	s_add_u32 s20, s21, s20
	s_addc_u32 s21, 0, s69
	s_add_u32 s20, s20, s68
	s_mul_i32 s54, s4, s54
	s_addc_u32 s20, s21, s60
	s_addc_u32 s21, s23, 0
	s_add_u32 s20, s20, s54
	s_addc_u32 s21, 0, s21
	v_add_co_u32 v2, s20, v2, s20
	s_delay_alu instid0(VALU_DEP_1) | instskip(SKIP_2) | instid1(VALU_DEP_1)
	s_cmp_lg_u32 s20, 0
	s_addc_u32 s4, s4, s21
	s_ashr_i32 s20, s5, 31
	v_readfirstlane_b32 s23, v2
	s_add_u32 s68, s19, s20
	s_mov_b32 s21, s20
	s_addc_u32 s69, s5, s20
	s_delay_alu instid0(SALU_CYCLE_1) | instskip(NEXT) | instid1(SALU_CYCLE_1)
	s_xor_b64 s[68:69], s[68:69], s[20:21]
	s_mul_i32 s54, s68, s4
	s_mul_hi_u32 s60, s68, s23
	s_mul_hi_u32 s21, s68, s4
	;; [unrolled: 1-line block ×3, first 2 shown]
	s_mul_i32 s23, s69, s23
	s_add_u32 s54, s60, s54
	s_addc_u32 s21, 0, s21
	s_mul_hi_u32 s70, s69, s4
	s_add_u32 s23, s54, s23
	s_mul_i32 s4, s69, s4
	s_addc_u32 s21, s21, s71
	s_addc_u32 s23, s70, 0
	s_add_u32 s4, s21, s4
	s_addc_u32 s21, 0, s23
	s_mul_hi_u32 s23, s33, s4
	s_mul_i32 s4, s33, s4
	s_mul_i32 s21, s33, s21
	v_sub_co_u32 v2, s4, s68, s4
	s_add_i32 s23, s23, s21
	s_cmp_lg_u32 s4, 0
	s_delay_alu instid0(VALU_DEP_1) | instskip(SKIP_2) | instid1(VALU_DEP_1)
	v_sub_co_u32 v3, s4, v2, s33
	s_subb_u32 s21, s69, s23
	s_cmp_lg_u32 s4, 0
	v_cmp_le_u32_e32 vcc_lo, s33, v3
	v_sub_co_u32 v4, s4, v3, s33
	s_subb_u32 s23, s21, 0
	s_cmp_lg_u32 s4, 0
	v_cndmask_b32_e64 v5, 0, -1, vcc_lo
	s_subb_u32 s4, s23, 0
	s_cmp_eq_u32 s23, 0
	v_mov_b32_e32 v7, s4
	s_cselect_b32 vcc_lo, -1, 0
	s_cmp_eq_u32 s21, 0
	v_cndmask_b32_e32 v5, -1, v5, vcc_lo
	v_cmp_le_u32_e32 vcc_lo, s33, v2
	s_cselect_b32 s4, -1, 0
	v_cndmask_b32_e64 v6, 0, -1, vcc_lo
	s_delay_alu instid0(VALU_DEP_3) | instskip(NEXT) | instid1(VALU_DEP_2)
	v_cmp_ne_u32_e32 vcc_lo, 0, v5
	v_cndmask_b32_e64 v5, -1, v6, s4
	v_cndmask_b32_e32 v3, v3, v4, vcc_lo
	v_cndmask_b32_e32 v6, s23, v7, vcc_lo
	s_delay_alu instid0(VALU_DEP_3) | instskip(NEXT) | instid1(VALU_DEP_3)
	v_cmp_ne_u32_e32 vcc_lo, 0, v5
	v_cndmask_b32_e32 v2, v2, v3, vcc_lo
	s_delay_alu instid0(VALU_DEP_3) | instskip(NEXT) | instid1(VALU_DEP_2)
	v_cndmask_b32_e32 v4, s21, v6, vcc_lo
	v_xor_b32_e32 v2, s20, v2
	s_delay_alu instid0(VALU_DEP_2) | instskip(NEXT) | instid1(VALU_DEP_2)
	v_xor_b32_e32 v3, s20, v4
	v_sub_co_u32 v2, vcc_lo, v2, s20
	s_delay_alu instid0(VALU_DEP_2)
	v_subrev_co_ci_u32_e32 v3, vcc_lo, s20, v3, vcc_lo
	s_cbranch_execnz .LBB61_157
.LBB61_156:                             ;   in Loop: Header=BB61_17 Depth=1
	v_cvt_f32_u32_e32 v2, s33
	s_sub_i32 s4, 0, s33
	s_delay_alu instid0(VALU_DEP_1) | instskip(SKIP_2) | instid1(VALU_DEP_1)
	v_rcp_iflag_f32_e32 v2, v2
	s_waitcnt_depctr 0xfff
	v_mul_f32_e32 v2, 0x4f7ffffe, v2
	v_cvt_u32_f32_e32 v2, v2
	s_delay_alu instid0(VALU_DEP_1) | instskip(NEXT) | instid1(VALU_DEP_1)
	v_mul_lo_u32 v3, s4, v2
	v_mul_hi_u32 v3, v2, v3
	s_delay_alu instid0(VALU_DEP_1) | instskip(NEXT) | instid1(VALU_DEP_1)
	v_add_nc_u32_e32 v2, v2, v3
	v_mul_hi_u32 v2, s19, v2
	s_delay_alu instid0(VALU_DEP_1) | instskip(NEXT) | instid1(VALU_DEP_1)
	v_mul_lo_u32 v2, v2, s33
	v_sub_nc_u32_e32 v2, s19, v2
	s_delay_alu instid0(VALU_DEP_1) | instskip(SKIP_1) | instid1(VALU_DEP_2)
	v_subrev_nc_u32_e32 v3, s33, v2
	v_cmp_le_u32_e32 vcc_lo, s33, v2
	v_cndmask_b32_e32 v2, v2, v3, vcc_lo
	s_delay_alu instid0(VALU_DEP_1) | instskip(SKIP_1) | instid1(VALU_DEP_2)
	v_subrev_nc_u32_e32 v3, s33, v2
	v_cmp_le_u32_e32 vcc_lo, s33, v2
	v_cndmask_b32_e32 v12, v2, v3, vcc_lo
	s_delay_alu instid0(VALU_DEP_1)
	v_dual_mov_b32 v2, v12 :: v_dual_mov_b32 v3, v13
.LBB61_157:                             ;   in Loop: Header=BB61_17 Depth=1
	s_delay_alu instid0(VALU_DEP_1) | instskip(NEXT) | instid1(VALU_DEP_2)
	v_sub_co_u32 v2, vcc_lo, s19, v2
	v_sub_co_ci_u32_e32 v3, vcc_lo, s5, v3, vcc_lo
	s_mov_b32 s4, 0
	s_mov_b32 s5, exec_lo
                                        ; implicit-def: $vgpr43
	s_delay_alu instid0(VALU_DEP_1)
	v_cmpx_gt_i64_e64 v[2:3], v[0:1]
	s_cbranch_execz .LBB61_166
; %bb.158:                              ;   in Loop: Header=BB61_17 Depth=1
	v_dual_mov_b32 v6, v32 :: v_dual_mov_b32 v5, v1
	v_mov_b32_e32 v4, v0
	s_mov_b32 s19, 0
                                        ; implicit-def: $sgpr20
	s_set_inst_prefetch_distance 0x1
	s_branch .LBB61_160
	.p2align	6
.LBB61_159:                             ;   in Loop: Header=BB61_160 Depth=2
	s_or_b32 exec_lo, exec_lo, s4
	s_waitcnt lgkmcnt(0)
	s_barrier
	buffer_gl0_inv
	ds_load_b32 v7, v13 offset:3072
	v_add_co_u32 v4, vcc_lo, v4, s33
	v_add_co_ci_u32_e32 v5, vcc_lo, 0, v5, vcc_lo
	v_add_nc_u32_e32 v6, s87, v6
	s_waitcnt lgkmcnt(0)
	s_barrier
	s_delay_alu instid0(VALU_DEP_2) | instskip(SKIP_2) | instid1(VALU_DEP_1)
	v_cmp_ge_i64_e32 vcc_lo, v[4:5], v[2:3]
	buffer_gl0_inv
	v_cmp_neq_f16_e64 s4, 0, v7
	s_or_b32 s21, s4, vcc_lo
	s_delay_alu instid0(SALU_CYCLE_1) | instskip(NEXT) | instid1(SALU_CYCLE_1)
	s_and_b32 s21, exec_lo, s21
	s_or_b32 s19, s21, s19
	s_and_not1_b32 s20, s20, exec_lo
	s_and_b32 s4, s4, exec_lo
	s_delay_alu instid0(SALU_CYCLE_1)
	s_or_b32 s20, s20, s4
	s_and_not1_b32 exec_lo, exec_lo, s19
	s_cbranch_execz .LBB61_165
.LBB61_160:                             ;   Parent Loop BB61_17 Depth=1
                                        ; =>  This Inner Loop Header: Depth=2
	s_delay_alu instid0(VALU_DEP_1)
	v_cmp_gt_i64_e32 vcc_lo, s[12:13], v[4:5]
	v_mov_b32_e32 v7, 0
	s_and_saveexec_b32 s4, vcc_lo
	s_cbranch_execz .LBB61_162
; %bb.161:                              ;   in Loop: Header=BB61_160 Depth=2
	ds_load_u16 v7, v6
.LBB61_162:                             ;   in Loop: Header=BB61_160 Depth=2
	s_or_b32 exec_lo, exec_lo, s4
	s_and_saveexec_b32 s4, vcc_lo
	s_cbranch_execz .LBB61_159
; %bb.163:                              ;   in Loop: Header=BB61_160 Depth=2
	s_waitcnt lgkmcnt(0)
	v_cmp_lt_i16_e32 vcc_lo, -1, v7
	v_dual_cndmask_b32 v9, 0xffff, v41 :: v_dual_and_b32 v8, 0xffff, v7
	v_cmp_o_f16_e32 vcc_lo, v7, v7
	s_delay_alu instid0(VALU_DEP_2) | instskip(NEXT) | instid1(VALU_DEP_1)
	v_xor_b32_e32 v8, v9, v8
	v_cndmask_b32_e32 v8, 0xffff, v8, vcc_lo
	s_delay_alu instid0(VALU_DEP_1) | instskip(NEXT) | instid1(VALU_DEP_1)
	v_and_b32_e32 v8, s98, v8
	v_cmp_eq_u32_e32 vcc_lo, s99, v8
	s_and_b32 exec_lo, exec_lo, vcc_lo
	s_cbranch_execz .LBB61_159
; %bb.164:                              ;   in Loop: Header=BB61_160 Depth=2
	v_perm_b32 v7, v7, s88, 0x5040100
	ds_store_b32 v13, v7 offset:3072
	s_branch .LBB61_159
.LBB61_165:                             ;   in Loop: Header=BB61_17 Depth=1
	s_set_inst_prefetch_distance 0x2
	s_or_b32 exec_lo, exec_lo, s19
	v_lshrrev_b32_e32 v43, 16, v7
	s_and_b32 s4, s20, exec_lo
.LBB61_166:                             ;   in Loop: Header=BB61_17 Depth=1
	s_or_b32 exec_lo, exec_lo, s5
	s_mov_b32 s21, -1
	s_mov_b32 s20, 0
	s_mov_b32 s19, 0
.LBB61_167:                             ;   in Loop: Header=BB61_17 Depth=1
	s_mov_b32 s5, 0
                                        ; implicit-def: $sgpr60
	s_and_saveexec_b32 s12, s4
	s_cbranch_execz .LBB61_278
; %bb.168:                              ;   in Loop: Header=BB61_17 Depth=1
	s_xor_b32 s4, s22, -1
	s_mov_b32 s60, 1
	s_and_not1_b32 vcc_lo, exec_lo, s4
	s_cbranch_vccnz .LBB61_179
; %bb.169:                              ;   in Loop: Header=BB61_17 Depth=1
	v_cmp_gt_i64_e64 s4, s[26:27], s[10:11]
                                        ; implicit-def: $sgpr60
                                        ; implicit-def: $sgpr5
                                        ; implicit-def: $sgpr13
	s_delay_alu instid0(VALU_DEP_1)
	s_and_b32 vcc_lo, exec_lo, s4
	s_mov_b32 s4, -1
	s_cbranch_vccnz .LBB61_175
; %bb.170:                              ;   in Loop: Header=BB61_17 Depth=1
	ds_load_b64 v[2:3], v13 offset:5120
	s_waitcnt lgkmcnt(0)
	v_cmp_ne_u64_e32 vcc_lo, 0, v[2:3]
	s_cbranch_vccnz .LBB61_174
; %bb.171:                              ;   in Loop: Header=BB61_17 Depth=1
	s_and_saveexec_b32 s4, s2
	s_cbranch_execz .LBB61_173
; %bb.172:                              ;   in Loop: Header=BB61_17 Depth=1
	v_dual_mov_b32 v2, s10 :: v_dual_mov_b32 v3, s11
	ds_store_b64 v13, v[2:3] offset:5128
.LBB61_173:                             ;   in Loop: Header=BB61_17 Depth=1
	s_or_b32 exec_lo, exec_lo, s4
	s_waitcnt lgkmcnt(0)
	s_barrier
	buffer_gl0_inv
.LBB61_174:                             ;   in Loop: Header=BB61_17 Depth=1
	s_lshl_b32 s4, 1, s17
	s_and_b32 s5, s99, s18
	s_or_b32 s13, s98, s16
	s_or_b32 s5, s5, s4
	s_mov_b32 s4, 0
	s_mov_b32 s60, 8
.LBB61_175:                             ;   in Loop: Header=BB61_17 Depth=1
	s_and_not1_b32 vcc_lo, exec_lo, s4
	s_cbranch_vccnz .LBB61_177
; %bb.176:                              ;   in Loop: Header=BB61_17 Depth=1
	s_sub_u32 s26, s26, s10
	s_subb_u32 s27, s27, s11
	s_mov_b32 s4, -1
	s_mov_b32 s60, 0
	s_mov_b32 s5, s99
	;; [unrolled: 1-line block ×3, first 2 shown]
.LBB61_177:                             ;   in Loop: Header=BB61_17 Depth=1
	s_delay_alu instid0(SALU_CYCLE_1)
	s_mov_b32 s98, s13
	s_mov_b32 s99, s5
	s_and_not1_b32 vcc_lo, exec_lo, s4
	s_mov_b32 s5, -1
	s_cbranch_vccz .LBB61_180
.LBB61_178:                             ;   in Loop: Header=BB61_17 Depth=1
                                        ; implicit-def: $sgpr22
                                        ; implicit-def: $sgpr23
                                        ; implicit-def: $sgpr13
	s_branch .LBB61_277
.LBB61_179:                             ;   in Loop: Header=BB61_17 Depth=1
	s_mov_b64 s[26:27], 1
	s_mov_b32 s5, -1
	s_cbranch_execnz .LBB61_178
.LBB61_180:                             ;   in Loop: Header=BB61_17 Depth=1
	s_cmp_eq_u64 s[8:9], 1
	s_cselect_b32 s4, -1, 0
	s_cmp_eq_u64 s[26:27], 1
	s_cselect_b32 s5, -1, 0
	s_delay_alu instid0(SALU_CYCLE_1)
	s_and_b32 s54, s4, s5
	s_mov_b32 s4, -1
	s_and_b32 vcc_lo, exec_lo, s54
	s_cbranch_vccz .LBB61_195
; %bb.181:                              ;   in Loop: Header=BB61_17 Depth=1
	ds_load_b64 v[2:3], v13 offset:5120
	s_waitcnt lgkmcnt(0)
	s_barrier
	buffer_gl0_inv
	v_readfirstlane_b32 s10, v2
	v_readfirstlane_b32 s11, v3
	s_and_saveexec_b32 s4, s3
	s_cbranch_execz .LBB61_183
; %bb.182:                              ;   in Loop: Header=BB61_17 Depth=1
	ds_store_b16 v33, v13
.LBB61_183:                             ;   in Loop: Header=BB61_17 Depth=1
	s_or_b32 exec_lo, exec_lo, s4
	s_delay_alu instid0(VALU_DEP_1)
	v_cmp_gt_i64_e64 s13, s[10:11], 0
	s_lshl_b32 s4, 2, s17
	s_and_b32 s5, s99, s18
	s_or_b32 s98, s98, s16
	s_or_b32 s99, s5, s4
	s_waitcnt lgkmcnt(0)
	s_and_b32 vcc_lo, exec_lo, s13
	s_barrier
	buffer_gl0_inv
	s_cbranch_vccnz .LBB61_198
; %bb.184:                              ;   in Loop: Header=BB61_17 Depth=1
	s_mov_b32 s60, s55
	s_delay_alu instid0(SALU_CYCLE_1)
	s_cmp_lg_u64 s[60:61], 0
	s_cbranch_scc0 .LBB61_243
; %bb.185:                              ;   in Loop: Header=BB61_17 Depth=1
	v_cvt_f32_u32_e32 v2, s33
	s_sub_u32 s13, 0, s33
	s_subb_u32 s22, 0, 0
	s_delay_alu instid0(VALU_DEP_1) | instskip(NEXT) | instid1(VALU_DEP_1)
	v_fmac_f32_e32 v2, 0x4f800000, v42
	v_rcp_f32_e32 v2, v2
	s_waitcnt_depctr 0xfff
	v_mul_f32_e32 v2, 0x5f7ffffc, v2
	s_delay_alu instid0(VALU_DEP_1) | instskip(NEXT) | instid1(VALU_DEP_1)
	v_mul_f32_e32 v3, 0x2f800000, v2
	v_trunc_f32_e32 v3, v3
	s_delay_alu instid0(VALU_DEP_1) | instskip(SKIP_1) | instid1(VALU_DEP_2)
	v_fmac_f32_e32 v2, 0xcf800000, v3
	v_cvt_u32_f32_e32 v3, v3
	v_cvt_u32_f32_e32 v2, v2
	s_delay_alu instid0(VALU_DEP_2) | instskip(NEXT) | instid1(VALU_DEP_2)
	v_readfirstlane_b32 s4, v3
	v_readfirstlane_b32 s5, v2
	s_delay_alu instid0(VALU_DEP_2) | instskip(NEXT) | instid1(VALU_DEP_1)
	s_mul_i32 s23, s13, s4
	s_mul_hi_u32 s68, s13, s5
	s_mul_i32 s60, s22, s5
	s_add_i32 s23, s68, s23
	s_mul_i32 s69, s13, s5
	s_add_i32 s23, s23, s60
	s_mul_hi_u32 s68, s5, s69
	s_mul_hi_u32 s70, s4, s69
	s_mul_i32 s60, s4, s69
	s_mul_hi_u32 s69, s5, s23
	s_mul_i32 s5, s5, s23
	s_mul_hi_u32 s71, s4, s23
	s_add_u32 s5, s68, s5
	s_addc_u32 s68, 0, s69
	s_add_u32 s5, s5, s60
	s_mul_i32 s23, s4, s23
	s_addc_u32 s5, s68, s70
	s_addc_u32 s60, s71, 0
	s_add_u32 s5, s5, s23
	s_addc_u32 s23, 0, s60
	v_add_co_u32 v2, s5, v2, s5
	s_delay_alu instid0(VALU_DEP_1) | instskip(SKIP_1) | instid1(VALU_DEP_1)
	s_cmp_lg_u32 s5, 0
	s_addc_u32 s4, s4, s23
	v_readfirstlane_b32 s5, v2
	s_mul_i32 s23, s13, s4
	s_delay_alu instid0(VALU_DEP_1)
	s_mul_hi_u32 s60, s13, s5
	s_mul_i32 s22, s22, s5
	s_add_i32 s23, s60, s23
	s_mul_i32 s13, s13, s5
	s_add_i32 s23, s23, s22
	s_mul_hi_u32 s60, s4, s13
	s_mul_i32 s68, s4, s13
	s_mul_hi_u32 s13, s5, s13
	s_mul_hi_u32 s69, s5, s23
	s_mul_i32 s5, s5, s23
	s_mul_hi_u32 s22, s4, s23
	s_add_u32 s5, s13, s5
	s_addc_u32 s13, 0, s69
	s_add_u32 s5, s5, s68
	s_mul_i32 s23, s4, s23
	s_addc_u32 s5, s13, s60
	s_addc_u32 s13, s22, 0
	s_add_u32 s5, s5, s23
	s_addc_u32 s13, 0, s13
	v_add_co_u32 v2, s5, v2, s5
	s_delay_alu instid0(VALU_DEP_1) | instskip(SKIP_2) | instid1(VALU_DEP_1)
	s_cmp_lg_u32 s5, 0
	s_addc_u32 s13, s4, s13
	s_ashr_i32 s22, s61, 31
	v_readfirstlane_b32 s60, v2
	s_add_u32 s4, s81, s22
	s_mov_b32 s23, s22
	s_addc_u32 s5, s61, s22
	s_delay_alu instid0(SALU_CYCLE_1) | instskip(NEXT) | instid1(SALU_CYCLE_1)
	s_xor_b64 s[4:5], s[4:5], s[22:23]
	s_mul_i32 s68, s4, s13
	s_mul_hi_u32 s69, s4, s60
	s_mul_hi_u32 s23, s4, s13
	;; [unrolled: 1-line block ×3, first 2 shown]
	s_mul_i32 s60, s5, s60
	s_add_u32 s68, s69, s68
	s_addc_u32 s23, 0, s23
	s_mul_hi_u32 s70, s5, s13
	s_add_u32 s60, s68, s60
	s_mul_i32 s13, s5, s13
	s_addc_u32 s23, s23, s71
	s_addc_u32 s60, s70, 0
	s_add_u32 s13, s23, s13
	s_addc_u32 s23, 0, s60
	s_mul_hi_u32 s60, s33, s13
	s_mul_i32 s13, s33, s13
	s_mul_i32 s23, s33, s23
	v_sub_co_u32 v2, s4, s4, s13
	s_add_i32 s60, s60, s23
	s_cmp_lg_u32 s4, 0
	s_delay_alu instid0(VALU_DEP_1) | instskip(SKIP_2) | instid1(VALU_DEP_1)
	v_sub_co_u32 v3, s4, v2, s33
	s_subb_u32 s5, s5, s60
	s_cmp_lg_u32 s4, 0
	v_cmp_le_u32_e32 vcc_lo, s33, v3
	v_sub_co_u32 v4, s4, v3, s33
	s_subb_u32 s13, s5, 0
	s_cmp_lg_u32 s4, 0
	v_cndmask_b32_e64 v5, 0, -1, vcc_lo
	s_subb_u32 s4, s13, 0
	s_cmp_eq_u32 s13, 0
	v_mov_b32_e32 v7, s4
	s_cselect_b32 vcc_lo, -1, 0
	s_cmp_eq_u32 s5, 0
	v_cndmask_b32_e32 v5, -1, v5, vcc_lo
	v_cmp_le_u32_e32 vcc_lo, s33, v2
	s_cselect_b32 s4, -1, 0
	v_cndmask_b32_e64 v6, 0, -1, vcc_lo
	s_delay_alu instid0(VALU_DEP_3) | instskip(NEXT) | instid1(VALU_DEP_2)
	v_cmp_ne_u32_e32 vcc_lo, 0, v5
	v_cndmask_b32_e64 v5, -1, v6, s4
	v_cndmask_b32_e32 v3, v3, v4, vcc_lo
	v_cndmask_b32_e32 v6, s13, v7, vcc_lo
	s_delay_alu instid0(VALU_DEP_3) | instskip(NEXT) | instid1(VALU_DEP_3)
	v_cmp_ne_u32_e32 vcc_lo, 0, v5
	v_cndmask_b32_e32 v2, v2, v3, vcc_lo
	s_delay_alu instid0(VALU_DEP_3) | instskip(NEXT) | instid1(VALU_DEP_2)
	v_cndmask_b32_e32 v4, s5, v6, vcc_lo
	v_xor_b32_e32 v2, s22, v2
	s_delay_alu instid0(VALU_DEP_2) | instskip(NEXT) | instid1(VALU_DEP_2)
	v_xor_b32_e32 v3, s22, v4
	v_sub_co_u32 v2, vcc_lo, v2, s22
	s_delay_alu instid0(VALU_DEP_2)
	v_subrev_co_ci_u32_e32 v3, vcc_lo, s22, v3, vcc_lo
	s_cbranch_execnz .LBB61_187
.LBB61_186:                             ;   in Loop: Header=BB61_17 Depth=1
	v_cvt_f32_u32_e32 v2, s33
	s_sub_i32 s4, 0, s33
	s_delay_alu instid0(VALU_DEP_1) | instskip(SKIP_2) | instid1(VALU_DEP_1)
	v_rcp_iflag_f32_e32 v2, v2
	s_waitcnt_depctr 0xfff
	v_mul_f32_e32 v2, 0x4f7ffffe, v2
	v_cvt_u32_f32_e32 v2, v2
	s_delay_alu instid0(VALU_DEP_1) | instskip(NEXT) | instid1(VALU_DEP_1)
	v_mul_lo_u32 v3, s4, v2
	v_mul_hi_u32 v3, v2, v3
	s_delay_alu instid0(VALU_DEP_1) | instskip(NEXT) | instid1(VALU_DEP_1)
	v_add_nc_u32_e32 v2, v2, v3
	v_mul_hi_u32 v2, s81, v2
	s_delay_alu instid0(VALU_DEP_1) | instskip(NEXT) | instid1(VALU_DEP_1)
	v_mul_lo_u32 v2, v2, s33
	v_sub_nc_u32_e32 v2, s81, v2
	s_delay_alu instid0(VALU_DEP_1) | instskip(SKIP_1) | instid1(VALU_DEP_2)
	v_subrev_nc_u32_e32 v3, s33, v2
	v_cmp_le_u32_e32 vcc_lo, s33, v2
	v_cndmask_b32_e32 v2, v2, v3, vcc_lo
	s_delay_alu instid0(VALU_DEP_1) | instskip(SKIP_1) | instid1(VALU_DEP_2)
	v_subrev_nc_u32_e32 v3, s33, v2
	v_cmp_le_u32_e32 vcc_lo, s33, v2
	v_cndmask_b32_e32 v12, v2, v3, vcc_lo
	s_delay_alu instid0(VALU_DEP_1)
	v_dual_mov_b32 v2, v12 :: v_dual_mov_b32 v3, v13
.LBB61_187:                             ;   in Loop: Header=BB61_17 Depth=1
	s_delay_alu instid0(VALU_DEP_1) | instskip(NEXT) | instid1(VALU_DEP_2)
	v_sub_co_u32 v2, vcc_lo, s81, v2
	v_sub_co_ci_u32_e32 v3, vcc_lo, s61, v3, vcc_lo
	s_mov_b32 s4, 0
	s_mov_b32 s5, exec_lo
                                        ; implicit-def: $vgpr43
	s_delay_alu instid0(VALU_DEP_1)
	v_cmpx_gt_i64_e64 v[2:3], v[0:1]
	s_cbranch_execz .LBB61_200
; %bb.188:                              ;   in Loop: Header=BB61_17 Depth=1
	v_dual_mov_b32 v4, v10 :: v_dual_mov_b32 v5, v11
	v_dual_mov_b32 v7, v1 :: v_dual_mov_b32 v6, v0
	s_mov_b32 s13, 0
                                        ; implicit-def: $sgpr22
	s_branch .LBB61_190
.LBB61_189:                             ;   in Loop: Header=BB61_190 Depth=2
	s_or_b32 exec_lo, exec_lo, s4
	s_waitcnt vmcnt(0) lgkmcnt(0)
	s_barrier
	buffer_gl0_inv
	ds_load_b32 v8, v13 offset:3072
	v_add_co_u32 v6, vcc_lo, v6, s33
	v_add_co_ci_u32_e32 v7, vcc_lo, 0, v7, vcc_lo
	s_waitcnt lgkmcnt(0)
	s_barrier
	buffer_gl0_inv
	v_cmp_ge_i64_e32 vcc_lo, v[6:7], v[2:3]
	v_cmp_neq_f16_e64 s4, 0, v8
	s_delay_alu instid0(VALU_DEP_1)
	s_or_b32 s23, s4, vcc_lo
	v_add_co_u32 v4, vcc_lo, v4, s56
	s_and_b32 s23, exec_lo, s23
	v_add_co_ci_u32_e32 v5, vcc_lo, s57, v5, vcc_lo
	s_or_b32 s13, s23, s13
	s_and_not1_b32 s22, s22, exec_lo
	s_and_b32 s4, s4, exec_lo
	s_delay_alu instid0(SALU_CYCLE_1)
	s_or_b32 s22, s22, s4
	s_and_not1_b32 exec_lo, exec_lo, s13
	s_cbranch_execz .LBB61_199
.LBB61_190:                             ;   Parent Loop BB61_17 Depth=1
                                        ; =>  This Inner Loop Header: Depth=2
	s_delay_alu instid0(VALU_DEP_1)
	v_cmp_gt_i64_e32 vcc_lo, s[24:25], v[6:7]
	v_mov_b32_e32 v8, 0
	s_and_saveexec_b32 s4, vcc_lo
	s_cbranch_execz .LBB61_192
; %bb.191:                              ;   in Loop: Header=BB61_190 Depth=2
	global_load_u16 v8, v[4:5], off
.LBB61_192:                             ;   in Loop: Header=BB61_190 Depth=2
	s_or_b32 exec_lo, exec_lo, s4
	s_and_saveexec_b32 s4, vcc_lo
	s_cbranch_execz .LBB61_189
; %bb.193:                              ;   in Loop: Header=BB61_190 Depth=2
	s_waitcnt vmcnt(0)
	v_cmp_lt_i16_e32 vcc_lo, -1, v8
	v_dual_cndmask_b32 v12, 0xffff, v41 :: v_dual_and_b32 v9, 0xffff, v8
	v_cmp_o_f16_e32 vcc_lo, v8, v8
	s_delay_alu instid0(VALU_DEP_2) | instskip(NEXT) | instid1(VALU_DEP_1)
	v_xor_b32_e32 v9, v12, v9
	v_cndmask_b32_e32 v9, 0xffff, v9, vcc_lo
	s_delay_alu instid0(VALU_DEP_1) | instskip(NEXT) | instid1(VALU_DEP_1)
	v_and_b32_e32 v9, s98, v9
	v_cmp_eq_u32_e32 vcc_lo, s99, v9
	s_and_b32 exec_lo, exec_lo, vcc_lo
	s_cbranch_execz .LBB61_189
; %bb.194:                              ;   in Loop: Header=BB61_190 Depth=2
	v_perm_b32 v8, v8, s88, 0x5040100
	ds_store_b32 v13, v8 offset:3072
	s_branch .LBB61_189
.LBB61_195:                             ;   in Loop: Header=BB61_17 Depth=1
                                        ; implicit-def: $sgpr13
                                        ; implicit-def: $sgpr23
                                        ; implicit-def: $sgpr22
	s_branch .LBB61_214
.LBB61_196:                             ;   in Loop: Header=BB61_17 Depth=1
                                        ; implicit-def: $vgpr2_vgpr3
	s_branch .LBB61_139
.LBB61_197:                             ;   in Loop: Header=BB61_17 Depth=1
                                        ; implicit-def: $vgpr2_vgpr3
	s_branch .LBB61_156
.LBB61_198:                             ;   in Loop: Header=BB61_17 Depth=1
	s_mov_b32 s13, -1
	s_mov_b32 s4, 0
                                        ; implicit-def: $sgpr22
                                        ; implicit-def: $vgpr43
	s_mov_b32 s23, s13
	s_cbranch_execnz .LBB61_201
	s_branch .LBB61_214
.LBB61_199:                             ;   in Loop: Header=BB61_17 Depth=1
	s_or_b32 exec_lo, exec_lo, s13
	v_lshrrev_b32_e32 v43, 16, v8
	s_and_b32 s4, s22, exec_lo
.LBB61_200:                             ;   in Loop: Header=BB61_17 Depth=1
	s_or_b32 exec_lo, exec_lo, s5
	s_mov_b32 s22, -1
	s_mov_b32 s13, 0
	s_delay_alu instid0(SALU_CYCLE_1)
	s_mov_b32 s23, s13
	s_branch .LBB61_214
.LBB61_201:                             ;   in Loop: Header=BB61_17 Depth=1
	s_add_u32 s13, s79, s10
	s_addc_u32 s5, s80, s11
	s_mov_b32 s4, s55
	s_delay_alu instid0(SALU_CYCLE_1)
	s_cmp_lg_u64 s[4:5], 0
	s_cbranch_scc0 .LBB61_244
; %bb.202:                              ;   in Loop: Header=BB61_17 Depth=1
	v_cvt_f32_u32_e32 v2, s33
	s_sub_u32 s23, 0, s33
	s_subb_u32 s60, 0, 0
	s_delay_alu instid0(VALU_DEP_1) | instskip(NEXT) | instid1(VALU_DEP_1)
	v_fmac_f32_e32 v2, 0x4f800000, v42
	v_rcp_f32_e32 v2, v2
	s_waitcnt_depctr 0xfff
	v_mul_f32_e32 v2, 0x5f7ffffc, v2
	s_delay_alu instid0(VALU_DEP_1) | instskip(NEXT) | instid1(VALU_DEP_1)
	v_mul_f32_e32 v3, 0x2f800000, v2
	v_trunc_f32_e32 v3, v3
	s_delay_alu instid0(VALU_DEP_1) | instskip(SKIP_1) | instid1(VALU_DEP_2)
	v_fmac_f32_e32 v2, 0xcf800000, v3
	v_cvt_u32_f32_e32 v3, v3
	v_cvt_u32_f32_e32 v2, v2
	s_delay_alu instid0(VALU_DEP_2) | instskip(NEXT) | instid1(VALU_DEP_2)
	v_readfirstlane_b32 s4, v3
	v_readfirstlane_b32 s22, v2
	s_delay_alu instid0(VALU_DEP_2) | instskip(NEXT) | instid1(VALU_DEP_1)
	s_mul_i32 s68, s23, s4
	s_mul_hi_u32 s70, s23, s22
	s_mul_i32 s69, s60, s22
	s_add_i32 s68, s70, s68
	s_mul_i32 s71, s23, s22
	s_add_i32 s68, s68, s69
	s_mul_hi_u32 s70, s22, s71
	s_mul_hi_u32 s72, s4, s71
	s_mul_i32 s69, s4, s71
	s_mul_hi_u32 s71, s22, s68
	s_mul_i32 s22, s22, s68
	s_mul_hi_u32 s73, s4, s68
	s_add_u32 s22, s70, s22
	s_addc_u32 s70, 0, s71
	s_add_u32 s22, s22, s69
	s_mul_i32 s68, s4, s68
	s_addc_u32 s22, s70, s72
	s_addc_u32 s69, s73, 0
	s_add_u32 s22, s22, s68
	s_addc_u32 s68, 0, s69
	v_add_co_u32 v2, s22, v2, s22
	s_delay_alu instid0(VALU_DEP_1) | instskip(SKIP_1) | instid1(VALU_DEP_1)
	s_cmp_lg_u32 s22, 0
	s_addc_u32 s4, s4, s68
	v_readfirstlane_b32 s22, v2
	s_mul_i32 s68, s23, s4
	s_delay_alu instid0(VALU_DEP_1)
	s_mul_hi_u32 s69, s23, s22
	s_mul_i32 s60, s60, s22
	s_add_i32 s68, s69, s68
	s_mul_i32 s23, s23, s22
	s_add_i32 s68, s68, s60
	s_mul_hi_u32 s69, s4, s23
	s_mul_i32 s70, s4, s23
	s_mul_hi_u32 s23, s22, s23
	s_mul_hi_u32 s71, s22, s68
	s_mul_i32 s22, s22, s68
	s_mul_hi_u32 s60, s4, s68
	s_add_u32 s22, s23, s22
	s_addc_u32 s23, 0, s71
	s_add_u32 s22, s22, s70
	s_mul_i32 s68, s4, s68
	s_addc_u32 s22, s23, s69
	s_addc_u32 s23, s60, 0
	s_add_u32 s22, s22, s68
	s_addc_u32 s23, 0, s23
	v_add_co_u32 v2, s22, v2, s22
	s_delay_alu instid0(VALU_DEP_1) | instskip(SKIP_2) | instid1(VALU_DEP_1)
	s_cmp_lg_u32 s22, 0
	s_addc_u32 s4, s4, s23
	s_ashr_i32 s22, s5, 31
	v_readfirstlane_b32 s60, v2
	s_add_u32 s68, s13, s22
	s_mov_b32 s23, s22
	s_addc_u32 s69, s5, s22
	s_delay_alu instid0(SALU_CYCLE_1) | instskip(NEXT) | instid1(SALU_CYCLE_1)
	s_xor_b64 s[68:69], s[68:69], s[22:23]
	s_mul_i32 s70, s68, s4
	s_mul_hi_u32 s71, s68, s60
	s_mul_hi_u32 s23, s68, s4
	;; [unrolled: 1-line block ×3, first 2 shown]
	s_mul_i32 s60, s69, s60
	s_add_u32 s70, s71, s70
	s_addc_u32 s23, 0, s23
	s_mul_hi_u32 s72, s69, s4
	s_add_u32 s60, s70, s60
	s_mul_i32 s4, s69, s4
	s_addc_u32 s23, s23, s73
	s_addc_u32 s60, s72, 0
	s_add_u32 s4, s23, s4
	s_addc_u32 s23, 0, s60
	s_mul_hi_u32 s60, s33, s4
	s_mul_i32 s4, s33, s4
	s_mul_i32 s23, s33, s23
	v_sub_co_u32 v2, s4, s68, s4
	s_add_i32 s60, s60, s23
	s_cmp_lg_u32 s4, 0
	s_delay_alu instid0(VALU_DEP_1) | instskip(SKIP_2) | instid1(VALU_DEP_1)
	v_sub_co_u32 v3, s4, v2, s33
	s_subb_u32 s23, s69, s60
	s_cmp_lg_u32 s4, 0
	v_cmp_le_u32_e32 vcc_lo, s33, v3
	v_sub_co_u32 v4, s4, v3, s33
	s_subb_u32 s60, s23, 0
	s_cmp_lg_u32 s4, 0
	v_cndmask_b32_e64 v5, 0, -1, vcc_lo
	s_subb_u32 s4, s60, 0
	s_cmp_eq_u32 s60, 0
	v_mov_b32_e32 v7, s4
	s_cselect_b32 vcc_lo, -1, 0
	s_cmp_eq_u32 s23, 0
	v_cndmask_b32_e32 v5, -1, v5, vcc_lo
	v_cmp_le_u32_e32 vcc_lo, s33, v2
	s_cselect_b32 s4, -1, 0
	v_cndmask_b32_e64 v6, 0, -1, vcc_lo
	s_delay_alu instid0(VALU_DEP_3) | instskip(NEXT) | instid1(VALU_DEP_2)
	v_cmp_ne_u32_e32 vcc_lo, 0, v5
	v_cndmask_b32_e64 v5, -1, v6, s4
	v_cndmask_b32_e32 v3, v3, v4, vcc_lo
	v_cndmask_b32_e32 v6, s60, v7, vcc_lo
	s_delay_alu instid0(VALU_DEP_3) | instskip(NEXT) | instid1(VALU_DEP_3)
	v_cmp_ne_u32_e32 vcc_lo, 0, v5
	v_cndmask_b32_e32 v2, v2, v3, vcc_lo
	s_delay_alu instid0(VALU_DEP_3) | instskip(NEXT) | instid1(VALU_DEP_2)
	v_cndmask_b32_e32 v4, s23, v6, vcc_lo
	v_xor_b32_e32 v2, s22, v2
	s_delay_alu instid0(VALU_DEP_2) | instskip(NEXT) | instid1(VALU_DEP_2)
	v_xor_b32_e32 v3, s22, v4
	v_sub_co_u32 v2, vcc_lo, v2, s22
	s_delay_alu instid0(VALU_DEP_2)
	v_subrev_co_ci_u32_e32 v3, vcc_lo, s22, v3, vcc_lo
	s_cbranch_execnz .LBB61_204
.LBB61_203:                             ;   in Loop: Header=BB61_17 Depth=1
	v_cvt_f32_u32_e32 v2, s33
	s_sub_i32 s4, 0, s33
	s_delay_alu instid0(VALU_DEP_1) | instskip(SKIP_2) | instid1(VALU_DEP_1)
	v_rcp_iflag_f32_e32 v2, v2
	s_waitcnt_depctr 0xfff
	v_mul_f32_e32 v2, 0x4f7ffffe, v2
	v_cvt_u32_f32_e32 v2, v2
	s_delay_alu instid0(VALU_DEP_1) | instskip(NEXT) | instid1(VALU_DEP_1)
	v_mul_lo_u32 v3, s4, v2
	v_mul_hi_u32 v3, v2, v3
	s_delay_alu instid0(VALU_DEP_1) | instskip(NEXT) | instid1(VALU_DEP_1)
	v_add_nc_u32_e32 v2, v2, v3
	v_mul_hi_u32 v2, s13, v2
	s_delay_alu instid0(VALU_DEP_1) | instskip(NEXT) | instid1(VALU_DEP_1)
	v_mul_lo_u32 v2, v2, s33
	v_sub_nc_u32_e32 v2, s13, v2
	s_delay_alu instid0(VALU_DEP_1) | instskip(SKIP_1) | instid1(VALU_DEP_2)
	v_subrev_nc_u32_e32 v3, s33, v2
	v_cmp_le_u32_e32 vcc_lo, s33, v2
	v_cndmask_b32_e32 v2, v2, v3, vcc_lo
	s_delay_alu instid0(VALU_DEP_1) | instskip(SKIP_1) | instid1(VALU_DEP_2)
	v_subrev_nc_u32_e32 v3, s33, v2
	v_cmp_le_u32_e32 vcc_lo, s33, v2
	v_cndmask_b32_e32 v12, v2, v3, vcc_lo
	s_delay_alu instid0(VALU_DEP_1)
	v_dual_mov_b32 v2, v12 :: v_dual_mov_b32 v3, v13
.LBB61_204:                             ;   in Loop: Header=BB61_17 Depth=1
	s_delay_alu instid0(VALU_DEP_1) | instskip(NEXT) | instid1(VALU_DEP_2)
	v_sub_co_u32 v2, vcc_lo, s13, v2
	v_sub_co_ci_u32_e32 v3, vcc_lo, s5, v3, vcc_lo
	s_mov_b32 s4, 0
	s_mov_b32 s5, exec_lo
                                        ; implicit-def: $vgpr43
	s_delay_alu instid0(VALU_DEP_1)
	v_cmpx_gt_i64_e64 v[2:3], v[0:1]
	s_cbranch_execz .LBB61_213
; %bb.205:                              ;   in Loop: Header=BB61_17 Depth=1
	v_dual_mov_b32 v6, v32 :: v_dual_mov_b32 v5, v1
	v_mov_b32_e32 v4, v0
	s_mov_b32 s13, 0
                                        ; implicit-def: $sgpr22
	s_set_inst_prefetch_distance 0x1
	s_branch .LBB61_207
	.p2align	6
.LBB61_206:                             ;   in Loop: Header=BB61_207 Depth=2
	s_or_b32 exec_lo, exec_lo, s4
	s_waitcnt lgkmcnt(0)
	s_barrier
	buffer_gl0_inv
	ds_load_b32 v7, v13 offset:3072
	v_add_co_u32 v4, vcc_lo, v4, s33
	v_add_co_ci_u32_e32 v5, vcc_lo, 0, v5, vcc_lo
	v_add_nc_u32_e32 v6, s87, v6
	s_waitcnt lgkmcnt(0)
	s_barrier
	s_delay_alu instid0(VALU_DEP_2) | instskip(SKIP_2) | instid1(VALU_DEP_1)
	v_cmp_ge_i64_e32 vcc_lo, v[4:5], v[2:3]
	buffer_gl0_inv
	v_cmp_neq_f16_e64 s4, 0, v7
	s_or_b32 s23, s4, vcc_lo
	s_delay_alu instid0(SALU_CYCLE_1) | instskip(NEXT) | instid1(SALU_CYCLE_1)
	s_and_b32 s23, exec_lo, s23
	s_or_b32 s13, s23, s13
	s_and_not1_b32 s22, s22, exec_lo
	s_and_b32 s4, s4, exec_lo
	s_delay_alu instid0(SALU_CYCLE_1)
	s_or_b32 s22, s22, s4
	s_and_not1_b32 exec_lo, exec_lo, s13
	s_cbranch_execz .LBB61_212
.LBB61_207:                             ;   Parent Loop BB61_17 Depth=1
                                        ; =>  This Inner Loop Header: Depth=2
	s_delay_alu instid0(VALU_DEP_1)
	v_cmp_gt_i64_e32 vcc_lo, s[10:11], v[4:5]
	v_mov_b32_e32 v7, 0
	s_and_saveexec_b32 s4, vcc_lo
	s_cbranch_execz .LBB61_209
; %bb.208:                              ;   in Loop: Header=BB61_207 Depth=2
	ds_load_u16 v7, v6
.LBB61_209:                             ;   in Loop: Header=BB61_207 Depth=2
	s_or_b32 exec_lo, exec_lo, s4
	s_and_saveexec_b32 s4, vcc_lo
	s_cbranch_execz .LBB61_206
; %bb.210:                              ;   in Loop: Header=BB61_207 Depth=2
	s_waitcnt lgkmcnt(0)
	v_cmp_lt_i16_e32 vcc_lo, -1, v7
	v_dual_cndmask_b32 v9, 0xffff, v41 :: v_dual_and_b32 v8, 0xffff, v7
	v_cmp_o_f16_e32 vcc_lo, v7, v7
	s_delay_alu instid0(VALU_DEP_2) | instskip(NEXT) | instid1(VALU_DEP_1)
	v_xor_b32_e32 v8, v9, v8
	v_cndmask_b32_e32 v8, 0xffff, v8, vcc_lo
	s_delay_alu instid0(VALU_DEP_1) | instskip(NEXT) | instid1(VALU_DEP_1)
	v_and_b32_e32 v8, s98, v8
	v_cmp_eq_u32_e32 vcc_lo, s99, v8
	s_and_b32 exec_lo, exec_lo, vcc_lo
	s_cbranch_execz .LBB61_206
; %bb.211:                              ;   in Loop: Header=BB61_207 Depth=2
	v_perm_b32 v7, v7, s88, 0x5040100
	ds_store_b32 v13, v7 offset:3072
	s_branch .LBB61_206
.LBB61_212:                             ;   in Loop: Header=BB61_17 Depth=1
	s_set_inst_prefetch_distance 0x2
	s_or_b32 exec_lo, exec_lo, s13
	v_lshrrev_b32_e32 v43, 16, v7
	s_and_b32 s4, s22, exec_lo
.LBB61_213:                             ;   in Loop: Header=BB61_17 Depth=1
	s_or_b32 exec_lo, exec_lo, s5
	s_mov_b32 s23, -1
	s_mov_b32 s13, 0
	s_mov_b32 s22, 0
.LBB61_214:                             ;   in Loop: Header=BB61_17 Depth=1
	s_mov_b32 s5, 0
                                        ; implicit-def: $sgpr60
	s_and_saveexec_b32 s10, s4
	s_cbranch_execz .LBB61_276
; %bb.215:                              ;   in Loop: Header=BB61_17 Depth=1
	s_xor_b32 s4, s54, -1
	s_mov_b32 s60, 1
	s_and_not1_b32 vcc_lo, exec_lo, s4
	s_cbranch_vccnz .LBB61_226
; %bb.216:                              ;   in Loop: Header=BB61_17 Depth=1
	v_cmp_gt_i64_e64 s4, s[26:27], s[8:9]
                                        ; implicit-def: $sgpr60
                                        ; implicit-def: $sgpr5
                                        ; implicit-def: $sgpr11
	s_delay_alu instid0(VALU_DEP_1)
	s_and_b32 vcc_lo, exec_lo, s4
	s_mov_b32 s4, -1
	s_cbranch_vccnz .LBB61_222
; %bb.217:                              ;   in Loop: Header=BB61_17 Depth=1
	ds_load_b64 v[2:3], v13 offset:5120
	s_waitcnt lgkmcnt(0)
	v_cmp_ne_u64_e32 vcc_lo, 0, v[2:3]
	s_cbranch_vccnz .LBB61_221
; %bb.218:                              ;   in Loop: Header=BB61_17 Depth=1
	s_and_saveexec_b32 s4, s2
	s_cbranch_execz .LBB61_220
; %bb.219:                              ;   in Loop: Header=BB61_17 Depth=1
	v_dual_mov_b32 v2, s8 :: v_dual_mov_b32 v3, s9
	ds_store_b64 v13, v[2:3] offset:5128
.LBB61_220:                             ;   in Loop: Header=BB61_17 Depth=1
	s_or_b32 exec_lo, exec_lo, s4
	s_waitcnt lgkmcnt(0)
	s_barrier
	buffer_gl0_inv
.LBB61_221:                             ;   in Loop: Header=BB61_17 Depth=1
	s_lshl_b32 s4, 2, s17
	s_and_b32 s5, s99, s18
	s_or_b32 s11, s98, s16
	s_or_b32 s5, s5, s4
	s_mov_b32 s4, 0
	s_mov_b32 s60, 8
.LBB61_222:                             ;   in Loop: Header=BB61_17 Depth=1
	s_and_not1_b32 vcc_lo, exec_lo, s4
	s_cbranch_vccnz .LBB61_224
; %bb.223:                              ;   in Loop: Header=BB61_17 Depth=1
	s_sub_u32 s26, s26, s8
	s_subb_u32 s27, s27, s9
	s_mov_b32 s4, -1
	s_mov_b32 s60, 0
	s_mov_b32 s5, s99
	;; [unrolled: 1-line block ×3, first 2 shown]
.LBB61_224:                             ;   in Loop: Header=BB61_17 Depth=1
	s_delay_alu instid0(SALU_CYCLE_1)
	s_mov_b32 s98, s11
	s_mov_b32 s99, s5
	s_and_not1_b32 vcc_lo, exec_lo, s4
	s_mov_b32 s9, -1
	s_cbranch_vccz .LBB61_227
.LBB61_225:                             ;   in Loop: Header=BB61_17 Depth=1
                                        ; implicit-def: $sgpr17
                                        ; implicit-def: $sgpr54
                                        ; implicit-def: $sgpr18
	s_branch .LBB61_275
.LBB61_226:                             ;   in Loop: Header=BB61_17 Depth=1
	s_mov_b64 s[26:27], 1
	s_mov_b32 s9, -1
	s_cbranch_execnz .LBB61_225
.LBB61_227:                             ;   in Loop: Header=BB61_17 Depth=1
	s_cmp_eq_u64 s[6:7], 1
	s_mov_b32 s68, -1
	s_cselect_b32 s4, -1, 0
	s_cmp_eq_u64 s[26:27], 1
	s_cselect_b32 s5, -1, 0
	s_delay_alu instid0(SALU_CYCLE_1) | instskip(NEXT) | instid1(SALU_CYCLE_1)
	s_and_b32 s11, s4, s5
	s_and_b32 vcc_lo, exec_lo, s11
	s_cbranch_vccz .LBB61_242
; %bb.228:                              ;   in Loop: Header=BB61_17 Depth=1
	ds_load_b64 v[2:3], v13 offset:5120
	s_waitcnt lgkmcnt(0)
	s_barrier
	buffer_gl0_inv
	v_readfirstlane_b32 s8, v2
	v_readfirstlane_b32 s9, v3
	s_and_saveexec_b32 s4, s3
	s_cbranch_execz .LBB61_230
; %bb.229:                              ;   in Loop: Header=BB61_17 Depth=1
	ds_store_b16 v33, v13
.LBB61_230:                             ;   in Loop: Header=BB61_17 Depth=1
	s_or_b32 exec_lo, exec_lo, s4
	s_delay_alu instid0(VALU_DEP_1)
	v_cmp_gt_i64_e64 s4, s[8:9], 0
	s_or_b32 s99, s99, s16
	s_or_b32 s98, s98, s16
	s_waitcnt lgkmcnt(0)
	s_barrier
	buffer_gl0_inv
	s_and_b32 vcc_lo, exec_lo, s4
	s_cbranch_vccnz .LBB61_245
; %bb.231:                              ;   in Loop: Header=BB61_17 Depth=1
	s_mov_b32 s60, s55
	s_delay_alu instid0(SALU_CYCLE_1)
	s_cmp_lg_u64 s[60:61], 0
	s_cbranch_scc0 .LBB61_281
; %bb.232:                              ;   in Loop: Header=BB61_17 Depth=1
	v_cvt_f32_u32_e32 v2, s33
	s_sub_u32 s17, 0, s33
	s_subb_u32 s18, 0, 0
	s_delay_alu instid0(VALU_DEP_1) | instskip(NEXT) | instid1(VALU_DEP_1)
	v_fmac_f32_e32 v2, 0x4f800000, v42
	v_rcp_f32_e32 v2, v2
	s_waitcnt_depctr 0xfff
	v_mul_f32_e32 v2, 0x5f7ffffc, v2
	s_delay_alu instid0(VALU_DEP_1) | instskip(NEXT) | instid1(VALU_DEP_1)
	v_mul_f32_e32 v3, 0x2f800000, v2
	v_trunc_f32_e32 v3, v3
	s_delay_alu instid0(VALU_DEP_1) | instskip(SKIP_1) | instid1(VALU_DEP_2)
	v_fmac_f32_e32 v2, 0xcf800000, v3
	v_cvt_u32_f32_e32 v3, v3
	v_cvt_u32_f32_e32 v2, v2
	s_delay_alu instid0(VALU_DEP_2) | instskip(NEXT) | instid1(VALU_DEP_2)
	v_readfirstlane_b32 s4, v3
	v_readfirstlane_b32 s5, v2
	s_delay_alu instid0(VALU_DEP_2) | instskip(NEXT) | instid1(VALU_DEP_1)
	s_mul_i32 s54, s17, s4
	s_mul_hi_u32 s68, s17, s5
	s_mul_i32 s60, s18, s5
	s_add_i32 s54, s68, s54
	s_mul_i32 s69, s17, s5
	s_add_i32 s54, s54, s60
	s_mul_hi_u32 s68, s5, s69
	s_mul_hi_u32 s70, s4, s69
	s_mul_i32 s60, s4, s69
	s_mul_hi_u32 s69, s5, s54
	s_mul_i32 s5, s5, s54
	s_mul_hi_u32 s71, s4, s54
	s_add_u32 s5, s68, s5
	s_addc_u32 s68, 0, s69
	s_add_u32 s5, s5, s60
	s_mul_i32 s54, s4, s54
	s_addc_u32 s5, s68, s70
	s_addc_u32 s60, s71, 0
	s_add_u32 s5, s5, s54
	s_addc_u32 s54, 0, s60
	v_add_co_u32 v2, s5, v2, s5
	s_delay_alu instid0(VALU_DEP_1) | instskip(SKIP_1) | instid1(VALU_DEP_1)
	s_cmp_lg_u32 s5, 0
	s_addc_u32 s4, s4, s54
	v_readfirstlane_b32 s5, v2
	s_mul_i32 s54, s17, s4
	s_delay_alu instid0(VALU_DEP_1)
	s_mul_hi_u32 s60, s17, s5
	s_mul_i32 s18, s18, s5
	s_add_i32 s54, s60, s54
	s_mul_i32 s17, s17, s5
	s_add_i32 s54, s54, s18
	s_mul_hi_u32 s60, s4, s17
	s_mul_i32 s68, s4, s17
	s_mul_hi_u32 s17, s5, s17
	s_mul_hi_u32 s69, s5, s54
	s_mul_i32 s5, s5, s54
	s_mul_hi_u32 s18, s4, s54
	s_add_u32 s5, s17, s5
	s_addc_u32 s17, 0, s69
	s_add_u32 s5, s5, s68
	s_mul_i32 s54, s4, s54
	s_addc_u32 s5, s17, s60
	s_addc_u32 s17, s18, 0
	s_add_u32 s5, s5, s54
	s_addc_u32 s17, 0, s17
	v_add_co_u32 v2, s5, v2, s5
	s_delay_alu instid0(VALU_DEP_1) | instskip(SKIP_2) | instid1(VALU_DEP_1)
	s_cmp_lg_u32 s5, 0
	s_addc_u32 s17, s4, s17
	s_ashr_i32 s68, s61, 31
	v_readfirstlane_b32 s18, v2
	s_add_u32 s4, s81, s68
	s_mov_b32 s69, s68
	s_addc_u32 s5, s61, s68
	s_delay_alu instid0(SALU_CYCLE_1) | instskip(NEXT) | instid1(SALU_CYCLE_1)
	s_xor_b64 s[4:5], s[4:5], s[68:69]
	s_mul_i32 s60, s4, s17
	s_mul_hi_u32 s69, s4, s18
	s_mul_hi_u32 s54, s4, s17
	;; [unrolled: 1-line block ×3, first 2 shown]
	s_mul_i32 s18, s5, s18
	s_add_u32 s60, s69, s60
	s_addc_u32 s54, 0, s54
	s_mul_hi_u32 s70, s5, s17
	s_add_u32 s18, s60, s18
	s_mul_i32 s17, s5, s17
	s_addc_u32 s18, s54, s71
	s_addc_u32 s54, s70, 0
	s_add_u32 s17, s18, s17
	s_addc_u32 s18, 0, s54
	s_mul_hi_u32 s54, s33, s17
	s_mul_i32 s17, s33, s17
	s_mul_i32 s18, s33, s18
	v_sub_co_u32 v2, s4, s4, s17
	s_add_i32 s54, s54, s18
	s_cmp_lg_u32 s4, 0
	s_delay_alu instid0(VALU_DEP_1) | instskip(SKIP_2) | instid1(VALU_DEP_1)
	v_sub_co_u32 v3, s4, v2, s33
	s_subb_u32 s5, s5, s54
	s_cmp_lg_u32 s4, 0
	v_cmp_le_u32_e32 vcc_lo, s33, v3
	v_sub_co_u32 v4, s4, v3, s33
	s_subb_u32 s17, s5, 0
	s_cmp_lg_u32 s4, 0
	v_cndmask_b32_e64 v5, 0, -1, vcc_lo
	s_subb_u32 s4, s17, 0
	s_cmp_eq_u32 s17, 0
	v_mov_b32_e32 v7, s4
	s_cselect_b32 vcc_lo, -1, 0
	s_cmp_eq_u32 s5, 0
	v_cndmask_b32_e32 v5, -1, v5, vcc_lo
	v_cmp_le_u32_e32 vcc_lo, s33, v2
	s_cselect_b32 s4, -1, 0
	v_cndmask_b32_e64 v6, 0, -1, vcc_lo
	s_delay_alu instid0(VALU_DEP_3) | instskip(NEXT) | instid1(VALU_DEP_2)
	v_cmp_ne_u32_e32 vcc_lo, 0, v5
	v_cndmask_b32_e64 v5, -1, v6, s4
	v_cndmask_b32_e32 v3, v3, v4, vcc_lo
	v_cndmask_b32_e32 v6, s17, v7, vcc_lo
	s_delay_alu instid0(VALU_DEP_3) | instskip(NEXT) | instid1(VALU_DEP_3)
	v_cmp_ne_u32_e32 vcc_lo, 0, v5
	v_cndmask_b32_e32 v2, v2, v3, vcc_lo
	s_delay_alu instid0(VALU_DEP_3) | instskip(NEXT) | instid1(VALU_DEP_2)
	v_cndmask_b32_e32 v4, s5, v6, vcc_lo
	v_xor_b32_e32 v2, s68, v2
	s_delay_alu instid0(VALU_DEP_2) | instskip(NEXT) | instid1(VALU_DEP_2)
	v_xor_b32_e32 v3, s68, v4
	v_sub_co_u32 v2, vcc_lo, v2, s68
	s_delay_alu instid0(VALU_DEP_2)
	v_subrev_co_ci_u32_e32 v3, vcc_lo, s68, v3, vcc_lo
	s_cbranch_execnz .LBB61_234
.LBB61_233:                             ;   in Loop: Header=BB61_17 Depth=1
	v_cvt_f32_u32_e32 v2, s33
	s_sub_i32 s4, 0, s33
	s_delay_alu instid0(VALU_DEP_1) | instskip(SKIP_2) | instid1(VALU_DEP_1)
	v_rcp_iflag_f32_e32 v2, v2
	s_waitcnt_depctr 0xfff
	v_mul_f32_e32 v2, 0x4f7ffffe, v2
	v_cvt_u32_f32_e32 v2, v2
	s_delay_alu instid0(VALU_DEP_1) | instskip(NEXT) | instid1(VALU_DEP_1)
	v_mul_lo_u32 v3, s4, v2
	v_mul_hi_u32 v3, v2, v3
	s_delay_alu instid0(VALU_DEP_1) | instskip(NEXT) | instid1(VALU_DEP_1)
	v_add_nc_u32_e32 v2, v2, v3
	v_mul_hi_u32 v2, s81, v2
	s_delay_alu instid0(VALU_DEP_1) | instskip(NEXT) | instid1(VALU_DEP_1)
	v_mul_lo_u32 v2, v2, s33
	v_sub_nc_u32_e32 v2, s81, v2
	s_delay_alu instid0(VALU_DEP_1) | instskip(SKIP_1) | instid1(VALU_DEP_2)
	v_subrev_nc_u32_e32 v3, s33, v2
	v_cmp_le_u32_e32 vcc_lo, s33, v2
	v_cndmask_b32_e32 v2, v2, v3, vcc_lo
	s_delay_alu instid0(VALU_DEP_1) | instskip(SKIP_1) | instid1(VALU_DEP_2)
	v_subrev_nc_u32_e32 v3, s33, v2
	v_cmp_le_u32_e32 vcc_lo, s33, v2
	v_cndmask_b32_e32 v12, v2, v3, vcc_lo
	s_delay_alu instid0(VALU_DEP_1)
	v_dual_mov_b32 v2, v12 :: v_dual_mov_b32 v3, v13
.LBB61_234:                             ;   in Loop: Header=BB61_17 Depth=1
	s_delay_alu instid0(VALU_DEP_1) | instskip(NEXT) | instid1(VALU_DEP_2)
	v_sub_co_u32 v2, vcc_lo, s81, v2
	v_sub_co_ci_u32_e32 v3, vcc_lo, s61, v3, vcc_lo
	s_mov_b32 s68, 0
	s_mov_b32 s5, exec_lo
                                        ; implicit-def: $vgpr43
	s_delay_alu instid0(VALU_DEP_1)
	v_cmpx_gt_i64_e64 v[2:3], v[0:1]
	s_cbranch_execz .LBB61_247
; %bb.235:                              ;   in Loop: Header=BB61_17 Depth=1
	v_dual_mov_b32 v4, v10 :: v_dual_mov_b32 v5, v11
	v_dual_mov_b32 v7, v1 :: v_dual_mov_b32 v6, v0
	s_mov_b32 s17, 0
                                        ; implicit-def: $sgpr18
	s_branch .LBB61_237
.LBB61_236:                             ;   in Loop: Header=BB61_237 Depth=2
	s_or_b32 exec_lo, exec_lo, s4
	s_waitcnt vmcnt(0) lgkmcnt(0)
	s_barrier
	buffer_gl0_inv
	ds_load_b32 v8, v13 offset:3072
	v_add_co_u32 v6, vcc_lo, v6, s33
	v_add_co_ci_u32_e32 v7, vcc_lo, 0, v7, vcc_lo
	s_waitcnt lgkmcnt(0)
	s_barrier
	buffer_gl0_inv
	v_cmp_ge_i64_e32 vcc_lo, v[6:7], v[2:3]
	v_cmp_neq_f16_e64 s4, 0, v8
	s_delay_alu instid0(VALU_DEP_1)
	s_or_b32 s54, s4, vcc_lo
	v_add_co_u32 v4, vcc_lo, v4, s56
	s_and_b32 s54, exec_lo, s54
	v_add_co_ci_u32_e32 v5, vcc_lo, s57, v5, vcc_lo
	s_or_b32 s17, s54, s17
	s_and_not1_b32 s18, s18, exec_lo
	s_and_b32 s4, s4, exec_lo
	s_delay_alu instid0(SALU_CYCLE_1)
	s_or_b32 s18, s18, s4
	s_and_not1_b32 exec_lo, exec_lo, s17
	s_cbranch_execz .LBB61_246
.LBB61_237:                             ;   Parent Loop BB61_17 Depth=1
                                        ; =>  This Inner Loop Header: Depth=2
	s_delay_alu instid0(VALU_DEP_1)
	v_cmp_gt_i64_e32 vcc_lo, s[24:25], v[6:7]
	v_mov_b32_e32 v8, 0
	s_and_saveexec_b32 s4, vcc_lo
	s_cbranch_execz .LBB61_239
; %bb.238:                              ;   in Loop: Header=BB61_237 Depth=2
	global_load_u16 v8, v[4:5], off
.LBB61_239:                             ;   in Loop: Header=BB61_237 Depth=2
	s_or_b32 exec_lo, exec_lo, s4
	s_and_saveexec_b32 s4, vcc_lo
	s_cbranch_execz .LBB61_236
; %bb.240:                              ;   in Loop: Header=BB61_237 Depth=2
	s_waitcnt vmcnt(0)
	v_cmp_lt_i16_e32 vcc_lo, -1, v8
	v_dual_cndmask_b32 v12, 0xffff, v41 :: v_dual_and_b32 v9, 0xffff, v8
	v_cmp_o_f16_e32 vcc_lo, v8, v8
	s_delay_alu instid0(VALU_DEP_2) | instskip(NEXT) | instid1(VALU_DEP_1)
	v_xor_b32_e32 v9, v12, v9
	v_cndmask_b32_e32 v9, 0xffff, v9, vcc_lo
	s_delay_alu instid0(VALU_DEP_1) | instskip(NEXT) | instid1(VALU_DEP_1)
	v_and_b32_e32 v9, s98, v9
	v_cmp_eq_u32_e32 vcc_lo, s99, v9
	s_and_b32 exec_lo, exec_lo, vcc_lo
	s_cbranch_execz .LBB61_236
; %bb.241:                              ;   in Loop: Header=BB61_237 Depth=2
	v_perm_b32 v8, v8, s88, 0x5040100
	ds_store_b32 v13, v8 offset:3072
	s_branch .LBB61_236
.LBB61_242:                             ;   in Loop: Header=BB61_17 Depth=1
                                        ; implicit-def: $sgpr17
                                        ; implicit-def: $sgpr54
                                        ; implicit-def: $sgpr18
	s_branch .LBB61_261
.LBB61_243:                             ;   in Loop: Header=BB61_17 Depth=1
                                        ; implicit-def: $vgpr2_vgpr3
	s_branch .LBB61_186
.LBB61_244:                             ;   in Loop: Header=BB61_17 Depth=1
                                        ; implicit-def: $vgpr2_vgpr3
	s_branch .LBB61_203
.LBB61_245:                             ;   in Loop: Header=BB61_17 Depth=1
	s_mov_b32 s17, -1
	s_mov_b32 s68, 0
                                        ; implicit-def: $sgpr18
                                        ; implicit-def: $vgpr43
	s_mov_b32 s54, s17
	s_cbranch_execnz .LBB61_248
	s_branch .LBB61_261
.LBB61_246:                             ;   in Loop: Header=BB61_17 Depth=1
	s_or_b32 exec_lo, exec_lo, s17
	v_lshrrev_b32_e32 v43, 16, v8
	s_and_b32 s68, s18, exec_lo
.LBB61_247:                             ;   in Loop: Header=BB61_17 Depth=1
	s_or_b32 exec_lo, exec_lo, s5
	s_mov_b32 s18, -1
	s_mov_b32 s17, 0
	s_delay_alu instid0(SALU_CYCLE_1)
	s_mov_b32 s54, s17
	s_branch .LBB61_261
.LBB61_248:                             ;   in Loop: Header=BB61_17 Depth=1
	s_add_u32 s17, s79, s8
	s_addc_u32 s5, s80, s9
	s_mov_b32 s4, s55
	s_delay_alu instid0(SALU_CYCLE_1)
	s_cmp_lg_u64 s[4:5], 0
	s_cbranch_scc0 .LBB61_282
; %bb.249:                              ;   in Loop: Header=BB61_17 Depth=1
	v_cvt_f32_u32_e32 v2, s33
	s_sub_u32 s54, 0, s33
	s_subb_u32 s60, 0, 0
	s_delay_alu instid0(VALU_DEP_1) | instskip(NEXT) | instid1(VALU_DEP_1)
	v_fmac_f32_e32 v2, 0x4f800000, v42
	v_rcp_f32_e32 v2, v2
	s_waitcnt_depctr 0xfff
	v_mul_f32_e32 v2, 0x5f7ffffc, v2
	s_delay_alu instid0(VALU_DEP_1) | instskip(NEXT) | instid1(VALU_DEP_1)
	v_mul_f32_e32 v3, 0x2f800000, v2
	v_trunc_f32_e32 v3, v3
	s_delay_alu instid0(VALU_DEP_1) | instskip(SKIP_1) | instid1(VALU_DEP_2)
	v_fmac_f32_e32 v2, 0xcf800000, v3
	v_cvt_u32_f32_e32 v3, v3
	v_cvt_u32_f32_e32 v2, v2
	s_delay_alu instid0(VALU_DEP_2) | instskip(NEXT) | instid1(VALU_DEP_2)
	v_readfirstlane_b32 s4, v3
	v_readfirstlane_b32 s18, v2
	s_delay_alu instid0(VALU_DEP_2) | instskip(NEXT) | instid1(VALU_DEP_1)
	s_mul_i32 s68, s54, s4
	s_mul_hi_u32 s70, s54, s18
	s_mul_i32 s69, s60, s18
	s_add_i32 s68, s70, s68
	s_mul_i32 s71, s54, s18
	s_add_i32 s68, s68, s69
	s_mul_hi_u32 s70, s18, s71
	s_mul_hi_u32 s72, s4, s71
	s_mul_i32 s69, s4, s71
	s_mul_hi_u32 s71, s18, s68
	s_mul_i32 s18, s18, s68
	s_mul_hi_u32 s73, s4, s68
	s_add_u32 s18, s70, s18
	s_addc_u32 s70, 0, s71
	s_add_u32 s18, s18, s69
	s_mul_i32 s68, s4, s68
	s_addc_u32 s18, s70, s72
	s_addc_u32 s69, s73, 0
	s_add_u32 s18, s18, s68
	s_addc_u32 s68, 0, s69
	v_add_co_u32 v2, s18, v2, s18
	s_delay_alu instid0(VALU_DEP_1) | instskip(SKIP_1) | instid1(VALU_DEP_1)
	s_cmp_lg_u32 s18, 0
	s_addc_u32 s4, s4, s68
	v_readfirstlane_b32 s18, v2
	s_mul_i32 s68, s54, s4
	s_delay_alu instid0(VALU_DEP_1)
	s_mul_hi_u32 s69, s54, s18
	s_mul_i32 s60, s60, s18
	s_add_i32 s68, s69, s68
	s_mul_i32 s54, s54, s18
	s_add_i32 s68, s68, s60
	s_mul_hi_u32 s69, s4, s54
	s_mul_i32 s70, s4, s54
	s_mul_hi_u32 s54, s18, s54
	s_mul_hi_u32 s71, s18, s68
	s_mul_i32 s18, s18, s68
	s_mul_hi_u32 s60, s4, s68
	s_add_u32 s18, s54, s18
	s_addc_u32 s54, 0, s71
	s_add_u32 s18, s18, s70
	s_mul_i32 s68, s4, s68
	s_addc_u32 s18, s54, s69
	s_addc_u32 s54, s60, 0
	s_add_u32 s18, s18, s68
	s_addc_u32 s54, 0, s54
	v_add_co_u32 v2, s18, v2, s18
	s_delay_alu instid0(VALU_DEP_1) | instskip(SKIP_2) | instid1(VALU_DEP_1)
	s_cmp_lg_u32 s18, 0
	s_addc_u32 s4, s4, s54
	s_ashr_i32 s68, s5, 31
	v_readfirstlane_b32 s18, v2
	s_add_u32 s70, s17, s68
	s_mov_b32 s69, s68
	s_addc_u32 s71, s5, s68
	s_delay_alu instid0(SALU_CYCLE_1) | instskip(NEXT) | instid1(SALU_CYCLE_1)
	s_xor_b64 s[70:71], s[70:71], s[68:69]
	s_mul_i32 s60, s70, s4
	s_mul_hi_u32 s69, s70, s18
	s_mul_hi_u32 s54, s70, s4
	;; [unrolled: 1-line block ×3, first 2 shown]
	s_mul_i32 s18, s71, s18
	s_add_u32 s60, s69, s60
	s_addc_u32 s54, 0, s54
	s_mul_hi_u32 s72, s71, s4
	s_add_u32 s18, s60, s18
	s_mul_i32 s4, s71, s4
	s_addc_u32 s18, s54, s73
	s_addc_u32 s54, s72, 0
	s_add_u32 s4, s18, s4
	s_addc_u32 s18, 0, s54
	s_mul_hi_u32 s54, s33, s4
	s_mul_i32 s4, s33, s4
	s_mul_i32 s18, s33, s18
	v_sub_co_u32 v2, s4, s70, s4
	s_add_i32 s54, s54, s18
	s_cmp_lg_u32 s4, 0
	s_delay_alu instid0(VALU_DEP_1) | instskip(SKIP_2) | instid1(VALU_DEP_1)
	v_sub_co_u32 v3, s4, v2, s33
	s_subb_u32 s18, s71, s54
	s_cmp_lg_u32 s4, 0
	v_cmp_le_u32_e32 vcc_lo, s33, v3
	v_sub_co_u32 v4, s4, v3, s33
	s_subb_u32 s54, s18, 0
	s_cmp_lg_u32 s4, 0
	v_cndmask_b32_e64 v5, 0, -1, vcc_lo
	s_subb_u32 s4, s54, 0
	s_cmp_eq_u32 s54, 0
	v_mov_b32_e32 v7, s4
	s_cselect_b32 vcc_lo, -1, 0
	s_cmp_eq_u32 s18, 0
	v_cndmask_b32_e32 v5, -1, v5, vcc_lo
	v_cmp_le_u32_e32 vcc_lo, s33, v2
	s_cselect_b32 s4, -1, 0
	v_cndmask_b32_e64 v6, 0, -1, vcc_lo
	s_delay_alu instid0(VALU_DEP_3) | instskip(NEXT) | instid1(VALU_DEP_2)
	v_cmp_ne_u32_e32 vcc_lo, 0, v5
	v_cndmask_b32_e64 v5, -1, v6, s4
	v_cndmask_b32_e32 v3, v3, v4, vcc_lo
	v_cndmask_b32_e32 v6, s54, v7, vcc_lo
	s_delay_alu instid0(VALU_DEP_3) | instskip(NEXT) | instid1(VALU_DEP_3)
	v_cmp_ne_u32_e32 vcc_lo, 0, v5
	v_cndmask_b32_e32 v2, v2, v3, vcc_lo
	s_delay_alu instid0(VALU_DEP_3) | instskip(NEXT) | instid1(VALU_DEP_2)
	v_cndmask_b32_e32 v4, s18, v6, vcc_lo
	v_xor_b32_e32 v2, s68, v2
	s_delay_alu instid0(VALU_DEP_2) | instskip(NEXT) | instid1(VALU_DEP_2)
	v_xor_b32_e32 v3, s68, v4
	v_sub_co_u32 v2, vcc_lo, v2, s68
	s_delay_alu instid0(VALU_DEP_2)
	v_subrev_co_ci_u32_e32 v3, vcc_lo, s68, v3, vcc_lo
	s_cbranch_execnz .LBB61_251
.LBB61_250:                             ;   in Loop: Header=BB61_17 Depth=1
	v_cvt_f32_u32_e32 v2, s33
	s_sub_i32 s4, 0, s33
	s_delay_alu instid0(VALU_DEP_1) | instskip(SKIP_2) | instid1(VALU_DEP_1)
	v_rcp_iflag_f32_e32 v2, v2
	s_waitcnt_depctr 0xfff
	v_mul_f32_e32 v2, 0x4f7ffffe, v2
	v_cvt_u32_f32_e32 v2, v2
	s_delay_alu instid0(VALU_DEP_1) | instskip(NEXT) | instid1(VALU_DEP_1)
	v_mul_lo_u32 v3, s4, v2
	v_mul_hi_u32 v3, v2, v3
	s_delay_alu instid0(VALU_DEP_1) | instskip(NEXT) | instid1(VALU_DEP_1)
	v_add_nc_u32_e32 v2, v2, v3
	v_mul_hi_u32 v2, s17, v2
	s_delay_alu instid0(VALU_DEP_1) | instskip(NEXT) | instid1(VALU_DEP_1)
	v_mul_lo_u32 v2, v2, s33
	v_sub_nc_u32_e32 v2, s17, v2
	s_delay_alu instid0(VALU_DEP_1) | instskip(SKIP_1) | instid1(VALU_DEP_2)
	v_subrev_nc_u32_e32 v3, s33, v2
	v_cmp_le_u32_e32 vcc_lo, s33, v2
	v_cndmask_b32_e32 v2, v2, v3, vcc_lo
	s_delay_alu instid0(VALU_DEP_1) | instskip(SKIP_1) | instid1(VALU_DEP_2)
	v_subrev_nc_u32_e32 v3, s33, v2
	v_cmp_le_u32_e32 vcc_lo, s33, v2
	v_cndmask_b32_e32 v12, v2, v3, vcc_lo
	s_delay_alu instid0(VALU_DEP_1)
	v_dual_mov_b32 v2, v12 :: v_dual_mov_b32 v3, v13
.LBB61_251:                             ;   in Loop: Header=BB61_17 Depth=1
	s_delay_alu instid0(VALU_DEP_1) | instskip(NEXT) | instid1(VALU_DEP_2)
	v_sub_co_u32 v2, vcc_lo, s17, v2
	v_sub_co_ci_u32_e32 v3, vcc_lo, s5, v3, vcc_lo
	s_mov_b32 s68, 0
	s_mov_b32 s5, exec_lo
                                        ; implicit-def: $vgpr43
	s_delay_alu instid0(VALU_DEP_1)
	v_cmpx_gt_i64_e64 v[2:3], v[0:1]
	s_cbranch_execz .LBB61_260
; %bb.252:                              ;   in Loop: Header=BB61_17 Depth=1
	v_dual_mov_b32 v6, v32 :: v_dual_mov_b32 v5, v1
	v_mov_b32_e32 v4, v0
	s_mov_b32 s17, 0
                                        ; implicit-def: $sgpr18
	s_set_inst_prefetch_distance 0x1
	s_branch .LBB61_254
	.p2align	6
.LBB61_253:                             ;   in Loop: Header=BB61_254 Depth=2
	s_or_b32 exec_lo, exec_lo, s4
	s_waitcnt lgkmcnt(0)
	s_barrier
	buffer_gl0_inv
	ds_load_b32 v7, v13 offset:3072
	v_add_co_u32 v4, vcc_lo, v4, s33
	v_add_co_ci_u32_e32 v5, vcc_lo, 0, v5, vcc_lo
	v_add_nc_u32_e32 v6, s87, v6
	s_waitcnt lgkmcnt(0)
	s_barrier
	s_delay_alu instid0(VALU_DEP_2) | instskip(SKIP_2) | instid1(VALU_DEP_1)
	v_cmp_ge_i64_e32 vcc_lo, v[4:5], v[2:3]
	buffer_gl0_inv
	v_cmp_neq_f16_e64 s4, 0, v7
	s_or_b32 s54, s4, vcc_lo
	s_delay_alu instid0(SALU_CYCLE_1) | instskip(NEXT) | instid1(SALU_CYCLE_1)
	s_and_b32 s54, exec_lo, s54
	s_or_b32 s17, s54, s17
	s_and_not1_b32 s18, s18, exec_lo
	s_and_b32 s4, s4, exec_lo
	s_delay_alu instid0(SALU_CYCLE_1)
	s_or_b32 s18, s18, s4
	s_and_not1_b32 exec_lo, exec_lo, s17
	s_cbranch_execz .LBB61_259
.LBB61_254:                             ;   Parent Loop BB61_17 Depth=1
                                        ; =>  This Inner Loop Header: Depth=2
	s_delay_alu instid0(VALU_DEP_1)
	v_cmp_gt_i64_e32 vcc_lo, s[8:9], v[4:5]
	v_mov_b32_e32 v7, 0
	s_and_saveexec_b32 s4, vcc_lo
	s_cbranch_execz .LBB61_256
; %bb.255:                              ;   in Loop: Header=BB61_254 Depth=2
	ds_load_u16 v7, v6
.LBB61_256:                             ;   in Loop: Header=BB61_254 Depth=2
	s_or_b32 exec_lo, exec_lo, s4
	s_and_saveexec_b32 s4, vcc_lo
	s_cbranch_execz .LBB61_253
; %bb.257:                              ;   in Loop: Header=BB61_254 Depth=2
	s_waitcnt lgkmcnt(0)
	v_cmp_lt_i16_e32 vcc_lo, -1, v7
	v_dual_cndmask_b32 v9, 0xffff, v41 :: v_dual_and_b32 v8, 0xffff, v7
	v_cmp_o_f16_e32 vcc_lo, v7, v7
	s_delay_alu instid0(VALU_DEP_2) | instskip(NEXT) | instid1(VALU_DEP_1)
	v_xor_b32_e32 v8, v9, v8
	v_cndmask_b32_e32 v8, 0xffff, v8, vcc_lo
	s_delay_alu instid0(VALU_DEP_1) | instskip(NEXT) | instid1(VALU_DEP_1)
	v_and_b32_e32 v8, s98, v8
	v_cmp_eq_u32_e32 vcc_lo, s99, v8
	s_and_b32 exec_lo, exec_lo, vcc_lo
	s_cbranch_execz .LBB61_253
; %bb.258:                              ;   in Loop: Header=BB61_254 Depth=2
	v_perm_b32 v7, v7, s88, 0x5040100
	ds_store_b32 v13, v7 offset:3072
	s_branch .LBB61_253
.LBB61_259:                             ;   in Loop: Header=BB61_17 Depth=1
	s_set_inst_prefetch_distance 0x2
	s_or_b32 exec_lo, exec_lo, s17
	v_lshrrev_b32_e32 v43, 16, v7
	s_and_b32 s68, s18, exec_lo
.LBB61_260:                             ;   in Loop: Header=BB61_17 Depth=1
	s_or_b32 exec_lo, exec_lo, s5
	s_mov_b32 s54, -1
	s_mov_b32 s17, 0
	s_mov_b32 s18, 0
.LBB61_261:                             ;   in Loop: Header=BB61_17 Depth=1
	s_mov_b32 s9, 0
                                        ; implicit-def: $sgpr60
                                        ; implicit-def: $sgpr4_sgpr5
	s_and_saveexec_b32 s8, s68
	s_cbranch_execz .LBB61_274
; %bb.262:                              ;   in Loop: Header=BB61_17 Depth=1
	s_xor_b32 s9, s11, -1
	s_mov_b64 s[4:5], 1
	s_and_not1_b32 vcc_lo, exec_lo, s9
	s_mov_b32 s60, 1
	s_cbranch_vccnz .LBB61_273
; %bb.263:                              ;   in Loop: Header=BB61_17 Depth=1
	v_cmp_gt_i64_e64 s4, s[26:27], s[6:7]
	s_delay_alu instid0(VALU_DEP_1)
	s_and_b32 vcc_lo, exec_lo, s4
	s_cbranch_vccnz .LBB61_269
; %bb.264:                              ;   in Loop: Header=BB61_17 Depth=1
	ds_load_b64 v[2:3], v13 offset:5120
	s_waitcnt lgkmcnt(0)
	v_cmp_ne_u64_e32 vcc_lo, 0, v[2:3]
	s_cbranch_vccnz .LBB61_268
; %bb.265:                              ;   in Loop: Header=BB61_17 Depth=1
	s_and_saveexec_b32 s4, s2
	s_cbranch_execz .LBB61_267
; %bb.266:                              ;   in Loop: Header=BB61_17 Depth=1
	v_dual_mov_b32 v2, s6 :: v_dual_mov_b32 v3, s7
	ds_store_b64 v13, v[2:3] offset:5128
.LBB61_267:                             ;   in Loop: Header=BB61_17 Depth=1
	s_or_b32 exec_lo, exec_lo, s4
	s_waitcnt lgkmcnt(0)
	s_barrier
	buffer_gl0_inv
.LBB61_268:                             ;   in Loop: Header=BB61_17 Depth=1
	s_or_b32 s9, s99, s16
	s_or_b32 s11, s98, s16
	s_mov_b32 s4, 0
	s_mov_b32 s60, 8
	s_branch .LBB61_270
.LBB61_269:                             ;   in Loop: Header=BB61_17 Depth=1
	s_mov_b32 s4, -1
                                        ; implicit-def: $sgpr60
                                        ; implicit-def: $sgpr9
                                        ; implicit-def: $sgpr11
.LBB61_270:                             ;   in Loop: Header=BB61_17 Depth=1
	s_delay_alu instid0(SALU_CYCLE_1)
	s_and_not1_b32 vcc_lo, exec_lo, s4
	s_cbranch_vccnz .LBB61_272
; %bb.271:                              ;   in Loop: Header=BB61_17 Depth=1
	s_sub_u32 s26, s26, s6
	s_subb_u32 s27, s27, s7
	s_mov_b32 s60, 8
	s_mov_b32 s9, s99
	;; [unrolled: 1-line block ×3, first 2 shown]
.LBB61_272:                             ;   in Loop: Header=BB61_17 Depth=1
	s_mov_b64 s[4:5], s[26:27]
	s_mov_b32 s99, s9
	s_mov_b32 s98, s11
.LBB61_273:                             ;   in Loop: Header=BB61_17 Depth=1
	s_mov_b32 s9, exec_lo
.LBB61_274:                             ;   in Loop: Header=BB61_17 Depth=1
	s_or_b32 exec_lo, exec_lo, s8
	s_mov_b64 s[26:27], s[4:5]
.LBB61_275:                             ;   in Loop: Header=BB61_17 Depth=1
	s_and_not1_b32 s4, s13, exec_lo
	s_and_b32 s5, s17, exec_lo
	s_and_not1_b32 s6, s22, exec_lo
	s_or_b32 s13, s4, s5
	s_and_not1_b32 s4, s23, exec_lo
	s_and_b32 s5, s54, exec_lo
	s_and_b32 s7, s18, exec_lo
	s_or_b32 s23, s4, s5
	s_or_b32 s22, s6, s7
	s_and_b32 s5, s9, exec_lo
.LBB61_276:                             ;   in Loop: Header=BB61_17 Depth=1
	s_or_b32 exec_lo, exec_lo, s10
.LBB61_277:                             ;   in Loop: Header=BB61_17 Depth=1
	s_delay_alu instid0(SALU_CYCLE_1)
	s_and_not1_b32 s4, s20, exec_lo
	s_and_b32 s6, s13, exec_lo
	s_and_not1_b32 s7, s19, exec_lo
	s_or_b32 s20, s4, s6
	s_and_not1_b32 s4, s21, exec_lo
	s_and_b32 s6, s23, exec_lo
	s_and_b32 s8, s22, exec_lo
	s_or_b32 s21, s4, s6
	s_or_b32 s19, s7, s8
	s_and_b32 s5, s5, exec_lo
.LBB61_278:                             ;   in Loop: Header=BB61_17 Depth=1
	s_or_b32 exec_lo, exec_lo, s12
	s_and_saveexec_b32 s4, s5
	s_delay_alu instid0(SALU_CYCLE_1)
	s_xor_b32 s4, exec_lo, s4
	s_cbranch_execz .LBB61_15
.LBB61_279:                             ;   in Loop: Header=BB61_17 Depth=1
	s_and_b32 s5, s60, -9
	s_delay_alu instid0(SALU_CYCLE_1)
	s_cmp_eq_u32 s5, 0
	s_cbranch_scc1 .LBB61_13
; %bb.280:                              ;   in Loop: Header=BB61_17 Depth=1
	s_mov_b32 s5, -1
	s_mov_b32 s6, -1
                                        ; implicit-def: $sgpr98
                                        ; implicit-def: $sgpr92
                                        ; implicit-def: $sgpr94
	s_branch .LBB61_14
.LBB61_281:                             ;   in Loop: Header=BB61_17 Depth=1
                                        ; implicit-def: $vgpr2_vgpr3
	s_branch .LBB61_233
.LBB61_282:                             ;   in Loop: Header=BB61_17 Depth=1
                                        ; implicit-def: $vgpr2_vgpr3
	s_branch .LBB61_250
.LBB61_283:
	s_or_b32 exec_lo, exec_lo, s89
	s_xor_b32 s5, s93, -1
	s_xor_b32 s1, s90, -1
	;; [unrolled: 1-line block ×3, first 2 shown]
	s_mov_b32 s3, 0
	s_and_saveexec_b32 s6, s1
	s_delay_alu instid0(SALU_CYCLE_1)
	s_xor_b32 s1, exec_lo, s6
	s_cbranch_execz .LBB61_309
; %bb.284:
	s_and_saveexec_b32 s3, s5
	s_delay_alu instid0(SALU_CYCLE_1)
	s_xor_b32 s3, exec_lo, s3
	s_cbranch_execz .LBB61_307
; %bb.285:
	s_and_saveexec_b32 s5, s4
	s_delay_alu instid0(SALU_CYCLE_1)
	s_xor_b32 s4, exec_lo, s5
; %bb.286:
	v_and_b32_e32 v3, 0x8000, v2
	v_mov_b32_e32 v4, 0xffff
	s_delay_alu instid0(VALU_DEP_2) | instskip(NEXT) | instid1(VALU_DEP_2)
	v_cmp_eq_u32_e32 vcc_lo, 0, v3
	v_cndmask_b32_e32 v3, 0x8000, v4, vcc_lo
	s_delay_alu instid0(VALU_DEP_1)
	v_xor_b32_e32 v43, v3, v2
; %bb.287:
	s_or_b32 exec_lo, exec_lo, s4
	s_and_saveexec_b32 s4, s2
	s_cbranch_execz .LBB61_289
; %bb.288:
	v_dual_mov_b32 v2, 0 :: v_dual_mov_b32 v3, s24
	ds_store_b32 v2, v3 offset:5140
.LBB61_289:
	s_or_b32 exec_lo, exec_lo, s4
	s_waitcnt lgkmcnt(0)
	s_barrier
	buffer_gl0_inv
	s_and_saveexec_b32 s4, s0
	s_cbranch_execz .LBB61_304
; %bb.290:
	v_mov_b32_e32 v2, 0
	v_cmp_u_f16_e32 vcc_lo, v43, v43
	s_mov_b32 s5, 0
                                        ; implicit-def: $sgpr7
                                        ; implicit-def: $sgpr8
                                        ; implicit-def: $sgpr9
	ds_load_b32 v4, v2 offset:5140
	s_xor_b32 s6, vcc_lo, -1
	s_waitcnt lgkmcnt(0)
	v_ashrrev_i32_e32 v5, 31, v4
	s_set_inst_prefetch_distance 0x1
	s_branch .LBB61_293
	.p2align	6
.LBB61_291:                             ;   in Loop: Header=BB61_293 Depth=1
	s_or_b32 exec_lo, exec_lo, s13
	s_delay_alu instid0(SALU_CYCLE_1)
	s_and_not1_b32 s0, s9, exec_lo
	s_and_b32 s9, s11, exec_lo
	s_and_not1_b32 s8, s8, exec_lo
	s_and_b32 s11, s12, exec_lo
	s_or_b32 s9, s0, s9
	s_or_b32 s8, s8, s11
.LBB61_292:                             ;   in Loop: Header=BB61_293 Depth=1
	s_or_b32 exec_lo, exec_lo, s10
	s_delay_alu instid0(SALU_CYCLE_1) | instskip(NEXT) | instid1(SALU_CYCLE_1)
	s_and_b32 s0, exec_lo, s8
	s_or_b32 s5, s0, s5
	s_and_not1_b32 s0, s7, exec_lo
	s_and_b32 s7, s9, exec_lo
	s_delay_alu instid0(SALU_CYCLE_1)
	s_or_b32 s7, s0, s7
	s_and_not1_b32 exec_lo, exec_lo, s5
	s_cbranch_execz .LBB61_299
.LBB61_293:                             ; =>This Inner Loop Header: Depth=1
	v_dual_mov_b32 v3, v1 :: v_dual_mov_b32 v2, v0
	s_or_b32 s9, s9, exec_lo
	s_or_b32 s8, s8, exec_lo
	s_mov_b32 s10, exec_lo
                                        ; implicit-def: $vgpr0_vgpr1
	s_delay_alu instid0(VALU_DEP_1)
	v_cmpx_lt_i64_e64 v[2:3], v[4:5]
	s_cbranch_execz .LBB61_292
; %bb.294:                              ;   in Loop: Header=BB61_293 Depth=1
	global_load_u16 v0, v[10:11], off
	s_mov_b32 s12, -1
	s_waitcnt vmcnt(0)
	v_cmp_o_f16_e32 vcc_lo, v0, v0
	v_cmp_neq_f16_e64 s0, v0, v43
                                        ; implicit-def: $vgpr0_vgpr1
	s_or_b32 s11, s6, vcc_lo
	s_delay_alu instid0(VALU_DEP_1) | instid1(SALU_CYCLE_1)
	s_and_b32 s0, s0, s11
	s_mov_b32 s11, 0
	s_and_saveexec_b32 s13, s0
	s_cbranch_execz .LBB61_291
; %bb.295:                              ;   in Loop: Header=BB61_293 Depth=1
	v_add_co_u32 v0, vcc_lo, v2, s33
	v_add_co_ci_u32_e32 v1, vcc_lo, 0, v3, vcc_lo
	v_add_co_u32 v10, s0, v10, s56
	s_mov_b32 s11, exec_lo
	s_delay_alu instid0(VALU_DEP_2)
	v_cmp_le_i64_e32 vcc_lo, s[24:25], v[0:1]
	v_add_co_ci_u32_e64 v11, s0, s57, v11, s0
	s_or_not1_b32 s12, vcc_lo, exec_lo
	s_branch .LBB61_291
.LBB61_296:
                                        ; implicit-def: $sgpr16_sgpr17
	s_branch .LBB61_3
.LBB61_297:
                                        ; implicit-def: $sgpr46_sgpr47
	s_branch .LBB61_6
.LBB61_298:
                                        ; implicit-def: $sgpr48_sgpr49
	s_load_b64 s[18:19], s[0:1], 0x0
	s_branch .LBB61_9
.LBB61_299:
	s_set_inst_prefetch_distance 0x2
	s_or_b32 exec_lo, exec_lo, s5
	s_xor_b32 s0, s7, -1
	s_delay_alu instid0(SALU_CYCLE_1) | instskip(NEXT) | instid1(SALU_CYCLE_1)
	s_and_saveexec_b32 s5, s0
	s_xor_b32 s5, exec_lo, s5
	s_cbranch_execz .LBB61_304
; %bb.300:
	s_mov_b32 s5, exec_lo
	s_brev_b32 s0, -2
.LBB61_301:                             ; =>This Inner Loop Header: Depth=1
	s_ctz_i32_b32 s6, s5
	s_delay_alu instid0(SALU_CYCLE_1) | instskip(SKIP_1) | instid1(SALU_CYCLE_1)
	v_readlane_b32 s7, v2, s6
	s_lshl_b32 s6, 1, s6
	s_and_not1_b32 s5, s5, s6
	s_delay_alu instid0(VALU_DEP_1)
	s_min_i32 s0, s0, s7
	s_cmp_lg_u32 s5, 0
	s_cbranch_scc1 .LBB61_301
; %bb.302:
	v_mbcnt_lo_u32_b32 v0, exec_lo, 0
	s_mov_b32 s5, exec_lo
	s_delay_alu instid0(VALU_DEP_1)
	v_cmpx_eq_u32_e32 0, v0
	s_xor_b32 s5, exec_lo, s5
	s_cbranch_execz .LBB61_304
; %bb.303:
	v_dual_mov_b32 v0, 0 :: v_dual_mov_b32 v1, s0
	ds_min_i32 v0, v1 offset:5140
.LBB61_304:
	s_or_b32 exec_lo, exec_lo, s4
	s_waitcnt lgkmcnt(0)
	s_barrier
	buffer_gl0_inv
	s_and_saveexec_b32 s0, s2
	s_cbranch_execz .LBB61_306
; %bb.305:
	s_mul_i32 s2, s46, s29
	s_mul_hi_u32 s4, s46, s28
	s_mul_i32 s5, s46, s28
	s_add_i32 s2, s4, s2
	s_mul_i32 s4, s47, s28
	s_mul_hi_u32 s7, s46, s40
	s_add_i32 s2, s2, s4
	s_sub_u32 s4, s34, s5
	s_subb_u32 s2, 0, s2
	s_mul_i32 s5, s4, s43
	s_mul_hi_u32 s6, s4, s42
	s_mul_i32 s2, s2, s42
	s_add_i32 s5, s6, s5
	s_mul_i32 s6, s46, s41
	v_mov_b32_e32 v2, 0
	s_add_i32 s5, s5, s2
	s_add_i32 s2, s7, s6
	s_mul_i32 s6, s47, s40
	s_mul_hi_u32 s8, s48, s44
	s_add_i32 s7, s2, s6
	s_mul_i32 s2, s48, s45
	ds_load_b32 v0, v2 offset:5140
	s_add_i32 s2, s8, s2
	s_mul_i32 s8, s49, s44
	s_mul_i32 s9, s48, s44
	s_add_i32 s2, s2, s8
	s_sub_u32 s8, s34, s9
	s_subb_u32 s2, 0, s2
	s_mul_i32 s9, s8, s39
	s_mul_hi_u32 s10, s8, s38
	s_mul_i32 s2, s2, s38
	s_add_i32 s9, s10, s9
	s_mul_i32 s10, s48, s37
	s_mul_hi_u32 s11, s48, s36
	s_mul_i32 s6, s46, s40
	s_add_i32 s9, s9, s2
	s_add_i32 s2, s11, s10
	s_mul_i32 s10, s49, s36
	s_lshl_b64 s[6:7], s[6:7], 1
	s_mul_i32 s4, s4, s42
	s_add_i32 s11, s2, s10
	s_add_u32 s2, s52, s6
	s_addc_u32 s6, s53, s7
	s_lshl_b64 s[4:5], s[4:5], 1
	s_mul_i32 s10, s48, s36
	s_add_u32 s4, s2, s4
	s_addc_u32 s5, s6, s5
	s_lshl_b64 s[6:7], s[10:11], 3
	s_mul_i32 s8, s8, s38
	s_add_u32 s2, s50, s6
	s_addc_u32 s10, s51, s7
	s_lshl_b64 s[6:7], s[8:9], 3
	s_waitcnt lgkmcnt(0)
	v_ashrrev_i32_e32 v1, 31, v0
	s_add_u32 s6, s2, s6
	s_addc_u32 s7, s10, s7
	s_clause 0x1
	global_store_b64 v2, v[0:1], s[6:7]
	global_store_b16 v2, v43, s[4:5]
.LBB61_306:
	s_or_b32 exec_lo, exec_lo, s0
.LBB61_307:
	s_or_saveexec_b32 s0, s3
	s_mov_b32 s2, 0
	s_xor_b32 exec_lo, exec_lo, s0
	s_cbranch_execnz .LBB61_315
.LBB61_308:
	s_or_b32 exec_lo, exec_lo, s0
	s_delay_alu instid0(SALU_CYCLE_1)
	s_and_b32 s3, s2, exec_lo
.LBB61_309:
	s_and_not1_saveexec_b32 s0, s1
	s_cbranch_execnz .LBB61_313
; %bb.310:
	s_or_b32 exec_lo, exec_lo, s0
	s_and_saveexec_b32 s0, s3
.LBB61_311:
	; divergent unreachable
.LBB61_312:
	s_nop 0
	s_sendmsg sendmsg(MSG_DEALLOC_VGPRS)
	s_endpgm
.LBB61_313:
	s_cbranch_execnz .LBB61_317
; %bb.314:
	s_or_b32 s3, s3, exec_lo
	s_or_b32 exec_lo, exec_lo, s0
	s_and_saveexec_b32 s0, s3
	s_cbranch_execnz .LBB61_311
	s_branch .LBB61_312
.LBB61_315:
	s_cbranch_execnz .LBB61_319
; %bb.316:
	s_mov_b32 s2, exec_lo
	s_branch .LBB61_308
.LBB61_317:
	s_trap 2
	s_sendmsg_rtn_b32 s0, sendmsg(MSG_RTN_GET_DOORBELL)
	s_mov_b32 ttmp2, m0
	s_waitcnt lgkmcnt(0)
	s_and_b32 s0, s0, 0x3ff
	s_delay_alu instid0(SALU_CYCLE_1) | instskip(NEXT) | instid1(SALU_CYCLE_1)
	s_bitset1_b32 s0, 10
	s_mov_b32 m0, s0
	s_sendmsg sendmsg(MSG_INTERRUPT)
	s_mov_b32 m0, ttmp2
.LBB61_318:                             ; =>This Inner Loop Header: Depth=1
	s_sethalt 5
	s_branch .LBB61_318
.LBB61_319:
	s_trap 2
	s_sendmsg_rtn_b32 s0, sendmsg(MSG_RTN_GET_DOORBELL)
	s_mov_b32 ttmp2, m0
	s_waitcnt lgkmcnt(0)
	s_and_b32 s0, s0, 0x3ff
	s_delay_alu instid0(SALU_CYCLE_1) | instskip(NEXT) | instid1(SALU_CYCLE_1)
	s_bitset1_b32 s0, 10
	s_mov_b32 m0, s0
	s_sendmsg sendmsg(MSG_INTERRUPT)
	s_mov_b32 m0, ttmp2
.LBB61_320:                             ; =>This Inner Loop Header: Depth=1
	s_sethalt 5
	s_branch .LBB61_320
	.section	.rodata,"a",@progbits
	.p2align	6, 0x0
	.amdhsa_kernel _ZN2at6native12_GLOBAL__N_114gatherKthValueIN3c104HalfElLi2EEEvNS_4cuda6detail10TensorInfoIKT_T0_EESA_SA_SA_SA_NS7_IS8_SA_EENS7_IlSA_EE
		.amdhsa_group_segment_fixed_size 5144
		.amdhsa_private_segment_fixed_size 0
		.amdhsa_kernarg_size 1536
		.amdhsa_user_sgpr_count 13
		.amdhsa_user_sgpr_dispatch_ptr 0
		.amdhsa_user_sgpr_queue_ptr 0
		.amdhsa_user_sgpr_kernarg_segment_ptr 1
		.amdhsa_user_sgpr_dispatch_id 0
		.amdhsa_user_sgpr_private_segment_size 0
		.amdhsa_wavefront_size32 1
		.amdhsa_uses_dynamic_stack 0
		.amdhsa_enable_private_segment 0
		.amdhsa_system_sgpr_workgroup_id_x 1
		.amdhsa_system_sgpr_workgroup_id_y 1
		.amdhsa_system_sgpr_workgroup_id_z 1
		.amdhsa_system_sgpr_workgroup_info 0
		.amdhsa_system_vgpr_workitem_id 0
		.amdhsa_next_free_vgpr 50
		.amdhsa_next_free_sgpr 102
		.amdhsa_reserve_vcc 1
		.amdhsa_float_round_mode_32 0
		.amdhsa_float_round_mode_16_64 0
		.amdhsa_float_denorm_mode_32 3
		.amdhsa_float_denorm_mode_16_64 3
		.amdhsa_dx10_clamp 1
		.amdhsa_ieee_mode 1
		.amdhsa_fp16_overflow 0
		.amdhsa_workgroup_processor_mode 1
		.amdhsa_memory_ordered 1
		.amdhsa_forward_progress 0
		.amdhsa_shared_vgpr_count 0
		.amdhsa_exception_fp_ieee_invalid_op 0
		.amdhsa_exception_fp_denorm_src 0
		.amdhsa_exception_fp_ieee_div_zero 0
		.amdhsa_exception_fp_ieee_overflow 0
		.amdhsa_exception_fp_ieee_underflow 0
		.amdhsa_exception_fp_ieee_inexact 0
		.amdhsa_exception_int_div_zero 0
	.end_amdhsa_kernel
	.section	.text._ZN2at6native12_GLOBAL__N_114gatherKthValueIN3c104HalfElLi2EEEvNS_4cuda6detail10TensorInfoIKT_T0_EESA_SA_SA_SA_NS7_IS8_SA_EENS7_IlSA_EE,"axG",@progbits,_ZN2at6native12_GLOBAL__N_114gatherKthValueIN3c104HalfElLi2EEEvNS_4cuda6detail10TensorInfoIKT_T0_EESA_SA_SA_SA_NS7_IS8_SA_EENS7_IlSA_EE,comdat
.Lfunc_end61:
	.size	_ZN2at6native12_GLOBAL__N_114gatherKthValueIN3c104HalfElLi2EEEvNS_4cuda6detail10TensorInfoIKT_T0_EESA_SA_SA_SA_NS7_IS8_SA_EENS7_IlSA_EE, .Lfunc_end61-_ZN2at6native12_GLOBAL__N_114gatherKthValueIN3c104HalfElLi2EEEvNS_4cuda6detail10TensorInfoIKT_T0_EESA_SA_SA_SA_NS7_IS8_SA_EENS7_IlSA_EE
                                        ; -- End function
	.section	.AMDGPU.csdata,"",@progbits
; Kernel info:
; codeLenInByte = 20316
; NumSgprs: 104
; NumVgprs: 50
; ScratchSize: 0
; MemoryBound: 0
; FloatMode: 240
; IeeeMode: 1
; LDSByteSize: 5144 bytes/workgroup (compile time only)
; SGPRBlocks: 12
; VGPRBlocks: 6
; NumSGPRsForWavesPerEU: 104
; NumVGPRsForWavesPerEU: 50
; Occupancy: 16
; WaveLimiterHint : 1
; COMPUTE_PGM_RSRC2:SCRATCH_EN: 0
; COMPUTE_PGM_RSRC2:USER_SGPR: 13
; COMPUTE_PGM_RSRC2:TRAP_HANDLER: 0
; COMPUTE_PGM_RSRC2:TGID_X_EN: 1
; COMPUTE_PGM_RSRC2:TGID_Y_EN: 1
; COMPUTE_PGM_RSRC2:TGID_Z_EN: 1
; COMPUTE_PGM_RSRC2:TIDIG_COMP_CNT: 0
	.section	.text._ZN2at6native12_GLOBAL__N_114gatherKthValueIN3c104HalfElLi3EEEvNS_4cuda6detail10TensorInfoIKT_T0_EESA_SA_SA_SA_NS7_IS8_SA_EENS7_IlSA_EE,"axG",@progbits,_ZN2at6native12_GLOBAL__N_114gatherKthValueIN3c104HalfElLi3EEEvNS_4cuda6detail10TensorInfoIKT_T0_EESA_SA_SA_SA_NS7_IS8_SA_EENS7_IlSA_EE,comdat
	.globl	_ZN2at6native12_GLOBAL__N_114gatherKthValueIN3c104HalfElLi3EEEvNS_4cuda6detail10TensorInfoIKT_T0_EESA_SA_SA_SA_NS7_IS8_SA_EENS7_IlSA_EE ; -- Begin function _ZN2at6native12_GLOBAL__N_114gatherKthValueIN3c104HalfElLi3EEEvNS_4cuda6detail10TensorInfoIKT_T0_EESA_SA_SA_SA_NS7_IS8_SA_EENS7_IlSA_EE
	.p2align	8
	.type	_ZN2at6native12_GLOBAL__N_114gatherKthValueIN3c104HalfElLi3EEEvNS_4cuda6detail10TensorInfoIKT_T0_EESA_SA_SA_SA_NS7_IS8_SA_EENS7_IlSA_EE,@function
_ZN2at6native12_GLOBAL__N_114gatherKthValueIN3c104HalfElLi3EEEvNS_4cuda6detail10TensorInfoIKT_T0_EESA_SA_SA_SA_NS7_IS8_SA_EENS7_IlSA_EE: ; @_ZN2at6native12_GLOBAL__N_114gatherKthValueIN3c104HalfElLi3EEEvNS_4cuda6detail10TensorInfoIKT_T0_EESA_SA_SA_SA_NS7_IS8_SA_EENS7_IlSA_EE
; %bb.0:
	s_clause 0x1
	s_load_b64 s[18:19], s[0:1], 0x500
	s_load_b256 s[24:31], s[0:1], 0x1a0
	s_add_u32 s16, s0, 0x500
	s_addc_u32 s17, s1, 0
	s_mov_b32 s35, 0
	s_waitcnt lgkmcnt(0)
	s_mul_i32 s2, s19, s15
	s_delay_alu instid0(SALU_CYCLE_1) | instskip(NEXT) | instid1(SALU_CYCLE_1)
	s_add_i32 s2, s2, s14
	s_mul_i32 s2, s2, s18
	s_delay_alu instid0(SALU_CYCLE_1) | instskip(NEXT) | instid1(SALU_CYCLE_1)
	s_add_i32 s34, s2, s13
	v_cmp_ge_i64_e64 s2, s[34:35], s[28:29]
	s_delay_alu instid0(VALU_DEP_1)
	s_and_b32 vcc_lo, exec_lo, s2
	s_cbranch_vccnz .LBB62_325
; %bb.1:
	s_load_b128 s[4:7], s[0:1], 0x10
	s_mov_b32 s2, s35
	s_waitcnt lgkmcnt(0)
	s_mov_b32 s3, s7
	s_delay_alu instid0(SALU_CYCLE_1)
	s_cmp_lg_u64 s[2:3], 0
	s_cbranch_scc0 .LBB62_18
; %bb.2:
	s_ashr_i32 s2, s7, 31
	s_delay_alu instid0(SALU_CYCLE_1) | instskip(SKIP_2) | instid1(SALU_CYCLE_1)
	s_add_u32 s8, s6, s2
	s_mov_b32 s3, s2
	s_addc_u32 s9, s7, s2
	s_xor_b64 s[8:9], s[8:9], s[2:3]
	s_delay_alu instid0(SALU_CYCLE_1) | instskip(SKIP_3) | instid1(VALU_DEP_1)
	v_cvt_f32_u32_e32 v1, s8
	v_cvt_f32_u32_e32 v2, s9
	s_sub_u32 s12, 0, s8
	s_subb_u32 s14, 0, s9
	v_fmamk_f32 v1, v2, 0x4f800000, v1
	s_delay_alu instid0(VALU_DEP_1) | instskip(SKIP_2) | instid1(VALU_DEP_1)
	v_rcp_f32_e32 v1, v1
	s_waitcnt_depctr 0xfff
	v_mul_f32_e32 v1, 0x5f7ffffc, v1
	v_mul_f32_e32 v2, 0x2f800000, v1
	s_delay_alu instid0(VALU_DEP_1) | instskip(NEXT) | instid1(VALU_DEP_1)
	v_trunc_f32_e32 v2, v2
	v_fmamk_f32 v1, v2, 0xcf800000, v1
	v_cvt_u32_f32_e32 v2, v2
	s_delay_alu instid0(VALU_DEP_2) | instskip(NEXT) | instid1(VALU_DEP_2)
	v_cvt_u32_f32_e32 v1, v1
	v_readfirstlane_b32 s10, v2
	s_delay_alu instid0(VALU_DEP_2) | instskip(NEXT) | instid1(VALU_DEP_2)
	v_readfirstlane_b32 s11, v1
	s_mul_i32 s15, s12, s10
	s_delay_alu instid0(VALU_DEP_1)
	s_mul_hi_u32 s20, s12, s11
	s_mul_i32 s19, s14, s11
	s_add_i32 s15, s20, s15
	s_mul_i32 s21, s12, s11
	s_add_i32 s15, s15, s19
	s_mul_hi_u32 s20, s11, s21
	s_mul_hi_u32 s22, s10, s21
	s_mul_i32 s19, s10, s21
	s_mul_hi_u32 s21, s11, s15
	s_mul_i32 s11, s11, s15
	s_mul_hi_u32 s23, s10, s15
	s_add_u32 s11, s20, s11
	s_addc_u32 s20, 0, s21
	s_add_u32 s11, s11, s19
	s_mul_i32 s15, s10, s15
	s_addc_u32 s11, s20, s22
	s_addc_u32 s19, s23, 0
	s_add_u32 s11, s11, s15
	s_addc_u32 s15, 0, s19
	v_add_co_u32 v1, s11, v1, s11
	s_delay_alu instid0(VALU_DEP_1) | instskip(SKIP_1) | instid1(VALU_DEP_1)
	s_cmp_lg_u32 s11, 0
	s_addc_u32 s10, s10, s15
	v_readfirstlane_b32 s11, v1
	s_mul_i32 s15, s12, s10
	s_delay_alu instid0(VALU_DEP_1)
	s_mul_hi_u32 s19, s12, s11
	s_mul_i32 s14, s14, s11
	s_add_i32 s15, s19, s15
	s_mul_i32 s12, s12, s11
	s_add_i32 s15, s15, s14
	s_mul_hi_u32 s19, s10, s12
	s_mul_i32 s20, s10, s12
	s_mul_hi_u32 s12, s11, s12
	s_mul_hi_u32 s21, s11, s15
	s_mul_i32 s11, s11, s15
	s_mul_hi_u32 s14, s10, s15
	s_add_u32 s11, s12, s11
	s_addc_u32 s12, 0, s21
	s_add_u32 s11, s11, s20
	s_mul_i32 s15, s10, s15
	s_addc_u32 s11, s12, s19
	s_addc_u32 s12, s14, 0
	s_add_u32 s11, s11, s15
	s_addc_u32 s12, 0, s12
	v_add_co_u32 v1, s11, v1, s11
	s_delay_alu instid0(VALU_DEP_1) | instskip(SKIP_2) | instid1(VALU_DEP_1)
	s_cmp_lg_u32 s11, 0
	s_addc_u32 s12, s10, s12
	s_ashr_i32 s10, 0, 31
	v_readfirstlane_b32 s19, v1
	s_add_u32 s14, s34, s10
	s_mov_b32 s11, s10
	s_addc_u32 s15, 0, s10
	s_delay_alu instid0(SALU_CYCLE_1) | instskip(NEXT) | instid1(SALU_CYCLE_1)
	s_xor_b64 s[14:15], s[14:15], s[10:11]
	s_mul_i32 s21, s14, s12
	s_mul_hi_u32 s22, s14, s19
	s_mul_hi_u32 s20, s14, s12
	;; [unrolled: 1-line block ×3, first 2 shown]
	s_mul_i32 s19, s15, s19
	s_add_u32 s21, s22, s21
	s_addc_u32 s20, 0, s20
	s_mul_hi_u32 s23, s15, s12
	s_add_u32 s19, s21, s19
	s_mul_i32 s12, s15, s12
	s_addc_u32 s19, s20, s28
	s_addc_u32 s20, s23, 0
	s_add_u32 s12, s19, s12
	s_addc_u32 s19, 0, s20
	s_mul_i32 s23, s8, s12
	s_mul_hi_u32 s20, s8, s12
	s_mul_i32 s22, s8, s19
	v_sub_co_u32 v1, s14, s14, s23
	s_mul_i32 s21, s9, s12
	s_add_i32 s20, s20, s22
	s_delay_alu instid0(SALU_CYCLE_1) | instskip(NEXT) | instid1(VALU_DEP_1)
	s_add_i32 s20, s20, s21
	v_sub_co_u32 v2, s22, v1, s8
	s_sub_i32 s21, s15, s20
	s_cmp_lg_u32 s14, 0
	s_subb_u32 s21, s21, s9
	s_cmp_lg_u32 s22, 0
	v_readfirstlane_b32 s22, v2
	s_subb_u32 s21, s21, 0
	s_delay_alu instid0(SALU_CYCLE_1) | instskip(SKIP_1) | instid1(VALU_DEP_1)
	s_cmp_ge_u32 s21, s9
	s_cselect_b32 s23, -1, 0
	s_cmp_ge_u32 s22, s8
	s_cselect_b32 s22, -1, 0
	s_cmp_eq_u32 s21, s9
	s_cselect_b32 s21, s22, s23
	s_add_u32 s22, s12, 1
	s_addc_u32 s23, s19, 0
	s_add_u32 s28, s12, 2
	s_addc_u32 s29, s19, 0
	s_cmp_lg_u32 s21, 0
	s_cselect_b32 s21, s28, s22
	s_cselect_b32 s22, s29, s23
	s_cmp_lg_u32 s14, 0
	v_readfirstlane_b32 s14, v1
	s_subb_u32 s15, s15, s20
	s_delay_alu instid0(SALU_CYCLE_1) | instskip(SKIP_1) | instid1(VALU_DEP_1)
	s_cmp_ge_u32 s15, s9
	s_cselect_b32 s20, -1, 0
	s_cmp_ge_u32 s14, s8
	s_cselect_b32 s8, -1, 0
	s_cmp_eq_u32 s15, s9
	s_cselect_b32 s8, s8, s20
	s_delay_alu instid0(SALU_CYCLE_1) | instskip(SKIP_3) | instid1(SALU_CYCLE_1)
	s_cmp_lg_u32 s8, 0
	s_cselect_b32 s9, s22, s19
	s_cselect_b32 s8, s21, s12
	s_xor_b64 s[2:3], s[10:11], s[2:3]
	s_xor_b64 s[10:11], s[8:9], s[2:3]
	s_delay_alu instid0(SALU_CYCLE_1)
	s_sub_u32 s2, s10, s2
	s_subb_u32 s3, s11, s3
	s_cbranch_execnz .LBB62_4
.LBB62_3:
	v_cvt_f32_u32_e32 v1, s6
	s_sub_i32 s3, 0, s6
	s_delay_alu instid0(VALU_DEP_1) | instskip(SKIP_2) | instid1(VALU_DEP_1)
	v_rcp_iflag_f32_e32 v1, v1
	s_waitcnt_depctr 0xfff
	v_mul_f32_e32 v1, 0x4f7ffffe, v1
	v_cvt_u32_f32_e32 v1, v1
	s_delay_alu instid0(VALU_DEP_1) | instskip(NEXT) | instid1(VALU_DEP_1)
	v_readfirstlane_b32 s2, v1
	s_mul_i32 s3, s3, s2
	s_delay_alu instid0(SALU_CYCLE_1) | instskip(NEXT) | instid1(SALU_CYCLE_1)
	s_mul_hi_u32 s3, s2, s3
	s_add_i32 s2, s2, s3
	s_delay_alu instid0(SALU_CYCLE_1) | instskip(NEXT) | instid1(SALU_CYCLE_1)
	s_mul_hi_u32 s2, s34, s2
	s_mul_i32 s3, s2, s6
	s_add_i32 s8, s2, 1
	s_sub_i32 s3, s34, s3
	s_delay_alu instid0(SALU_CYCLE_1)
	s_sub_i32 s9, s3, s6
	s_cmp_ge_u32 s3, s6
	s_cselect_b32 s2, s8, s2
	s_cselect_b32 s3, s9, s3
	s_add_i32 s8, s2, 1
	s_cmp_ge_u32 s3, s6
	s_mov_b32 s3, 0
	s_cselect_b32 s2, s8, s2
.LBB62_4:
	s_delay_alu instid0(SALU_CYCLE_1) | instskip(SKIP_1) | instid1(SALU_CYCLE_1)
	s_or_b64 s[8:9], s[2:3], s[4:5]
	s_mov_b32 s8, 0
	s_cmp_lg_u64 s[8:9], 0
	s_cbranch_scc0 .LBB62_19
; %bb.5:
	s_ashr_i32 s10, s5, 31
	s_delay_alu instid0(SALU_CYCLE_1) | instskip(SKIP_2) | instid1(SALU_CYCLE_1)
	s_add_u32 s14, s4, s10
	s_mov_b32 s11, s10
	s_addc_u32 s15, s5, s10
	s_xor_b64 s[14:15], s[14:15], s[10:11]
	s_delay_alu instid0(SALU_CYCLE_1) | instskip(SKIP_3) | instid1(VALU_DEP_1)
	v_cvt_f32_u32_e32 v1, s14
	v_cvt_f32_u32_e32 v2, s15
	s_sub_u32 s19, 0, s14
	s_subb_u32 s20, 0, s15
	v_fmamk_f32 v1, v2, 0x4f800000, v1
	s_delay_alu instid0(VALU_DEP_1) | instskip(SKIP_2) | instid1(VALU_DEP_1)
	v_rcp_f32_e32 v1, v1
	s_waitcnt_depctr 0xfff
	v_mul_f32_e32 v1, 0x5f7ffffc, v1
	v_mul_f32_e32 v2, 0x2f800000, v1
	s_delay_alu instid0(VALU_DEP_1) | instskip(NEXT) | instid1(VALU_DEP_1)
	v_trunc_f32_e32 v2, v2
	v_fmamk_f32 v1, v2, 0xcf800000, v1
	v_cvt_u32_f32_e32 v2, v2
	s_delay_alu instid0(VALU_DEP_2) | instskip(NEXT) | instid1(VALU_DEP_2)
	v_cvt_u32_f32_e32 v1, v1
	v_readfirstlane_b32 s9, v2
	s_delay_alu instid0(VALU_DEP_2) | instskip(NEXT) | instid1(VALU_DEP_2)
	v_readfirstlane_b32 s12, v1
	s_mul_i32 s21, s19, s9
	s_delay_alu instid0(VALU_DEP_1)
	s_mul_hi_u32 s23, s19, s12
	s_mul_i32 s22, s20, s12
	s_add_i32 s21, s23, s21
	s_mul_i32 s28, s19, s12
	s_add_i32 s21, s21, s22
	s_mul_hi_u32 s23, s12, s28
	s_mul_hi_u32 s29, s9, s28
	s_mul_i32 s22, s9, s28
	s_mul_hi_u32 s28, s12, s21
	s_mul_i32 s12, s12, s21
	s_mul_hi_u32 s33, s9, s21
	s_add_u32 s12, s23, s12
	s_addc_u32 s23, 0, s28
	s_add_u32 s12, s12, s22
	s_mul_i32 s21, s9, s21
	s_addc_u32 s12, s23, s29
	s_addc_u32 s22, s33, 0
	s_add_u32 s12, s12, s21
	s_addc_u32 s21, 0, s22
	v_add_co_u32 v1, s12, v1, s12
	s_delay_alu instid0(VALU_DEP_1) | instskip(SKIP_1) | instid1(VALU_DEP_1)
	s_cmp_lg_u32 s12, 0
	s_addc_u32 s9, s9, s21
	v_readfirstlane_b32 s12, v1
	s_mul_i32 s21, s19, s9
	s_delay_alu instid0(VALU_DEP_1)
	s_mul_hi_u32 s22, s19, s12
	s_mul_i32 s20, s20, s12
	s_add_i32 s21, s22, s21
	s_mul_i32 s19, s19, s12
	s_add_i32 s21, s21, s20
	s_mul_hi_u32 s22, s9, s19
	s_mul_i32 s23, s9, s19
	s_mul_hi_u32 s19, s12, s19
	s_mul_hi_u32 s28, s12, s21
	s_mul_i32 s12, s12, s21
	s_mul_hi_u32 s20, s9, s21
	s_add_u32 s12, s19, s12
	s_addc_u32 s19, 0, s28
	s_add_u32 s12, s12, s23
	s_mul_i32 s21, s9, s21
	s_addc_u32 s12, s19, s22
	s_addc_u32 s19, s20, 0
	s_add_u32 s12, s12, s21
	s_addc_u32 s19, 0, s19
	v_add_co_u32 v1, s12, v1, s12
	s_delay_alu instid0(VALU_DEP_1) | instskip(SKIP_2) | instid1(VALU_DEP_1)
	s_cmp_lg_u32 s12, 0
	s_addc_u32 s9, s9, s19
	s_ashr_i32 s20, s3, 31
	v_readfirstlane_b32 s12, v1
	s_add_u32 s22, s2, s20
	s_mov_b32 s21, s20
	s_addc_u32 s23, s3, s20
	s_delay_alu instid0(SALU_CYCLE_1) | instskip(NEXT) | instid1(SALU_CYCLE_1)
	s_xor_b64 s[22:23], s[22:23], s[20:21]
	s_mul_i32 s28, s22, s9
	s_mul_hi_u32 s29, s22, s12
	s_mul_hi_u32 s19, s22, s9
	s_mul_hi_u32 s35, s23, s12
	s_mul_i32 s12, s23, s12
	s_add_u32 s28, s29, s28
	s_addc_u32 s19, 0, s19
	s_mul_hi_u32 s33, s23, s9
	s_add_u32 s12, s28, s12
	s_mul_i32 s9, s23, s9
	s_addc_u32 s12, s19, s35
	s_addc_u32 s19, s33, 0
	s_add_u32 s9, s12, s9
	s_addc_u32 s12, 0, s19
	s_mul_i32 s33, s14, s9
	s_mul_hi_u32 s19, s14, s9
	s_mul_i32 s29, s14, s12
	v_sub_co_u32 v1, s22, s22, s33
	s_mul_i32 s28, s15, s9
	s_add_i32 s19, s19, s29
	s_delay_alu instid0(SALU_CYCLE_1) | instskip(NEXT) | instid1(VALU_DEP_1)
	s_add_i32 s19, s19, s28
	v_sub_co_u32 v2, s29, v1, s14
	s_sub_i32 s28, s23, s19
	s_cmp_lg_u32 s22, 0
	s_subb_u32 s28, s28, s15
	s_cmp_lg_u32 s29, 0
	v_readfirstlane_b32 s29, v2
	s_subb_u32 s28, s28, 0
	s_delay_alu instid0(SALU_CYCLE_1) | instskip(SKIP_1) | instid1(VALU_DEP_1)
	s_cmp_ge_u32 s28, s15
	s_cselect_b32 s33, -1, 0
	s_cmp_ge_u32 s29, s14
	s_cselect_b32 s29, -1, 0
	s_cmp_eq_u32 s28, s15
	s_cselect_b32 s28, s29, s33
	s_add_u32 s29, s9, 1
	s_addc_u32 s33, s12, 0
	s_add_u32 s35, s9, 2
	s_addc_u32 s36, s12, 0
	s_cmp_lg_u32 s28, 0
	s_cselect_b32 s28, s35, s29
	s_cselect_b32 s29, s36, s33
	s_cmp_lg_u32 s22, 0
	v_readfirstlane_b32 s22, v1
	s_subb_u32 s19, s23, s19
	s_delay_alu instid0(SALU_CYCLE_1) | instskip(SKIP_1) | instid1(VALU_DEP_1)
	s_cmp_ge_u32 s19, s15
	s_cselect_b32 s23, -1, 0
	s_cmp_ge_u32 s22, s14
	s_cselect_b32 s14, -1, 0
	s_cmp_eq_u32 s19, s15
	s_cselect_b32 s14, s14, s23
	s_delay_alu instid0(SALU_CYCLE_1) | instskip(SKIP_3) | instid1(SALU_CYCLE_1)
	s_cmp_lg_u32 s14, 0
	s_cselect_b32 s15, s29, s12
	s_cselect_b32 s14, s28, s9
	s_xor_b64 s[10:11], s[20:21], s[10:11]
	s_xor_b64 s[14:15], s[14:15], s[10:11]
	s_delay_alu instid0(SALU_CYCLE_1)
	s_sub_u32 s14, s14, s10
	s_subb_u32 s15, s15, s11
	s_load_b128 s[36:39], s[0:1], 0x1d0
	s_and_not1_b32 vcc_lo, exec_lo, s8
	s_cbranch_vccnz .LBB62_7
.LBB62_6:
	v_cvt_f32_u32_e32 v1, s4
	s_sub_i32 s9, 0, s4
	s_mov_b32 s15, 0
	s_delay_alu instid0(VALU_DEP_1) | instskip(SKIP_2) | instid1(VALU_DEP_1)
	v_rcp_iflag_f32_e32 v1, v1
	s_waitcnt_depctr 0xfff
	v_mul_f32_e32 v1, 0x4f7ffffe, v1
	v_cvt_u32_f32_e32 v1, v1
	s_delay_alu instid0(VALU_DEP_1) | instskip(NEXT) | instid1(VALU_DEP_1)
	v_readfirstlane_b32 s8, v1
	s_mul_i32 s9, s9, s8
	s_delay_alu instid0(SALU_CYCLE_1) | instskip(NEXT) | instid1(SALU_CYCLE_1)
	s_mul_hi_u32 s9, s8, s9
	s_add_i32 s8, s8, s9
	s_delay_alu instid0(SALU_CYCLE_1) | instskip(NEXT) | instid1(SALU_CYCLE_1)
	s_mul_hi_u32 s8, s2, s8
	s_mul_i32 s9, s8, s4
	s_add_i32 s10, s8, 1
	s_sub_i32 s9, s2, s9
	s_delay_alu instid0(SALU_CYCLE_1)
	s_sub_i32 s11, s9, s4
	s_cmp_ge_u32 s9, s4
	s_cselect_b32 s8, s10, s8
	s_cselect_b32 s9, s11, s9
	s_add_i32 s10, s8, 1
	s_cmp_ge_u32 s9, s4
	s_cselect_b32 s14, s10, s8
.LBB62_7:
	s_mov_b32 s8, 0
	s_waitcnt lgkmcnt(0)
	s_mov_b32 s9, s39
	s_delay_alu instid0(SALU_CYCLE_1)
	s_cmp_lg_u64 s[8:9], 0
	s_cbranch_scc0 .LBB62_20
; %bb.8:
	s_ashr_i32 s10, s39, 31
	s_delay_alu instid0(SALU_CYCLE_1) | instskip(SKIP_2) | instid1(SALU_CYCLE_1)
	s_add_u32 s20, s38, s10
	s_mov_b32 s11, s10
	s_addc_u32 s21, s39, s10
	s_xor_b64 s[20:21], s[20:21], s[10:11]
	s_delay_alu instid0(SALU_CYCLE_1) | instskip(SKIP_3) | instid1(VALU_DEP_1)
	v_cvt_f32_u32_e32 v1, s20
	v_cvt_f32_u32_e32 v2, s21
	s_sub_u32 s19, 0, s20
	s_subb_u32 s22, 0, s21
	v_fmamk_f32 v1, v2, 0x4f800000, v1
	s_delay_alu instid0(VALU_DEP_1) | instskip(SKIP_2) | instid1(VALU_DEP_1)
	v_rcp_f32_e32 v1, v1
	s_waitcnt_depctr 0xfff
	v_mul_f32_e32 v1, 0x5f7ffffc, v1
	v_mul_f32_e32 v2, 0x2f800000, v1
	s_delay_alu instid0(VALU_DEP_1) | instskip(NEXT) | instid1(VALU_DEP_1)
	v_trunc_f32_e32 v2, v2
	v_fmamk_f32 v1, v2, 0xcf800000, v1
	v_cvt_u32_f32_e32 v2, v2
	s_delay_alu instid0(VALU_DEP_2) | instskip(NEXT) | instid1(VALU_DEP_2)
	v_cvt_u32_f32_e32 v1, v1
	v_readfirstlane_b32 s9, v2
	s_delay_alu instid0(VALU_DEP_2) | instskip(NEXT) | instid1(VALU_DEP_2)
	v_readfirstlane_b32 s12, v1
	s_mul_i32 s23, s19, s9
	s_delay_alu instid0(VALU_DEP_1)
	s_mul_hi_u32 s29, s19, s12
	s_mul_i32 s28, s22, s12
	s_add_i32 s23, s29, s23
	s_mul_i32 s33, s19, s12
	s_add_i32 s23, s23, s28
	s_mul_hi_u32 s29, s12, s33
	s_mul_hi_u32 s35, s9, s33
	s_mul_i32 s28, s9, s33
	s_mul_hi_u32 s33, s12, s23
	s_mul_i32 s12, s12, s23
	s_mul_hi_u32 s40, s9, s23
	s_add_u32 s12, s29, s12
	s_addc_u32 s29, 0, s33
	s_add_u32 s12, s12, s28
	s_mul_i32 s23, s9, s23
	s_addc_u32 s12, s29, s35
	s_addc_u32 s28, s40, 0
	s_add_u32 s12, s12, s23
	s_addc_u32 s23, 0, s28
	v_add_co_u32 v1, s12, v1, s12
	s_delay_alu instid0(VALU_DEP_1) | instskip(SKIP_1) | instid1(VALU_DEP_1)
	s_cmp_lg_u32 s12, 0
	s_addc_u32 s9, s9, s23
	v_readfirstlane_b32 s12, v1
	s_mul_i32 s23, s19, s9
	s_delay_alu instid0(VALU_DEP_1)
	s_mul_hi_u32 s28, s19, s12
	s_mul_i32 s22, s22, s12
	s_add_i32 s23, s28, s23
	s_mul_i32 s19, s19, s12
	s_add_i32 s23, s23, s22
	s_mul_hi_u32 s28, s9, s19
	s_mul_i32 s29, s9, s19
	s_mul_hi_u32 s19, s12, s19
	s_mul_hi_u32 s33, s12, s23
	s_mul_i32 s12, s12, s23
	s_mul_hi_u32 s22, s9, s23
	s_add_u32 s12, s19, s12
	s_addc_u32 s19, 0, s33
	s_add_u32 s12, s12, s29
	s_mul_i32 s23, s9, s23
	s_addc_u32 s12, s19, s28
	s_addc_u32 s19, s22, 0
	s_add_u32 s12, s12, s23
	s_addc_u32 s19, 0, s19
	v_add_co_u32 v1, s12, v1, s12
	s_delay_alu instid0(VALU_DEP_1) | instskip(SKIP_2) | instid1(VALU_DEP_1)
	s_cmp_lg_u32 s12, 0
	s_addc_u32 s9, s9, s19
	s_ashr_i32 s22, 0, 31
	v_readfirstlane_b32 s12, v1
	s_add_u32 s28, s34, s22
	s_mov_b32 s23, s22
	s_addc_u32 s29, 0, s22
	s_delay_alu instid0(SALU_CYCLE_1) | instskip(NEXT) | instid1(SALU_CYCLE_1)
	s_xor_b64 s[28:29], s[28:29], s[22:23]
	s_mul_i32 s33, s28, s9
	s_mul_hi_u32 s35, s28, s12
	s_mul_hi_u32 s19, s28, s9
	;; [unrolled: 1-line block ×3, first 2 shown]
	s_mul_i32 s12, s29, s12
	s_add_u32 s33, s35, s33
	s_addc_u32 s19, 0, s19
	s_mul_hi_u32 s40, s29, s9
	s_add_u32 s12, s33, s12
	s_mul_i32 s9, s29, s9
	s_addc_u32 s12, s19, s41
	s_addc_u32 s19, s40, 0
	s_add_u32 s9, s12, s9
	s_addc_u32 s12, 0, s19
	s_mul_i32 s40, s20, s9
	s_mul_hi_u32 s19, s20, s9
	s_mul_i32 s35, s20, s12
	v_sub_co_u32 v1, s28, s28, s40
	s_mul_i32 s33, s21, s9
	s_add_i32 s19, s19, s35
	s_delay_alu instid0(SALU_CYCLE_1) | instskip(NEXT) | instid1(VALU_DEP_1)
	s_add_i32 s19, s19, s33
	v_sub_co_u32 v2, s35, v1, s20
	s_sub_i32 s33, s29, s19
	s_cmp_lg_u32 s28, 0
	s_subb_u32 s33, s33, s21
	s_cmp_lg_u32 s35, 0
	v_readfirstlane_b32 s35, v2
	s_subb_u32 s33, s33, 0
	s_delay_alu instid0(SALU_CYCLE_1) | instskip(SKIP_1) | instid1(VALU_DEP_1)
	s_cmp_ge_u32 s33, s21
	s_cselect_b32 s40, -1, 0
	s_cmp_ge_u32 s35, s20
	s_cselect_b32 s35, -1, 0
	s_cmp_eq_u32 s33, s21
	s_cselect_b32 s33, s35, s40
	s_add_u32 s35, s9, 1
	s_addc_u32 s40, s12, 0
	s_add_u32 s41, s9, 2
	s_addc_u32 s42, s12, 0
	s_cmp_lg_u32 s33, 0
	s_cselect_b32 s33, s41, s35
	s_cselect_b32 s35, s42, s40
	s_cmp_lg_u32 s28, 0
	v_readfirstlane_b32 s28, v1
	s_subb_u32 s19, s29, s19
	s_delay_alu instid0(SALU_CYCLE_1) | instskip(SKIP_1) | instid1(VALU_DEP_1)
	s_cmp_ge_u32 s19, s21
	s_cselect_b32 s29, -1, 0
	s_cmp_ge_u32 s28, s20
	s_cselect_b32 s20, -1, 0
	s_cmp_eq_u32 s19, s21
	s_cselect_b32 s19, s20, s29
	s_delay_alu instid0(SALU_CYCLE_1) | instskip(SKIP_3) | instid1(SALU_CYCLE_1)
	s_cmp_lg_u32 s19, 0
	s_cselect_b32 s21, s35, s12
	s_cselect_b32 s20, s33, s9
	s_xor_b64 s[10:11], s[22:23], s[10:11]
	s_xor_b64 s[20:21], s[20:21], s[10:11]
	s_delay_alu instid0(SALU_CYCLE_1)
	s_sub_u32 s28, s20, s10
	s_subb_u32 s29, s21, s11
	s_and_not1_b32 vcc_lo, exec_lo, s8
	s_cbranch_vccnz .LBB62_10
.LBB62_9:
	v_cvt_f32_u32_e32 v1, s38
	s_sub_i32 s9, 0, s38
	s_mov_b32 s29, 0
	s_delay_alu instid0(VALU_DEP_1) | instskip(SKIP_2) | instid1(VALU_DEP_1)
	v_rcp_iflag_f32_e32 v1, v1
	s_waitcnt_depctr 0xfff
	v_mul_f32_e32 v1, 0x4f7ffffe, v1
	v_cvt_u32_f32_e32 v1, v1
	s_delay_alu instid0(VALU_DEP_1) | instskip(NEXT) | instid1(VALU_DEP_1)
	v_readfirstlane_b32 s8, v1
	s_mul_i32 s9, s9, s8
	s_delay_alu instid0(SALU_CYCLE_1) | instskip(NEXT) | instid1(SALU_CYCLE_1)
	s_mul_hi_u32 s9, s8, s9
	s_add_i32 s8, s8, s9
	s_delay_alu instid0(SALU_CYCLE_1) | instskip(NEXT) | instid1(SALU_CYCLE_1)
	s_mul_hi_u32 s8, s34, s8
	s_mul_i32 s9, s8, s38
	s_add_i32 s10, s8, 1
	s_sub_i32 s9, s34, s9
	s_delay_alu instid0(SALU_CYCLE_1)
	s_sub_i32 s11, s9, s38
	s_cmp_ge_u32 s9, s38
	s_cselect_b32 s8, s10, s8
	s_cselect_b32 s9, s11, s9
	s_add_i32 s10, s8, 1
	s_cmp_ge_u32 s9, s38
	s_cselect_b32 s28, s10, s8
.LBB62_10:
	s_delay_alu instid0(SALU_CYCLE_1) | instskip(SKIP_1) | instid1(SALU_CYCLE_1)
	s_or_b64 s[8:9], s[28:29], s[36:37]
	s_mov_b32 s8, 0
	s_cmp_lg_u64 s[8:9], 0
	s_cbranch_scc0 .LBB62_21
; %bb.11:
	s_ashr_i32 s10, s37, 31
	s_delay_alu instid0(SALU_CYCLE_1) | instskip(SKIP_2) | instid1(SALU_CYCLE_1)
	s_add_u32 s20, s36, s10
	s_mov_b32 s11, s10
	s_addc_u32 s21, s37, s10
	s_xor_b64 s[20:21], s[20:21], s[10:11]
	s_delay_alu instid0(SALU_CYCLE_1) | instskip(SKIP_3) | instid1(VALU_DEP_1)
	v_cvt_f32_u32_e32 v1, s20
	v_cvt_f32_u32_e32 v2, s21
	s_sub_u32 s19, 0, s20
	s_subb_u32 s22, 0, s21
	v_fmamk_f32 v1, v2, 0x4f800000, v1
	s_delay_alu instid0(VALU_DEP_1) | instskip(SKIP_2) | instid1(VALU_DEP_1)
	v_rcp_f32_e32 v1, v1
	s_waitcnt_depctr 0xfff
	v_mul_f32_e32 v1, 0x5f7ffffc, v1
	v_mul_f32_e32 v2, 0x2f800000, v1
	s_delay_alu instid0(VALU_DEP_1) | instskip(NEXT) | instid1(VALU_DEP_1)
	v_trunc_f32_e32 v2, v2
	v_fmamk_f32 v1, v2, 0xcf800000, v1
	v_cvt_u32_f32_e32 v2, v2
	s_delay_alu instid0(VALU_DEP_2) | instskip(NEXT) | instid1(VALU_DEP_2)
	v_cvt_u32_f32_e32 v1, v1
	v_readfirstlane_b32 s9, v2
	s_delay_alu instid0(VALU_DEP_2) | instskip(NEXT) | instid1(VALU_DEP_2)
	v_readfirstlane_b32 s12, v1
	s_mul_i32 s23, s19, s9
	s_delay_alu instid0(VALU_DEP_1)
	s_mul_hi_u32 s35, s19, s12
	s_mul_i32 s33, s22, s12
	s_add_i32 s23, s35, s23
	s_mul_i32 s40, s19, s12
	s_add_i32 s23, s23, s33
	s_mul_hi_u32 s35, s12, s40
	s_mul_hi_u32 s41, s9, s40
	s_mul_i32 s33, s9, s40
	s_mul_hi_u32 s40, s12, s23
	s_mul_i32 s12, s12, s23
	s_mul_hi_u32 s42, s9, s23
	s_add_u32 s12, s35, s12
	s_addc_u32 s35, 0, s40
	s_add_u32 s12, s12, s33
	s_mul_i32 s23, s9, s23
	s_addc_u32 s12, s35, s41
	s_addc_u32 s33, s42, 0
	s_add_u32 s12, s12, s23
	s_addc_u32 s23, 0, s33
	v_add_co_u32 v1, s12, v1, s12
	s_delay_alu instid0(VALU_DEP_1) | instskip(SKIP_1) | instid1(VALU_DEP_1)
	s_cmp_lg_u32 s12, 0
	s_addc_u32 s9, s9, s23
	v_readfirstlane_b32 s12, v1
	s_mul_i32 s23, s19, s9
	s_delay_alu instid0(VALU_DEP_1)
	s_mul_hi_u32 s33, s19, s12
	s_mul_i32 s22, s22, s12
	s_add_i32 s23, s33, s23
	s_mul_i32 s19, s19, s12
	s_add_i32 s23, s23, s22
	s_mul_hi_u32 s33, s9, s19
	s_mul_i32 s35, s9, s19
	s_mul_hi_u32 s19, s12, s19
	s_mul_hi_u32 s40, s12, s23
	s_mul_i32 s12, s12, s23
	s_mul_hi_u32 s22, s9, s23
	s_add_u32 s12, s19, s12
	s_addc_u32 s19, 0, s40
	s_add_u32 s12, s12, s35
	s_mul_i32 s23, s9, s23
	s_addc_u32 s12, s19, s33
	s_addc_u32 s19, s22, 0
	s_add_u32 s12, s12, s23
	s_addc_u32 s19, 0, s19
	v_add_co_u32 v1, s12, v1, s12
	s_delay_alu instid0(VALU_DEP_1) | instskip(SKIP_2) | instid1(VALU_DEP_1)
	s_cmp_lg_u32 s12, 0
	s_addc_u32 s9, s9, s19
	s_ashr_i32 s22, s29, 31
	v_readfirstlane_b32 s12, v1
	s_add_u32 s40, s28, s22
	s_mov_b32 s23, s22
	s_addc_u32 s41, s29, s22
	s_delay_alu instid0(SALU_CYCLE_1) | instskip(NEXT) | instid1(SALU_CYCLE_1)
	s_xor_b64 s[40:41], s[40:41], s[22:23]
	s_mul_i32 s33, s40, s9
	s_mul_hi_u32 s35, s40, s12
	s_mul_hi_u32 s19, s40, s9
	;; [unrolled: 1-line block ×3, first 2 shown]
	s_mul_i32 s12, s41, s12
	s_add_u32 s33, s35, s33
	s_addc_u32 s19, 0, s19
	s_mul_hi_u32 s42, s41, s9
	s_add_u32 s12, s33, s12
	s_mul_i32 s9, s41, s9
	s_addc_u32 s12, s19, s43
	s_addc_u32 s19, s42, 0
	s_add_u32 s9, s12, s9
	s_addc_u32 s12, 0, s19
	s_mul_hi_u32 s19, s20, s9
	s_mul_i32 s35, s20, s12
	s_mul_i32 s42, s20, s9
	s_add_i32 s19, s19, s35
	v_sub_co_u32 v1, s35, s40, s42
	s_mul_i32 s33, s21, s9
	s_delay_alu instid0(SALU_CYCLE_1) | instskip(NEXT) | instid1(VALU_DEP_1)
	s_add_i32 s19, s19, s33
	v_sub_co_u32 v2, s40, v1, s20
	s_sub_i32 s33, s41, s19
	s_cmp_lg_u32 s35, 0
	s_subb_u32 s33, s33, s21
	s_cmp_lg_u32 s40, 0
	v_readfirstlane_b32 s40, v2
	s_subb_u32 s33, s33, 0
	s_delay_alu instid0(SALU_CYCLE_1) | instskip(SKIP_1) | instid1(VALU_DEP_1)
	s_cmp_ge_u32 s33, s21
	s_cselect_b32 s42, -1, 0
	s_cmp_ge_u32 s40, s20
	s_cselect_b32 s40, -1, 0
	s_cmp_eq_u32 s33, s21
	s_cselect_b32 s33, s40, s42
	s_add_u32 s40, s9, 1
	s_addc_u32 s42, s12, 0
	s_add_u32 s43, s9, 2
	s_addc_u32 s44, s12, 0
	s_cmp_lg_u32 s33, 0
	s_cselect_b32 s33, s43, s40
	s_cselect_b32 s40, s44, s42
	s_cmp_lg_u32 s35, 0
	v_readfirstlane_b32 s35, v1
	s_subb_u32 s19, s41, s19
	s_delay_alu instid0(SALU_CYCLE_1) | instskip(SKIP_1) | instid1(VALU_DEP_1)
	s_cmp_ge_u32 s19, s21
	s_cselect_b32 s41, -1, 0
	s_cmp_ge_u32 s35, s20
	s_cselect_b32 s20, -1, 0
	s_cmp_eq_u32 s19, s21
	s_cselect_b32 s19, s20, s41
	s_delay_alu instid0(SALU_CYCLE_1) | instskip(SKIP_3) | instid1(SALU_CYCLE_1)
	s_cmp_lg_u32 s19, 0
	s_cselect_b32 s21, s40, s12
	s_cselect_b32 s20, s33, s9
	s_xor_b64 s[10:11], s[22:23], s[10:11]
	s_xor_b64 s[20:21], s[20:21], s[10:11]
	s_delay_alu instid0(SALU_CYCLE_1)
	s_sub_u32 s52, s20, s10
	s_subb_u32 s53, s21, s11
	s_load_b128 s[40:43], s[0:1], 0x370
	s_and_not1_b32 vcc_lo, exec_lo, s8
	s_cbranch_vccnz .LBB62_13
.LBB62_12:
	v_cvt_f32_u32_e32 v1, s36
	s_sub_i32 s9, 0, s36
	s_mov_b32 s53, 0
	s_delay_alu instid0(VALU_DEP_1) | instskip(SKIP_2) | instid1(VALU_DEP_1)
	v_rcp_iflag_f32_e32 v1, v1
	s_waitcnt_depctr 0xfff
	v_mul_f32_e32 v1, 0x4f7ffffe, v1
	v_cvt_u32_f32_e32 v1, v1
	s_delay_alu instid0(VALU_DEP_1) | instskip(NEXT) | instid1(VALU_DEP_1)
	v_readfirstlane_b32 s8, v1
	s_mul_i32 s9, s9, s8
	s_delay_alu instid0(SALU_CYCLE_1) | instskip(NEXT) | instid1(SALU_CYCLE_1)
	s_mul_hi_u32 s9, s8, s9
	s_add_i32 s8, s8, s9
	s_delay_alu instid0(SALU_CYCLE_1) | instskip(NEXT) | instid1(SALU_CYCLE_1)
	s_mul_hi_u32 s8, s28, s8
	s_mul_i32 s9, s8, s36
	s_add_i32 s10, s8, 1
	s_sub_i32 s9, s28, s9
	s_delay_alu instid0(SALU_CYCLE_1)
	s_sub_i32 s11, s9, s36
	s_cmp_ge_u32 s9, s36
	s_cselect_b32 s8, s10, s8
	s_cselect_b32 s9, s11, s9
	s_add_i32 s10, s8, 1
	s_cmp_ge_u32 s9, s36
	s_cselect_b32 s52, s10, s8
.LBB62_13:
	s_mov_b32 s8, 0
	s_waitcnt lgkmcnt(0)
	s_mov_b32 s9, s43
	s_delay_alu instid0(SALU_CYCLE_1)
	s_cmp_lg_u64 s[8:9], 0
	s_cbranch_scc0 .LBB62_22
; %bb.14:
	s_ashr_i32 s10, s43, 31
	s_delay_alu instid0(SALU_CYCLE_1) | instskip(SKIP_2) | instid1(SALU_CYCLE_1)
	s_add_u32 s20, s42, s10
	s_mov_b32 s11, s10
	s_addc_u32 s21, s43, s10
	s_xor_b64 s[20:21], s[20:21], s[10:11]
	s_delay_alu instid0(SALU_CYCLE_1) | instskip(SKIP_3) | instid1(VALU_DEP_1)
	v_cvt_f32_u32_e32 v1, s20
	v_cvt_f32_u32_e32 v2, s21
	s_sub_u32 s19, 0, s20
	s_subb_u32 s22, 0, s21
	v_fmamk_f32 v1, v2, 0x4f800000, v1
	s_delay_alu instid0(VALU_DEP_1) | instskip(SKIP_2) | instid1(VALU_DEP_1)
	v_rcp_f32_e32 v1, v1
	s_waitcnt_depctr 0xfff
	v_mul_f32_e32 v1, 0x5f7ffffc, v1
	v_mul_f32_e32 v2, 0x2f800000, v1
	s_delay_alu instid0(VALU_DEP_1) | instskip(NEXT) | instid1(VALU_DEP_1)
	v_trunc_f32_e32 v2, v2
	v_fmamk_f32 v1, v2, 0xcf800000, v1
	v_cvt_u32_f32_e32 v2, v2
	s_delay_alu instid0(VALU_DEP_2) | instskip(NEXT) | instid1(VALU_DEP_2)
	v_cvt_u32_f32_e32 v1, v1
	v_readfirstlane_b32 s9, v2
	s_delay_alu instid0(VALU_DEP_2) | instskip(NEXT) | instid1(VALU_DEP_2)
	v_readfirstlane_b32 s12, v1
	s_mul_i32 s23, s19, s9
	s_delay_alu instid0(VALU_DEP_1)
	s_mul_hi_u32 s35, s19, s12
	s_mul_i32 s33, s22, s12
	s_add_i32 s23, s35, s23
	s_mul_i32 s44, s19, s12
	s_add_i32 s23, s23, s33
	s_mul_hi_u32 s35, s12, s44
	s_mul_hi_u32 s45, s9, s44
	s_mul_i32 s33, s9, s44
	s_mul_hi_u32 s44, s12, s23
	s_mul_i32 s12, s12, s23
	s_mul_hi_u32 s46, s9, s23
	s_add_u32 s12, s35, s12
	s_addc_u32 s35, 0, s44
	s_add_u32 s12, s12, s33
	s_mul_i32 s23, s9, s23
	s_addc_u32 s12, s35, s45
	s_addc_u32 s33, s46, 0
	s_add_u32 s12, s12, s23
	s_addc_u32 s23, 0, s33
	v_add_co_u32 v1, s12, v1, s12
	s_delay_alu instid0(VALU_DEP_1) | instskip(SKIP_1) | instid1(VALU_DEP_1)
	s_cmp_lg_u32 s12, 0
	s_addc_u32 s9, s9, s23
	v_readfirstlane_b32 s12, v1
	s_mul_i32 s23, s19, s9
	s_delay_alu instid0(VALU_DEP_1)
	s_mul_hi_u32 s33, s19, s12
	s_mul_i32 s22, s22, s12
	s_add_i32 s23, s33, s23
	s_mul_i32 s19, s19, s12
	s_add_i32 s23, s23, s22
	s_mul_hi_u32 s33, s9, s19
	s_mul_i32 s35, s9, s19
	s_mul_hi_u32 s19, s12, s19
	s_mul_hi_u32 s44, s12, s23
	s_mul_i32 s12, s12, s23
	s_mul_hi_u32 s22, s9, s23
	s_add_u32 s12, s19, s12
	s_addc_u32 s19, 0, s44
	s_add_u32 s12, s12, s35
	s_mul_i32 s23, s9, s23
	s_addc_u32 s12, s19, s33
	s_addc_u32 s19, s22, 0
	s_add_u32 s12, s12, s23
	s_addc_u32 s19, 0, s19
	v_add_co_u32 v1, s12, v1, s12
	s_delay_alu instid0(VALU_DEP_1) | instskip(SKIP_2) | instid1(VALU_DEP_1)
	s_cmp_lg_u32 s12, 0
	s_addc_u32 s9, s9, s19
	s_ashr_i32 s22, 0, 31
	v_readfirstlane_b32 s12, v1
	s_add_u32 s44, s34, s22
	s_mov_b32 s23, s22
	s_addc_u32 s45, 0, s22
	s_delay_alu instid0(SALU_CYCLE_1) | instskip(NEXT) | instid1(SALU_CYCLE_1)
	s_xor_b64 s[44:45], s[44:45], s[22:23]
	s_mul_i32 s33, s44, s9
	s_mul_hi_u32 s35, s44, s12
	s_mul_hi_u32 s19, s44, s9
	;; [unrolled: 1-line block ×3, first 2 shown]
	s_mul_i32 s12, s45, s12
	s_add_u32 s33, s35, s33
	s_addc_u32 s19, 0, s19
	s_mul_hi_u32 s46, s45, s9
	s_add_u32 s12, s33, s12
	s_mul_i32 s9, s45, s9
	s_addc_u32 s12, s19, s47
	s_addc_u32 s19, s46, 0
	s_add_u32 s9, s12, s9
	s_addc_u32 s12, 0, s19
	s_mul_hi_u32 s19, s20, s9
	s_mul_i32 s35, s20, s12
	s_mul_i32 s46, s20, s9
	s_add_i32 s19, s19, s35
	v_sub_co_u32 v1, s35, s44, s46
	s_mul_i32 s33, s21, s9
	s_delay_alu instid0(SALU_CYCLE_1) | instskip(NEXT) | instid1(VALU_DEP_1)
	s_add_i32 s19, s19, s33
	v_sub_co_u32 v2, s44, v1, s20
	s_sub_i32 s33, s45, s19
	s_cmp_lg_u32 s35, 0
	s_subb_u32 s33, s33, s21
	s_cmp_lg_u32 s44, 0
	v_readfirstlane_b32 s44, v2
	s_subb_u32 s33, s33, 0
	s_delay_alu instid0(SALU_CYCLE_1) | instskip(SKIP_1) | instid1(VALU_DEP_1)
	s_cmp_ge_u32 s33, s21
	s_cselect_b32 s46, -1, 0
	s_cmp_ge_u32 s44, s20
	s_cselect_b32 s44, -1, 0
	s_cmp_eq_u32 s33, s21
	s_cselect_b32 s33, s44, s46
	s_add_u32 s44, s9, 1
	s_addc_u32 s46, s12, 0
	s_add_u32 s47, s9, 2
	s_addc_u32 s48, s12, 0
	s_cmp_lg_u32 s33, 0
	s_cselect_b32 s33, s47, s44
	s_cselect_b32 s44, s48, s46
	s_cmp_lg_u32 s35, 0
	v_readfirstlane_b32 s35, v1
	s_subb_u32 s19, s45, s19
	s_delay_alu instid0(SALU_CYCLE_1) | instskip(SKIP_1) | instid1(VALU_DEP_1)
	s_cmp_ge_u32 s19, s21
	s_cselect_b32 s45, -1, 0
	s_cmp_ge_u32 s35, s20
	s_cselect_b32 s20, -1, 0
	s_cmp_eq_u32 s19, s21
	s_cselect_b32 s19, s20, s45
	s_delay_alu instid0(SALU_CYCLE_1) | instskip(SKIP_3) | instid1(SALU_CYCLE_1)
	s_cmp_lg_u32 s19, 0
	s_cselect_b32 s21, s44, s12
	s_cselect_b32 s20, s33, s9
	s_xor_b64 s[10:11], s[22:23], s[10:11]
	s_xor_b64 s[20:21], s[20:21], s[10:11]
	s_delay_alu instid0(SALU_CYCLE_1)
	s_sub_u32 s54, s20, s10
	s_subb_u32 s55, s21, s11
	s_and_not1_b32 vcc_lo, exec_lo, s8
	s_cbranch_vccnz .LBB62_16
.LBB62_15:
	v_cvt_f32_u32_e32 v1, s42
	s_sub_i32 s9, 0, s42
	s_mov_b32 s55, 0
	s_delay_alu instid0(VALU_DEP_1) | instskip(SKIP_2) | instid1(VALU_DEP_1)
	v_rcp_iflag_f32_e32 v1, v1
	s_waitcnt_depctr 0xfff
	v_mul_f32_e32 v1, 0x4f7ffffe, v1
	v_cvt_u32_f32_e32 v1, v1
	s_delay_alu instid0(VALU_DEP_1) | instskip(NEXT) | instid1(VALU_DEP_1)
	v_readfirstlane_b32 s8, v1
	s_mul_i32 s9, s9, s8
	s_delay_alu instid0(SALU_CYCLE_1) | instskip(NEXT) | instid1(SALU_CYCLE_1)
	s_mul_hi_u32 s9, s8, s9
	s_add_i32 s8, s8, s9
	s_delay_alu instid0(SALU_CYCLE_1) | instskip(NEXT) | instid1(SALU_CYCLE_1)
	s_mul_hi_u32 s8, s34, s8
	s_mul_i32 s9, s8, s42
	s_add_i32 s10, s8, 1
	s_sub_i32 s9, s34, s9
	s_delay_alu instid0(SALU_CYCLE_1)
	s_sub_i32 s11, s9, s42
	s_cmp_ge_u32 s9, s42
	s_cselect_b32 s8, s10, s8
	s_cselect_b32 s9, s11, s9
	s_add_i32 s10, s8, 1
	s_cmp_ge_u32 s9, s42
	s_cselect_b32 s54, s10, s8
.LBB62_16:
	s_clause 0x1
	s_load_b64 s[20:21], s[0:1], 0xe0
	s_load_b128 s[8:11], s[0:1], 0xd0
	s_or_b64 s[62:63], s[54:55], s[40:41]
	s_mov_b32 s62, 0
	s_delay_alu instid0(SALU_CYCLE_1)
	s_cmp_lg_u64 s[62:63], 0
	s_cbranch_scc0 .LBB62_23
; %bb.17:
	s_ashr_i32 s22, s41, 31
	s_delay_alu instid0(SALU_CYCLE_1) | instskip(SKIP_2) | instid1(SALU_CYCLE_1)
	s_add_u32 s44, s40, s22
	s_mov_b32 s23, s22
	s_addc_u32 s45, s41, s22
	s_xor_b64 s[44:45], s[44:45], s[22:23]
	s_delay_alu instid0(SALU_CYCLE_1) | instskip(SKIP_3) | instid1(VALU_DEP_1)
	v_cvt_f32_u32_e32 v1, s44
	v_cvt_f32_u32_e32 v2, s45
	s_sub_u32 s33, 0, s44
	s_subb_u32 s35, 0, s45
	v_fmamk_f32 v1, v2, 0x4f800000, v1
	s_delay_alu instid0(VALU_DEP_1) | instskip(SKIP_2) | instid1(VALU_DEP_1)
	v_rcp_f32_e32 v1, v1
	s_waitcnt_depctr 0xfff
	v_mul_f32_e32 v1, 0x5f7ffffc, v1
	v_mul_f32_e32 v2, 0x2f800000, v1
	s_delay_alu instid0(VALU_DEP_1) | instskip(NEXT) | instid1(VALU_DEP_1)
	v_trunc_f32_e32 v2, v2
	v_fmamk_f32 v1, v2, 0xcf800000, v1
	v_cvt_u32_f32_e32 v2, v2
	s_delay_alu instid0(VALU_DEP_2) | instskip(NEXT) | instid1(VALU_DEP_2)
	v_cvt_u32_f32_e32 v1, v1
	v_readfirstlane_b32 s12, v2
	s_delay_alu instid0(VALU_DEP_2) | instskip(NEXT) | instid1(VALU_DEP_2)
	v_readfirstlane_b32 s19, v1
	s_mul_i32 s46, s33, s12
	s_delay_alu instid0(VALU_DEP_1)
	s_mul_hi_u32 s48, s33, s19
	s_mul_i32 s47, s35, s19
	s_add_i32 s46, s48, s46
	s_mul_i32 s49, s33, s19
	s_add_i32 s46, s46, s47
	s_mul_hi_u32 s48, s19, s49
	s_mul_hi_u32 s50, s12, s49
	s_mul_i32 s47, s12, s49
	s_mul_hi_u32 s49, s19, s46
	s_mul_i32 s19, s19, s46
	s_mul_hi_u32 s51, s12, s46
	s_add_u32 s19, s48, s19
	s_addc_u32 s48, 0, s49
	s_add_u32 s19, s19, s47
	s_mul_i32 s46, s12, s46
	s_addc_u32 s19, s48, s50
	s_addc_u32 s47, s51, 0
	s_add_u32 s19, s19, s46
	s_addc_u32 s46, 0, s47
	v_add_co_u32 v1, s19, v1, s19
	s_delay_alu instid0(VALU_DEP_1) | instskip(SKIP_1) | instid1(VALU_DEP_1)
	s_cmp_lg_u32 s19, 0
	s_addc_u32 s12, s12, s46
	v_readfirstlane_b32 s19, v1
	s_mul_i32 s46, s33, s12
	s_delay_alu instid0(VALU_DEP_1)
	s_mul_hi_u32 s47, s33, s19
	s_mul_i32 s35, s35, s19
	s_add_i32 s46, s47, s46
	s_mul_i32 s33, s33, s19
	s_add_i32 s46, s46, s35
	s_mul_hi_u32 s47, s12, s33
	s_mul_i32 s48, s12, s33
	s_mul_hi_u32 s33, s19, s33
	s_mul_hi_u32 s49, s19, s46
	s_mul_i32 s19, s19, s46
	s_mul_hi_u32 s35, s12, s46
	s_add_u32 s19, s33, s19
	s_addc_u32 s33, 0, s49
	s_add_u32 s19, s19, s48
	s_mul_i32 s46, s12, s46
	s_addc_u32 s19, s33, s47
	s_addc_u32 s33, s35, 0
	s_add_u32 s19, s19, s46
	s_addc_u32 s33, 0, s33
	v_add_co_u32 v1, s19, v1, s19
	s_delay_alu instid0(VALU_DEP_1) | instskip(SKIP_2) | instid1(VALU_DEP_1)
	s_cmp_lg_u32 s19, 0
	s_addc_u32 s12, s12, s33
	s_ashr_i32 s46, s55, 31
	v_readfirstlane_b32 s19, v1
	s_add_u32 s48, s54, s46
	s_mov_b32 s47, s46
	s_addc_u32 s49, s55, s46
	s_delay_alu instid0(SALU_CYCLE_1) | instskip(NEXT) | instid1(SALU_CYCLE_1)
	s_xor_b64 s[48:49], s[48:49], s[46:47]
	s_mul_i32 s35, s48, s12
	s_mul_hi_u32 s50, s48, s19
	s_mul_hi_u32 s33, s48, s12
	;; [unrolled: 1-line block ×3, first 2 shown]
	s_mul_i32 s19, s49, s19
	s_add_u32 s35, s50, s35
	s_addc_u32 s33, 0, s33
	s_mul_hi_u32 s51, s49, s12
	s_add_u32 s19, s35, s19
	s_mul_i32 s12, s49, s12
	s_addc_u32 s19, s33, s56
	s_addc_u32 s33, s51, 0
	s_add_u32 s12, s19, s12
	s_addc_u32 s19, 0, s33
	s_mul_i32 s51, s44, s12
	s_mul_hi_u32 s33, s44, s12
	s_mul_i32 s50, s44, s19
	v_sub_co_u32 v1, s48, s48, s51
	s_mul_i32 s35, s45, s12
	s_add_i32 s33, s33, s50
	s_delay_alu instid0(SALU_CYCLE_1) | instskip(NEXT) | instid1(VALU_DEP_1)
	s_add_i32 s33, s33, s35
	v_sub_co_u32 v2, s50, v1, s44
	s_sub_i32 s35, s49, s33
	s_cmp_lg_u32 s48, 0
	s_subb_u32 s35, s35, s45
	s_cmp_lg_u32 s50, 0
	v_readfirstlane_b32 s50, v2
	s_subb_u32 s35, s35, 0
	s_delay_alu instid0(SALU_CYCLE_1) | instskip(SKIP_1) | instid1(VALU_DEP_1)
	s_cmp_ge_u32 s35, s45
	s_cselect_b32 s51, -1, 0
	s_cmp_ge_u32 s50, s44
	s_cselect_b32 s50, -1, 0
	s_cmp_eq_u32 s35, s45
	s_cselect_b32 s35, s50, s51
	s_add_u32 s50, s12, 1
	s_addc_u32 s51, s19, 0
	s_add_u32 s56, s12, 2
	s_addc_u32 s57, s19, 0
	s_cmp_lg_u32 s35, 0
	s_cselect_b32 s35, s56, s50
	s_cselect_b32 s50, s57, s51
	s_cmp_lg_u32 s48, 0
	v_readfirstlane_b32 s48, v1
	s_subb_u32 s33, s49, s33
	s_delay_alu instid0(SALU_CYCLE_1) | instskip(SKIP_1) | instid1(VALU_DEP_1)
	s_cmp_ge_u32 s33, s45
	s_cselect_b32 s49, -1, 0
	s_cmp_ge_u32 s48, s44
	s_cselect_b32 s44, -1, 0
	s_cmp_eq_u32 s33, s45
	s_cselect_b32 s33, s44, s49
	s_delay_alu instid0(SALU_CYCLE_1) | instskip(SKIP_3) | instid1(SALU_CYCLE_1)
	s_cmp_lg_u32 s33, 0
	s_cselect_b32 s45, s50, s19
	s_cselect_b32 s44, s35, s12
	s_xor_b64 s[22:23], s[46:47], s[22:23]
	s_xor_b64 s[44:45], s[44:45], s[22:23]
	s_delay_alu instid0(SALU_CYCLE_1)
	s_sub_u32 s60, s44, s22
	s_subb_u32 s61, s45, s23
	s_branch .LBB62_24
.LBB62_18:
                                        ; implicit-def: $sgpr2_sgpr3
	s_branch .LBB62_3
.LBB62_19:
                                        ; implicit-def: $sgpr14_sgpr15
	s_load_b128 s[36:39], s[0:1], 0x1d0
	s_branch .LBB62_6
.LBB62_20:
                                        ; implicit-def: $sgpr28_sgpr29
	s_branch .LBB62_9
.LBB62_21:
                                        ; implicit-def: $sgpr52_sgpr53
	s_load_b128 s[40:43], s[0:1], 0x370
	s_branch .LBB62_12
.LBB62_22:
                                        ; implicit-def: $sgpr54_sgpr55
	s_branch .LBB62_15
.LBB62_23:
	s_mov_b32 s62, -1
                                        ; implicit-def: $sgpr60_sgpr61
.LBB62_24:
	s_clause 0x1
	s_load_b64 s[22:23], s[0:1], 0x440
	s_load_b128 s[44:47], s[0:1], 0x430
                                        ; implicit-def: $vgpr49 : SGPR spill to VGPR lane
	s_and_not1_b32 vcc_lo, exec_lo, s62
	s_waitcnt lgkmcnt(0)
	v_writelane_b32 v49, s22, 0
	v_writelane_b32 v49, s23, 1
	s_load_b64 s[22:23], s[0:1], 0x2a0
	v_writelane_b32 v49, s44, 2
	v_writelane_b32 v49, s45, 3
	;; [unrolled: 1-line block ×4, first 2 shown]
	s_waitcnt lgkmcnt(0)
	v_writelane_b32 v49, s22, 6
	v_writelane_b32 v49, s23, 7
	s_clause 0x1
	s_load_b128 s[48:51], s[0:1], 0x290
	s_load_b64 s[22:23], s[0:1], 0x0
	s_cbranch_vccnz .LBB62_26
; %bb.25:
	v_cvt_f32_u32_e32 v1, s40
	s_sub_i32 s19, 0, s40
	s_mov_b32 s61, 0
	s_delay_alu instid0(VALU_DEP_1) | instskip(SKIP_2) | instid1(VALU_DEP_1)
	v_rcp_iflag_f32_e32 v1, v1
	s_waitcnt_depctr 0xfff
	v_mul_f32_e32 v1, 0x4f7ffffe, v1
	v_cvt_u32_f32_e32 v1, v1
	s_delay_alu instid0(VALU_DEP_1) | instskip(NEXT) | instid1(VALU_DEP_1)
	v_readfirstlane_b32 s12, v1
	s_mul_i32 s19, s19, s12
	s_delay_alu instid0(SALU_CYCLE_1) | instskip(NEXT) | instid1(SALU_CYCLE_1)
	s_mul_hi_u32 s19, s12, s19
	s_add_i32 s12, s12, s19
	s_delay_alu instid0(SALU_CYCLE_1) | instskip(NEXT) | instid1(SALU_CYCLE_1)
	s_mul_hi_u32 s12, s54, s12
	s_mul_i32 s19, s12, s40
	s_add_i32 s33, s12, 1
	s_sub_i32 s19, s54, s19
	s_delay_alu instid0(SALU_CYCLE_1)
	s_sub_i32 s35, s19, s40
	s_cmp_ge_u32 s19, s40
	s_cselect_b32 s12, s33, s12
	s_cselect_b32 s19, s35, s19
	s_add_i32 s33, s12, 1
	s_cmp_ge_u32 s19, s40
	s_cselect_b32 s60, s33, s12
.LBB62_26:
	s_clause 0x1
	s_load_b64 s[44:45], s[0:1], 0x360
	s_load_b64 s[0:1], s[0:1], 0x1c0
	s_mov_b32 s67, 0
	s_waitcnt lgkmcnt(0)
	v_writelane_b32 v49, s44, 8
	v_writelane_b32 v49, s45, 9
	;; [unrolled: 1-line block ×4, first 2 shown]
	v_cmp_eq_u32_e64 s0, 0, v0
	s_delay_alu instid0(VALU_DEP_1)
	s_and_saveexec_b32 s1, s0
	s_cbranch_execz .LBB62_28
; %bb.27:
	v_dual_mov_b32 v1, 0 :: v_dual_mov_b32 v4, s25
	s_delay_alu instid0(VALU_DEP_1)
	v_dual_mov_b32 v3, s24 :: v_dual_mov_b32 v2, v1
	ds_store_b32 v1, v1 offset:5136
	ds_store_b128 v1, v[1:4] offset:5120
.LBB62_28:
	s_or_b32 exec_lo, exec_lo, s1
	s_mul_i32 s1, s14, s5
	s_mul_hi_u32 s5, s14, s4
	s_mul_i32 s9, s14, s9
	s_add_i32 s1, s5, s1
	s_mul_i32 s5, s15, s4
	s_mul_i32 s4, s14, s4
	s_add_i32 s1, s1, s5
	s_sub_u32 s4, s2, s4
	s_subb_u32 s1, s3, s1
	s_mul_i32 s5, s4, s11
	s_mul_hi_u32 s11, s4, s10
	s_mul_i32 s1, s1, s10
	s_add_i32 s5, s11, s5
	s_mul_hi_u32 s12, s14, s8
	s_add_i32 s11, s5, s1
	s_add_i32 s1, s12, s9
	s_mul_i32 s5, s15, s8
	s_mul_i32 s7, s2, s7
	s_mul_hi_u32 s9, s2, s6
	s_add_i32 s5, s1, s5
	s_add_i32 s1, s9, s7
	s_mul_i32 s3, s3, s6
	s_mul_i32 s2, s2, s6
	s_add_i32 s1, s1, s3
	s_sub_u32 s2, s34, s2
	s_mul_i32 s10, s4, s10
	s_mul_i32 s3, s2, s21
	s_mul_hi_u32 s4, s2, s20
	s_subb_u32 s1, 0, s1
	s_add_i32 s3, s4, s3
	s_mul_i32 s4, s14, s8
	s_mul_i32 s1, s1, s20
	s_lshl_b64 s[4:5], s[4:5], 1
	s_add_i32 s3, s3, s1
	s_add_u32 s1, s22, s4
	s_addc_u32 s8, s23, s5
	s_lshl_b64 s[6:7], s[10:11], 1
	s_mul_i32 s2, s2, s20
	s_add_u32 s1, s1, s6
	s_addc_u32 s10, s8, s7
	s_lshl_b64 s[8:9], s[2:3], 1
	s_waitcnt lgkmcnt(0)
	s_add_u32 s70, s1, s8
	s_addc_u32 s71, s10, s9
	s_barrier
	buffer_gl0_inv
	s_load_b32 s10, s[16:17], 0xc
	v_mad_u64_u32 v[2:3], null, v0, s30, 0
	v_lshlrev_b32_e32 v37, 3, v0
	v_mbcnt_lo_u32_b32 v33, -1, 0
	v_dual_mov_b32 v13, 0 :: v_dual_lshlrev_b32 v16, 2, v0
	v_lshrrev_b32_e32 v6, 3, v0
	s_delay_alu instid0(VALU_DEP_4)
	v_or_b32_e32 v11, 6, v37
	v_or_b32_e32 v12, 4, v37
	v_dual_mov_b32 v1, v3 :: v_dual_lshlrev_b32 v34, 1, v0
	v_cmp_gt_u32_e32 vcc_lo, 32, v0
	v_cmp_gt_i32_e64 s1, 4, v33
	v_mad_u64_u32 v[18:19], null, s30, v11, 0
	v_mad_u64_u32 v[20:21], null, s30, v12, 0
	v_or_b32_e32 v24, 2, v37
	v_mad_u64_u32 v[3:4], null, v0, s31, v[1:2]
	v_dual_mov_b32 v1, v13 :: v_dual_and_b32 v36, 0x7c, v6
	v_lshlrev_b64 v[6:7], v33, -1
	s_waitcnt lgkmcnt(0)
	s_and_b32 s33, s10, 0xffff
	s_and_b32 s35, vcc_lo, s1
	s_bfe_u32 s11, s10, 0xb0005
	s_add_u32 s93, s33, -1
	s_addc_u32 s94, 0, -1
	v_mad_u64_u32 v[22:23], null, s30, v24, 0
	s_add_u32 s95, s93, s24
	v_add_nc_u32_e32 v35, 0xc00, v34
	s_addc_u32 s73, s94, s25
	v_not_b32_e32 v38, v6
	v_dual_mov_b32 v6, v19 :: v_dual_mov_b32 v7, v21
	s_cmp_lt_u32 s13, s18
	s_delay_alu instid0(VALU_DEP_4) | instskip(SKIP_1) | instid1(VALU_DEP_2)
	v_dual_mov_b32 v17, v13 :: v_dual_mov_b32 v8, v23
	s_cselect_b32 s12, 12, 18
	v_mad_u64_u32 v[9:10], null, s31, v11, v[6:7]
	s_add_u32 s74, s16, s12
	s_addc_u32 s75, s17, 0
	s_add_i32 s12, s11, -1
	s_bfe_u32 s96, s33, 0x30005
	s_cmp_gt_u32 s12, 6
	v_lshlrev_b64 v[4:5], 1, v[2:3]
	s_cselect_b32 s97, -1, 0
	s_and_b32 s98, s11, 0x7f8
	s_cmp_lg_u32 s96, 0
	v_mad_u64_u32 v[10:11], null, s31, v12, v[7:8]
	s_cselect_b32 s100, -1, 0
	s_add_u32 s4, s4, s8
	v_mad_u64_u32 v[6:7], null, s31, v24, v[8:9]
	s_addc_u32 s5, s5, s9
	s_add_u32 s4, s4, s6
	v_add_co_u32 v14, vcc_lo, s70, v4
	s_addc_u32 s5, s5, s7
	s_add_u32 s76, s22, s4
	v_add_co_ci_u32_e32 v15, vcc_lo, s71, v5, vcc_lo
	v_add_co_u32 v40, s4, s24, v0
	s_addc_u32 s77, s23, s5
	v_mov_b32_e32 v21, v10
	v_add_co_u32 v10, vcc_lo, s76, v4
	v_cmp_lt_i64_e64 s92, 0x600, s[24:25]
	v_cmp_gt_i64_e64 s1, s[24:25], v[0:1]
	v_lshlrev_b64 v[23:24], 3, v[2:3]
	v_add_co_ci_u32_e64 v41, null, s25, 0, s4
	s_mul_i32 s4, s31, s33
	s_mul_hi_u32 s5, s30, s33
	v_cmp_eq_u32_e64 s2, 0, v33
	v_cmp_gt_u32_e64 s3, 2, v0
	v_cmp_gt_u16_e64 s99, s10, 31
	v_mov_b32_e32 v19, v9
	v_mov_b32_e32 v39, v6
	v_lshl_or_b32 v42, v33, 3, 0xc00
	v_add_co_ci_u32_e32 v11, vcc_lo, s77, v5, vcc_lo
	v_mov_b32_e32 v43, 0x8000
	v_cvt_f32_ubyte0_e32 v44, 0
	v_mov_b32_e32 v45, 0
	s_add_i32 s5, s5, s4
	s_mul_i32 s4, s30, s33
	s_lshl_b64 s[78:79], s[30:31], 1
	s_lshl_b64 s[80:81], s[30:31], 3
	;; [unrolled: 1-line block ×3, first 2 shown]
	s_lshl_b32 s101, s33, 1
	s_mov_b32 s62, 14
	s_movk_i32 s102, 0x3c00
	s_mov_b32 s103, 0
	s_mov_b32 s64, 0
	;; [unrolled: 1-line block ×4, first 2 shown]
                                        ; implicit-def: $sgpr104
                                        ; implicit-def: $sgpr63
                                        ; implicit-def: $vcc_hi
                                        ; implicit-def: $sgpr56
                                        ; implicit-def: $sgpr57
                                        ; implicit-def: $sgpr65
	s_branch .LBB62_33
.LBB62_29:                              ;   in Loop: Header=BB62_33 Depth=1
	s_xor_b32 s64, s64, 1
	s_add_i32 s7, s62, -2
	s_cmp_eq_u32 s62, 0
	s_mov_b32 s5, 0
	s_cselect_b32 s6, -1, 0
	s_mov_b32 s62, s7
.LBB62_30:                              ;   in Loop: Header=BB62_33 Depth=1
	s_and_not1_b32 s7, s20, exec_lo
	s_and_b32 s5, s5, exec_lo
	s_and_not1_b32 s21, s21, exec_lo
	s_or_b32 s20, s7, s5
	s_and_not1_b32 s19, s19, exec_lo
	s_or_not1_b32 s15, s6, exec_lo
.LBB62_31:                              ;   in Loop: Header=BB62_33 Depth=1
	s_or_b32 exec_lo, exec_lo, s4
	s_delay_alu instid0(SALU_CYCLE_1)
	s_and_not1_b32 s4, s65, exec_lo
	s_and_b32 s5, s20, exec_lo
	s_and_not1_b32 s6, s56, exec_lo
	s_or_b32 s65, s4, s5
	s_and_not1_b32 s4, s57, exec_lo
	s_and_b32 s5, s21, exec_lo
	s_and_b32 s7, s19, exec_lo
	s_or_b32 s57, s4, s5
	s_or_b32 s56, s6, s7
	s_or_not1_b32 s19, s15, exec_lo
.LBB62_32:                              ;   in Loop: Header=BB62_33 Depth=1
	s_or_b32 exec_lo, exec_lo, s14
	s_delay_alu instid0(SALU_CYCLE_1)
	s_and_b32 s4, exec_lo, s19
	v_mov_b32_e32 v2, s59
	s_or_b32 s103, s4, s103
	s_and_not1_b32 s4, vcc_hi, exec_lo
	s_and_b32 s5, s65, exec_lo
	s_and_not1_b32 s6, s104, exec_lo
	s_or_b32 vcc_hi, s4, s5
	s_and_not1_b32 s4, s63, exec_lo
	s_and_b32 s5, s57, exec_lo
	s_and_b32 s7, s56, exec_lo
	s_or_b32 s63, s4, s5
	s_or_b32 s104, s6, s7
	s_and_not1_b32 exec_lo, exec_lo, s103
	s_cbranch_execz .LBB62_299
.LBB62_33:                              ; =>This Loop Header: Depth=1
                                        ;     Child Loop BB62_38 Depth 2
                                        ;     Child Loop BB62_57 Depth 2
	;; [unrolled: 1-line block ×16, first 2 shown]
	ds_load_b128 v[2:5], v13 offset:5120
	s_waitcnt lgkmcnt(0)
	v_readfirstlane_b32 s83, v3
	v_readfirstlane_b32 s82, v2
	s_delay_alu instid0(VALU_DEP_1) | instskip(NEXT) | instid1(VALU_DEP_1)
	v_cmp_gt_i64_e64 s4, s[82:83], 0
	s_and_b32 vcc_lo, exec_lo, s4
	s_cbranch_vccnz .LBB62_64
; %bb.34:                               ;   in Loop: Header=BB62_33 Depth=1
	s_and_b32 vcc_lo, exec_lo, s92
	s_cbranch_vccz .LBB62_46
; %bb.35:                               ;   in Loop: Header=BB62_33 Depth=1
	v_cmp_gt_i64_e32 vcc_lo, 0x601, v[4:5]
	s_mov_b32 s6, 0
	s_mov_b32 s4, 0
	s_cbranch_vccz .LBB62_51
; %bb.36:                               ;   in Loop: Header=BB62_33 Depth=1
	global_load_u16 v6, v13, s[74:75]
	global_load_u16 v7, v[14:15], off
	s_mov_b32 s8, 0
	s_waitcnt vmcnt(1)
	v_readfirstlane_b32 s4, v6
	v_and_b32_e32 v6, 0xffff, v6
	s_delay_alu instid0(VALU_DEP_2) | instskip(NEXT) | instid1(SALU_CYCLE_1)
	s_and_b32 s4, 0xffff, s4
	v_add_nc_u32_e32 v8, s4, v0
	s_mul_i32 s5, s79, s4
	s_mul_hi_u32 s7, s78, s4
	s_mul_i32 s9, s78, s4
	s_add_i32 s7, s7, s5
	v_mad_u64_u32 v[2:3], null, s78, v8, s[76:77]
	s_delay_alu instid0(VALU_DEP_1) | instskip(NEXT) | instid1(VALU_DEP_1)
	v_mad_u64_u32 v[4:5], null, s79, v8, v[3:4]
	v_mov_b32_e32 v3, v4
	v_dual_mov_b32 v5, v1 :: v_dual_mov_b32 v4, v0
	s_branch .LBB62_38
.LBB62_37:                              ;   in Loop: Header=BB62_38 Depth=2
	s_or_b32 exec_lo, exec_lo, s5
	v_add_co_u32 v2, vcc_lo, v2, s9
	v_add_co_ci_u32_e32 v3, vcc_lo, s7, v3, vcc_lo
	v_mov_b32_e32 v7, v8
	s_and_not1_b32 exec_lo, exec_lo, s8
	s_cbranch_execz .LBB62_47
.LBB62_38:                              ;   Parent Loop BB62_33 Depth=1
                                        ; =>  This Inner Loop Header: Depth=2
	s_delay_alu instid0(VALU_DEP_1) | instskip(NEXT) | instid1(VALU_DEP_2)
	v_add_co_u32 v4, vcc_lo, v4, v6
	v_add_co_ci_u32_e32 v5, vcc_lo, 0, v5, vcc_lo
	s_waitcnt lgkmcnt(0)
	v_dual_mov_b32 v9, 0 :: v_dual_mov_b32 v8, 0
	s_mov_b32 s5, exec_lo
	s_delay_alu instid0(VALU_DEP_2)
	v_cmp_le_i64_e32 vcc_lo, s[24:25], v[4:5]
	v_cmpx_gt_i64_e64 s[24:25], v[4:5]
	s_cbranch_execz .LBB62_40
; %bb.39:                               ;   in Loop: Header=BB62_38 Depth=2
	global_load_u16 v8, v[2:3], off
.LBB62_40:                              ;   in Loop: Header=BB62_38 Depth=2
	s_or_b32 exec_lo, exec_lo, s5
	s_waitcnt vmcnt(0)
	v_cmp_lt_i16_e64 s4, -1, v7
	v_and_b32_e32 v12, 0xffff, v7
	s_delay_alu instid0(VALU_DEP_2) | instskip(SKIP_1) | instid1(VALU_DEP_2)
	v_cndmask_b32_e64 v25, 0xffff, v43, s4
	v_cmp_o_f16_e64 s4, v7, v7
	v_xor_b32_e32 v12, v25, v12
	s_delay_alu instid0(VALU_DEP_1) | instskip(NEXT) | instid1(VALU_DEP_1)
	v_cndmask_b32_e64 v12, 0xffff, v12, s4
	v_and_b32_e32 v12, s58, v12
	s_delay_alu instid0(VALU_DEP_1) | instskip(NEXT) | instid1(VALU_DEP_1)
	v_cmp_eq_u32_e64 s4, s59, v12
	s_cmp_lg_u32 s4, 0
	s_cselect_b32 s5, -1, 0
	s_delay_alu instid0(SALU_CYCLE_1) | instskip(NEXT) | instid1(SALU_CYCLE_1)
	s_and_b32 s5, s2, s5
	s_and_saveexec_b32 s10, s5
	s_cbranch_execz .LBB62_44
; %bb.41:                               ;   in Loop: Header=BB62_38 Depth=2
	s_mov_b32 s13, exec_lo
	s_bcnt1_i32_b32 s11, s4
	v_mbcnt_lo_u32_b32 v9, s13, 0
	s_mov_b32 s12, exec_lo
                                        ; implicit-def: $vgpr12
	s_delay_alu instid0(VALU_DEP_1)
	v_cmpx_eq_u32_e32 0, v9
	s_cbranch_execz .LBB62_43
; %bb.42:                               ;   in Loop: Header=BB62_38 Depth=2
	s_bcnt1_i32_b32 s5, s13
	s_delay_alu instid0(SALU_CYCLE_1) | instskip(NEXT) | instid1(SALU_CYCLE_1)
	s_mul_i32 s5, s11, s5
	v_mov_b32_e32 v12, s5
	ds_add_rtn_u32 v12, v13, v12 offset:5136
.LBB62_43:                              ;   in Loop: Header=BB62_38 Depth=2
	s_or_b32 exec_lo, exec_lo, s12
	s_waitcnt lgkmcnt(0)
	v_readfirstlane_b32 s5, v12
	s_delay_alu instid0(VALU_DEP_1)
	v_mad_u32_u24 v9, s11, v9, s5
.LBB62_44:                              ;   in Loop: Header=BB62_38 Depth=2
	s_or_b32 exec_lo, exec_lo, s10
	ds_bpermute_b32 v9, v13, v9
	s_and_b32 s5, exec_lo, vcc_lo
	s_delay_alu instid0(SALU_CYCLE_1)
	s_or_b32 s8, s5, s8
	s_and_saveexec_b32 s5, s4
	s_cbranch_execz .LBB62_37
; %bb.45:                               ;   in Loop: Header=BB62_38 Depth=2
	v_and_b32_e32 v12, s4, v38
	s_delay_alu instid0(VALU_DEP_1) | instskip(NEXT) | instid1(VALU_DEP_1)
	v_bcnt_u32_b32 v12, v12, 0
	v_lshlrev_b32_e32 v12, 1, v12
	s_waitcnt lgkmcnt(0)
	s_delay_alu instid0(VALU_DEP_1)
	v_lshl_add_u32 v9, v9, 1, v12
	ds_store_b16 v9, v7
	s_branch .LBB62_37
.LBB62_46:                              ;   in Loop: Header=BB62_33 Depth=1
	s_mov_b32 s6, -1
	s_mov_b32 s4, 0
	s_branch .LBB62_50
.LBB62_47:                              ;   in Loop: Header=BB62_33 Depth=1
	s_or_b32 exec_lo, exec_lo, s8
	s_waitcnt lgkmcnt(0)
	s_barrier
	buffer_gl0_inv
	s_and_saveexec_b32 s4, s0
	s_cbranch_execz .LBB62_49
; %bb.48:                               ;   in Loop: Header=BB62_33 Depth=1
	ds_load_b32 v2, v13 offset:5136
	s_waitcnt lgkmcnt(0)
	v_ashrrev_i32_e32 v3, 31, v2
	ds_store_b64 v13, v[2:3] offset:5120
.LBB62_49:                              ;   in Loop: Header=BB62_33 Depth=1
	s_or_b32 exec_lo, exec_lo, s4
	s_waitcnt lgkmcnt(0)
	s_mov_b32 s4, -1
	s_barrier
.LBB62_50:                              ;   in Loop: Header=BB62_33 Depth=1
                                        ; implicit-def: $sgpr82_sgpr83
.LBB62_51:                              ;   in Loop: Header=BB62_33 Depth=1
	s_and_b32 vcc_lo, exec_lo, s6
	s_cbranch_vccz .LBB62_62
; %bb.52:                               ;   in Loop: Header=BB62_33 Depth=1
	v_mov_b32_e32 v6, 0
	s_and_saveexec_b32 s4, s1
	s_cbranch_execz .LBB62_54
; %bb.53:                               ;   in Loop: Header=BB62_33 Depth=1
	global_load_u16 v6, v[14:15], off
.LBB62_54:                              ;   in Loop: Header=BB62_33 Depth=1
	s_or_b32 exec_lo, exec_lo, s4
	s_and_saveexec_b32 s5, s1
	s_cbranch_execz .LBB62_59
; %bb.55:                               ;   in Loop: Header=BB62_33 Depth=1
	global_load_u16 v8, v13, s[74:75]
	s_mov_b32 s9, 0
	s_waitcnt vmcnt(0)
	v_readfirstlane_b32 s4, v8
	v_and_b32_e32 v8, 0xffff, v8
	s_delay_alu instid0(VALU_DEP_2) | instskip(NEXT) | instid1(SALU_CYCLE_1)
	s_and_b32 s4, 0xffff, s4
	v_add_nc_u32_e32 v7, s4, v0
	s_mul_i32 s7, s79, s4
	s_mul_hi_u32 s8, s78, s4
	s_lshl_b32 s6, s4, 1
	s_add_i32 s7, s8, s7
	v_mad_u64_u32 v[2:3], null, s78, v7, s[76:77]
	s_mul_i32 s8, s78, s4
	s_delay_alu instid0(VALU_DEP_1) | instskip(SKIP_1) | instid1(VALU_DEP_2)
	v_mad_u64_u32 v[4:5], null, s79, v7, v[3:4]
	v_mov_b32_e32 v7, v34
	v_mov_b32_e32 v3, v4
	v_dual_mov_b32 v5, v1 :: v_dual_mov_b32 v4, v0
	s_branch .LBB62_57
	.p2align	6
.LBB62_56:                              ;   in Loop: Header=BB62_57 Depth=2
	s_or_b32 exec_lo, exec_lo, s10
	s_delay_alu instid0(SALU_CYCLE_1)
	s_and_b32 s4, exec_lo, vcc_lo
	v_add_co_u32 v2, vcc_lo, v2, s8
	ds_store_b16 v7, v6
	s_waitcnt vmcnt(0)
	v_dual_mov_b32 v6, v9 :: v_dual_add_nc_u32 v7, s6, v7
	v_add_co_ci_u32_e32 v3, vcc_lo, s7, v3, vcc_lo
	s_or_b32 s9, s4, s9
	s_delay_alu instid0(SALU_CYCLE_1)
	s_and_not1_b32 exec_lo, exec_lo, s9
	s_cbranch_execz .LBB62_59
.LBB62_57:                              ;   Parent Loop BB62_33 Depth=1
                                        ; =>  This Inner Loop Header: Depth=2
	s_delay_alu instid0(VALU_DEP_1) | instskip(NEXT) | instid1(VALU_DEP_2)
	v_add_co_u32 v4, vcc_lo, v4, v8
	v_add_co_ci_u32_e32 v5, vcc_lo, 0, v5, vcc_lo
	v_mov_b32_e32 v9, 0
	s_mov_b32 s10, exec_lo
	s_delay_alu instid0(VALU_DEP_2)
	v_cmp_le_i64_e32 vcc_lo, s[24:25], v[4:5]
	v_cmpx_gt_i64_e64 s[24:25], v[4:5]
	s_cbranch_execz .LBB62_56
; %bb.58:                               ;   in Loop: Header=BB62_57 Depth=2
	global_load_u16 v9, v[2:3], off
	s_branch .LBB62_56
.LBB62_59:                              ;   in Loop: Header=BB62_33 Depth=1
	s_or_b32 exec_lo, exec_lo, s5
	s_waitcnt vmcnt(0) lgkmcnt(0)
	s_barrier
	buffer_gl0_inv
	s_and_saveexec_b32 s4, s0
	s_cbranch_execz .LBB62_61
; %bb.60:                               ;   in Loop: Header=BB62_33 Depth=1
	v_dual_mov_b32 v2, s24 :: v_dual_mov_b32 v3, s25
	ds_store_b64 v13, v[2:3] offset:5120
.LBB62_61:                              ;   in Loop: Header=BB62_33 Depth=1
	s_or_b32 exec_lo, exec_lo, s4
	s_mov_b32 s4, -1
	s_waitcnt lgkmcnt(0)
	s_barrier
                                        ; implicit-def: $sgpr82_sgpr83
.LBB62_62:                              ;   in Loop: Header=BB62_33 Depth=1
	s_and_b32 vcc_lo, exec_lo, s4
	s_cbranch_vccz .LBB62_64
; %bb.63:                               ;   in Loop: Header=BB62_33 Depth=1
	buffer_gl0_inv
	ds_load_b64 v[2:3], v13 offset:5120
	s_waitcnt lgkmcnt(0)
	v_readfirstlane_b32 s82, v2
.LBB62_64:                              ;   in Loop: Header=BB62_33 Depth=1
	s_delay_alu instid0(VALU_DEP_1)
	s_cmp_lt_i32 s82, 1
	s_cbranch_scc0 .LBB62_79
; %bb.65:                               ;   in Loop: Header=BB62_33 Depth=1
	global_load_u16 v4, v13, s[74:75]
	s_mov_b32 s5, s25
	s_waitcnt vmcnt(0)
	v_readfirstlane_b32 s4, v4
	s_delay_alu instid0(VALU_DEP_1)
	s_and_b32 s6, 0xffff, s4
	s_mov_b32 s4, s67
	s_lshl_b32 s23, s6, 2
	s_cmp_lg_u64 s[4:5], 0
	s_cbranch_scc0 .LBB62_99
; %bb.66:                               ;   in Loop: Header=BB62_33 Depth=1
	v_cvt_f32_u32_e32 v2, s23
	s_sub_u32 s6, 0, s23
	s_subb_u32 s7, 0, 0
	s_delay_alu instid0(VALU_DEP_1) | instskip(NEXT) | instid1(VALU_DEP_1)
	v_fmac_f32_e32 v2, 0x4f800000, v44
	v_rcp_f32_e32 v2, v2
	s_waitcnt_depctr 0xfff
	v_mul_f32_e32 v2, 0x5f7ffffc, v2
	s_delay_alu instid0(VALU_DEP_1) | instskip(NEXT) | instid1(VALU_DEP_1)
	v_mul_f32_e32 v3, 0x2f800000, v2
	v_trunc_f32_e32 v3, v3
	s_delay_alu instid0(VALU_DEP_1) | instskip(SKIP_1) | instid1(VALU_DEP_2)
	v_fmac_f32_e32 v2, 0xcf800000, v3
	v_cvt_u32_f32_e32 v3, v3
	v_cvt_u32_f32_e32 v2, v2
	s_delay_alu instid0(VALU_DEP_2) | instskip(NEXT) | instid1(VALU_DEP_2)
	v_readfirstlane_b32 s4, v3
	v_readfirstlane_b32 s5, v2
	s_delay_alu instid0(VALU_DEP_2) | instskip(NEXT) | instid1(VALU_DEP_1)
	s_mul_i32 s8, s6, s4
	s_mul_hi_u32 s10, s6, s5
	s_mul_i32 s9, s7, s5
	s_add_i32 s8, s10, s8
	s_mul_i32 s11, s6, s5
	s_add_i32 s8, s8, s9
	s_mul_hi_u32 s10, s5, s11
	s_mul_hi_u32 s12, s4, s11
	s_mul_i32 s9, s4, s11
	s_mul_hi_u32 s11, s5, s8
	s_mul_i32 s5, s5, s8
	s_mul_hi_u32 s13, s4, s8
	s_add_u32 s5, s10, s5
	s_addc_u32 s10, 0, s11
	s_add_u32 s5, s5, s9
	s_mul_i32 s8, s4, s8
	s_addc_u32 s5, s10, s12
	s_addc_u32 s9, s13, 0
	s_add_u32 s5, s5, s8
	s_addc_u32 s8, 0, s9
	v_add_co_u32 v2, s5, v2, s5
	s_delay_alu instid0(VALU_DEP_1) | instskip(SKIP_1) | instid1(VALU_DEP_1)
	s_cmp_lg_u32 s5, 0
	s_addc_u32 s4, s4, s8
	v_readfirstlane_b32 s5, v2
	s_mul_i32 s8, s6, s4
	s_delay_alu instid0(VALU_DEP_1)
	s_mul_hi_u32 s9, s6, s5
	s_mul_i32 s7, s7, s5
	s_add_i32 s8, s9, s8
	s_mul_i32 s6, s6, s5
	s_add_i32 s8, s8, s7
	s_mul_hi_u32 s9, s4, s6
	s_mul_i32 s10, s4, s6
	s_mul_hi_u32 s6, s5, s6
	s_mul_hi_u32 s11, s5, s8
	s_mul_i32 s5, s5, s8
	s_mul_hi_u32 s7, s4, s8
	s_add_u32 s5, s6, s5
	s_addc_u32 s6, 0, s11
	s_add_u32 s5, s5, s10
	s_mul_i32 s8, s4, s8
	s_addc_u32 s5, s6, s9
	s_addc_u32 s6, s7, 0
	s_add_u32 s5, s5, s8
	s_addc_u32 s6, 0, s6
	v_add_co_u32 v2, s5, v2, s5
	s_delay_alu instid0(VALU_DEP_1) | instskip(SKIP_2) | instid1(VALU_DEP_1)
	s_cmp_lg_u32 s5, 0
	s_addc_u32 s8, s4, s6
	s_ashr_i32 s6, s25, 31
	v_readfirstlane_b32 s9, v2
	s_add_u32 s4, s24, s6
	s_mov_b32 s7, s6
	s_addc_u32 s5, s25, s6
	s_delay_alu instid0(SALU_CYCLE_1) | instskip(NEXT) | instid1(SALU_CYCLE_1)
	s_xor_b64 s[4:5], s[4:5], s[6:7]
	s_mul_i32 s10, s4, s8
	s_mul_hi_u32 s11, s4, s9
	s_mul_hi_u32 s7, s4, s8
	;; [unrolled: 1-line block ×3, first 2 shown]
	s_mul_i32 s9, s5, s9
	s_add_u32 s10, s11, s10
	s_addc_u32 s7, 0, s7
	s_mul_hi_u32 s12, s5, s8
	s_add_u32 s9, s10, s9
	s_mul_i32 s8, s5, s8
	s_addc_u32 s7, s7, s13
	s_addc_u32 s9, s12, 0
	s_add_u32 s7, s7, s8
	s_addc_u32 s8, 0, s9
	s_mul_hi_u32 s9, s23, s7
	s_mul_i32 s7, s23, s7
	s_mul_i32 s8, s23, s8
	v_sub_co_u32 v2, s4, s4, s7
	s_add_i32 s9, s9, s8
	s_cmp_lg_u32 s4, 0
	s_delay_alu instid0(VALU_DEP_1) | instskip(SKIP_2) | instid1(VALU_DEP_1)
	v_sub_co_u32 v3, s4, v2, s23
	s_subb_u32 s5, s5, s9
	s_cmp_lg_u32 s4, 0
	v_cmp_le_u32_e32 vcc_lo, s23, v3
	v_sub_co_u32 v5, s4, v3, s23
	s_subb_u32 s7, s5, 0
	s_cmp_lg_u32 s4, 0
	v_cndmask_b32_e64 v6, 0, -1, vcc_lo
	s_subb_u32 s4, s7, 0
	s_cmp_eq_u32 s7, 0
	v_mov_b32_e32 v8, s4
	s_cselect_b32 vcc_lo, -1, 0
	s_cmp_eq_u32 s5, 0
	v_cndmask_b32_e32 v6, -1, v6, vcc_lo
	v_cmp_le_u32_e32 vcc_lo, s23, v2
	s_cselect_b32 s4, -1, 0
	v_cndmask_b32_e64 v7, 0, -1, vcc_lo
	s_delay_alu instid0(VALU_DEP_3) | instskip(NEXT) | instid1(VALU_DEP_2)
	v_cmp_ne_u32_e32 vcc_lo, 0, v6
	v_cndmask_b32_e64 v6, -1, v7, s4
	v_cndmask_b32_e32 v7, s7, v8, vcc_lo
	v_cndmask_b32_e32 v3, v3, v5, vcc_lo
	s_delay_alu instid0(VALU_DEP_3) | instskip(NEXT) | instid1(VALU_DEP_2)
	v_cmp_ne_u32_e32 vcc_lo, 0, v6
	v_cndmask_b32_e32 v2, v2, v3, vcc_lo
	s_delay_alu instid0(VALU_DEP_4) | instskip(NEXT) | instid1(VALU_DEP_2)
	v_cndmask_b32_e32 v5, s5, v7, vcc_lo
	v_xor_b32_e32 v2, s6, v2
	s_delay_alu instid0(VALU_DEP_2) | instskip(NEXT) | instid1(VALU_DEP_2)
	v_xor_b32_e32 v3, s6, v5
	v_sub_co_u32 v25, vcc_lo, v2, s6
	s_delay_alu instid0(VALU_DEP_2)
	v_subrev_co_ci_u32_e32 v26, vcc_lo, s6, v3, vcc_lo
	s_cbranch_execnz .LBB62_68
.LBB62_67:                              ;   in Loop: Header=BB62_33 Depth=1
	v_cvt_f32_u32_e32 v2, s23
	s_sub_i32 s4, 0, s23
	s_delay_alu instid0(VALU_DEP_1) | instskip(SKIP_2) | instid1(VALU_DEP_1)
	v_rcp_iflag_f32_e32 v2, v2
	s_waitcnt_depctr 0xfff
	v_mul_f32_e32 v2, 0x4f7ffffe, v2
	v_cvt_u32_f32_e32 v2, v2
	s_delay_alu instid0(VALU_DEP_1) | instskip(NEXT) | instid1(VALU_DEP_1)
	v_mul_lo_u32 v3, s4, v2
	v_mul_hi_u32 v3, v2, v3
	s_delay_alu instid0(VALU_DEP_1) | instskip(NEXT) | instid1(VALU_DEP_1)
	v_add_nc_u32_e32 v2, v2, v3
	v_mul_hi_u32 v2, s24, v2
	s_delay_alu instid0(VALU_DEP_1) | instskip(NEXT) | instid1(VALU_DEP_1)
	v_mul_lo_u32 v2, v2, s23
	v_sub_nc_u32_e32 v2, s24, v2
	s_delay_alu instid0(VALU_DEP_1) | instskip(SKIP_1) | instid1(VALU_DEP_2)
	v_subrev_nc_u32_e32 v3, s23, v2
	v_cmp_le_u32_e32 vcc_lo, s23, v2
	v_cndmask_b32_e32 v2, v2, v3, vcc_lo
	s_delay_alu instid0(VALU_DEP_1) | instskip(SKIP_1) | instid1(VALU_DEP_2)
	v_subrev_nc_u32_e32 v3, s23, v2
	v_cmp_le_u32_e32 vcc_lo, s23, v2
	v_cndmask_b32_e32 v12, v2, v3, vcc_lo
	s_delay_alu instid0(VALU_DEP_1)
	v_dual_mov_b32 v26, v13 :: v_dual_mov_b32 v25, v12
.LBB62_68:                              ;   in Loop: Header=BB62_33 Depth=1
	v_mov_b32_e32 v2, 0
	v_dual_mov_b32 v3, 0 :: v_dual_and_b32 v12, 0xffff, v4
	s_delay_alu instid0(VALU_DEP_3) | instskip(NEXT) | instid1(VALU_DEP_4)
	v_sub_co_u32 v27, vcc_lo, s24, v25
	v_sub_co_ci_u32_e32 v28, vcc_lo, s25, v26, vcc_lo
	s_delay_alu instid0(VALU_DEP_3)
	v_dual_mov_b32 v5, v3 :: v_dual_mov_b32 v4, v2
	v_dual_mov_b32 v7, v3 :: v_dual_mov_b32 v6, v2
	;; [unrolled: 1-line block ×3, first 2 shown]
	s_mov_b64 s[84:85], 0
	s_mov_b32 s66, exec_lo
	v_cmpx_gt_i64_e64 v[27:28], v[16:17]
	s_cbranch_execz .LBB62_72
; %bb.69:                               ;   in Loop: Header=BB62_33 Depth=1
	v_mul_lo_u32 v2, s81, v12
	v_mul_hi_u32 v3, s80, v12
	v_mul_lo_u32 v46, s80, v12
	v_dual_mov_b32 v29, s70 :: v_dual_mov_b32 v30, s71
	s_and_b32 s72, s62, 0xfe
	s_mov_b32 s83, 0
	s_mov_b64 s[86:87], 0
	s_delay_alu instid0(VALU_DEP_3)
	v_dual_mov_b32 v32, v17 :: v_dual_add_nc_u32 v47, v3, v2
	v_mov_b32_e32 v31, v16
	s_mov_b64 s[88:89], 0
	s_mov_b64 s[90:91], 0
.LBB62_70:                              ;   Parent Loop BB62_33 Depth=1
                                        ; =>  This Inner Loop Header: Depth=2
	v_add_co_u32 v2, vcc_lo, v29, v23
	v_add_co_ci_u32_e32 v3, vcc_lo, v30, v24, vcc_lo
	global_load_u16 v4, v[2:3], off
	v_add_co_u32 v2, vcc_lo, v29, v22
	v_add_co_ci_u32_e32 v3, vcc_lo, v30, v39, vcc_lo
	global_load_u16 v5, v[2:3], off
	;; [unrolled: 3-line block ×4, first 2 shown]
	s_waitcnt vmcnt(3)
	v_cmp_lt_i16_e32 vcc_lo, -1, v4
	v_cmp_o_f16_e64 s4, v4, v4
	v_dual_cndmask_b32 v4, 0xffff, v43 :: v_dual_and_b32 v3, 0xffff, v4
	s_waitcnt vmcnt(2)
	v_cmp_lt_i16_e32 vcc_lo, -1, v5
	v_cmp_o_f16_e64 s5, v5, v5
	s_delay_alu instid0(VALU_DEP_3) | instskip(SKIP_1) | instid1(VALU_DEP_2)
	v_xor_b32_e32 v3, v4, v3
	v_dual_cndmask_b32 v5, 0xffff, v43 :: v_dual_and_b32 v4, 0xffff, v5
	v_cndmask_b32_e64 v3, 0xffff, v3, s4
	s_waitcnt vmcnt(1)
	v_cmp_lt_i16_e32 vcc_lo, -1, v6
	v_cmp_o_f16_e64 s6, v6, v6
	v_xor_b32_e32 v4, v5, v4
	v_dual_cndmask_b32 v6, 0xffff, v43 :: v_dual_and_b32 v5, 0xffff, v6
	s_delay_alu instid0(VALU_DEP_2)
	v_cndmask_b32_e64 v4, 0xffff, v4, s5
	s_waitcnt vmcnt(0)
	v_cmp_lt_i16_e32 vcc_lo, -1, v2
	v_cmp_o_f16_e64 s7, v2, v2
	v_xor_b32_e32 v5, v6, v5
	v_and_b32_e32 v2, 0xffff, v2
	v_cndmask_b32_e32 v6, 0xffff, v43, vcc_lo
	s_delay_alu instid0(VALU_DEP_3) | instskip(NEXT) | instid1(VALU_DEP_2)
	v_cndmask_b32_e64 v5, 0xffff, v5, s6
	v_xor_b32_e32 v2, v6, v2
	v_and_b32_e32 v6, s58, v3
	v_bfe_u32 v3, v3, s72, 2
	s_delay_alu instid0(VALU_DEP_3) | instskip(NEXT) | instid1(VALU_DEP_3)
	v_cndmask_b32_e64 v2, 0xffff, v2, s7
	v_cmp_eq_u32_e32 vcc_lo, s59, v6
	v_and_b32_e32 v6, s58, v4
	s_delay_alu instid0(VALU_DEP_4)
	v_cmp_eq_u32_e64 s7, 0, v3
	v_cmp_eq_u32_e64 s8, 1, v3
	;; [unrolled: 1-line block ×5, first 2 shown]
	v_and_b32_e32 v6, s58, v5
	v_bfe_u32 v3, v4, s72, 2
	s_and_b32 s7, vcc_lo, s7
	s_delay_alu instid0(VALU_DEP_2)
	v_cmp_eq_u32_e64 s5, s59, v6
	v_and_b32_e32 v6, s58, v2
	v_bfe_u32 v2, v2, s72, 2
	v_cmp_eq_u32_e64 s11, 0, v3
	v_cmp_eq_u32_e64 s12, 1, v3
	;; [unrolled: 1-line block ×4, first 2 shown]
	v_bfe_u32 v3, v5, s72, 2
	v_cmp_eq_u32_e64 s19, 0, v2
	v_cmp_eq_u32_e64 s20, 1, v2
	;; [unrolled: 1-line block ×4, first 2 shown]
	v_cndmask_b32_e64 v2, 0, 1, s7
	v_cmp_eq_u32_e64 s15, 0, v3
	s_and_b32 s11, s4, s11
	v_cmp_eq_u32_e64 s6, s59, v6
	v_cmp_eq_u32_e64 s16, 1, v3
	v_cmp_ne_u32_e64 s7, 0, v2
	v_cndmask_b32_e64 v2, 0, 1, s11
	s_and_b32 s15, s5, s15
	s_and_b32 s19, s6, s19
	v_cmp_eq_u32_e64 s17, 2, v3
	s_bcnt1_i32_b32 s7, s7
	v_cmp_ne_u32_e64 s11, 0, v2
	v_cndmask_b32_e64 v2, 0, 1, s15
	v_cmp_eq_u32_e64 s18, 3, v3
	s_delay_alu instid0(VALU_DEP_3) | instskip(NEXT) | instid1(VALU_DEP_2)
	s_bcnt1_i32_b32 s11, s11
	v_cmp_ne_u32_e64 s15, 0, v2
	v_cndmask_b32_e64 v2, 0, 1, s19
	s_add_i32 s7, s11, s7
	s_delay_alu instid0(VALU_DEP_2) | instskip(NEXT) | instid1(VALU_DEP_1)
	s_bcnt1_i32_b32 s15, s15
	v_cmp_ne_u32_e64 s19, 0, v2
	s_add_i32 s7, s7, s15
	s_delay_alu instid0(VALU_DEP_1) | instskip(NEXT) | instid1(SALU_CYCLE_1)
	s_bcnt1_i32_b32 s19, s19
	s_add_i32 s7, s7, s19
	s_delay_alu instid0(SALU_CYCLE_1)
	s_add_u32 s90, s90, s7
	s_addc_u32 s91, s91, 0
	s_and_b32 s7, vcc_lo, s8
	s_and_b32 s8, s4, s12
	v_cndmask_b32_e64 v2, 0, 1, s7
	s_and_b32 s11, s5, s16
	s_and_b32 s12, s6, s20
	s_delay_alu instid0(VALU_DEP_1) | instskip(SKIP_1) | instid1(VALU_DEP_2)
	v_cmp_ne_u32_e64 s7, 0, v2
	v_cndmask_b32_e64 v2, 0, 1, s8
	s_bcnt1_i32_b32 s7, s7
	s_delay_alu instid0(VALU_DEP_1) | instskip(SKIP_1) | instid1(VALU_DEP_2)
	v_cmp_ne_u32_e64 s8, 0, v2
	v_cndmask_b32_e64 v2, 0, 1, s11
	s_bcnt1_i32_b32 s8, s8
	s_delay_alu instid0(VALU_DEP_1) | instskip(SKIP_2) | instid1(VALU_DEP_2)
	v_cmp_ne_u32_e64 s11, 0, v2
	v_cndmask_b32_e64 v2, 0, 1, s12
	s_add_i32 s7, s8, s7
	s_bcnt1_i32_b32 s11, s11
	s_delay_alu instid0(VALU_DEP_1) | instskip(SKIP_1) | instid1(VALU_DEP_1)
	v_cmp_ne_u32_e64 s12, 0, v2
	s_add_i32 s7, s7, s11
	s_bcnt1_i32_b32 s12, s12
	s_delay_alu instid0(SALU_CYCLE_1) | instskip(NEXT) | instid1(SALU_CYCLE_1)
	s_add_i32 s7, s7, s12
	s_add_u32 s88, s88, s7
	s_addc_u32 s89, s89, 0
	s_and_b32 s7, vcc_lo, s9
	s_and_b32 s8, s4, s13
	v_cndmask_b32_e64 v2, 0, 1, s7
	s_and_b32 s9, s5, s17
	s_and_b32 s11, s6, s21
	v_dual_mov_b32 v4, s88 :: v_dual_mov_b32 v5, s89
	s_delay_alu instid0(VALU_DEP_2) | instskip(SKIP_1) | instid1(VALU_DEP_2)
	v_cmp_ne_u32_e64 s7, 0, v2
	v_cndmask_b32_e64 v2, 0, 1, s8
	s_bcnt1_i32_b32 s7, s7
	s_delay_alu instid0(VALU_DEP_1) | instskip(SKIP_1) | instid1(VALU_DEP_2)
	v_cmp_ne_u32_e64 s8, 0, v2
	v_cndmask_b32_e64 v2, 0, 1, s9
	s_bcnt1_i32_b32 s8, s8
	s_delay_alu instid0(VALU_DEP_1) | instskip(SKIP_3) | instid1(VALU_DEP_3)
	v_cmp_ne_u32_e64 s9, 0, v2
	v_cndmask_b32_e64 v2, 0, 1, s11
	s_add_i32 s7, s8, s7
	v_add_co_u32 v29, s8, v29, v46
	s_bcnt1_i32_b32 s9, s9
	s_delay_alu instid0(VALU_DEP_2) | instskip(SKIP_1) | instid1(VALU_DEP_1)
	v_cmp_ne_u32_e64 s11, 0, v2
	s_add_i32 s7, s7, s9
	s_bcnt1_i32_b32 s11, s11
	s_delay_alu instid0(SALU_CYCLE_1) | instskip(NEXT) | instid1(SALU_CYCLE_1)
	s_add_i32 s7, s7, s11
	s_add_u32 s86, s86, s7
	s_addc_u32 s87, s87, 0
	s_and_b32 s7, vcc_lo, s10
	s_and_b32 s4, s4, s14
	v_cndmask_b32_e64 v2, 0, 1, s7
	s_and_b32 s5, s5, s18
	s_and_b32 s6, s6, s22
	v_add_co_u32 v31, s7, v31, s23
	s_delay_alu instid0(VALU_DEP_2) | instskip(SKIP_3) | instid1(VALU_DEP_3)
	v_cmp_ne_u32_e32 vcc_lo, 0, v2
	v_cndmask_b32_e64 v2, 0, 1, s4
	v_add_co_ci_u32_e64 v32, s7, 0, v32, s7
	v_add_co_ci_u32_e64 v30, s7, v30, v47, s8
	v_cmp_ne_u32_e64 s4, 0, v2
	v_cndmask_b32_e64 v2, 0, 1, s5
	s_bcnt1_i32_b32 s8, vcc_lo
	v_cmp_ge_i64_e64 s7, v[31:32], v[27:28]
	v_mov_b32_e32 v6, s86
	s_bcnt1_i32_b32 s4, s4
	v_cmp_ne_u32_e64 s5, 0, v2
	v_cndmask_b32_e64 v2, 0, 1, s6
	s_add_i32 s4, s4, s8
	v_mov_b32_e32 v7, s87
	s_delay_alu instid0(VALU_DEP_3) | instskip(NEXT) | instid1(VALU_DEP_2)
	s_bcnt1_i32_b32 s5, s5
	v_cmp_ne_u32_e64 s6, 0, v2
	s_add_i32 s4, s4, s5
	v_dual_mov_b32 v2, s90 :: v_dual_mov_b32 v3, s91
	s_delay_alu instid0(VALU_DEP_2) | instskip(NEXT) | instid1(SALU_CYCLE_1)
	s_bcnt1_i32_b32 s6, s6
	s_add_i32 s4, s4, s6
	s_delay_alu instid0(SALU_CYCLE_1) | instskip(SKIP_1) | instid1(SALU_CYCLE_1)
	s_add_u32 s84, s84, s4
	s_addc_u32 s85, s85, 0
	v_dual_mov_b32 v8, s84 :: v_dual_mov_b32 v9, s85
	s_or_b32 s83, s7, s83
	s_delay_alu instid0(SALU_CYCLE_1)
	s_and_not1_b32 exec_lo, exec_lo, s83
	s_cbranch_execnz .LBB62_70
; %bb.71:                               ;   in Loop: Header=BB62_33 Depth=1
	s_or_b32 exec_lo, exec_lo, s83
.LBB62_72:                              ;   in Loop: Header=BB62_33 Depth=1
	s_delay_alu instid0(SALU_CYCLE_1) | instskip(SKIP_3) | instid1(VALU_DEP_2)
	s_or_b32 exec_lo, exec_lo, s66
	v_add_co_u32 v27, vcc_lo, v27, v0
	v_add_co_ci_u32_e32 v28, vcc_lo, 0, v28, vcc_lo
	v_mov_b32_e32 v32, 0
	v_cmp_gt_i64_e32 vcc_lo, s[24:25], v[27:28]
	s_and_saveexec_b32 s5, vcc_lo
	s_cbranch_execz .LBB62_74
; %bb.73:                               ;   in Loop: Header=BB62_33 Depth=1
	v_mul_lo_u32 v31, v28, s30
	v_mul_lo_u32 v32, v27, s31
	v_mad_u64_u32 v[29:30], null, v27, s30, 0
	s_delay_alu instid0(VALU_DEP_1) | instskip(NEXT) | instid1(VALU_DEP_1)
	v_add3_u32 v30, v30, v32, v31
	v_lshlrev_b64 v[29:30], 1, v[29:30]
	s_delay_alu instid0(VALU_DEP_1) | instskip(NEXT) | instid1(VALU_DEP_1)
	v_add_co_u32 v29, s4, s70, v29
	v_add_co_ci_u32_e64 v30, s4, s71, v30, s4
	global_load_u16 v32, v[29:30], off
.LBB62_74:                              ;   in Loop: Header=BB62_33 Depth=1
	s_or_b32 exec_lo, exec_lo, s5
	s_and_saveexec_b32 s8, vcc_lo
	s_cbranch_execz .LBB62_81
; %bb.75:                               ;   in Loop: Header=BB62_33 Depth=1
	v_add_co_u32 v29, vcc_lo, v40, v12
	v_add_co_ci_u32_e32 v30, vcc_lo, 0, v41, vcc_lo
	v_mul_lo_u32 v46, s79, v12
	s_delay_alu instid0(VALU_DEP_3) | instskip(NEXT) | instid1(VALU_DEP_3)
	v_sub_co_u32 v29, vcc_lo, v29, v25
	v_sub_co_ci_u32_e32 v25, vcc_lo, v30, v26, vcc_lo
	v_mul_hi_u32 v47, s78, v12
	s_delay_alu instid0(VALU_DEP_3) | instskip(SKIP_1) | instid1(VALU_DEP_3)
	v_mul_lo_u32 v31, s79, v29
	s_and_b32 s10, s62, 0xfe
	v_mul_lo_u32 v30, s78, v25
	v_mad_u64_u32 v[25:26], null, s78, v29, s[76:77]
	v_mul_lo_u32 v29, s78, v12
	s_mov_b32 s9, 0
	s_delay_alu instid0(VALU_DEP_2)
	v_add3_u32 v26, v31, v26, v30
	v_add_nc_u32_e32 v30, v47, v46
	s_branch .LBB62_77
.LBB62_76:                              ;   in Loop: Header=BB62_77 Depth=2
	s_or_b32 exec_lo, exec_lo, s5
	s_waitcnt vmcnt(0)
	v_cmp_lt_i16_e64 s4, -1, v32
	v_and_b32_e32 v46, 0xffff, v32
	s_and_b32 s5, exec_lo, vcc_lo
	s_delay_alu instid0(SALU_CYCLE_1) | instskip(NEXT) | instid1(VALU_DEP_2)
	s_or_b32 s9, s5, s9
	v_cndmask_b32_e64 v47, 0xffff, v43, s4
	v_cmp_o_f16_e64 s4, v32, v32
	s_delay_alu instid0(VALU_DEP_2) | instskip(NEXT) | instid1(VALU_DEP_1)
	v_xor_b32_e32 v46, v47, v46
	v_cndmask_b32_e64 v32, 0xffff, v46, s4
	s_delay_alu instid0(VALU_DEP_1) | instskip(SKIP_1) | instid1(VALU_DEP_2)
	v_and_b32_e32 v46, s58, v32
	v_bfe_u32 v32, v32, s10, 2
	v_cmp_eq_u32_e32 vcc_lo, s59, v46
	s_delay_alu instid0(VALU_DEP_2) | instskip(SKIP_3) | instid1(VALU_DEP_4)
	v_cmp_eq_u32_e64 s4, 0, v32
	v_cmp_eq_u32_e64 s5, 1, v32
	;; [unrolled: 1-line block ×4, first 2 shown]
	s_and_b32 s4, vcc_lo, s4
	s_delay_alu instid0(SALU_CYCLE_1) | instskip(SKIP_1) | instid1(SALU_CYCLE_1)
	v_cndmask_b32_e64 v32, 0, 1, s4
	s_and_b32 s4, vcc_lo, s5
	v_cndmask_b32_e64 v46, 0, 1, s4
	s_and_b32 s4, vcc_lo, s6
	s_delay_alu instid0(SALU_CYCLE_1)
	v_cndmask_b32_e64 v47, 0, 1, s4
	s_and_b32 s4, vcc_lo, s7
	v_cmp_ne_u32_e32 vcc_lo, 0, v32
	v_cndmask_b32_e64 v48, 0, 1, s4
	v_cmp_ne_u32_e64 s4, 0, v46
	v_cmp_ne_u32_e64 s5, 0, v47
	v_mov_b32_e32 v32, v31
	s_bcnt1_i32_b32 s7, vcc_lo
	v_cmp_ne_u32_e64 s6, 0, v48
	v_add_co_u32 v2, vcc_lo, v2, s7
	s_bcnt1_i32_b32 s4, s4
	v_add_co_ci_u32_e32 v3, vcc_lo, 0, v3, vcc_lo
	v_add_co_u32 v4, vcc_lo, v4, s4
	s_bcnt1_i32_b32 s5, s5
	v_add_co_ci_u32_e32 v5, vcc_lo, 0, v5, vcc_lo
	;; [unrolled: 3-line block ×3, first 2 shown]
	v_add_co_u32 v8, vcc_lo, v8, s4
	v_add_co_ci_u32_e32 v9, vcc_lo, 0, v9, vcc_lo
	v_add_co_u32 v25, vcc_lo, v25, v29
	v_add_co_ci_u32_e32 v26, vcc_lo, v26, v30, vcc_lo
	s_and_not1_b32 exec_lo, exec_lo, s9
	s_cbranch_execz .LBB62_80
.LBB62_77:                              ;   Parent Loop BB62_33 Depth=1
                                        ; =>  This Inner Loop Header: Depth=2
	v_add_co_u32 v27, vcc_lo, v27, v12
	v_add_co_ci_u32_e32 v28, vcc_lo, 0, v28, vcc_lo
	v_mov_b32_e32 v31, 0
	s_mov_b32 s5, exec_lo
	s_delay_alu instid0(VALU_DEP_2)
	v_cmp_le_i64_e32 vcc_lo, s[24:25], v[27:28]
	v_cmpx_gt_i64_e64 s[24:25], v[27:28]
	s_cbranch_execz .LBB62_76
; %bb.78:                               ;   in Loop: Header=BB62_77 Depth=2
	global_load_u16 v31, v[25:26], off
	s_branch .LBB62_76
.LBB62_79:                              ;   in Loop: Header=BB62_33 Depth=1
                                        ; implicit-def: $vgpr8_vgpr9
                                        ; implicit-def: $vgpr4_vgpr5
	s_cbranch_execnz .LBB62_82
	s_branch .LBB62_91
.LBB62_80:                              ;   in Loop: Header=BB62_33 Depth=1
	s_or_b32 exec_lo, exec_lo, s9
.LBB62_81:                              ;   in Loop: Header=BB62_33 Depth=1
	s_delay_alu instid0(SALU_CYCLE_1)
	s_or_b32 exec_lo, exec_lo, s8
	s_branch .LBB62_91
.LBB62_82:                              ;   in Loop: Header=BB62_33 Depth=1
	global_load_u16 v8, v13, s[74:75]
	s_mov_b64 s[84:85], 0
	s_mov_b32 s83, exec_lo
	s_waitcnt vmcnt(0)
	v_readfirstlane_b32 s4, v8
	v_and_b32_e32 v27, 0xffff, v8
	s_delay_alu instid0(VALU_DEP_2) | instskip(NEXT) | instid1(SALU_CYCLE_1)
	s_and_b32 s4, 0xffff, s4
	s_lshl_b32 s72, s4, 2
	s_delay_alu instid0(SALU_CYCLE_1) | instskip(SKIP_1) | instid1(VALU_DEP_1)
	v_cvt_f32_u32_e32 v2, s72
	s_sub_i32 s5, 0, s72
	v_rcp_iflag_f32_e32 v2, v2
	s_waitcnt_depctr 0xfff
	v_mul_f32_e32 v2, 0x4f7ffffe, v2
	s_delay_alu instid0(VALU_DEP_1) | instskip(NEXT) | instid1(VALU_DEP_1)
	v_cvt_u32_f32_e32 v2, v2
	v_readfirstlane_b32 s4, v2
	v_mov_b32_e32 v2, 0
	v_mov_b32_e32 v3, 0
	s_delay_alu instid0(VALU_DEP_3) | instskip(NEXT) | instid1(VALU_DEP_1)
	s_mul_i32 s5, s5, s4
	v_dual_mov_b32 v5, v3 :: v_dual_mov_b32 v4, v2
	s_mul_hi_u32 s5, s4, s5
	v_dual_mov_b32 v7, v3 :: v_dual_mov_b32 v6, v2
	s_add_i32 s4, s4, s5
	v_dual_mov_b32 v9, v3 :: v_dual_mov_b32 v8, v2
	s_mul_hi_u32 s4, s82, s4
	s_delay_alu instid0(SALU_CYCLE_1) | instskip(NEXT) | instid1(SALU_CYCLE_1)
	s_mul_i32 s4, s4, s72
	s_sub_i32 s4, s82, s4
	s_delay_alu instid0(SALU_CYCLE_1) | instskip(SKIP_2) | instid1(SALU_CYCLE_1)
	s_sub_i32 s5, s4, s72
	s_cmp_ge_u32 s4, s72
	s_cselect_b32 s4, s5, s4
	s_sub_i32 s5, s4, s72
	s_cmp_ge_u32 s4, s72
	s_cselect_b32 s4, s5, s4
	s_delay_alu instid0(SALU_CYCLE_1) | instskip(NEXT) | instid1(SALU_CYCLE_1)
	s_sub_i32 s66, s82, s4
	v_cmpx_gt_u32_e64 s66, v16
	s_cbranch_execz .LBB62_86
; %bb.83:                               ;   in Loop: Header=BB62_33 Depth=1
	v_mov_b32_e32 v26, v17
	v_dual_mov_b32 v25, v16 :: v_dual_lshlrev_b32 v12, 3, v27
	v_mov_b32_e32 v28, v37
	s_and_b32 s44, s62, 0xfe
	s_mov_b32 s45, 0
	s_mov_b64 s[86:87], 0
	s_mov_b64 s[88:89], 0
	;; [unrolled: 1-line block ×3, first 2 shown]
.LBB62_84:                              ;   Parent Loop BB62_33 Depth=1
                                        ; =>  This Inner Loop Header: Depth=2
	ds_load_b64 v[2:3], v28
	v_add_co_u32 v25, vcc_lo, v25, s72
	v_add_co_ci_u32_e32 v26, vcc_lo, 0, v26, vcc_lo
	s_delay_alu instid0(VALU_DEP_1)
	v_cmp_le_u64_e32 vcc_lo, s[66:67], v[25:26]
	s_waitcnt lgkmcnt(0)
	v_lshrrev_b32_e32 v4, 16, v2
	v_cmp_lt_i16_e64 s4, -1, v2
	v_cmp_lt_i16_e64 s5, -1, v3
	v_lshrrev_b32_e32 v7, 16, v3
	v_and_b32_e32 v5, 0xffff, v2
	v_cmp_o_f16_e64 s7, v2, v2
	v_cndmask_b32_e64 v2, 0xffff, v43, s4
	v_cmp_lt_i16_e64 s4, -1, v4
	v_and_b32_e32 v6, 0xffff, v3
	v_cmp_o_f16_e64 s6, v3, v3
	v_cndmask_b32_e64 v3, 0xffff, v43, s5
	v_cmp_lt_i16_e64 s5, -1, v7
	v_cndmask_b32_e64 v8, 0xffff, v43, s4
	v_xor_b32_e32 v2, v2, v5
	v_cmp_o_f16_e64 s9, v4, v4
	v_xor_b32_e32 v3, v3, v6
	v_cndmask_b32_e64 v5, 0xffff, v43, s5
	v_xor_b32_e32 v4, v8, v4
	v_cndmask_b32_e64 v2, 0xffff, v2, s7
	v_cmp_o_f16_e64 s8, v7, v7
	v_cndmask_b32_e64 v3, 0xffff, v3, s6
	v_xor_b32_e32 v5, v5, v7
	v_cndmask_b32_e64 v4, 0xffff, v4, s9
	v_and_b32_e32 v6, s58, v2
	v_bfe_u32 v2, v2, s44, 2
	v_and_b32_e32 v7, s58, v3
	v_cndmask_b32_e64 v5, 0xffff, v5, s8
	v_bfe_u32 v3, v3, s44, 2
	v_cmp_eq_u32_e64 s4, s59, v6
	v_and_b32_e32 v6, s58, v4
	v_bfe_u32 v4, v4, s44, 2
	v_cmp_eq_u32_e64 s5, s59, v7
	v_and_b32_e32 v7, s58, v5
	v_bfe_u32 v5, v5, s44, 2
	v_cmp_eq_u32_e64 s6, 0, v2
	v_cmp_eq_u32_e64 s14, s59, v6
	;; [unrolled: 1-line block ×6, first 2 shown]
	s_and_b32 s22, s4, s6
	s_and_b32 s16, s14, s16
	v_cmp_eq_u32_e64 s8, 1, v2
	v_cmp_eq_u32_e64 s10, 2, v2
	;; [unrolled: 1-line block ×3, first 2 shown]
	s_and_b32 s23, s5, s7
	v_cmp_eq_u32_e64 s6, 1, v4
	v_cmp_eq_u32_e64 s18, 2, v4
	;; [unrolled: 1-line block ×3, first 2 shown]
	v_cndmask_b32_e64 v2, 0, 1, s22
	v_cndmask_b32_e64 v4, 0, 1, s16
	v_cmp_eq_u32_e64 s9, 1, v3
	v_cmp_eq_u32_e64 s11, 2, v3
	;; [unrolled: 1-line block ×3, first 2 shown]
	v_cndmask_b32_e64 v3, 0, 1, s23
	s_and_b32 s17, s15, s17
	v_cmp_eq_u32_e64 s7, 1, v5
	v_cmp_eq_u32_e64 s19, 2, v5
	;; [unrolled: 1-line block ×3, first 2 shown]
	v_cndmask_b32_e64 v5, 0, 1, s17
	v_cmp_ne_u32_e64 s16, 0, v2
	v_cmp_ne_u32_e64 s22, 0, v4
	;; [unrolled: 1-line block ×3, first 2 shown]
	s_delay_alu instid0(VALU_DEP_4) | instskip(NEXT) | instid1(VALU_DEP_4)
	v_cmp_ne_u32_e64 s23, 0, v5
	s_bcnt1_i32_b32 s16, s16
	s_delay_alu instid0(VALU_DEP_3) | instskip(NEXT) | instid1(VALU_DEP_2)
	s_bcnt1_i32_b32 s22, s22
	s_bcnt1_i32_b32 s17, s17
	s_add_i32 s16, s22, s16
	s_bcnt1_i32_b32 s23, s23
	s_add_i32 s16, s16, s17
	s_delay_alu instid0(SALU_CYCLE_1) | instskip(NEXT) | instid1(SALU_CYCLE_1)
	s_add_i32 s16, s16, s23
	s_add_u32 s90, s90, s16
	s_addc_u32 s91, s91, 0
	s_and_b32 s8, s4, s8
	s_and_b32 s6, s14, s6
	;; [unrolled: 1-line block ×3, first 2 shown]
	v_cndmask_b32_e64 v2, 0, 1, s8
	v_cndmask_b32_e64 v3, 0, 1, s6
	s_and_b32 s7, s15, s7
	v_cndmask_b32_e64 v4, 0, 1, s9
	v_cndmask_b32_e64 v5, 0, 1, s7
	v_cmp_ne_u32_e64 s6, 0, v2
	v_cmp_ne_u32_e64 s7, 0, v3
	v_add_nc_u32_e32 v28, v28, v12
	v_cmp_ne_u32_e64 s8, 0, v4
	v_cmp_ne_u32_e64 s9, 0, v5
	s_bcnt1_i32_b32 s6, s6
	s_bcnt1_i32_b32 s7, s7
	s_delay_alu instid0(VALU_DEP_2) | instskip(SKIP_3) | instid1(SALU_CYCLE_1)
	s_bcnt1_i32_b32 s8, s8
	s_add_i32 s6, s7, s6
	s_bcnt1_i32_b32 s9, s9
	s_add_i32 s6, s6, s8
	s_add_i32 s6, s6, s9
	s_delay_alu instid0(SALU_CYCLE_1)
	s_add_u32 s88, s88, s6
	s_addc_u32 s89, s89, 0
	s_and_b32 s6, s4, s10
	s_and_b32 s7, s14, s18
	;; [unrolled: 1-line block ×3, first 2 shown]
	v_cndmask_b32_e64 v2, 0, 1, s6
	v_cndmask_b32_e64 v3, 0, 1, s7
	s_and_b32 s9, s15, s19
	v_cndmask_b32_e64 v4, 0, 1, s8
	v_cndmask_b32_e64 v5, 0, 1, s9
	v_cmp_ne_u32_e64 s6, 0, v2
	v_cmp_ne_u32_e64 s7, 0, v3
	s_delay_alu instid0(VALU_DEP_4) | instskip(NEXT) | instid1(VALU_DEP_4)
	v_cmp_ne_u32_e64 s8, 0, v4
	v_cmp_ne_u32_e64 s9, 0, v5
	s_delay_alu instid0(VALU_DEP_4) | instskip(NEXT) | instid1(VALU_DEP_3)
	s_bcnt1_i32_b32 s6, s6
	s_bcnt1_i32_b32 s7, s7
	s_delay_alu instid0(VALU_DEP_2) | instskip(SKIP_3) | instid1(SALU_CYCLE_1)
	s_bcnt1_i32_b32 s8, s8
	s_add_i32 s6, s7, s6
	s_bcnt1_i32_b32 s9, s9
	s_add_i32 s6, s6, s8
	s_add_i32 s6, s6, s9
	s_delay_alu instid0(SALU_CYCLE_1)
	s_add_u32 s86, s86, s6
	s_addc_u32 s87, s87, 0
	s_and_b32 s4, s4, s12
	s_and_b32 s6, s14, s20
	;; [unrolled: 1-line block ×3, first 2 shown]
	v_cndmask_b32_e64 v2, 0, 1, s4
	v_cndmask_b32_e64 v3, 0, 1, s6
	s_and_b32 s7, s15, s21
	v_cndmask_b32_e64 v4, 0, 1, s5
	v_cndmask_b32_e64 v5, 0, 1, s7
	v_cmp_ne_u32_e64 s4, 0, v2
	v_cmp_ne_u32_e64 s5, 0, v3
	v_dual_mov_b32 v2, s90 :: v_dual_mov_b32 v3, s91
	v_cmp_ne_u32_e64 s6, 0, v4
	v_cmp_ne_u32_e64 s7, 0, v5
	s_bcnt1_i32_b32 s4, s4
	s_bcnt1_i32_b32 s5, s5
	v_mov_b32_e32 v4, s88
	s_bcnt1_i32_b32 s6, s6
	s_add_i32 s4, s5, s4
	s_bcnt1_i32_b32 s5, s7
	s_add_i32 s4, s4, s6
	v_mov_b32_e32 v6, s86
	s_add_i32 s4, s4, s5
	v_mov_b32_e32 v5, s89
	s_add_u32 s84, s84, s4
	s_addc_u32 s85, s85, 0
	v_dual_mov_b32 v8, s84 :: v_dual_mov_b32 v7, s87
	v_mov_b32_e32 v9, s85
	s_or_b32 s45, vcc_lo, s45
	s_delay_alu instid0(SALU_CYCLE_1)
	s_and_not1_b32 exec_lo, exec_lo, s45
	s_cbranch_execnz .LBB62_84
; %bb.85:                               ;   in Loop: Header=BB62_33 Depth=1
	s_or_b32 exec_lo, exec_lo, s45
.LBB62_86:                              ;   in Loop: Header=BB62_33 Depth=1
	s_delay_alu instid0(SALU_CYCLE_1) | instskip(SKIP_2) | instid1(VALU_DEP_1)
	s_or_b32 exec_lo, exec_lo, s83
	v_add_nc_u32_e32 v12, s66, v0
	s_mov_b32 s9, exec_lo
	v_cmpx_gt_u32_e64 s82, v12
	s_cbranch_execz .LBB62_90
; %bb.87:                               ;   in Loop: Header=BB62_33 Depth=1
	v_dual_mov_b32 v26, v13 :: v_dual_lshlrev_b32 v29, 1, v27
	v_dual_mov_b32 v25, v12 :: v_dual_lshlrev_b32 v28, 1, v12
	s_mov_b32 s11, 0
	s_and_b32 s10, s82, 0x7fffffff
	s_and_b32 s13, s62, 0xfe
	s_mov_b32 s12, s11
.LBB62_88:                              ;   Parent Loop BB62_33 Depth=1
                                        ; =>  This Inner Loop Header: Depth=2
	ds_load_u16 v12, v28
	v_add_co_u32 v25, vcc_lo, v25, v27
	v_add_co_ci_u32_e32 v26, vcc_lo, 0, v26, vcc_lo
	v_add_nc_u32_e32 v28, v28, v29
	s_delay_alu instid0(VALU_DEP_2) | instskip(SKIP_3) | instid1(VALU_DEP_2)
	v_cmp_le_u64_e32 vcc_lo, s[10:11], v[25:26]
	s_waitcnt lgkmcnt(0)
	v_cmp_lt_i16_e64 s4, -1, v12
	v_and_b32_e32 v30, 0xffff, v12
	v_cndmask_b32_e64 v31, 0xffff, v43, s4
	v_cmp_o_f16_e64 s4, v12, v12
	s_delay_alu instid0(VALU_DEP_2) | instskip(NEXT) | instid1(VALU_DEP_1)
	v_xor_b32_e32 v30, v31, v30
	v_cndmask_b32_e64 v12, 0xffff, v30, s4
	s_delay_alu instid0(VALU_DEP_1) | instskip(SKIP_1) | instid1(VALU_DEP_2)
	v_and_b32_e32 v30, s58, v12
	v_bfe_u32 v12, v12, s13, 2
	v_cmp_eq_u32_e64 s4, s59, v30
	s_delay_alu instid0(VALU_DEP_2) | instskip(SKIP_3) | instid1(VALU_DEP_4)
	v_cmp_eq_u32_e64 s5, 0, v12
	v_cmp_eq_u32_e64 s6, 1, v12
	;; [unrolled: 1-line block ×4, first 2 shown]
	s_and_b32 s5, s4, s5
	s_delay_alu instid0(SALU_CYCLE_1) | instskip(SKIP_1) | instid1(SALU_CYCLE_1)
	v_cndmask_b32_e64 v12, 0, 1, s5
	s_and_b32 s5, s4, s6
	v_cndmask_b32_e64 v30, 0, 1, s5
	s_and_b32 s5, s4, s7
	s_and_b32 s4, s4, s8
	v_cndmask_b32_e64 v31, 0, 1, s5
	v_cndmask_b32_e64 v32, 0, 1, s4
	v_cmp_ne_u32_e64 s4, 0, v12
	v_cmp_ne_u32_e64 s5, 0, v30
	s_delay_alu instid0(VALU_DEP_4) | instskip(NEXT) | instid1(VALU_DEP_4)
	v_cmp_ne_u32_e64 s6, 0, v31
	v_cmp_ne_u32_e64 s7, 0, v32
	s_delay_alu instid0(VALU_DEP_4) | instskip(NEXT) | instid1(VALU_DEP_3)
	s_bcnt1_i32_b32 s4, s4
	s_bcnt1_i32_b32 s5, s5
	v_add_co_u32 v2, s4, v2, s4
	s_delay_alu instid0(VALU_DEP_1)
	v_add_co_ci_u32_e64 v3, s4, 0, v3, s4
	v_add_co_u32 v4, s4, v4, s5
	s_bcnt1_i32_b32 s6, s6
	v_add_co_ci_u32_e64 v5, s4, 0, v5, s4
	v_add_co_u32 v6, s4, v6, s6
	s_bcnt1_i32_b32 s7, s7
	v_add_co_ci_u32_e64 v7, s4, 0, v7, s4
	v_add_co_u32 v8, s4, v8, s7
	s_delay_alu instid0(VALU_DEP_1) | instskip(SKIP_1) | instid1(SALU_CYCLE_1)
	v_add_co_ci_u32_e64 v9, s4, 0, v9, s4
	s_or_b32 s12, vcc_lo, s12
	s_and_not1_b32 exec_lo, exec_lo, s12
	s_cbranch_execnz .LBB62_88
; %bb.89:                               ;   in Loop: Header=BB62_33 Depth=1
	s_or_b32 exec_lo, exec_lo, s12
.LBB62_90:                              ;   in Loop: Header=BB62_33 Depth=1
	s_delay_alu instid0(SALU_CYCLE_1)
	s_or_b32 exec_lo, exec_lo, s9
.LBB62_91:                              ;   in Loop: Header=BB62_33 Depth=1
	s_lshl_b32 s4, s64, 7
	s_and_saveexec_b32 s5, s2
	s_cbranch_execz .LBB62_93
; %bb.92:                               ;   in Loop: Header=BB62_33 Depth=1
	v_or_b32_e32 v12, s4, v36
	s_delay_alu instid0(VALU_DEP_1)
	v_lshlrev_b32_e32 v12, 3, v12
	ds_store_b128 v12, v[2:5] offset:3072
	ds_store_b128 v12, v[6:9] offset:3088
.LBB62_93:                              ;   in Loop: Header=BB62_33 Depth=1
	s_or_b32 exec_lo, exec_lo, s5
	s_waitcnt vmcnt(0) lgkmcnt(0)
	s_barrier
	buffer_gl0_inv
	s_and_saveexec_b32 s5, s35
	s_cbranch_execz .LBB62_104
; %bb.94:                               ;   in Loop: Header=BB62_33 Depth=1
	v_mov_b32_e32 v2, 0
	v_mov_b32_e32 v3, 0
	s_and_not1_b32 vcc_lo, exec_lo, s99
	s_cbranch_vccnz .LBB62_103
; %bb.95:                               ;   in Loop: Header=BB62_33 Depth=1
	v_mov_b32_e32 v2, 0
	v_mov_b32_e32 v3, 0
	s_and_not1_b32 vcc_lo, exec_lo, s97
	s_cbranch_vccnz .LBB62_100
; %bb.96:                               ;   in Loop: Header=BB62_33 Depth=1
	v_lshl_add_u32 v4, s64, 10, v42
	s_mov_b32 s6, 0
	s_set_inst_prefetch_distance 0x1
	.p2align	6
.LBB62_97:                              ;   Parent Loop BB62_33 Depth=1
                                        ; =>  This Inner Loop Header: Depth=2
	ds_load_2addr_b64 v[5:8], v4 offset1:4
	ds_load_2addr_b64 v[25:28], v4 offset0:8 offset1:12
	ds_load_2addr_b64 v[29:32], v4 offset0:16 offset1:20
	s_add_i32 s6, s6, 8
	s_delay_alu instid0(SALU_CYCLE_1) | instskip(SKIP_3) | instid1(VALU_DEP_2)
	s_cmp_eq_u32 s98, s6
	s_waitcnt lgkmcnt(2)
	v_add_co_u32 v2, vcc_lo, v5, v2
	v_add_co_ci_u32_e32 v3, vcc_lo, v6, v3, vcc_lo
	v_add_co_u32 v2, vcc_lo, v7, v2
	s_delay_alu instid0(VALU_DEP_2)
	v_add_co_ci_u32_e32 v3, vcc_lo, v8, v3, vcc_lo
	ds_load_2addr_b64 v[5:8], v4 offset0:24 offset1:28
	s_waitcnt lgkmcnt(2)
	v_add_co_u32 v2, vcc_lo, v25, v2
	v_add_co_ci_u32_e32 v3, vcc_lo, v26, v3, vcc_lo
	v_add_nc_u32_e32 v4, 0x100, v4
	s_delay_alu instid0(VALU_DEP_3) | instskip(NEXT) | instid1(VALU_DEP_3)
	v_add_co_u32 v2, vcc_lo, v27, v2
	v_add_co_ci_u32_e32 v3, vcc_lo, v28, v3, vcc_lo
	s_waitcnt lgkmcnt(1)
	s_delay_alu instid0(VALU_DEP_2) | instskip(NEXT) | instid1(VALU_DEP_2)
	v_add_co_u32 v2, vcc_lo, v29, v2
	v_add_co_ci_u32_e32 v3, vcc_lo, v30, v3, vcc_lo
	s_delay_alu instid0(VALU_DEP_2) | instskip(NEXT) | instid1(VALU_DEP_2)
	v_add_co_u32 v2, vcc_lo, v31, v2
	v_add_co_ci_u32_e32 v3, vcc_lo, v32, v3, vcc_lo
	s_waitcnt lgkmcnt(0)
	s_delay_alu instid0(VALU_DEP_2) | instskip(NEXT) | instid1(VALU_DEP_2)
	v_add_co_u32 v2, vcc_lo, v5, v2
	v_add_co_ci_u32_e32 v3, vcc_lo, v6, v3, vcc_lo
	s_delay_alu instid0(VALU_DEP_2) | instskip(NEXT) | instid1(VALU_DEP_2)
	v_add_co_u32 v2, vcc_lo, v7, v2
	v_add_co_ci_u32_e32 v3, vcc_lo, v8, v3, vcc_lo
	s_cbranch_scc0 .LBB62_97
; %bb.98:                               ;   in Loop: Header=BB62_33 Depth=1
	s_set_inst_prefetch_distance 0x2
	s_mov_b32 s6, s98
	s_and_not1_b32 vcc_lo, exec_lo, s100
	s_cbranch_vccz .LBB62_101
	s_branch .LBB62_103
.LBB62_99:                              ;   in Loop: Header=BB62_33 Depth=1
                                        ; implicit-def: $vgpr25_vgpr26
	s_branch .LBB62_67
.LBB62_100:                             ;   in Loop: Header=BB62_33 Depth=1
	s_mov_b32 s6, 0
	s_and_not1_b32 vcc_lo, exec_lo, s100
	s_cbranch_vccnz .LBB62_103
.LBB62_101:                             ;   in Loop: Header=BB62_33 Depth=1
	s_lshl_b32 s7, s64, 10
	s_lshl_b32 s6, s6, 5
	s_delay_alu instid0(SALU_CYCLE_1)
	v_add3_u32 v4, s7, s6, v42
	s_mov_b32 s6, s96
.LBB62_102:                             ;   Parent Loop BB62_33 Depth=1
                                        ; =>  This Inner Loop Header: Depth=2
	ds_load_b64 v[5:6], v4
	v_add_nc_u32_e32 v4, 32, v4
	s_add_i32 s6, s6, -1
	s_delay_alu instid0(SALU_CYCLE_1)
	s_cmp_lg_u32 s6, 0
	s_waitcnt lgkmcnt(0)
	v_add_co_u32 v2, vcc_lo, v5, v2
	v_add_co_ci_u32_e32 v3, vcc_lo, v6, v3, vcc_lo
	s_cbranch_scc1 .LBB62_102
.LBB62_103:                             ;   in Loop: Header=BB62_33 Depth=1
	v_add_lshl_u32 v4, s4, v33, 3
	ds_store_b64 v4, v[2:3] offset:3072
.LBB62_104:                             ;   in Loop: Header=BB62_33 Depth=1
	s_or_b32 exec_lo, exec_lo, s5
	s_lshl_b32 s4, s4, 3
	s_waitcnt lgkmcnt(0)
	v_mov_b32_e32 v6, s4
	s_barrier
	buffer_gl0_inv
	s_and_b32 s17, s62, 0xfe
	s_mov_b32 s19, -1
	ds_load_b128 v[2:5], v6 offset:3072
	ds_load_b128 v[6:9], v6 offset:3088
	s_lshl_b32 s16, 3, s17
	s_delay_alu instid0(SALU_CYCLE_1)
	s_not_b32 s18, s16
	s_waitcnt lgkmcnt(1)
	v_readfirstlane_b32 s13, v3
	v_readfirstlane_b32 s12, v2
	;; [unrolled: 1-line block ×4, first 2 shown]
	s_waitcnt lgkmcnt(0)
	v_readfirstlane_b32 s8, v6
	v_readfirstlane_b32 s9, v7
	s_cmp_eq_u64 s[12:13], 1
	v_readfirstlane_b32 s6, v8
	s_cselect_b32 s4, -1, 0
	s_cmp_eq_u64 s[26:27], 1
	v_readfirstlane_b32 s7, v9
	s_cselect_b32 s5, -1, 0
	s_delay_alu instid0(SALU_CYCLE_1) | instskip(NEXT) | instid1(SALU_CYCLE_1)
	s_and_b32 s20, s4, s5
	s_and_b32 vcc_lo, exec_lo, s20
	s_cbranch_vccz .LBB62_119
; %bb.105:                              ;   in Loop: Header=BB62_33 Depth=1
	ds_load_b64 v[2:3], v13 offset:5120
	s_waitcnt lgkmcnt(0)
	s_barrier
	buffer_gl0_inv
	v_readfirstlane_b32 s14, v2
	v_readfirstlane_b32 s15, v3
	s_and_saveexec_b32 s4, s3
	s_cbranch_execz .LBB62_107
; %bb.106:                              ;   in Loop: Header=BB62_33 Depth=1
	ds_store_b16 v35, v13
.LBB62_107:                             ;   in Loop: Header=BB62_33 Depth=1
	s_or_b32 exec_lo, exec_lo, s4
	s_delay_alu instid0(VALU_DEP_1)
	v_cmp_lt_i64_e64 s4, s[14:15], 1
	s_and_b32 s59, s59, s18
	s_or_b32 s58, s58, s16
	s_waitcnt lgkmcnt(0)
	s_barrier
	buffer_gl0_inv
	s_and_b32 vcc_lo, exec_lo, s4
	s_cbranch_vccz .LBB62_120
; %bb.108:                              ;   in Loop: Header=BB62_33 Depth=1
	s_mov_b32 s72, s67
	s_delay_alu instid0(SALU_CYCLE_1)
	s_cmp_lg_u64 s[72:73], 0
	s_cbranch_scc0 .LBB62_165
; %bb.109:                              ;   in Loop: Header=BB62_33 Depth=1
	v_cvt_f32_u32_e32 v2, s33
	s_sub_u32 s21, 0, s33
	s_subb_u32 s22, 0, 0
	s_delay_alu instid0(VALU_DEP_1) | instskip(NEXT) | instid1(VALU_DEP_1)
	v_fmac_f32_e32 v2, 0x4f800000, v44
	v_rcp_f32_e32 v2, v2
	s_waitcnt_depctr 0xfff
	v_mul_f32_e32 v2, 0x5f7ffffc, v2
	s_delay_alu instid0(VALU_DEP_1) | instskip(NEXT) | instid1(VALU_DEP_1)
	v_mul_f32_e32 v3, 0x2f800000, v2
	v_trunc_f32_e32 v3, v3
	s_delay_alu instid0(VALU_DEP_1) | instskip(SKIP_1) | instid1(VALU_DEP_2)
	v_fmac_f32_e32 v2, 0xcf800000, v3
	v_cvt_u32_f32_e32 v3, v3
	v_cvt_u32_f32_e32 v2, v2
	s_delay_alu instid0(VALU_DEP_2) | instskip(NEXT) | instid1(VALU_DEP_2)
	v_readfirstlane_b32 s4, v3
	v_readfirstlane_b32 s5, v2
	s_delay_alu instid0(VALU_DEP_2) | instskip(NEXT) | instid1(VALU_DEP_1)
	s_mul_i32 s23, s21, s4
	s_mul_hi_u32 s45, s21, s5
	s_mul_i32 s44, s22, s5
	s_add_i32 s23, s45, s23
	s_mul_i32 s46, s21, s5
	s_add_i32 s23, s23, s44
	s_mul_hi_u32 s45, s5, s46
	s_mul_hi_u32 s47, s4, s46
	s_mul_i32 s44, s4, s46
	s_mul_hi_u32 s46, s5, s23
	s_mul_i32 s5, s5, s23
	s_mul_hi_u32 s66, s4, s23
	s_add_u32 s5, s45, s5
	s_addc_u32 s45, 0, s46
	s_add_u32 s5, s5, s44
	s_mul_i32 s23, s4, s23
	s_addc_u32 s5, s45, s47
	s_addc_u32 s44, s66, 0
	s_add_u32 s5, s5, s23
	s_addc_u32 s23, 0, s44
	v_add_co_u32 v2, s5, v2, s5
	s_delay_alu instid0(VALU_DEP_1) | instskip(SKIP_1) | instid1(VALU_DEP_1)
	s_cmp_lg_u32 s5, 0
	s_addc_u32 s4, s4, s23
	v_readfirstlane_b32 s5, v2
	s_mul_i32 s23, s21, s4
	s_delay_alu instid0(VALU_DEP_1)
	s_mul_hi_u32 s44, s21, s5
	s_mul_i32 s22, s22, s5
	s_add_i32 s23, s44, s23
	s_mul_i32 s21, s21, s5
	s_add_i32 s23, s23, s22
	s_mul_hi_u32 s44, s4, s21
	s_mul_i32 s45, s4, s21
	s_mul_hi_u32 s21, s5, s21
	s_mul_hi_u32 s46, s5, s23
	s_mul_i32 s5, s5, s23
	s_mul_hi_u32 s22, s4, s23
	s_add_u32 s5, s21, s5
	s_addc_u32 s21, 0, s46
	s_add_u32 s5, s5, s45
	s_mul_i32 s23, s4, s23
	s_addc_u32 s5, s21, s44
	s_addc_u32 s21, s22, 0
	s_add_u32 s5, s5, s23
	s_addc_u32 s21, 0, s21
	v_add_co_u32 v2, s5, v2, s5
	s_delay_alu instid0(VALU_DEP_1) | instskip(SKIP_2) | instid1(VALU_DEP_1)
	s_cmp_lg_u32 s5, 0
	s_addc_u32 s21, s4, s21
	s_ashr_i32 s22, s73, 31
	v_readfirstlane_b32 s44, v2
	s_add_u32 s4, s95, s22
	s_mov_b32 s23, s22
	s_addc_u32 s5, s73, s22
	s_delay_alu instid0(SALU_CYCLE_1) | instskip(NEXT) | instid1(SALU_CYCLE_1)
	s_xor_b64 s[4:5], s[4:5], s[22:23]
	s_mul_i32 s45, s4, s21
	s_mul_hi_u32 s46, s4, s44
	s_mul_hi_u32 s23, s4, s21
	;; [unrolled: 1-line block ×3, first 2 shown]
	s_mul_i32 s44, s5, s44
	s_add_u32 s45, s46, s45
	s_addc_u32 s23, 0, s23
	s_mul_hi_u32 s47, s5, s21
	s_add_u32 s44, s45, s44
	s_mul_i32 s21, s5, s21
	s_addc_u32 s23, s23, s66
	s_addc_u32 s44, s47, 0
	s_add_u32 s21, s23, s21
	s_addc_u32 s23, 0, s44
	s_mul_hi_u32 s44, s33, s21
	s_mul_i32 s21, s33, s21
	s_mul_i32 s23, s33, s23
	v_sub_co_u32 v2, s4, s4, s21
	s_add_i32 s44, s44, s23
	s_cmp_lg_u32 s4, 0
	s_delay_alu instid0(VALU_DEP_1) | instskip(SKIP_2) | instid1(VALU_DEP_1)
	v_sub_co_u32 v3, s4, v2, s33
	s_subb_u32 s5, s5, s44
	s_cmp_lg_u32 s4, 0
	v_cmp_le_u32_e32 vcc_lo, s33, v3
	v_sub_co_u32 v4, s4, v3, s33
	s_subb_u32 s21, s5, 0
	s_cmp_lg_u32 s4, 0
	v_cmp_le_u32_e64 s4, s33, v2
	s_subb_u32 s23, s21, 0
	v_cndmask_b32_e64 v5, 0, -1, vcc_lo
	s_cmp_eq_u32 s21, 0
	s_cselect_b32 vcc_lo, -1, 0
	v_cndmask_b32_e64 v6, 0, -1, s4
	s_delay_alu instid0(VALU_DEP_2) | instskip(SKIP_2) | instid1(VALU_DEP_1)
	v_cndmask_b32_e32 v5, -1, v5, vcc_lo
	s_cmp_eq_u32 s5, 0
	s_cselect_b32 vcc_lo, -1, 0
	v_cmp_ne_u32_e64 s4, 0, v5
	v_dual_cndmask_b32 v5, -1, v6 :: v_dual_mov_b32 v6, s23
	s_delay_alu instid0(VALU_DEP_2) | instskip(NEXT) | instid1(VALU_DEP_2)
	v_cndmask_b32_e64 v3, v3, v4, s4
	v_cmp_ne_u32_e32 vcc_lo, 0, v5
	s_delay_alu instid0(VALU_DEP_3) | instskip(NEXT) | instid1(VALU_DEP_3)
	v_cndmask_b32_e64 v4, s21, v6, s4
	v_cndmask_b32_e32 v2, v2, v3, vcc_lo
	s_delay_alu instid0(VALU_DEP_2) | instskip(NEXT) | instid1(VALU_DEP_2)
	v_cndmask_b32_e32 v3, s5, v4, vcc_lo
	v_xor_b32_e32 v2, s22, v2
	s_delay_alu instid0(VALU_DEP_2) | instskip(NEXT) | instid1(VALU_DEP_2)
	v_xor_b32_e32 v3, s22, v3
	v_sub_co_u32 v2, vcc_lo, v2, s22
	s_delay_alu instid0(VALU_DEP_2)
	v_subrev_co_ci_u32_e32 v3, vcc_lo, s22, v3, vcc_lo
	s_cbranch_execnz .LBB62_111
.LBB62_110:                             ;   in Loop: Header=BB62_33 Depth=1
	v_cvt_f32_u32_e32 v2, s33
	s_sub_i32 s4, 0, s33
	s_delay_alu instid0(VALU_DEP_1) | instskip(SKIP_2) | instid1(VALU_DEP_1)
	v_rcp_iflag_f32_e32 v2, v2
	s_waitcnt_depctr 0xfff
	v_mul_f32_e32 v2, 0x4f7ffffe, v2
	v_cvt_u32_f32_e32 v2, v2
	s_delay_alu instid0(VALU_DEP_1) | instskip(NEXT) | instid1(VALU_DEP_1)
	v_mul_lo_u32 v3, s4, v2
	v_mul_hi_u32 v3, v2, v3
	s_delay_alu instid0(VALU_DEP_1) | instskip(NEXT) | instid1(VALU_DEP_1)
	v_add_nc_u32_e32 v2, v2, v3
	v_mul_hi_u32 v2, s95, v2
	s_delay_alu instid0(VALU_DEP_1) | instskip(NEXT) | instid1(VALU_DEP_1)
	v_mul_lo_u32 v2, v2, s33
	v_sub_nc_u32_e32 v2, s95, v2
	s_delay_alu instid0(VALU_DEP_1) | instskip(SKIP_1) | instid1(VALU_DEP_2)
	v_subrev_nc_u32_e32 v3, s33, v2
	v_cmp_le_u32_e32 vcc_lo, s33, v2
	v_cndmask_b32_e32 v2, v2, v3, vcc_lo
	s_delay_alu instid0(VALU_DEP_1) | instskip(SKIP_1) | instid1(VALU_DEP_2)
	v_subrev_nc_u32_e32 v3, s33, v2
	v_cmp_le_u32_e32 vcc_lo, s33, v2
	v_cndmask_b32_e32 v12, v2, v3, vcc_lo
	s_delay_alu instid0(VALU_DEP_1)
	v_dual_mov_b32 v2, v12 :: v_dual_mov_b32 v3, v13
.LBB62_111:                             ;   in Loop: Header=BB62_33 Depth=1
	s_delay_alu instid0(VALU_DEP_1) | instskip(NEXT) | instid1(VALU_DEP_2)
	v_sub_co_u32 v2, vcc_lo, s95, v2
	v_sub_co_ci_u32_e32 v3, vcc_lo, s73, v3, vcc_lo
	s_mov_b32 s4, 0
	s_mov_b32 s5, exec_lo
                                        ; implicit-def: $vgpr45
	s_delay_alu instid0(VALU_DEP_1)
	v_cmpx_gt_i64_e64 v[2:3], v[0:1]
	s_cbranch_execz .LBB62_122
; %bb.112:                              ;   in Loop: Header=BB62_33 Depth=1
	v_dual_mov_b32 v4, v10 :: v_dual_mov_b32 v5, v11
	v_dual_mov_b32 v7, v1 :: v_dual_mov_b32 v6, v0
	s_mov_b32 s21, 0
                                        ; implicit-def: $sgpr22
	s_branch .LBB62_114
.LBB62_113:                             ;   in Loop: Header=BB62_114 Depth=2
	s_or_b32 exec_lo, exec_lo, s4
	s_waitcnt vmcnt(0) lgkmcnt(0)
	s_barrier
	buffer_gl0_inv
	ds_load_b32 v8, v13 offset:3072
	v_add_co_u32 v6, vcc_lo, v6, s33
	v_add_co_ci_u32_e32 v7, vcc_lo, 0, v7, vcc_lo
	s_waitcnt lgkmcnt(0)
	s_barrier
	buffer_gl0_inv
	v_cmp_ge_i64_e32 vcc_lo, v[6:7], v[2:3]
	v_cmp_neq_f16_e64 s4, 0, v8
	s_delay_alu instid0(VALU_DEP_1)
	s_or_b32 s23, s4, vcc_lo
	v_add_co_u32 v4, vcc_lo, v4, s68
	s_and_b32 s23, exec_lo, s23
	v_add_co_ci_u32_e32 v5, vcc_lo, s69, v5, vcc_lo
	s_or_b32 s21, s23, s21
	s_and_not1_b32 s22, s22, exec_lo
	s_and_b32 s4, s4, exec_lo
	s_delay_alu instid0(SALU_CYCLE_1)
	s_or_b32 s22, s22, s4
	s_and_not1_b32 exec_lo, exec_lo, s21
	s_cbranch_execz .LBB62_121
.LBB62_114:                             ;   Parent Loop BB62_33 Depth=1
                                        ; =>  This Inner Loop Header: Depth=2
	s_delay_alu instid0(VALU_DEP_1)
	v_cmp_gt_i64_e32 vcc_lo, s[24:25], v[6:7]
	v_mov_b32_e32 v8, 0
	s_and_saveexec_b32 s4, vcc_lo
	s_cbranch_execz .LBB62_116
; %bb.115:                              ;   in Loop: Header=BB62_114 Depth=2
	global_load_u16 v8, v[4:5], off
.LBB62_116:                             ;   in Loop: Header=BB62_114 Depth=2
	s_or_b32 exec_lo, exec_lo, s4
	s_and_saveexec_b32 s4, vcc_lo
	s_cbranch_execz .LBB62_113
; %bb.117:                              ;   in Loop: Header=BB62_114 Depth=2
	s_waitcnt vmcnt(0)
	v_cmp_lt_i16_e32 vcc_lo, -1, v8
	v_dual_cndmask_b32 v12, 0xffff, v43 :: v_dual_and_b32 v9, 0xffff, v8
	v_cmp_o_f16_e32 vcc_lo, v8, v8
	s_delay_alu instid0(VALU_DEP_2) | instskip(NEXT) | instid1(VALU_DEP_1)
	v_xor_b32_e32 v9, v12, v9
	v_cndmask_b32_e32 v9, 0xffff, v9, vcc_lo
	s_delay_alu instid0(VALU_DEP_1) | instskip(NEXT) | instid1(VALU_DEP_1)
	v_and_b32_e32 v9, s58, v9
	v_cmp_eq_u32_e32 vcc_lo, s59, v9
	s_and_b32 exec_lo, exec_lo, vcc_lo
	s_cbranch_execz .LBB62_113
; %bb.118:                              ;   in Loop: Header=BB62_114 Depth=2
	v_perm_b32 v8, v8, s102, 0x5040100
	ds_store_b32 v13, v8 offset:3072
	s_branch .LBB62_113
.LBB62_119:                             ;   in Loop: Header=BB62_33 Depth=1
	s_mov_b32 s4, -1
                                        ; implicit-def: $sgpr5
                                        ; implicit-def: $sgpr22
                                        ; implicit-def: $sgpr21
	s_branch .LBB62_136
.LBB62_120:                             ;   in Loop: Header=BB62_33 Depth=1
	s_mov_b32 s5, -1
	s_mov_b32 s4, 0
                                        ; implicit-def: $sgpr21
                                        ; implicit-def: $vgpr45
	s_mov_b32 s22, s5
	s_cbranch_execnz .LBB62_123
	s_branch .LBB62_136
.LBB62_121:                             ;   in Loop: Header=BB62_33 Depth=1
	s_or_b32 exec_lo, exec_lo, s21
	v_lshrrev_b32_e32 v45, 16, v8
	s_and_b32 s4, s22, exec_lo
.LBB62_122:                             ;   in Loop: Header=BB62_33 Depth=1
	s_or_b32 exec_lo, exec_lo, s5
	s_mov_b32 s21, -1
	s_mov_b32 s5, 0
	s_delay_alu instid0(SALU_CYCLE_1)
	s_mov_b32 s22, s5
	s_branch .LBB62_136
.LBB62_123:                             ;   in Loop: Header=BB62_33 Depth=1
	s_add_u32 s21, s93, s14
	s_addc_u32 s5, s94, s15
	s_mov_b32 s4, s67
	s_delay_alu instid0(SALU_CYCLE_1)
	s_cmp_lg_u64 s[4:5], 0
	s_cbranch_scc0 .LBB62_166
; %bb.124:                              ;   in Loop: Header=BB62_33 Depth=1
	v_cvt_f32_u32_e32 v2, s33
	s_sub_u32 s23, 0, s33
	s_subb_u32 s44, 0, 0
	s_delay_alu instid0(VALU_DEP_1) | instskip(NEXT) | instid1(VALU_DEP_1)
	v_fmac_f32_e32 v2, 0x4f800000, v44
	v_rcp_f32_e32 v2, v2
	s_waitcnt_depctr 0xfff
	v_mul_f32_e32 v2, 0x5f7ffffc, v2
	s_delay_alu instid0(VALU_DEP_1) | instskip(NEXT) | instid1(VALU_DEP_1)
	v_mul_f32_e32 v3, 0x2f800000, v2
	v_trunc_f32_e32 v3, v3
	s_delay_alu instid0(VALU_DEP_1) | instskip(SKIP_1) | instid1(VALU_DEP_2)
	v_fmac_f32_e32 v2, 0xcf800000, v3
	v_cvt_u32_f32_e32 v3, v3
	v_cvt_u32_f32_e32 v2, v2
	s_delay_alu instid0(VALU_DEP_2) | instskip(NEXT) | instid1(VALU_DEP_2)
	v_readfirstlane_b32 s4, v3
	v_readfirstlane_b32 s22, v2
	s_delay_alu instid0(VALU_DEP_2) | instskip(NEXT) | instid1(VALU_DEP_1)
	s_mul_i32 s45, s23, s4
	s_mul_hi_u32 s47, s23, s22
	s_mul_i32 s46, s44, s22
	s_add_i32 s45, s47, s45
	s_mul_i32 s66, s23, s22
	s_add_i32 s45, s45, s46
	s_mul_hi_u32 s47, s22, s66
	s_mul_hi_u32 s72, s4, s66
	s_mul_i32 s46, s4, s66
	s_mul_hi_u32 s66, s22, s45
	s_mul_i32 s22, s22, s45
	s_mul_hi_u32 s82, s4, s45
	s_add_u32 s22, s47, s22
	s_addc_u32 s47, 0, s66
	s_add_u32 s22, s22, s46
	s_mul_i32 s45, s4, s45
	s_addc_u32 s22, s47, s72
	s_addc_u32 s46, s82, 0
	s_add_u32 s22, s22, s45
	s_addc_u32 s45, 0, s46
	v_add_co_u32 v2, s22, v2, s22
	s_delay_alu instid0(VALU_DEP_1) | instskip(SKIP_1) | instid1(VALU_DEP_1)
	s_cmp_lg_u32 s22, 0
	s_addc_u32 s4, s4, s45
	v_readfirstlane_b32 s22, v2
	s_mul_i32 s45, s23, s4
	s_delay_alu instid0(VALU_DEP_1)
	s_mul_hi_u32 s46, s23, s22
	s_mul_i32 s44, s44, s22
	s_add_i32 s45, s46, s45
	s_mul_i32 s23, s23, s22
	s_add_i32 s45, s45, s44
	s_mul_hi_u32 s46, s4, s23
	s_mul_i32 s47, s4, s23
	s_mul_hi_u32 s23, s22, s23
	s_mul_hi_u32 s66, s22, s45
	s_mul_i32 s22, s22, s45
	s_mul_hi_u32 s44, s4, s45
	s_add_u32 s22, s23, s22
	s_addc_u32 s23, 0, s66
	s_add_u32 s22, s22, s47
	s_mul_i32 s45, s4, s45
	s_addc_u32 s22, s23, s46
	s_addc_u32 s23, s44, 0
	s_add_u32 s22, s22, s45
	s_addc_u32 s23, 0, s23
	v_add_co_u32 v2, s22, v2, s22
	s_delay_alu instid0(VALU_DEP_1) | instskip(SKIP_2) | instid1(VALU_DEP_1)
	s_cmp_lg_u32 s22, 0
	s_addc_u32 s4, s4, s23
	s_ashr_i32 s22, s5, 31
	v_readfirstlane_b32 s46, v2
	s_add_u32 s44, s21, s22
	s_mov_b32 s23, s22
	s_addc_u32 s45, s5, s22
	s_delay_alu instid0(SALU_CYCLE_1) | instskip(NEXT) | instid1(SALU_CYCLE_1)
	s_xor_b64 s[44:45], s[44:45], s[22:23]
	s_mul_i32 s47, s44, s4
	s_mul_hi_u32 s66, s44, s46
	s_mul_hi_u32 s23, s44, s4
	;; [unrolled: 1-line block ×3, first 2 shown]
	s_mul_i32 s46, s45, s46
	s_add_u32 s47, s66, s47
	s_addc_u32 s23, 0, s23
	s_mul_hi_u32 s72, s45, s4
	s_add_u32 s46, s47, s46
	s_mul_i32 s4, s45, s4
	s_addc_u32 s23, s23, s82
	s_addc_u32 s46, s72, 0
	s_add_u32 s4, s23, s4
	s_addc_u32 s23, 0, s46
	s_mul_hi_u32 s46, s33, s4
	s_mul_i32 s4, s33, s4
	s_mul_i32 s23, s33, s23
	v_sub_co_u32 v2, s4, s44, s4
	s_add_i32 s46, s46, s23
	s_cmp_lg_u32 s4, 0
	s_delay_alu instid0(VALU_DEP_1) | instskip(SKIP_2) | instid1(VALU_DEP_1)
	v_sub_co_u32 v3, s4, v2, s33
	s_subb_u32 s23, s45, s46
	s_cmp_lg_u32 s4, 0
	v_cmp_le_u32_e32 vcc_lo, s33, v3
	v_sub_co_u32 v4, s4, v3, s33
	s_subb_u32 s44, s23, 0
	s_cmp_lg_u32 s4, 0
	v_cmp_le_u32_e64 s4, s33, v2
	s_subb_u32 s45, s44, 0
	v_cndmask_b32_e64 v5, 0, -1, vcc_lo
	s_cmp_eq_u32 s44, 0
	s_cselect_b32 vcc_lo, -1, 0
	v_cndmask_b32_e64 v6, 0, -1, s4
	s_delay_alu instid0(VALU_DEP_2) | instskip(SKIP_2) | instid1(VALU_DEP_1)
	v_cndmask_b32_e32 v5, -1, v5, vcc_lo
	s_cmp_eq_u32 s23, 0
	s_cselect_b32 vcc_lo, -1, 0
	v_cmp_ne_u32_e64 s4, 0, v5
	v_dual_cndmask_b32 v5, -1, v6 :: v_dual_mov_b32 v6, s45
	s_delay_alu instid0(VALU_DEP_2) | instskip(NEXT) | instid1(VALU_DEP_2)
	v_cndmask_b32_e64 v3, v3, v4, s4
	v_cmp_ne_u32_e32 vcc_lo, 0, v5
	s_delay_alu instid0(VALU_DEP_3) | instskip(NEXT) | instid1(VALU_DEP_3)
	v_cndmask_b32_e64 v4, s44, v6, s4
	v_cndmask_b32_e32 v2, v2, v3, vcc_lo
	s_delay_alu instid0(VALU_DEP_2) | instskip(NEXT) | instid1(VALU_DEP_2)
	v_cndmask_b32_e32 v3, s23, v4, vcc_lo
	v_xor_b32_e32 v2, s22, v2
	s_delay_alu instid0(VALU_DEP_2) | instskip(NEXT) | instid1(VALU_DEP_2)
	v_xor_b32_e32 v3, s22, v3
	v_sub_co_u32 v2, vcc_lo, v2, s22
	s_delay_alu instid0(VALU_DEP_2)
	v_subrev_co_ci_u32_e32 v3, vcc_lo, s22, v3, vcc_lo
	s_cbranch_execnz .LBB62_126
.LBB62_125:                             ;   in Loop: Header=BB62_33 Depth=1
	v_cvt_f32_u32_e32 v2, s33
	s_sub_i32 s4, 0, s33
	s_delay_alu instid0(VALU_DEP_1) | instskip(SKIP_2) | instid1(VALU_DEP_1)
	v_rcp_iflag_f32_e32 v2, v2
	s_waitcnt_depctr 0xfff
	v_mul_f32_e32 v2, 0x4f7ffffe, v2
	v_cvt_u32_f32_e32 v2, v2
	s_delay_alu instid0(VALU_DEP_1) | instskip(NEXT) | instid1(VALU_DEP_1)
	v_mul_lo_u32 v3, s4, v2
	v_mul_hi_u32 v3, v2, v3
	s_delay_alu instid0(VALU_DEP_1) | instskip(NEXT) | instid1(VALU_DEP_1)
	v_add_nc_u32_e32 v2, v2, v3
	v_mul_hi_u32 v2, s21, v2
	s_delay_alu instid0(VALU_DEP_1) | instskip(NEXT) | instid1(VALU_DEP_1)
	v_mul_lo_u32 v2, v2, s33
	v_sub_nc_u32_e32 v2, s21, v2
	s_delay_alu instid0(VALU_DEP_1) | instskip(SKIP_1) | instid1(VALU_DEP_2)
	v_subrev_nc_u32_e32 v3, s33, v2
	v_cmp_le_u32_e32 vcc_lo, s33, v2
	v_cndmask_b32_e32 v2, v2, v3, vcc_lo
	s_delay_alu instid0(VALU_DEP_1) | instskip(SKIP_1) | instid1(VALU_DEP_2)
	v_subrev_nc_u32_e32 v3, s33, v2
	v_cmp_le_u32_e32 vcc_lo, s33, v2
	v_cndmask_b32_e32 v12, v2, v3, vcc_lo
	s_delay_alu instid0(VALU_DEP_1)
	v_dual_mov_b32 v2, v12 :: v_dual_mov_b32 v3, v13
.LBB62_126:                             ;   in Loop: Header=BB62_33 Depth=1
	s_delay_alu instid0(VALU_DEP_1) | instskip(NEXT) | instid1(VALU_DEP_2)
	v_sub_co_u32 v2, vcc_lo, s21, v2
	v_sub_co_ci_u32_e32 v3, vcc_lo, s5, v3, vcc_lo
	s_mov_b32 s4, 0
	s_mov_b32 s5, exec_lo
                                        ; implicit-def: $vgpr45
	s_delay_alu instid0(VALU_DEP_1)
	v_cmpx_gt_i64_e64 v[2:3], v[0:1]
	s_cbranch_execz .LBB62_135
; %bb.127:                              ;   in Loop: Header=BB62_33 Depth=1
	v_dual_mov_b32 v6, v34 :: v_dual_mov_b32 v5, v1
	v_mov_b32_e32 v4, v0
	s_mov_b32 s21, 0
                                        ; implicit-def: $sgpr22
	s_set_inst_prefetch_distance 0x1
	s_branch .LBB62_129
	.p2align	6
.LBB62_128:                             ;   in Loop: Header=BB62_129 Depth=2
	s_or_b32 exec_lo, exec_lo, s4
	s_waitcnt lgkmcnt(0)
	s_barrier
	buffer_gl0_inv
	ds_load_b32 v7, v13 offset:3072
	v_add_co_u32 v4, vcc_lo, v4, s33
	v_add_co_ci_u32_e32 v5, vcc_lo, 0, v5, vcc_lo
	v_add_nc_u32_e32 v6, s101, v6
	s_waitcnt lgkmcnt(0)
	s_barrier
	s_delay_alu instid0(VALU_DEP_2) | instskip(SKIP_2) | instid1(VALU_DEP_1)
	v_cmp_ge_i64_e32 vcc_lo, v[4:5], v[2:3]
	buffer_gl0_inv
	v_cmp_neq_f16_e64 s4, 0, v7
	s_or_b32 s23, s4, vcc_lo
	s_delay_alu instid0(SALU_CYCLE_1) | instskip(NEXT) | instid1(SALU_CYCLE_1)
	s_and_b32 s23, exec_lo, s23
	s_or_b32 s21, s23, s21
	s_and_not1_b32 s22, s22, exec_lo
	s_and_b32 s4, s4, exec_lo
	s_delay_alu instid0(SALU_CYCLE_1)
	s_or_b32 s22, s22, s4
	s_and_not1_b32 exec_lo, exec_lo, s21
	s_cbranch_execz .LBB62_134
.LBB62_129:                             ;   Parent Loop BB62_33 Depth=1
                                        ; =>  This Inner Loop Header: Depth=2
	s_delay_alu instid0(VALU_DEP_1)
	v_cmp_gt_i64_e32 vcc_lo, s[14:15], v[4:5]
	v_mov_b32_e32 v7, 0
	s_and_saveexec_b32 s4, vcc_lo
	s_cbranch_execz .LBB62_131
; %bb.130:                              ;   in Loop: Header=BB62_129 Depth=2
	ds_load_u16 v7, v6
.LBB62_131:                             ;   in Loop: Header=BB62_129 Depth=2
	s_or_b32 exec_lo, exec_lo, s4
	s_and_saveexec_b32 s4, vcc_lo
	s_cbranch_execz .LBB62_128
; %bb.132:                              ;   in Loop: Header=BB62_129 Depth=2
	s_waitcnt lgkmcnt(0)
	v_cmp_lt_i16_e32 vcc_lo, -1, v7
	v_and_b32_e32 v8, 0xffff, v7
	v_cndmask_b32_e32 v9, 0xffff, v43, vcc_lo
	v_cmp_o_f16_e32 vcc_lo, v7, v7
	s_delay_alu instid0(VALU_DEP_2) | instskip(NEXT) | instid1(VALU_DEP_1)
	v_xor_b32_e32 v8, v9, v8
	v_cndmask_b32_e32 v8, 0xffff, v8, vcc_lo
	s_delay_alu instid0(VALU_DEP_1) | instskip(NEXT) | instid1(VALU_DEP_1)
	v_and_b32_e32 v8, s58, v8
	v_cmp_eq_u32_e32 vcc_lo, s59, v8
	s_and_b32 exec_lo, exec_lo, vcc_lo
	s_cbranch_execz .LBB62_128
; %bb.133:                              ;   in Loop: Header=BB62_129 Depth=2
	v_perm_b32 v7, v7, s102, 0x5040100
	ds_store_b32 v13, v7 offset:3072
	s_branch .LBB62_128
.LBB62_134:                             ;   in Loop: Header=BB62_33 Depth=1
	s_set_inst_prefetch_distance 0x2
	s_or_b32 exec_lo, exec_lo, s21
	v_lshrrev_b32_e32 v45, 16, v7
	s_and_b32 s4, s22, exec_lo
.LBB62_135:                             ;   in Loop: Header=BB62_33 Depth=1
	s_or_b32 exec_lo, exec_lo, s5
	s_mov_b32 s22, -1
	s_mov_b32 s5, 0
	s_mov_b32 s21, 0
.LBB62_136:                             ;   in Loop: Header=BB62_33 Depth=1
	s_and_not1_b32 s14, s65, exec_lo
	s_and_b32 s5, s5, exec_lo
	s_and_not1_b32 s15, s56, exec_lo
	s_or_b32 s65, s14, s5
	s_and_not1_b32 s5, s57, exec_lo
	s_and_b32 s14, s22, exec_lo
	s_and_b32 s21, s21, exec_lo
	s_or_b32 s57, s5, s14
	s_or_b32 s56, s15, s21
	s_and_saveexec_b32 s14, s4
	s_cbranch_execz .LBB62_32
; %bb.137:                              ;   in Loop: Header=BB62_33 Depth=1
	s_xor_b32 s4, s20, -1
	s_mov_b32 s72, 1
	s_and_not1_b32 vcc_lo, exec_lo, s4
	s_cbranch_vccnz .LBB62_148
; %bb.138:                              ;   in Loop: Header=BB62_33 Depth=1
	v_cmp_gt_i64_e64 s4, s[26:27], s[12:13]
                                        ; implicit-def: $sgpr72
                                        ; implicit-def: $sgpr5
                                        ; implicit-def: $sgpr15
	s_delay_alu instid0(VALU_DEP_1)
	s_and_b32 vcc_lo, exec_lo, s4
	s_mov_b32 s4, -1
	s_cbranch_vccnz .LBB62_144
; %bb.139:                              ;   in Loop: Header=BB62_33 Depth=1
	ds_load_b64 v[2:3], v13 offset:5120
	s_waitcnt lgkmcnt(0)
	v_cmp_ne_u64_e32 vcc_lo, 0, v[2:3]
	s_cbranch_vccnz .LBB62_143
; %bb.140:                              ;   in Loop: Header=BB62_33 Depth=1
	s_and_saveexec_b32 s4, s0
	s_cbranch_execz .LBB62_142
; %bb.141:                              ;   in Loop: Header=BB62_33 Depth=1
	v_dual_mov_b32 v2, s12 :: v_dual_mov_b32 v3, s13
	ds_store_b64 v13, v[2:3] offset:5128
.LBB62_142:                             ;   in Loop: Header=BB62_33 Depth=1
	s_or_b32 exec_lo, exec_lo, s4
	s_waitcnt lgkmcnt(0)
	s_barrier
	buffer_gl0_inv
.LBB62_143:                             ;   in Loop: Header=BB62_33 Depth=1
	s_and_b32 s5, s59, s18
	s_or_b32 s15, s58, s16
	s_mov_b32 s4, 0
	s_mov_b32 s72, 8
.LBB62_144:                             ;   in Loop: Header=BB62_33 Depth=1
	s_and_not1_b32 vcc_lo, exec_lo, s4
	s_cbranch_vccnz .LBB62_146
; %bb.145:                              ;   in Loop: Header=BB62_33 Depth=1
	s_sub_u32 s26, s26, s12
	s_subb_u32 s27, s27, s13
	s_mov_b32 s4, -1
	s_mov_b32 s72, 0
	s_mov_b32 s5, s59
	;; [unrolled: 1-line block ×3, first 2 shown]
.LBB62_146:                             ;   in Loop: Header=BB62_33 Depth=1
	s_delay_alu instid0(SALU_CYCLE_1)
	s_mov_b32 s58, s15
	s_mov_b32 s59, s5
	s_and_b32 vcc_lo, exec_lo, s4
	s_mov_b32 s15, -1
	s_cbranch_vccnz .LBB62_149
.LBB62_147:                             ;   in Loop: Header=BB62_33 Depth=1
	s_mov_b32 s5, -1
                                        ; implicit-def: $sgpr19
                                        ; implicit-def: $sgpr21
                                        ; implicit-def: $sgpr20
	s_delay_alu instid0(SALU_CYCLE_1) | instskip(NEXT) | instid1(SALU_CYCLE_1)
	s_and_saveexec_b32 s4, s5
	s_xor_b32 s4, exec_lo, s4
	s_cbranch_execz .LBB62_31
	s_branch .LBB62_295
.LBB62_148:                             ;   in Loop: Header=BB62_33 Depth=1
	s_mov_b64 s[26:27], 1
	s_mov_b32 s15, -1
	s_branch .LBB62_147
.LBB62_149:                             ;   in Loop: Header=BB62_33 Depth=1
	s_cmp_eq_u64 s[10:11], 1
	s_cselect_b32 s4, -1, 0
	s_cmp_eq_u64 s[26:27], 1
	s_cselect_b32 s5, -1, 0
	s_delay_alu instid0(SALU_CYCLE_1)
	s_and_b32 s22, s4, s5
	s_mov_b32 s4, -1
	s_and_b32 vcc_lo, exec_lo, s22
	s_cbranch_vccz .LBB62_164
; %bb.150:                              ;   in Loop: Header=BB62_33 Depth=1
	ds_load_b64 v[2:3], v13 offset:5120
	s_waitcnt lgkmcnt(0)
	s_barrier
	buffer_gl0_inv
	v_readfirstlane_b32 s12, v2
	v_readfirstlane_b32 s13, v3
	s_and_saveexec_b32 s4, s3
	s_cbranch_execz .LBB62_152
; %bb.151:                              ;   in Loop: Header=BB62_33 Depth=1
	ds_store_b16 v35, v13
.LBB62_152:                             ;   in Loop: Header=BB62_33 Depth=1
	s_or_b32 exec_lo, exec_lo, s4
	s_delay_alu instid0(VALU_DEP_1)
	v_cmp_gt_i64_e64 s19, s[12:13], 0
	s_lshl_b32 s4, 1, s17
	s_and_b32 s5, s59, s18
	s_or_b32 s58, s58, s16
	s_or_b32 s59, s5, s4
	s_waitcnt lgkmcnt(0)
	s_and_b32 vcc_lo, exec_lo, s19
	s_barrier
	buffer_gl0_inv
	s_cbranch_vccnz .LBB62_167
; %bb.153:                              ;   in Loop: Header=BB62_33 Depth=1
	s_mov_b32 s72, s67
	s_delay_alu instid0(SALU_CYCLE_1)
	s_cmp_lg_u64 s[72:73], 0
	s_cbranch_scc0 .LBB62_212
; %bb.154:                              ;   in Loop: Header=BB62_33 Depth=1
	v_cvt_f32_u32_e32 v2, s33
	s_sub_u32 s19, 0, s33
	s_subb_u32 s20, 0, 0
	s_delay_alu instid0(VALU_DEP_1) | instskip(NEXT) | instid1(VALU_DEP_1)
	v_fmac_f32_e32 v2, 0x4f800000, v44
	v_rcp_f32_e32 v2, v2
	s_waitcnt_depctr 0xfff
	v_mul_f32_e32 v2, 0x5f7ffffc, v2
	s_delay_alu instid0(VALU_DEP_1) | instskip(NEXT) | instid1(VALU_DEP_1)
	v_mul_f32_e32 v3, 0x2f800000, v2
	v_trunc_f32_e32 v3, v3
	s_delay_alu instid0(VALU_DEP_1) | instskip(SKIP_1) | instid1(VALU_DEP_2)
	v_fmac_f32_e32 v2, 0xcf800000, v3
	v_cvt_u32_f32_e32 v3, v3
	v_cvt_u32_f32_e32 v2, v2
	s_delay_alu instid0(VALU_DEP_2) | instskip(NEXT) | instid1(VALU_DEP_2)
	v_readfirstlane_b32 s4, v3
	v_readfirstlane_b32 s5, v2
	s_delay_alu instid0(VALU_DEP_2) | instskip(NEXT) | instid1(VALU_DEP_1)
	s_mul_i32 s21, s19, s4
	s_mul_hi_u32 s44, s19, s5
	s_mul_i32 s23, s20, s5
	s_add_i32 s21, s44, s21
	s_mul_i32 s45, s19, s5
	s_add_i32 s21, s21, s23
	s_mul_hi_u32 s44, s5, s45
	s_mul_hi_u32 s46, s4, s45
	s_mul_i32 s23, s4, s45
	s_mul_hi_u32 s45, s5, s21
	s_mul_i32 s5, s5, s21
	s_mul_hi_u32 s47, s4, s21
	s_add_u32 s5, s44, s5
	s_addc_u32 s44, 0, s45
	s_add_u32 s5, s5, s23
	s_mul_i32 s21, s4, s21
	s_addc_u32 s5, s44, s46
	s_addc_u32 s23, s47, 0
	s_add_u32 s5, s5, s21
	s_addc_u32 s21, 0, s23
	v_add_co_u32 v2, s5, v2, s5
	s_delay_alu instid0(VALU_DEP_1) | instskip(SKIP_1) | instid1(VALU_DEP_1)
	s_cmp_lg_u32 s5, 0
	s_addc_u32 s4, s4, s21
	v_readfirstlane_b32 s5, v2
	s_mul_i32 s21, s19, s4
	s_delay_alu instid0(VALU_DEP_1)
	s_mul_hi_u32 s23, s19, s5
	s_mul_i32 s20, s20, s5
	s_add_i32 s21, s23, s21
	s_mul_i32 s19, s19, s5
	s_add_i32 s21, s21, s20
	s_mul_hi_u32 s23, s4, s19
	s_mul_i32 s44, s4, s19
	s_mul_hi_u32 s19, s5, s19
	s_mul_hi_u32 s45, s5, s21
	s_mul_i32 s5, s5, s21
	s_mul_hi_u32 s20, s4, s21
	s_add_u32 s5, s19, s5
	s_addc_u32 s19, 0, s45
	s_add_u32 s5, s5, s44
	s_mul_i32 s21, s4, s21
	s_addc_u32 s5, s19, s23
	s_addc_u32 s19, s20, 0
	s_add_u32 s5, s5, s21
	s_addc_u32 s19, 0, s19
	v_add_co_u32 v2, s5, v2, s5
	s_delay_alu instid0(VALU_DEP_1) | instskip(SKIP_2) | instid1(VALU_DEP_1)
	s_cmp_lg_u32 s5, 0
	s_addc_u32 s19, s4, s19
	s_ashr_i32 s20, s73, 31
	v_readfirstlane_b32 s23, v2
	s_add_u32 s4, s95, s20
	s_mov_b32 s21, s20
	s_addc_u32 s5, s73, s20
	s_delay_alu instid0(SALU_CYCLE_1) | instskip(NEXT) | instid1(SALU_CYCLE_1)
	s_xor_b64 s[4:5], s[4:5], s[20:21]
	s_mul_i32 s44, s4, s19
	s_mul_hi_u32 s45, s4, s23
	s_mul_hi_u32 s21, s4, s19
	;; [unrolled: 1-line block ×3, first 2 shown]
	s_mul_i32 s23, s5, s23
	s_add_u32 s44, s45, s44
	s_addc_u32 s21, 0, s21
	s_mul_hi_u32 s46, s5, s19
	s_add_u32 s23, s44, s23
	s_mul_i32 s19, s5, s19
	s_addc_u32 s21, s21, s47
	s_addc_u32 s23, s46, 0
	s_add_u32 s19, s21, s19
	s_addc_u32 s21, 0, s23
	s_mul_hi_u32 s23, s33, s19
	s_mul_i32 s19, s33, s19
	s_mul_i32 s21, s33, s21
	v_sub_co_u32 v2, s4, s4, s19
	s_add_i32 s23, s23, s21
	s_cmp_lg_u32 s4, 0
	s_delay_alu instid0(VALU_DEP_1) | instskip(SKIP_2) | instid1(VALU_DEP_1)
	v_sub_co_u32 v3, s4, v2, s33
	s_subb_u32 s5, s5, s23
	s_cmp_lg_u32 s4, 0
	v_cmp_le_u32_e32 vcc_lo, s33, v3
	v_sub_co_u32 v4, s4, v3, s33
	s_subb_u32 s19, s5, 0
	s_cmp_lg_u32 s4, 0
	v_cndmask_b32_e64 v5, 0, -1, vcc_lo
	s_subb_u32 s4, s19, 0
	s_cmp_eq_u32 s19, 0
	v_mov_b32_e32 v7, s4
	s_cselect_b32 vcc_lo, -1, 0
	s_cmp_eq_u32 s5, 0
	v_cndmask_b32_e32 v5, -1, v5, vcc_lo
	v_cmp_le_u32_e32 vcc_lo, s33, v2
	s_cselect_b32 s4, -1, 0
	v_cndmask_b32_e64 v6, 0, -1, vcc_lo
	s_delay_alu instid0(VALU_DEP_3) | instskip(NEXT) | instid1(VALU_DEP_2)
	v_cmp_ne_u32_e32 vcc_lo, 0, v5
	v_cndmask_b32_e64 v5, -1, v6, s4
	v_cndmask_b32_e32 v3, v3, v4, vcc_lo
	v_cndmask_b32_e32 v6, s19, v7, vcc_lo
	s_delay_alu instid0(VALU_DEP_3) | instskip(NEXT) | instid1(VALU_DEP_3)
	v_cmp_ne_u32_e32 vcc_lo, 0, v5
	v_cndmask_b32_e32 v2, v2, v3, vcc_lo
	s_delay_alu instid0(VALU_DEP_3) | instskip(NEXT) | instid1(VALU_DEP_2)
	v_cndmask_b32_e32 v4, s5, v6, vcc_lo
	v_xor_b32_e32 v2, s20, v2
	s_delay_alu instid0(VALU_DEP_2) | instskip(NEXT) | instid1(VALU_DEP_2)
	v_xor_b32_e32 v3, s20, v4
	v_sub_co_u32 v2, vcc_lo, v2, s20
	s_delay_alu instid0(VALU_DEP_2)
	v_subrev_co_ci_u32_e32 v3, vcc_lo, s20, v3, vcc_lo
	s_cbranch_execnz .LBB62_156
.LBB62_155:                             ;   in Loop: Header=BB62_33 Depth=1
	v_cvt_f32_u32_e32 v2, s33
	s_sub_i32 s4, 0, s33
	s_delay_alu instid0(VALU_DEP_1) | instskip(SKIP_2) | instid1(VALU_DEP_1)
	v_rcp_iflag_f32_e32 v2, v2
	s_waitcnt_depctr 0xfff
	v_mul_f32_e32 v2, 0x4f7ffffe, v2
	v_cvt_u32_f32_e32 v2, v2
	s_delay_alu instid0(VALU_DEP_1) | instskip(NEXT) | instid1(VALU_DEP_1)
	v_mul_lo_u32 v3, s4, v2
	v_mul_hi_u32 v3, v2, v3
	s_delay_alu instid0(VALU_DEP_1) | instskip(NEXT) | instid1(VALU_DEP_1)
	v_add_nc_u32_e32 v2, v2, v3
	v_mul_hi_u32 v2, s95, v2
	s_delay_alu instid0(VALU_DEP_1) | instskip(NEXT) | instid1(VALU_DEP_1)
	v_mul_lo_u32 v2, v2, s33
	v_sub_nc_u32_e32 v2, s95, v2
	s_delay_alu instid0(VALU_DEP_1) | instskip(SKIP_1) | instid1(VALU_DEP_2)
	v_subrev_nc_u32_e32 v3, s33, v2
	v_cmp_le_u32_e32 vcc_lo, s33, v2
	v_cndmask_b32_e32 v2, v2, v3, vcc_lo
	s_delay_alu instid0(VALU_DEP_1) | instskip(SKIP_1) | instid1(VALU_DEP_2)
	v_subrev_nc_u32_e32 v3, s33, v2
	v_cmp_le_u32_e32 vcc_lo, s33, v2
	v_cndmask_b32_e32 v12, v2, v3, vcc_lo
	s_delay_alu instid0(VALU_DEP_1)
	v_dual_mov_b32 v2, v12 :: v_dual_mov_b32 v3, v13
.LBB62_156:                             ;   in Loop: Header=BB62_33 Depth=1
	s_delay_alu instid0(VALU_DEP_1) | instskip(NEXT) | instid1(VALU_DEP_2)
	v_sub_co_u32 v2, vcc_lo, s95, v2
	v_sub_co_ci_u32_e32 v3, vcc_lo, s73, v3, vcc_lo
	s_mov_b32 s4, 0
	s_mov_b32 s5, exec_lo
                                        ; implicit-def: $vgpr45
	s_delay_alu instid0(VALU_DEP_1)
	v_cmpx_gt_i64_e64 v[2:3], v[0:1]
	s_cbranch_execz .LBB62_169
; %bb.157:                              ;   in Loop: Header=BB62_33 Depth=1
	v_dual_mov_b32 v4, v10 :: v_dual_mov_b32 v5, v11
	v_dual_mov_b32 v7, v1 :: v_dual_mov_b32 v6, v0
	s_mov_b32 s19, 0
                                        ; implicit-def: $sgpr20
	s_branch .LBB62_159
.LBB62_158:                             ;   in Loop: Header=BB62_159 Depth=2
	s_or_b32 exec_lo, exec_lo, s4
	s_waitcnt vmcnt(0) lgkmcnt(0)
	s_barrier
	buffer_gl0_inv
	ds_load_b32 v8, v13 offset:3072
	v_add_co_u32 v6, vcc_lo, v6, s33
	v_add_co_ci_u32_e32 v7, vcc_lo, 0, v7, vcc_lo
	s_waitcnt lgkmcnt(0)
	s_barrier
	buffer_gl0_inv
	v_cmp_ge_i64_e32 vcc_lo, v[6:7], v[2:3]
	v_cmp_neq_f16_e64 s4, 0, v8
	s_delay_alu instid0(VALU_DEP_1)
	s_or_b32 s21, s4, vcc_lo
	v_add_co_u32 v4, vcc_lo, v4, s68
	s_and_b32 s21, exec_lo, s21
	v_add_co_ci_u32_e32 v5, vcc_lo, s69, v5, vcc_lo
	s_or_b32 s19, s21, s19
	s_and_not1_b32 s20, s20, exec_lo
	s_and_b32 s4, s4, exec_lo
	s_delay_alu instid0(SALU_CYCLE_1)
	s_or_b32 s20, s20, s4
	s_and_not1_b32 exec_lo, exec_lo, s19
	s_cbranch_execz .LBB62_168
.LBB62_159:                             ;   Parent Loop BB62_33 Depth=1
                                        ; =>  This Inner Loop Header: Depth=2
	s_delay_alu instid0(VALU_DEP_1)
	v_cmp_gt_i64_e32 vcc_lo, s[24:25], v[6:7]
	v_mov_b32_e32 v8, 0
	s_and_saveexec_b32 s4, vcc_lo
	s_cbranch_execz .LBB62_161
; %bb.160:                              ;   in Loop: Header=BB62_159 Depth=2
	global_load_u16 v8, v[4:5], off
.LBB62_161:                             ;   in Loop: Header=BB62_159 Depth=2
	s_or_b32 exec_lo, exec_lo, s4
	s_and_saveexec_b32 s4, vcc_lo
	s_cbranch_execz .LBB62_158
; %bb.162:                              ;   in Loop: Header=BB62_159 Depth=2
	s_waitcnt vmcnt(0)
	v_cmp_lt_i16_e32 vcc_lo, -1, v8
	v_dual_cndmask_b32 v12, 0xffff, v43 :: v_dual_and_b32 v9, 0xffff, v8
	v_cmp_o_f16_e32 vcc_lo, v8, v8
	s_delay_alu instid0(VALU_DEP_2) | instskip(NEXT) | instid1(VALU_DEP_1)
	v_xor_b32_e32 v9, v12, v9
	v_cndmask_b32_e32 v9, 0xffff, v9, vcc_lo
	s_delay_alu instid0(VALU_DEP_1) | instskip(NEXT) | instid1(VALU_DEP_1)
	v_and_b32_e32 v9, s58, v9
	v_cmp_eq_u32_e32 vcc_lo, s59, v9
	s_and_b32 exec_lo, exec_lo, vcc_lo
	s_cbranch_execz .LBB62_158
; %bb.163:                              ;   in Loop: Header=BB62_159 Depth=2
	v_perm_b32 v8, v8, s102, 0x5040100
	ds_store_b32 v13, v8 offset:3072
	s_branch .LBB62_158
.LBB62_164:                             ;   in Loop: Header=BB62_33 Depth=1
                                        ; implicit-def: $sgpr20
                                        ; implicit-def: $sgpr21
                                        ; implicit-def: $sgpr19
	s_branch .LBB62_183
.LBB62_165:                             ;   in Loop: Header=BB62_33 Depth=1
                                        ; implicit-def: $vgpr2_vgpr3
	s_branch .LBB62_110
.LBB62_166:                             ;   in Loop: Header=BB62_33 Depth=1
                                        ; implicit-def: $vgpr2_vgpr3
	s_branch .LBB62_125
.LBB62_167:                             ;   in Loop: Header=BB62_33 Depth=1
	s_mov_b32 s20, -1
	s_mov_b32 s4, 0
                                        ; implicit-def: $sgpr19
                                        ; implicit-def: $vgpr45
	s_mov_b32 s21, s20
	s_cbranch_execnz .LBB62_170
	s_branch .LBB62_183
.LBB62_168:                             ;   in Loop: Header=BB62_33 Depth=1
	s_or_b32 exec_lo, exec_lo, s19
	v_lshrrev_b32_e32 v45, 16, v8
	s_and_b32 s4, s20, exec_lo
.LBB62_169:                             ;   in Loop: Header=BB62_33 Depth=1
	s_or_b32 exec_lo, exec_lo, s5
	s_mov_b32 s19, -1
	s_mov_b32 s20, 0
	s_delay_alu instid0(SALU_CYCLE_1)
	s_mov_b32 s21, s20
	s_branch .LBB62_183
.LBB62_170:                             ;   in Loop: Header=BB62_33 Depth=1
	s_add_u32 s19, s93, s12
	s_addc_u32 s5, s94, s13
	s_mov_b32 s4, s67
	s_delay_alu instid0(SALU_CYCLE_1)
	s_cmp_lg_u64 s[4:5], 0
	s_cbranch_scc0 .LBB62_213
; %bb.171:                              ;   in Loop: Header=BB62_33 Depth=1
	v_cvt_f32_u32_e32 v2, s33
	s_sub_u32 s21, 0, s33
	s_subb_u32 s23, 0, 0
	s_delay_alu instid0(VALU_DEP_1) | instskip(NEXT) | instid1(VALU_DEP_1)
	v_fmac_f32_e32 v2, 0x4f800000, v44
	v_rcp_f32_e32 v2, v2
	s_waitcnt_depctr 0xfff
	v_mul_f32_e32 v2, 0x5f7ffffc, v2
	s_delay_alu instid0(VALU_DEP_1) | instskip(NEXT) | instid1(VALU_DEP_1)
	v_mul_f32_e32 v3, 0x2f800000, v2
	v_trunc_f32_e32 v3, v3
	s_delay_alu instid0(VALU_DEP_1) | instskip(SKIP_1) | instid1(VALU_DEP_2)
	v_fmac_f32_e32 v2, 0xcf800000, v3
	v_cvt_u32_f32_e32 v3, v3
	v_cvt_u32_f32_e32 v2, v2
	s_delay_alu instid0(VALU_DEP_2) | instskip(NEXT) | instid1(VALU_DEP_2)
	v_readfirstlane_b32 s4, v3
	v_readfirstlane_b32 s20, v2
	s_delay_alu instid0(VALU_DEP_2) | instskip(NEXT) | instid1(VALU_DEP_1)
	s_mul_i32 s44, s21, s4
	s_mul_hi_u32 s46, s21, s20
	s_mul_i32 s45, s23, s20
	s_add_i32 s44, s46, s44
	s_mul_i32 s47, s21, s20
	s_add_i32 s44, s44, s45
	s_mul_hi_u32 s46, s20, s47
	s_mul_hi_u32 s66, s4, s47
	s_mul_i32 s45, s4, s47
	s_mul_hi_u32 s47, s20, s44
	s_mul_i32 s20, s20, s44
	s_mul_hi_u32 s72, s4, s44
	s_add_u32 s20, s46, s20
	s_addc_u32 s46, 0, s47
	s_add_u32 s20, s20, s45
	s_mul_i32 s44, s4, s44
	s_addc_u32 s20, s46, s66
	s_addc_u32 s45, s72, 0
	s_add_u32 s20, s20, s44
	s_addc_u32 s44, 0, s45
	v_add_co_u32 v2, s20, v2, s20
	s_delay_alu instid0(VALU_DEP_1) | instskip(SKIP_1) | instid1(VALU_DEP_1)
	s_cmp_lg_u32 s20, 0
	s_addc_u32 s4, s4, s44
	v_readfirstlane_b32 s20, v2
	s_mul_i32 s44, s21, s4
	s_delay_alu instid0(VALU_DEP_1)
	s_mul_hi_u32 s45, s21, s20
	s_mul_i32 s23, s23, s20
	s_add_i32 s44, s45, s44
	s_mul_i32 s21, s21, s20
	s_add_i32 s44, s44, s23
	s_mul_hi_u32 s45, s4, s21
	s_mul_i32 s46, s4, s21
	s_mul_hi_u32 s21, s20, s21
	s_mul_hi_u32 s47, s20, s44
	s_mul_i32 s20, s20, s44
	s_mul_hi_u32 s23, s4, s44
	s_add_u32 s20, s21, s20
	s_addc_u32 s21, 0, s47
	s_add_u32 s20, s20, s46
	s_mul_i32 s44, s4, s44
	s_addc_u32 s20, s21, s45
	s_addc_u32 s21, s23, 0
	s_add_u32 s20, s20, s44
	s_addc_u32 s21, 0, s21
	v_add_co_u32 v2, s20, v2, s20
	s_delay_alu instid0(VALU_DEP_1) | instskip(SKIP_2) | instid1(VALU_DEP_1)
	s_cmp_lg_u32 s20, 0
	s_addc_u32 s4, s4, s21
	s_ashr_i32 s20, s5, 31
	v_readfirstlane_b32 s23, v2
	s_add_u32 s44, s19, s20
	s_mov_b32 s21, s20
	s_addc_u32 s45, s5, s20
	s_delay_alu instid0(SALU_CYCLE_1) | instskip(NEXT) | instid1(SALU_CYCLE_1)
	s_xor_b64 s[44:45], s[44:45], s[20:21]
	s_mul_i32 s46, s44, s4
	s_mul_hi_u32 s47, s44, s23
	s_mul_hi_u32 s21, s44, s4
	;; [unrolled: 1-line block ×3, first 2 shown]
	s_mul_i32 s23, s45, s23
	s_add_u32 s46, s47, s46
	s_addc_u32 s21, 0, s21
	s_mul_hi_u32 s66, s45, s4
	s_add_u32 s23, s46, s23
	s_mul_i32 s4, s45, s4
	s_addc_u32 s21, s21, s72
	s_addc_u32 s23, s66, 0
	s_add_u32 s4, s21, s4
	s_addc_u32 s21, 0, s23
	s_mul_hi_u32 s23, s33, s4
	s_mul_i32 s4, s33, s4
	s_mul_i32 s21, s33, s21
	v_sub_co_u32 v2, s4, s44, s4
	s_add_i32 s23, s23, s21
	s_cmp_lg_u32 s4, 0
	s_delay_alu instid0(VALU_DEP_1) | instskip(SKIP_2) | instid1(VALU_DEP_1)
	v_sub_co_u32 v3, s4, v2, s33
	s_subb_u32 s21, s45, s23
	s_cmp_lg_u32 s4, 0
	v_cmp_le_u32_e32 vcc_lo, s33, v3
	v_sub_co_u32 v4, s4, v3, s33
	s_subb_u32 s23, s21, 0
	s_cmp_lg_u32 s4, 0
	v_cmp_le_u32_e64 s4, s33, v2
	s_subb_u32 s44, s23, 0
	v_cndmask_b32_e64 v5, 0, -1, vcc_lo
	s_cmp_eq_u32 s23, 0
	s_cselect_b32 vcc_lo, -1, 0
	v_cndmask_b32_e64 v6, 0, -1, s4
	s_delay_alu instid0(VALU_DEP_2) | instskip(SKIP_2) | instid1(VALU_DEP_1)
	v_cndmask_b32_e32 v5, -1, v5, vcc_lo
	s_cmp_eq_u32 s21, 0
	s_cselect_b32 vcc_lo, -1, 0
	v_cmp_ne_u32_e64 s4, 0, v5
	v_dual_cndmask_b32 v5, -1, v6 :: v_dual_mov_b32 v6, s44
	s_delay_alu instid0(VALU_DEP_2) | instskip(NEXT) | instid1(VALU_DEP_2)
	v_cndmask_b32_e64 v3, v3, v4, s4
	v_cmp_ne_u32_e32 vcc_lo, 0, v5
	s_delay_alu instid0(VALU_DEP_3) | instskip(NEXT) | instid1(VALU_DEP_3)
	v_cndmask_b32_e64 v4, s23, v6, s4
	v_cndmask_b32_e32 v2, v2, v3, vcc_lo
	s_delay_alu instid0(VALU_DEP_2) | instskip(NEXT) | instid1(VALU_DEP_2)
	v_cndmask_b32_e32 v3, s21, v4, vcc_lo
	v_xor_b32_e32 v2, s20, v2
	s_delay_alu instid0(VALU_DEP_2) | instskip(NEXT) | instid1(VALU_DEP_2)
	v_xor_b32_e32 v3, s20, v3
	v_sub_co_u32 v2, vcc_lo, v2, s20
	s_delay_alu instid0(VALU_DEP_2)
	v_subrev_co_ci_u32_e32 v3, vcc_lo, s20, v3, vcc_lo
	s_cbranch_execnz .LBB62_173
.LBB62_172:                             ;   in Loop: Header=BB62_33 Depth=1
	v_cvt_f32_u32_e32 v2, s33
	s_sub_i32 s4, 0, s33
	s_delay_alu instid0(VALU_DEP_1) | instskip(SKIP_2) | instid1(VALU_DEP_1)
	v_rcp_iflag_f32_e32 v2, v2
	s_waitcnt_depctr 0xfff
	v_mul_f32_e32 v2, 0x4f7ffffe, v2
	v_cvt_u32_f32_e32 v2, v2
	s_delay_alu instid0(VALU_DEP_1) | instskip(NEXT) | instid1(VALU_DEP_1)
	v_mul_lo_u32 v3, s4, v2
	v_mul_hi_u32 v3, v2, v3
	s_delay_alu instid0(VALU_DEP_1) | instskip(NEXT) | instid1(VALU_DEP_1)
	v_add_nc_u32_e32 v2, v2, v3
	v_mul_hi_u32 v2, s19, v2
	s_delay_alu instid0(VALU_DEP_1) | instskip(NEXT) | instid1(VALU_DEP_1)
	v_mul_lo_u32 v2, v2, s33
	v_sub_nc_u32_e32 v2, s19, v2
	s_delay_alu instid0(VALU_DEP_1) | instskip(SKIP_1) | instid1(VALU_DEP_2)
	v_subrev_nc_u32_e32 v3, s33, v2
	v_cmp_le_u32_e32 vcc_lo, s33, v2
	v_cndmask_b32_e32 v2, v2, v3, vcc_lo
	s_delay_alu instid0(VALU_DEP_1) | instskip(SKIP_1) | instid1(VALU_DEP_2)
	v_subrev_nc_u32_e32 v3, s33, v2
	v_cmp_le_u32_e32 vcc_lo, s33, v2
	v_cndmask_b32_e32 v12, v2, v3, vcc_lo
	s_delay_alu instid0(VALU_DEP_1)
	v_dual_mov_b32 v2, v12 :: v_dual_mov_b32 v3, v13
.LBB62_173:                             ;   in Loop: Header=BB62_33 Depth=1
	s_delay_alu instid0(VALU_DEP_1) | instskip(NEXT) | instid1(VALU_DEP_2)
	v_sub_co_u32 v2, vcc_lo, s19, v2
	v_sub_co_ci_u32_e32 v3, vcc_lo, s5, v3, vcc_lo
	s_mov_b32 s4, 0
	s_mov_b32 s5, exec_lo
                                        ; implicit-def: $vgpr45
	s_delay_alu instid0(VALU_DEP_1)
	v_cmpx_gt_i64_e64 v[2:3], v[0:1]
	s_cbranch_execz .LBB62_182
; %bb.174:                              ;   in Loop: Header=BB62_33 Depth=1
	v_dual_mov_b32 v6, v34 :: v_dual_mov_b32 v5, v1
	v_mov_b32_e32 v4, v0
	s_mov_b32 s19, 0
                                        ; implicit-def: $sgpr20
	s_set_inst_prefetch_distance 0x1
	s_branch .LBB62_176
	.p2align	6
.LBB62_175:                             ;   in Loop: Header=BB62_176 Depth=2
	s_or_b32 exec_lo, exec_lo, s4
	s_waitcnt lgkmcnt(0)
	s_barrier
	buffer_gl0_inv
	ds_load_b32 v7, v13 offset:3072
	v_add_co_u32 v4, vcc_lo, v4, s33
	v_add_co_ci_u32_e32 v5, vcc_lo, 0, v5, vcc_lo
	v_add_nc_u32_e32 v6, s101, v6
	s_waitcnt lgkmcnt(0)
	s_barrier
	s_delay_alu instid0(VALU_DEP_2) | instskip(SKIP_2) | instid1(VALU_DEP_1)
	v_cmp_ge_i64_e32 vcc_lo, v[4:5], v[2:3]
	buffer_gl0_inv
	v_cmp_neq_f16_e64 s4, 0, v7
	s_or_b32 s21, s4, vcc_lo
	s_delay_alu instid0(SALU_CYCLE_1) | instskip(NEXT) | instid1(SALU_CYCLE_1)
	s_and_b32 s21, exec_lo, s21
	s_or_b32 s19, s21, s19
	s_and_not1_b32 s20, s20, exec_lo
	s_and_b32 s4, s4, exec_lo
	s_delay_alu instid0(SALU_CYCLE_1)
	s_or_b32 s20, s20, s4
	s_and_not1_b32 exec_lo, exec_lo, s19
	s_cbranch_execz .LBB62_181
.LBB62_176:                             ;   Parent Loop BB62_33 Depth=1
                                        ; =>  This Inner Loop Header: Depth=2
	s_delay_alu instid0(VALU_DEP_1)
	v_cmp_gt_i64_e32 vcc_lo, s[12:13], v[4:5]
	v_mov_b32_e32 v7, 0
	s_and_saveexec_b32 s4, vcc_lo
	s_cbranch_execz .LBB62_178
; %bb.177:                              ;   in Loop: Header=BB62_176 Depth=2
	ds_load_u16 v7, v6
.LBB62_178:                             ;   in Loop: Header=BB62_176 Depth=2
	s_or_b32 exec_lo, exec_lo, s4
	s_and_saveexec_b32 s4, vcc_lo
	s_cbranch_execz .LBB62_175
; %bb.179:                              ;   in Loop: Header=BB62_176 Depth=2
	s_waitcnt lgkmcnt(0)
	v_cmp_lt_i16_e32 vcc_lo, -1, v7
	v_and_b32_e32 v8, 0xffff, v7
	v_cndmask_b32_e32 v9, 0xffff, v43, vcc_lo
	v_cmp_o_f16_e32 vcc_lo, v7, v7
	s_delay_alu instid0(VALU_DEP_2) | instskip(NEXT) | instid1(VALU_DEP_1)
	v_xor_b32_e32 v8, v9, v8
	v_cndmask_b32_e32 v8, 0xffff, v8, vcc_lo
	s_delay_alu instid0(VALU_DEP_1) | instskip(NEXT) | instid1(VALU_DEP_1)
	v_and_b32_e32 v8, s58, v8
	v_cmp_eq_u32_e32 vcc_lo, s59, v8
	s_and_b32 exec_lo, exec_lo, vcc_lo
	s_cbranch_execz .LBB62_175
; %bb.180:                              ;   in Loop: Header=BB62_176 Depth=2
	v_perm_b32 v7, v7, s102, 0x5040100
	ds_store_b32 v13, v7 offset:3072
	s_branch .LBB62_175
.LBB62_181:                             ;   in Loop: Header=BB62_33 Depth=1
	s_set_inst_prefetch_distance 0x2
	s_or_b32 exec_lo, exec_lo, s19
	v_lshrrev_b32_e32 v45, 16, v7
	s_and_b32 s4, s20, exec_lo
.LBB62_182:                             ;   in Loop: Header=BB62_33 Depth=1
	s_or_b32 exec_lo, exec_lo, s5
	s_mov_b32 s21, -1
	s_mov_b32 s20, 0
	s_mov_b32 s19, 0
.LBB62_183:                             ;   in Loop: Header=BB62_33 Depth=1
	s_mov_b32 s5, 0
                                        ; implicit-def: $sgpr72
	s_and_saveexec_b32 s12, s4
	s_cbranch_execz .LBB62_294
; %bb.184:                              ;   in Loop: Header=BB62_33 Depth=1
	s_xor_b32 s4, s22, -1
	s_mov_b32 s72, 1
	s_and_not1_b32 vcc_lo, exec_lo, s4
	s_cbranch_vccnz .LBB62_195
; %bb.185:                              ;   in Loop: Header=BB62_33 Depth=1
	v_cmp_gt_i64_e64 s4, s[26:27], s[10:11]
                                        ; implicit-def: $sgpr72
                                        ; implicit-def: $sgpr5
                                        ; implicit-def: $sgpr13
	s_delay_alu instid0(VALU_DEP_1)
	s_and_b32 vcc_lo, exec_lo, s4
	s_mov_b32 s4, -1
	s_cbranch_vccnz .LBB62_191
; %bb.186:                              ;   in Loop: Header=BB62_33 Depth=1
	ds_load_b64 v[2:3], v13 offset:5120
	s_waitcnt lgkmcnt(0)
	v_cmp_ne_u64_e32 vcc_lo, 0, v[2:3]
	s_cbranch_vccnz .LBB62_190
; %bb.187:                              ;   in Loop: Header=BB62_33 Depth=1
	s_and_saveexec_b32 s4, s0
	s_cbranch_execz .LBB62_189
; %bb.188:                              ;   in Loop: Header=BB62_33 Depth=1
	v_dual_mov_b32 v2, s10 :: v_dual_mov_b32 v3, s11
	ds_store_b64 v13, v[2:3] offset:5128
.LBB62_189:                             ;   in Loop: Header=BB62_33 Depth=1
	s_or_b32 exec_lo, exec_lo, s4
	s_waitcnt lgkmcnt(0)
	s_barrier
	buffer_gl0_inv
.LBB62_190:                             ;   in Loop: Header=BB62_33 Depth=1
	s_lshl_b32 s4, 1, s17
	s_and_b32 s5, s59, s18
	s_or_b32 s13, s58, s16
	s_or_b32 s5, s5, s4
	s_mov_b32 s4, 0
	s_mov_b32 s72, 8
.LBB62_191:                             ;   in Loop: Header=BB62_33 Depth=1
	s_and_not1_b32 vcc_lo, exec_lo, s4
	s_cbranch_vccnz .LBB62_193
; %bb.192:                              ;   in Loop: Header=BB62_33 Depth=1
	s_sub_u32 s26, s26, s10
	s_subb_u32 s27, s27, s11
	s_mov_b32 s4, -1
	s_mov_b32 s72, 0
	s_mov_b32 s5, s59
	;; [unrolled: 1-line block ×3, first 2 shown]
.LBB62_193:                             ;   in Loop: Header=BB62_33 Depth=1
	s_delay_alu instid0(SALU_CYCLE_1)
	s_mov_b32 s58, s13
	s_mov_b32 s59, s5
	s_and_not1_b32 vcc_lo, exec_lo, s4
	s_mov_b32 s5, -1
	s_cbranch_vccz .LBB62_196
.LBB62_194:                             ;   in Loop: Header=BB62_33 Depth=1
                                        ; implicit-def: $sgpr22
                                        ; implicit-def: $sgpr23
                                        ; implicit-def: $sgpr13
	s_branch .LBB62_293
.LBB62_195:                             ;   in Loop: Header=BB62_33 Depth=1
	s_mov_b64 s[26:27], 1
	s_mov_b32 s5, -1
	s_cbranch_execnz .LBB62_194
.LBB62_196:                             ;   in Loop: Header=BB62_33 Depth=1
	s_cmp_eq_u64 s[8:9], 1
	s_cselect_b32 s4, -1, 0
	s_cmp_eq_u64 s[26:27], 1
	s_cselect_b32 s5, -1, 0
	s_delay_alu instid0(SALU_CYCLE_1)
	s_and_b32 s66, s4, s5
	s_mov_b32 s4, -1
	s_and_b32 vcc_lo, exec_lo, s66
	s_cbranch_vccz .LBB62_211
; %bb.197:                              ;   in Loop: Header=BB62_33 Depth=1
	ds_load_b64 v[2:3], v13 offset:5120
	s_waitcnt lgkmcnt(0)
	s_barrier
	buffer_gl0_inv
	v_readfirstlane_b32 s10, v2
	v_readfirstlane_b32 s11, v3
	s_and_saveexec_b32 s4, s3
	s_cbranch_execz .LBB62_199
; %bb.198:                              ;   in Loop: Header=BB62_33 Depth=1
	ds_store_b16 v35, v13
.LBB62_199:                             ;   in Loop: Header=BB62_33 Depth=1
	s_or_b32 exec_lo, exec_lo, s4
	s_delay_alu instid0(VALU_DEP_1)
	v_cmp_gt_i64_e64 s13, s[10:11], 0
	s_lshl_b32 s4, 2, s17
	s_and_b32 s5, s59, s18
	s_or_b32 s58, s58, s16
	s_or_b32 s59, s5, s4
	s_waitcnt lgkmcnt(0)
	s_and_b32 vcc_lo, exec_lo, s13
	s_barrier
	buffer_gl0_inv
	s_cbranch_vccnz .LBB62_214
; %bb.200:                              ;   in Loop: Header=BB62_33 Depth=1
	s_mov_b32 s72, s67
	s_delay_alu instid0(SALU_CYCLE_1)
	s_cmp_lg_u64 s[72:73], 0
	s_cbranch_scc0 .LBB62_259
; %bb.201:                              ;   in Loop: Header=BB62_33 Depth=1
	v_cvt_f32_u32_e32 v2, s33
	s_sub_u32 s13, 0, s33
	s_subb_u32 s22, 0, 0
	s_delay_alu instid0(VALU_DEP_1) | instskip(NEXT) | instid1(VALU_DEP_1)
	v_fmac_f32_e32 v2, 0x4f800000, v44
	v_rcp_f32_e32 v2, v2
	s_waitcnt_depctr 0xfff
	v_mul_f32_e32 v2, 0x5f7ffffc, v2
	s_delay_alu instid0(VALU_DEP_1) | instskip(NEXT) | instid1(VALU_DEP_1)
	v_mul_f32_e32 v3, 0x2f800000, v2
	v_trunc_f32_e32 v3, v3
	s_delay_alu instid0(VALU_DEP_1) | instskip(SKIP_1) | instid1(VALU_DEP_2)
	v_fmac_f32_e32 v2, 0xcf800000, v3
	v_cvt_u32_f32_e32 v3, v3
	v_cvt_u32_f32_e32 v2, v2
	s_delay_alu instid0(VALU_DEP_2) | instskip(NEXT) | instid1(VALU_DEP_2)
	v_readfirstlane_b32 s4, v3
	v_readfirstlane_b32 s5, v2
	s_delay_alu instid0(VALU_DEP_2) | instskip(NEXT) | instid1(VALU_DEP_1)
	s_mul_i32 s23, s13, s4
	s_mul_hi_u32 s45, s13, s5
	s_mul_i32 s44, s22, s5
	s_add_i32 s23, s45, s23
	s_mul_i32 s46, s13, s5
	s_add_i32 s23, s23, s44
	s_mul_hi_u32 s45, s5, s46
	s_mul_hi_u32 s47, s4, s46
	s_mul_i32 s44, s4, s46
	s_mul_hi_u32 s46, s5, s23
	s_mul_i32 s5, s5, s23
	s_mul_hi_u32 s72, s4, s23
	s_add_u32 s5, s45, s5
	s_addc_u32 s45, 0, s46
	s_add_u32 s5, s5, s44
	s_mul_i32 s23, s4, s23
	s_addc_u32 s5, s45, s47
	s_addc_u32 s44, s72, 0
	s_add_u32 s5, s5, s23
	s_addc_u32 s23, 0, s44
	v_add_co_u32 v2, s5, v2, s5
	s_delay_alu instid0(VALU_DEP_1) | instskip(SKIP_1) | instid1(VALU_DEP_1)
	s_cmp_lg_u32 s5, 0
	s_addc_u32 s4, s4, s23
	v_readfirstlane_b32 s5, v2
	s_mul_i32 s23, s13, s4
	s_delay_alu instid0(VALU_DEP_1)
	s_mul_hi_u32 s44, s13, s5
	s_mul_i32 s22, s22, s5
	s_add_i32 s23, s44, s23
	s_mul_i32 s13, s13, s5
	s_add_i32 s23, s23, s22
	s_mul_hi_u32 s44, s4, s13
	s_mul_i32 s45, s4, s13
	s_mul_hi_u32 s13, s5, s13
	s_mul_hi_u32 s46, s5, s23
	s_mul_i32 s5, s5, s23
	s_mul_hi_u32 s22, s4, s23
	s_add_u32 s5, s13, s5
	s_addc_u32 s13, 0, s46
	s_add_u32 s5, s5, s45
	s_mul_i32 s23, s4, s23
	s_addc_u32 s5, s13, s44
	s_addc_u32 s13, s22, 0
	s_add_u32 s5, s5, s23
	s_addc_u32 s13, 0, s13
	v_add_co_u32 v2, s5, v2, s5
	s_delay_alu instid0(VALU_DEP_1) | instskip(SKIP_2) | instid1(VALU_DEP_1)
	s_cmp_lg_u32 s5, 0
	s_addc_u32 s13, s4, s13
	s_ashr_i32 s22, s73, 31
	v_readfirstlane_b32 s44, v2
	s_add_u32 s4, s95, s22
	s_mov_b32 s23, s22
	s_addc_u32 s5, s73, s22
	s_delay_alu instid0(SALU_CYCLE_1) | instskip(NEXT) | instid1(SALU_CYCLE_1)
	s_xor_b64 s[4:5], s[4:5], s[22:23]
	s_mul_i32 s45, s4, s13
	s_mul_hi_u32 s46, s4, s44
	s_mul_hi_u32 s23, s4, s13
	;; [unrolled: 1-line block ×3, first 2 shown]
	s_mul_i32 s44, s5, s44
	s_add_u32 s45, s46, s45
	s_addc_u32 s23, 0, s23
	s_mul_hi_u32 s47, s5, s13
	s_add_u32 s44, s45, s44
	s_mul_i32 s13, s5, s13
	s_addc_u32 s23, s23, s72
	s_addc_u32 s44, s47, 0
	s_add_u32 s13, s23, s13
	s_addc_u32 s23, 0, s44
	s_mul_hi_u32 s44, s33, s13
	s_mul_i32 s13, s33, s13
	s_mul_i32 s23, s33, s23
	v_sub_co_u32 v2, s4, s4, s13
	s_add_i32 s44, s44, s23
	s_cmp_lg_u32 s4, 0
	s_delay_alu instid0(VALU_DEP_1) | instskip(SKIP_2) | instid1(VALU_DEP_1)
	v_sub_co_u32 v3, s4, v2, s33
	s_subb_u32 s5, s5, s44
	s_cmp_lg_u32 s4, 0
	v_cmp_le_u32_e32 vcc_lo, s33, v3
	v_sub_co_u32 v4, s4, v3, s33
	s_subb_u32 s13, s5, 0
	s_cmp_lg_u32 s4, 0
	v_cmp_le_u32_e64 s4, s33, v2
	s_subb_u32 s23, s13, 0
	v_cndmask_b32_e64 v5, 0, -1, vcc_lo
	s_cmp_eq_u32 s13, 0
	s_cselect_b32 vcc_lo, -1, 0
	v_cndmask_b32_e64 v6, 0, -1, s4
	s_delay_alu instid0(VALU_DEP_2) | instskip(SKIP_2) | instid1(VALU_DEP_1)
	v_cndmask_b32_e32 v5, -1, v5, vcc_lo
	s_cmp_eq_u32 s5, 0
	s_cselect_b32 vcc_lo, -1, 0
	v_cmp_ne_u32_e64 s4, 0, v5
	v_dual_cndmask_b32 v5, -1, v6 :: v_dual_mov_b32 v6, s23
	s_delay_alu instid0(VALU_DEP_2) | instskip(NEXT) | instid1(VALU_DEP_2)
	v_cndmask_b32_e64 v3, v3, v4, s4
	v_cmp_ne_u32_e32 vcc_lo, 0, v5
	s_delay_alu instid0(VALU_DEP_3) | instskip(NEXT) | instid1(VALU_DEP_3)
	v_cndmask_b32_e64 v4, s13, v6, s4
	v_cndmask_b32_e32 v2, v2, v3, vcc_lo
	s_delay_alu instid0(VALU_DEP_2) | instskip(NEXT) | instid1(VALU_DEP_2)
	v_cndmask_b32_e32 v3, s5, v4, vcc_lo
	v_xor_b32_e32 v2, s22, v2
	s_delay_alu instid0(VALU_DEP_2) | instskip(NEXT) | instid1(VALU_DEP_2)
	v_xor_b32_e32 v3, s22, v3
	v_sub_co_u32 v2, vcc_lo, v2, s22
	s_delay_alu instid0(VALU_DEP_2)
	v_subrev_co_ci_u32_e32 v3, vcc_lo, s22, v3, vcc_lo
	s_cbranch_execnz .LBB62_203
.LBB62_202:                             ;   in Loop: Header=BB62_33 Depth=1
	v_cvt_f32_u32_e32 v2, s33
	s_sub_i32 s4, 0, s33
	s_delay_alu instid0(VALU_DEP_1) | instskip(SKIP_2) | instid1(VALU_DEP_1)
	v_rcp_iflag_f32_e32 v2, v2
	s_waitcnt_depctr 0xfff
	v_mul_f32_e32 v2, 0x4f7ffffe, v2
	v_cvt_u32_f32_e32 v2, v2
	s_delay_alu instid0(VALU_DEP_1) | instskip(NEXT) | instid1(VALU_DEP_1)
	v_mul_lo_u32 v3, s4, v2
	v_mul_hi_u32 v3, v2, v3
	s_delay_alu instid0(VALU_DEP_1) | instskip(NEXT) | instid1(VALU_DEP_1)
	v_add_nc_u32_e32 v2, v2, v3
	v_mul_hi_u32 v2, s95, v2
	s_delay_alu instid0(VALU_DEP_1) | instskip(NEXT) | instid1(VALU_DEP_1)
	v_mul_lo_u32 v2, v2, s33
	v_sub_nc_u32_e32 v2, s95, v2
	s_delay_alu instid0(VALU_DEP_1) | instskip(SKIP_1) | instid1(VALU_DEP_2)
	v_subrev_nc_u32_e32 v3, s33, v2
	v_cmp_le_u32_e32 vcc_lo, s33, v2
	v_cndmask_b32_e32 v2, v2, v3, vcc_lo
	s_delay_alu instid0(VALU_DEP_1) | instskip(SKIP_1) | instid1(VALU_DEP_2)
	v_subrev_nc_u32_e32 v3, s33, v2
	v_cmp_le_u32_e32 vcc_lo, s33, v2
	v_cndmask_b32_e32 v12, v2, v3, vcc_lo
	s_delay_alu instid0(VALU_DEP_1)
	v_dual_mov_b32 v2, v12 :: v_dual_mov_b32 v3, v13
.LBB62_203:                             ;   in Loop: Header=BB62_33 Depth=1
	s_delay_alu instid0(VALU_DEP_1) | instskip(NEXT) | instid1(VALU_DEP_2)
	v_sub_co_u32 v2, vcc_lo, s95, v2
	v_sub_co_ci_u32_e32 v3, vcc_lo, s73, v3, vcc_lo
	s_mov_b32 s4, 0
	s_mov_b32 s5, exec_lo
                                        ; implicit-def: $vgpr45
	s_delay_alu instid0(VALU_DEP_1)
	v_cmpx_gt_i64_e64 v[2:3], v[0:1]
	s_cbranch_execz .LBB62_216
; %bb.204:                              ;   in Loop: Header=BB62_33 Depth=1
	v_dual_mov_b32 v4, v10 :: v_dual_mov_b32 v5, v11
	v_dual_mov_b32 v7, v1 :: v_dual_mov_b32 v6, v0
	s_mov_b32 s13, 0
                                        ; implicit-def: $sgpr22
	s_branch .LBB62_206
.LBB62_205:                             ;   in Loop: Header=BB62_206 Depth=2
	s_or_b32 exec_lo, exec_lo, s4
	s_waitcnt vmcnt(0) lgkmcnt(0)
	s_barrier
	buffer_gl0_inv
	ds_load_b32 v8, v13 offset:3072
	v_add_co_u32 v6, vcc_lo, v6, s33
	v_add_co_ci_u32_e32 v7, vcc_lo, 0, v7, vcc_lo
	s_waitcnt lgkmcnt(0)
	s_barrier
	buffer_gl0_inv
	v_cmp_ge_i64_e32 vcc_lo, v[6:7], v[2:3]
	v_cmp_neq_f16_e64 s4, 0, v8
	s_delay_alu instid0(VALU_DEP_1)
	s_or_b32 s23, s4, vcc_lo
	v_add_co_u32 v4, vcc_lo, v4, s68
	s_and_b32 s23, exec_lo, s23
	v_add_co_ci_u32_e32 v5, vcc_lo, s69, v5, vcc_lo
	s_or_b32 s13, s23, s13
	s_and_not1_b32 s22, s22, exec_lo
	s_and_b32 s4, s4, exec_lo
	s_delay_alu instid0(SALU_CYCLE_1)
	s_or_b32 s22, s22, s4
	s_and_not1_b32 exec_lo, exec_lo, s13
	s_cbranch_execz .LBB62_215
.LBB62_206:                             ;   Parent Loop BB62_33 Depth=1
                                        ; =>  This Inner Loop Header: Depth=2
	s_delay_alu instid0(VALU_DEP_1)
	v_cmp_gt_i64_e32 vcc_lo, s[24:25], v[6:7]
	v_mov_b32_e32 v8, 0
	s_and_saveexec_b32 s4, vcc_lo
	s_cbranch_execz .LBB62_208
; %bb.207:                              ;   in Loop: Header=BB62_206 Depth=2
	global_load_u16 v8, v[4:5], off
.LBB62_208:                             ;   in Loop: Header=BB62_206 Depth=2
	s_or_b32 exec_lo, exec_lo, s4
	s_and_saveexec_b32 s4, vcc_lo
	s_cbranch_execz .LBB62_205
; %bb.209:                              ;   in Loop: Header=BB62_206 Depth=2
	s_waitcnt vmcnt(0)
	v_cmp_lt_i16_e32 vcc_lo, -1, v8
	v_dual_cndmask_b32 v12, 0xffff, v43 :: v_dual_and_b32 v9, 0xffff, v8
	v_cmp_o_f16_e32 vcc_lo, v8, v8
	s_delay_alu instid0(VALU_DEP_2) | instskip(NEXT) | instid1(VALU_DEP_1)
	v_xor_b32_e32 v9, v12, v9
	v_cndmask_b32_e32 v9, 0xffff, v9, vcc_lo
	s_delay_alu instid0(VALU_DEP_1) | instskip(NEXT) | instid1(VALU_DEP_1)
	v_and_b32_e32 v9, s58, v9
	v_cmp_eq_u32_e32 vcc_lo, s59, v9
	s_and_b32 exec_lo, exec_lo, vcc_lo
	s_cbranch_execz .LBB62_205
; %bb.210:                              ;   in Loop: Header=BB62_206 Depth=2
	v_perm_b32 v8, v8, s102, 0x5040100
	ds_store_b32 v13, v8 offset:3072
	s_branch .LBB62_205
.LBB62_211:                             ;   in Loop: Header=BB62_33 Depth=1
                                        ; implicit-def: $sgpr13
                                        ; implicit-def: $sgpr23
                                        ; implicit-def: $sgpr22
	s_branch .LBB62_230
.LBB62_212:                             ;   in Loop: Header=BB62_33 Depth=1
                                        ; implicit-def: $vgpr2_vgpr3
	s_branch .LBB62_155
.LBB62_213:                             ;   in Loop: Header=BB62_33 Depth=1
                                        ; implicit-def: $vgpr2_vgpr3
	s_branch .LBB62_172
.LBB62_214:                             ;   in Loop: Header=BB62_33 Depth=1
	s_mov_b32 s13, -1
	s_mov_b32 s4, 0
                                        ; implicit-def: $sgpr22
                                        ; implicit-def: $vgpr45
	s_mov_b32 s23, s13
	s_cbranch_execnz .LBB62_217
	s_branch .LBB62_230
.LBB62_215:                             ;   in Loop: Header=BB62_33 Depth=1
	s_or_b32 exec_lo, exec_lo, s13
	v_lshrrev_b32_e32 v45, 16, v8
	s_and_b32 s4, s22, exec_lo
.LBB62_216:                             ;   in Loop: Header=BB62_33 Depth=1
	s_or_b32 exec_lo, exec_lo, s5
	s_mov_b32 s22, -1
	s_mov_b32 s13, 0
	s_delay_alu instid0(SALU_CYCLE_1)
	s_mov_b32 s23, s13
	s_branch .LBB62_230
.LBB62_217:                             ;   in Loop: Header=BB62_33 Depth=1
	s_add_u32 s13, s93, s10
	s_addc_u32 s5, s94, s11
	s_mov_b32 s4, s67
	s_delay_alu instid0(SALU_CYCLE_1)
	s_cmp_lg_u64 s[4:5], 0
	s_cbranch_scc0 .LBB62_260
; %bb.218:                              ;   in Loop: Header=BB62_33 Depth=1
	v_cvt_f32_u32_e32 v2, s33
	s_sub_u32 s23, 0, s33
	s_subb_u32 s44, 0, 0
	s_delay_alu instid0(VALU_DEP_1) | instskip(NEXT) | instid1(VALU_DEP_1)
	v_fmac_f32_e32 v2, 0x4f800000, v44
	v_rcp_f32_e32 v2, v2
	s_waitcnt_depctr 0xfff
	v_mul_f32_e32 v2, 0x5f7ffffc, v2
	s_delay_alu instid0(VALU_DEP_1) | instskip(NEXT) | instid1(VALU_DEP_1)
	v_mul_f32_e32 v3, 0x2f800000, v2
	v_trunc_f32_e32 v3, v3
	s_delay_alu instid0(VALU_DEP_1) | instskip(SKIP_1) | instid1(VALU_DEP_2)
	v_fmac_f32_e32 v2, 0xcf800000, v3
	v_cvt_u32_f32_e32 v3, v3
	v_cvt_u32_f32_e32 v2, v2
	s_delay_alu instid0(VALU_DEP_2) | instskip(NEXT) | instid1(VALU_DEP_2)
	v_readfirstlane_b32 s4, v3
	v_readfirstlane_b32 s22, v2
	s_delay_alu instid0(VALU_DEP_2) | instskip(NEXT) | instid1(VALU_DEP_1)
	s_mul_i32 s45, s23, s4
	s_mul_hi_u32 s47, s23, s22
	s_mul_i32 s46, s44, s22
	s_add_i32 s45, s47, s45
	s_mul_i32 s72, s23, s22
	s_add_i32 s45, s45, s46
	s_mul_hi_u32 s47, s22, s72
	s_mul_hi_u32 s82, s4, s72
	s_mul_i32 s46, s4, s72
	s_mul_hi_u32 s72, s22, s45
	s_mul_i32 s22, s22, s45
	s_mul_hi_u32 s83, s4, s45
	s_add_u32 s22, s47, s22
	s_addc_u32 s47, 0, s72
	s_add_u32 s22, s22, s46
	s_mul_i32 s45, s4, s45
	s_addc_u32 s22, s47, s82
	s_addc_u32 s46, s83, 0
	s_add_u32 s22, s22, s45
	s_addc_u32 s45, 0, s46
	v_add_co_u32 v2, s22, v2, s22
	s_delay_alu instid0(VALU_DEP_1) | instskip(SKIP_1) | instid1(VALU_DEP_1)
	s_cmp_lg_u32 s22, 0
	s_addc_u32 s4, s4, s45
	v_readfirstlane_b32 s22, v2
	s_mul_i32 s45, s23, s4
	s_delay_alu instid0(VALU_DEP_1)
	s_mul_hi_u32 s46, s23, s22
	s_mul_i32 s44, s44, s22
	s_add_i32 s45, s46, s45
	s_mul_i32 s23, s23, s22
	s_add_i32 s45, s45, s44
	s_mul_hi_u32 s46, s4, s23
	s_mul_i32 s47, s4, s23
	s_mul_hi_u32 s23, s22, s23
	s_mul_hi_u32 s72, s22, s45
	s_mul_i32 s22, s22, s45
	s_mul_hi_u32 s44, s4, s45
	s_add_u32 s22, s23, s22
	s_addc_u32 s23, 0, s72
	s_add_u32 s22, s22, s47
	s_mul_i32 s45, s4, s45
	s_addc_u32 s22, s23, s46
	s_addc_u32 s23, s44, 0
	s_add_u32 s22, s22, s45
	s_addc_u32 s23, 0, s23
	v_add_co_u32 v2, s22, v2, s22
	s_delay_alu instid0(VALU_DEP_1) | instskip(SKIP_2) | instid1(VALU_DEP_1)
	s_cmp_lg_u32 s22, 0
	s_addc_u32 s4, s4, s23
	s_ashr_i32 s22, s5, 31
	v_readfirstlane_b32 s46, v2
	s_add_u32 s44, s13, s22
	s_mov_b32 s23, s22
	s_addc_u32 s45, s5, s22
	s_delay_alu instid0(SALU_CYCLE_1) | instskip(NEXT) | instid1(SALU_CYCLE_1)
	s_xor_b64 s[44:45], s[44:45], s[22:23]
	s_mul_i32 s47, s44, s4
	s_mul_hi_u32 s72, s44, s46
	s_mul_hi_u32 s23, s44, s4
	;; [unrolled: 1-line block ×3, first 2 shown]
	s_mul_i32 s46, s45, s46
	s_add_u32 s47, s72, s47
	s_addc_u32 s23, 0, s23
	s_mul_hi_u32 s82, s45, s4
	s_add_u32 s46, s47, s46
	s_mul_i32 s4, s45, s4
	s_addc_u32 s23, s23, s83
	s_addc_u32 s46, s82, 0
	s_add_u32 s4, s23, s4
	s_addc_u32 s23, 0, s46
	s_mul_hi_u32 s46, s33, s4
	s_mul_i32 s4, s33, s4
	s_mul_i32 s23, s33, s23
	v_sub_co_u32 v2, s4, s44, s4
	s_add_i32 s46, s46, s23
	s_cmp_lg_u32 s4, 0
	s_delay_alu instid0(VALU_DEP_1) | instskip(SKIP_2) | instid1(VALU_DEP_1)
	v_sub_co_u32 v3, s4, v2, s33
	s_subb_u32 s23, s45, s46
	s_cmp_lg_u32 s4, 0
	v_cmp_le_u32_e32 vcc_lo, s33, v3
	v_sub_co_u32 v4, s4, v3, s33
	s_subb_u32 s44, s23, 0
	s_cmp_lg_u32 s4, 0
	v_cmp_le_u32_e64 s4, s33, v2
	s_subb_u32 s45, s44, 0
	v_cndmask_b32_e64 v5, 0, -1, vcc_lo
	s_cmp_eq_u32 s44, 0
	s_cselect_b32 vcc_lo, -1, 0
	v_cndmask_b32_e64 v6, 0, -1, s4
	s_delay_alu instid0(VALU_DEP_2) | instskip(SKIP_2) | instid1(VALU_DEP_1)
	v_cndmask_b32_e32 v5, -1, v5, vcc_lo
	s_cmp_eq_u32 s23, 0
	s_cselect_b32 vcc_lo, -1, 0
	v_cmp_ne_u32_e64 s4, 0, v5
	v_dual_cndmask_b32 v5, -1, v6 :: v_dual_mov_b32 v6, s45
	s_delay_alu instid0(VALU_DEP_2) | instskip(NEXT) | instid1(VALU_DEP_2)
	v_cndmask_b32_e64 v3, v3, v4, s4
	v_cmp_ne_u32_e32 vcc_lo, 0, v5
	s_delay_alu instid0(VALU_DEP_3) | instskip(NEXT) | instid1(VALU_DEP_3)
	v_cndmask_b32_e64 v4, s44, v6, s4
	v_cndmask_b32_e32 v2, v2, v3, vcc_lo
	s_delay_alu instid0(VALU_DEP_2) | instskip(NEXT) | instid1(VALU_DEP_2)
	v_cndmask_b32_e32 v3, s23, v4, vcc_lo
	v_xor_b32_e32 v2, s22, v2
	s_delay_alu instid0(VALU_DEP_2) | instskip(NEXT) | instid1(VALU_DEP_2)
	v_xor_b32_e32 v3, s22, v3
	v_sub_co_u32 v2, vcc_lo, v2, s22
	s_delay_alu instid0(VALU_DEP_2)
	v_subrev_co_ci_u32_e32 v3, vcc_lo, s22, v3, vcc_lo
	s_cbranch_execnz .LBB62_220
.LBB62_219:                             ;   in Loop: Header=BB62_33 Depth=1
	v_cvt_f32_u32_e32 v2, s33
	s_sub_i32 s4, 0, s33
	s_delay_alu instid0(VALU_DEP_1) | instskip(SKIP_2) | instid1(VALU_DEP_1)
	v_rcp_iflag_f32_e32 v2, v2
	s_waitcnt_depctr 0xfff
	v_mul_f32_e32 v2, 0x4f7ffffe, v2
	v_cvt_u32_f32_e32 v2, v2
	s_delay_alu instid0(VALU_DEP_1) | instskip(NEXT) | instid1(VALU_DEP_1)
	v_mul_lo_u32 v3, s4, v2
	v_mul_hi_u32 v3, v2, v3
	s_delay_alu instid0(VALU_DEP_1) | instskip(NEXT) | instid1(VALU_DEP_1)
	v_add_nc_u32_e32 v2, v2, v3
	v_mul_hi_u32 v2, s13, v2
	s_delay_alu instid0(VALU_DEP_1) | instskip(NEXT) | instid1(VALU_DEP_1)
	v_mul_lo_u32 v2, v2, s33
	v_sub_nc_u32_e32 v2, s13, v2
	s_delay_alu instid0(VALU_DEP_1) | instskip(SKIP_1) | instid1(VALU_DEP_2)
	v_subrev_nc_u32_e32 v3, s33, v2
	v_cmp_le_u32_e32 vcc_lo, s33, v2
	v_cndmask_b32_e32 v2, v2, v3, vcc_lo
	s_delay_alu instid0(VALU_DEP_1) | instskip(SKIP_1) | instid1(VALU_DEP_2)
	v_subrev_nc_u32_e32 v3, s33, v2
	v_cmp_le_u32_e32 vcc_lo, s33, v2
	v_cndmask_b32_e32 v12, v2, v3, vcc_lo
	s_delay_alu instid0(VALU_DEP_1)
	v_dual_mov_b32 v2, v12 :: v_dual_mov_b32 v3, v13
.LBB62_220:                             ;   in Loop: Header=BB62_33 Depth=1
	s_delay_alu instid0(VALU_DEP_1) | instskip(NEXT) | instid1(VALU_DEP_2)
	v_sub_co_u32 v2, vcc_lo, s13, v2
	v_sub_co_ci_u32_e32 v3, vcc_lo, s5, v3, vcc_lo
	s_mov_b32 s4, 0
	s_mov_b32 s5, exec_lo
                                        ; implicit-def: $vgpr45
	s_delay_alu instid0(VALU_DEP_1)
	v_cmpx_gt_i64_e64 v[2:3], v[0:1]
	s_cbranch_execz .LBB62_229
; %bb.221:                              ;   in Loop: Header=BB62_33 Depth=1
	v_dual_mov_b32 v6, v34 :: v_dual_mov_b32 v5, v1
	v_mov_b32_e32 v4, v0
	s_mov_b32 s13, 0
                                        ; implicit-def: $sgpr22
	s_set_inst_prefetch_distance 0x1
	s_branch .LBB62_223
	.p2align	6
.LBB62_222:                             ;   in Loop: Header=BB62_223 Depth=2
	s_or_b32 exec_lo, exec_lo, s4
	s_waitcnt lgkmcnt(0)
	s_barrier
	buffer_gl0_inv
	ds_load_b32 v7, v13 offset:3072
	v_add_co_u32 v4, vcc_lo, v4, s33
	v_add_co_ci_u32_e32 v5, vcc_lo, 0, v5, vcc_lo
	v_add_nc_u32_e32 v6, s101, v6
	s_waitcnt lgkmcnt(0)
	s_barrier
	s_delay_alu instid0(VALU_DEP_2) | instskip(SKIP_2) | instid1(VALU_DEP_1)
	v_cmp_ge_i64_e32 vcc_lo, v[4:5], v[2:3]
	buffer_gl0_inv
	v_cmp_neq_f16_e64 s4, 0, v7
	s_or_b32 s23, s4, vcc_lo
	s_delay_alu instid0(SALU_CYCLE_1) | instskip(NEXT) | instid1(SALU_CYCLE_1)
	s_and_b32 s23, exec_lo, s23
	s_or_b32 s13, s23, s13
	s_and_not1_b32 s22, s22, exec_lo
	s_and_b32 s4, s4, exec_lo
	s_delay_alu instid0(SALU_CYCLE_1)
	s_or_b32 s22, s22, s4
	s_and_not1_b32 exec_lo, exec_lo, s13
	s_cbranch_execz .LBB62_228
.LBB62_223:                             ;   Parent Loop BB62_33 Depth=1
                                        ; =>  This Inner Loop Header: Depth=2
	s_delay_alu instid0(VALU_DEP_1)
	v_cmp_gt_i64_e32 vcc_lo, s[10:11], v[4:5]
	v_mov_b32_e32 v7, 0
	s_and_saveexec_b32 s4, vcc_lo
	s_cbranch_execz .LBB62_225
; %bb.224:                              ;   in Loop: Header=BB62_223 Depth=2
	ds_load_u16 v7, v6
.LBB62_225:                             ;   in Loop: Header=BB62_223 Depth=2
	s_or_b32 exec_lo, exec_lo, s4
	s_and_saveexec_b32 s4, vcc_lo
	s_cbranch_execz .LBB62_222
; %bb.226:                              ;   in Loop: Header=BB62_223 Depth=2
	s_waitcnt lgkmcnt(0)
	v_cmp_lt_i16_e32 vcc_lo, -1, v7
	v_and_b32_e32 v8, 0xffff, v7
	v_cndmask_b32_e32 v9, 0xffff, v43, vcc_lo
	v_cmp_o_f16_e32 vcc_lo, v7, v7
	s_delay_alu instid0(VALU_DEP_2) | instskip(NEXT) | instid1(VALU_DEP_1)
	v_xor_b32_e32 v8, v9, v8
	v_cndmask_b32_e32 v8, 0xffff, v8, vcc_lo
	s_delay_alu instid0(VALU_DEP_1) | instskip(NEXT) | instid1(VALU_DEP_1)
	v_and_b32_e32 v8, s58, v8
	v_cmp_eq_u32_e32 vcc_lo, s59, v8
	s_and_b32 exec_lo, exec_lo, vcc_lo
	s_cbranch_execz .LBB62_222
; %bb.227:                              ;   in Loop: Header=BB62_223 Depth=2
	v_perm_b32 v7, v7, s102, 0x5040100
	ds_store_b32 v13, v7 offset:3072
	s_branch .LBB62_222
.LBB62_228:                             ;   in Loop: Header=BB62_33 Depth=1
	s_set_inst_prefetch_distance 0x2
	s_or_b32 exec_lo, exec_lo, s13
	v_lshrrev_b32_e32 v45, 16, v7
	s_and_b32 s4, s22, exec_lo
.LBB62_229:                             ;   in Loop: Header=BB62_33 Depth=1
	s_or_b32 exec_lo, exec_lo, s5
	s_mov_b32 s23, -1
	s_mov_b32 s13, 0
	s_mov_b32 s22, 0
.LBB62_230:                             ;   in Loop: Header=BB62_33 Depth=1
	s_mov_b32 s5, 0
                                        ; implicit-def: $sgpr72
	s_and_saveexec_b32 s10, s4
	s_cbranch_execz .LBB62_292
; %bb.231:                              ;   in Loop: Header=BB62_33 Depth=1
	s_xor_b32 s4, s66, -1
	s_mov_b32 s72, 1
	s_and_not1_b32 vcc_lo, exec_lo, s4
	s_cbranch_vccnz .LBB62_242
; %bb.232:                              ;   in Loop: Header=BB62_33 Depth=1
	v_cmp_gt_i64_e64 s4, s[26:27], s[8:9]
                                        ; implicit-def: $sgpr72
                                        ; implicit-def: $sgpr5
                                        ; implicit-def: $sgpr11
	s_delay_alu instid0(VALU_DEP_1)
	s_and_b32 vcc_lo, exec_lo, s4
	s_mov_b32 s4, -1
	s_cbranch_vccnz .LBB62_238
; %bb.233:                              ;   in Loop: Header=BB62_33 Depth=1
	ds_load_b64 v[2:3], v13 offset:5120
	s_waitcnt lgkmcnt(0)
	v_cmp_ne_u64_e32 vcc_lo, 0, v[2:3]
	s_cbranch_vccnz .LBB62_237
; %bb.234:                              ;   in Loop: Header=BB62_33 Depth=1
	s_and_saveexec_b32 s4, s0
	s_cbranch_execz .LBB62_236
; %bb.235:                              ;   in Loop: Header=BB62_33 Depth=1
	v_dual_mov_b32 v2, s8 :: v_dual_mov_b32 v3, s9
	ds_store_b64 v13, v[2:3] offset:5128
.LBB62_236:                             ;   in Loop: Header=BB62_33 Depth=1
	s_or_b32 exec_lo, exec_lo, s4
	s_waitcnt lgkmcnt(0)
	s_barrier
	buffer_gl0_inv
.LBB62_237:                             ;   in Loop: Header=BB62_33 Depth=1
	s_lshl_b32 s4, 2, s17
	s_and_b32 s5, s59, s18
	s_or_b32 s11, s58, s16
	s_or_b32 s5, s5, s4
	s_mov_b32 s4, 0
	s_mov_b32 s72, 8
.LBB62_238:                             ;   in Loop: Header=BB62_33 Depth=1
	s_and_not1_b32 vcc_lo, exec_lo, s4
	s_cbranch_vccnz .LBB62_240
; %bb.239:                              ;   in Loop: Header=BB62_33 Depth=1
	s_sub_u32 s26, s26, s8
	s_subb_u32 s27, s27, s9
	s_mov_b32 s4, -1
	s_mov_b32 s72, 0
	s_mov_b32 s5, s59
	;; [unrolled: 1-line block ×3, first 2 shown]
.LBB62_240:                             ;   in Loop: Header=BB62_33 Depth=1
	s_delay_alu instid0(SALU_CYCLE_1)
	s_mov_b32 s58, s11
	s_mov_b32 s59, s5
	s_and_not1_b32 vcc_lo, exec_lo, s4
	s_mov_b32 s9, -1
	s_cbranch_vccz .LBB62_243
.LBB62_241:                             ;   in Loop: Header=BB62_33 Depth=1
                                        ; implicit-def: $sgpr17
                                        ; implicit-def: $sgpr44
                                        ; implicit-def: $sgpr18
	s_branch .LBB62_291
.LBB62_242:                             ;   in Loop: Header=BB62_33 Depth=1
	s_mov_b64 s[26:27], 1
	s_mov_b32 s9, -1
	s_cbranch_execnz .LBB62_241
.LBB62_243:                             ;   in Loop: Header=BB62_33 Depth=1
	s_cmp_eq_u64 s[6:7], 1
	s_mov_b32 s45, -1
	s_cselect_b32 s4, -1, 0
	s_cmp_eq_u64 s[26:27], 1
	s_cselect_b32 s5, -1, 0
	s_delay_alu instid0(SALU_CYCLE_1) | instskip(NEXT) | instid1(SALU_CYCLE_1)
	s_and_b32 s11, s4, s5
	s_and_b32 vcc_lo, exec_lo, s11
	s_cbranch_vccz .LBB62_258
; %bb.244:                              ;   in Loop: Header=BB62_33 Depth=1
	ds_load_b64 v[2:3], v13 offset:5120
	s_waitcnt lgkmcnt(0)
	s_barrier
	buffer_gl0_inv
	v_readfirstlane_b32 s8, v2
	v_readfirstlane_b32 s9, v3
	s_and_saveexec_b32 s4, s3
	s_cbranch_execz .LBB62_246
; %bb.245:                              ;   in Loop: Header=BB62_33 Depth=1
	ds_store_b16 v35, v13
.LBB62_246:                             ;   in Loop: Header=BB62_33 Depth=1
	s_or_b32 exec_lo, exec_lo, s4
	s_delay_alu instid0(VALU_DEP_1)
	v_cmp_gt_i64_e64 s4, s[8:9], 0
	s_or_b32 s59, s59, s16
	s_or_b32 s58, s58, s16
	s_waitcnt lgkmcnt(0)
	s_barrier
	buffer_gl0_inv
	s_and_b32 vcc_lo, exec_lo, s4
	s_cbranch_vccnz .LBB62_261
; %bb.247:                              ;   in Loop: Header=BB62_33 Depth=1
	s_mov_b32 s72, s67
	s_delay_alu instid0(SALU_CYCLE_1)
	s_cmp_lg_u64 s[72:73], 0
	s_cbranch_scc0 .LBB62_297
; %bb.248:                              ;   in Loop: Header=BB62_33 Depth=1
	v_cvt_f32_u32_e32 v2, s33
	s_sub_u32 s17, 0, s33
	s_subb_u32 s18, 0, 0
	s_delay_alu instid0(VALU_DEP_1) | instskip(NEXT) | instid1(VALU_DEP_1)
	v_fmac_f32_e32 v2, 0x4f800000, v44
	v_rcp_f32_e32 v2, v2
	s_waitcnt_depctr 0xfff
	v_mul_f32_e32 v2, 0x5f7ffffc, v2
	s_delay_alu instid0(VALU_DEP_1) | instskip(NEXT) | instid1(VALU_DEP_1)
	v_mul_f32_e32 v3, 0x2f800000, v2
	v_trunc_f32_e32 v3, v3
	s_delay_alu instid0(VALU_DEP_1) | instskip(SKIP_1) | instid1(VALU_DEP_2)
	v_fmac_f32_e32 v2, 0xcf800000, v3
	v_cvt_u32_f32_e32 v3, v3
	v_cvt_u32_f32_e32 v2, v2
	s_delay_alu instid0(VALU_DEP_2) | instskip(NEXT) | instid1(VALU_DEP_2)
	v_readfirstlane_b32 s4, v3
	v_readfirstlane_b32 s5, v2
	s_delay_alu instid0(VALU_DEP_2) | instskip(NEXT) | instid1(VALU_DEP_1)
	s_mul_i32 s44, s17, s4
	s_mul_hi_u32 s46, s17, s5
	s_mul_i32 s45, s18, s5
	s_add_i32 s44, s46, s44
	s_mul_i32 s47, s17, s5
	s_add_i32 s44, s44, s45
	s_mul_hi_u32 s46, s5, s47
	s_mul_hi_u32 s66, s4, s47
	s_mul_i32 s45, s4, s47
	s_mul_hi_u32 s47, s5, s44
	s_mul_i32 s5, s5, s44
	s_mul_hi_u32 s72, s4, s44
	s_add_u32 s5, s46, s5
	s_addc_u32 s46, 0, s47
	s_add_u32 s5, s5, s45
	s_mul_i32 s44, s4, s44
	s_addc_u32 s5, s46, s66
	s_addc_u32 s45, s72, 0
	s_add_u32 s5, s5, s44
	s_addc_u32 s44, 0, s45
	v_add_co_u32 v2, s5, v2, s5
	s_delay_alu instid0(VALU_DEP_1) | instskip(SKIP_1) | instid1(VALU_DEP_1)
	s_cmp_lg_u32 s5, 0
	s_addc_u32 s4, s4, s44
	v_readfirstlane_b32 s5, v2
	s_mul_i32 s44, s17, s4
	s_delay_alu instid0(VALU_DEP_1)
	s_mul_hi_u32 s45, s17, s5
	s_mul_i32 s18, s18, s5
	s_add_i32 s44, s45, s44
	s_mul_i32 s17, s17, s5
	s_add_i32 s44, s44, s18
	s_mul_hi_u32 s45, s4, s17
	s_mul_i32 s46, s4, s17
	s_mul_hi_u32 s17, s5, s17
	s_mul_hi_u32 s47, s5, s44
	s_mul_i32 s5, s5, s44
	s_mul_hi_u32 s18, s4, s44
	s_add_u32 s5, s17, s5
	s_addc_u32 s17, 0, s47
	s_add_u32 s5, s5, s46
	s_mul_i32 s44, s4, s44
	s_addc_u32 s5, s17, s45
	s_addc_u32 s17, s18, 0
	s_add_u32 s5, s5, s44
	s_addc_u32 s17, 0, s17
	v_add_co_u32 v2, s5, v2, s5
	s_delay_alu instid0(VALU_DEP_1) | instskip(SKIP_2) | instid1(VALU_DEP_1)
	s_cmp_lg_u32 s5, 0
	s_addc_u32 s17, s4, s17
	s_ashr_i32 s44, s73, 31
	v_readfirstlane_b32 s18, v2
	s_add_u32 s4, s95, s44
	s_mov_b32 s45, s44
	s_addc_u32 s5, s73, s44
	s_delay_alu instid0(SALU_CYCLE_1) | instskip(NEXT) | instid1(SALU_CYCLE_1)
	s_xor_b64 s[4:5], s[4:5], s[44:45]
	s_mul_i32 s46, s4, s17
	s_mul_hi_u32 s47, s4, s18
	s_mul_hi_u32 s45, s4, s17
	;; [unrolled: 1-line block ×3, first 2 shown]
	s_mul_i32 s18, s5, s18
	s_add_u32 s46, s47, s46
	s_addc_u32 s45, 0, s45
	s_mul_hi_u32 s66, s5, s17
	s_add_u32 s18, s46, s18
	s_mul_i32 s17, s5, s17
	s_addc_u32 s18, s45, s72
	s_addc_u32 s45, s66, 0
	s_add_u32 s17, s18, s17
	s_addc_u32 s18, 0, s45
	s_mul_hi_u32 s45, s33, s17
	s_mul_i32 s17, s33, s17
	s_mul_i32 s18, s33, s18
	v_sub_co_u32 v2, s4, s4, s17
	s_add_i32 s45, s45, s18
	s_cmp_lg_u32 s4, 0
	s_delay_alu instid0(VALU_DEP_1) | instskip(SKIP_2) | instid1(VALU_DEP_1)
	v_sub_co_u32 v3, s4, v2, s33
	s_subb_u32 s5, s5, s45
	s_cmp_lg_u32 s4, 0
	v_cmp_le_u32_e32 vcc_lo, s33, v3
	v_sub_co_u32 v4, s4, v3, s33
	s_subb_u32 s17, s5, 0
	s_cmp_lg_u32 s4, 0
	v_cmp_le_u32_e64 s4, s33, v2
	s_subb_u32 s18, s17, 0
	v_cndmask_b32_e64 v5, 0, -1, vcc_lo
	s_cmp_eq_u32 s17, 0
	s_cselect_b32 vcc_lo, -1, 0
	v_cndmask_b32_e64 v6, 0, -1, s4
	s_delay_alu instid0(VALU_DEP_2) | instskip(SKIP_2) | instid1(VALU_DEP_1)
	v_cndmask_b32_e32 v5, -1, v5, vcc_lo
	s_cmp_eq_u32 s5, 0
	s_cselect_b32 vcc_lo, -1, 0
	v_cmp_ne_u32_e64 s4, 0, v5
	v_dual_cndmask_b32 v5, -1, v6 :: v_dual_mov_b32 v6, s18
	s_delay_alu instid0(VALU_DEP_2) | instskip(NEXT) | instid1(VALU_DEP_2)
	v_cndmask_b32_e64 v3, v3, v4, s4
	v_cmp_ne_u32_e32 vcc_lo, 0, v5
	s_delay_alu instid0(VALU_DEP_3) | instskip(NEXT) | instid1(VALU_DEP_3)
	v_cndmask_b32_e64 v4, s17, v6, s4
	v_cndmask_b32_e32 v2, v2, v3, vcc_lo
	s_delay_alu instid0(VALU_DEP_2) | instskip(NEXT) | instid1(VALU_DEP_2)
	v_cndmask_b32_e32 v3, s5, v4, vcc_lo
	v_xor_b32_e32 v2, s44, v2
	s_delay_alu instid0(VALU_DEP_2) | instskip(NEXT) | instid1(VALU_DEP_2)
	v_xor_b32_e32 v3, s44, v3
	v_sub_co_u32 v2, vcc_lo, v2, s44
	s_delay_alu instid0(VALU_DEP_2)
	v_subrev_co_ci_u32_e32 v3, vcc_lo, s44, v3, vcc_lo
	s_cbranch_execnz .LBB62_250
.LBB62_249:                             ;   in Loop: Header=BB62_33 Depth=1
	v_cvt_f32_u32_e32 v2, s33
	s_sub_i32 s4, 0, s33
	s_delay_alu instid0(VALU_DEP_1) | instskip(SKIP_2) | instid1(VALU_DEP_1)
	v_rcp_iflag_f32_e32 v2, v2
	s_waitcnt_depctr 0xfff
	v_mul_f32_e32 v2, 0x4f7ffffe, v2
	v_cvt_u32_f32_e32 v2, v2
	s_delay_alu instid0(VALU_DEP_1) | instskip(NEXT) | instid1(VALU_DEP_1)
	v_mul_lo_u32 v3, s4, v2
	v_mul_hi_u32 v3, v2, v3
	s_delay_alu instid0(VALU_DEP_1) | instskip(NEXT) | instid1(VALU_DEP_1)
	v_add_nc_u32_e32 v2, v2, v3
	v_mul_hi_u32 v2, s95, v2
	s_delay_alu instid0(VALU_DEP_1) | instskip(NEXT) | instid1(VALU_DEP_1)
	v_mul_lo_u32 v2, v2, s33
	v_sub_nc_u32_e32 v2, s95, v2
	s_delay_alu instid0(VALU_DEP_1) | instskip(SKIP_1) | instid1(VALU_DEP_2)
	v_subrev_nc_u32_e32 v3, s33, v2
	v_cmp_le_u32_e32 vcc_lo, s33, v2
	v_cndmask_b32_e32 v2, v2, v3, vcc_lo
	s_delay_alu instid0(VALU_DEP_1) | instskip(SKIP_1) | instid1(VALU_DEP_2)
	v_subrev_nc_u32_e32 v3, s33, v2
	v_cmp_le_u32_e32 vcc_lo, s33, v2
	v_cndmask_b32_e32 v12, v2, v3, vcc_lo
	s_delay_alu instid0(VALU_DEP_1)
	v_dual_mov_b32 v2, v12 :: v_dual_mov_b32 v3, v13
.LBB62_250:                             ;   in Loop: Header=BB62_33 Depth=1
	s_delay_alu instid0(VALU_DEP_1) | instskip(NEXT) | instid1(VALU_DEP_2)
	v_sub_co_u32 v2, vcc_lo, s95, v2
	v_sub_co_ci_u32_e32 v3, vcc_lo, s73, v3, vcc_lo
	s_mov_b32 s45, 0
	s_mov_b32 s5, exec_lo
                                        ; implicit-def: $vgpr45
	s_delay_alu instid0(VALU_DEP_1)
	v_cmpx_gt_i64_e64 v[2:3], v[0:1]
	s_cbranch_execz .LBB62_263
; %bb.251:                              ;   in Loop: Header=BB62_33 Depth=1
	v_dual_mov_b32 v4, v10 :: v_dual_mov_b32 v5, v11
	v_dual_mov_b32 v7, v1 :: v_dual_mov_b32 v6, v0
	s_mov_b32 s17, 0
                                        ; implicit-def: $sgpr18
	s_branch .LBB62_253
.LBB62_252:                             ;   in Loop: Header=BB62_253 Depth=2
	s_or_b32 exec_lo, exec_lo, s4
	s_waitcnt vmcnt(0) lgkmcnt(0)
	s_barrier
	buffer_gl0_inv
	ds_load_b32 v8, v13 offset:3072
	v_add_co_u32 v6, vcc_lo, v6, s33
	v_add_co_ci_u32_e32 v7, vcc_lo, 0, v7, vcc_lo
	s_waitcnt lgkmcnt(0)
	s_barrier
	buffer_gl0_inv
	v_cmp_ge_i64_e32 vcc_lo, v[6:7], v[2:3]
	v_cmp_neq_f16_e64 s4, 0, v8
	s_delay_alu instid0(VALU_DEP_1)
	s_or_b32 s44, s4, vcc_lo
	v_add_co_u32 v4, vcc_lo, v4, s68
	s_and_b32 s44, exec_lo, s44
	v_add_co_ci_u32_e32 v5, vcc_lo, s69, v5, vcc_lo
	s_or_b32 s17, s44, s17
	s_and_not1_b32 s18, s18, exec_lo
	s_and_b32 s4, s4, exec_lo
	s_delay_alu instid0(SALU_CYCLE_1)
	s_or_b32 s18, s18, s4
	s_and_not1_b32 exec_lo, exec_lo, s17
	s_cbranch_execz .LBB62_262
.LBB62_253:                             ;   Parent Loop BB62_33 Depth=1
                                        ; =>  This Inner Loop Header: Depth=2
	s_delay_alu instid0(VALU_DEP_1)
	v_cmp_gt_i64_e32 vcc_lo, s[24:25], v[6:7]
	v_mov_b32_e32 v8, 0
	s_and_saveexec_b32 s4, vcc_lo
	s_cbranch_execz .LBB62_255
; %bb.254:                              ;   in Loop: Header=BB62_253 Depth=2
	global_load_u16 v8, v[4:5], off
.LBB62_255:                             ;   in Loop: Header=BB62_253 Depth=2
	s_or_b32 exec_lo, exec_lo, s4
	s_and_saveexec_b32 s4, vcc_lo
	s_cbranch_execz .LBB62_252
; %bb.256:                              ;   in Loop: Header=BB62_253 Depth=2
	s_waitcnt vmcnt(0)
	v_cmp_lt_i16_e32 vcc_lo, -1, v8
	v_dual_cndmask_b32 v12, 0xffff, v43 :: v_dual_and_b32 v9, 0xffff, v8
	v_cmp_o_f16_e32 vcc_lo, v8, v8
	s_delay_alu instid0(VALU_DEP_2) | instskip(NEXT) | instid1(VALU_DEP_1)
	v_xor_b32_e32 v9, v12, v9
	v_cndmask_b32_e32 v9, 0xffff, v9, vcc_lo
	s_delay_alu instid0(VALU_DEP_1) | instskip(NEXT) | instid1(VALU_DEP_1)
	v_and_b32_e32 v9, s58, v9
	v_cmp_eq_u32_e32 vcc_lo, s59, v9
	s_and_b32 exec_lo, exec_lo, vcc_lo
	s_cbranch_execz .LBB62_252
; %bb.257:                              ;   in Loop: Header=BB62_253 Depth=2
	v_perm_b32 v8, v8, s102, 0x5040100
	ds_store_b32 v13, v8 offset:3072
	s_branch .LBB62_252
.LBB62_258:                             ;   in Loop: Header=BB62_33 Depth=1
                                        ; implicit-def: $sgpr17
                                        ; implicit-def: $sgpr44
                                        ; implicit-def: $sgpr18
	s_branch .LBB62_277
.LBB62_259:                             ;   in Loop: Header=BB62_33 Depth=1
                                        ; implicit-def: $vgpr2_vgpr3
	s_branch .LBB62_202
.LBB62_260:                             ;   in Loop: Header=BB62_33 Depth=1
                                        ; implicit-def: $vgpr2_vgpr3
	s_branch .LBB62_219
.LBB62_261:                             ;   in Loop: Header=BB62_33 Depth=1
	s_mov_b32 s17, -1
	s_mov_b32 s45, 0
                                        ; implicit-def: $sgpr18
                                        ; implicit-def: $vgpr45
	s_mov_b32 s44, s17
	s_cbranch_execnz .LBB62_264
	s_branch .LBB62_277
.LBB62_262:                             ;   in Loop: Header=BB62_33 Depth=1
	s_or_b32 exec_lo, exec_lo, s17
	v_lshrrev_b32_e32 v45, 16, v8
	s_and_b32 s45, s18, exec_lo
.LBB62_263:                             ;   in Loop: Header=BB62_33 Depth=1
	s_or_b32 exec_lo, exec_lo, s5
	s_mov_b32 s18, -1
	s_mov_b32 s17, 0
	s_delay_alu instid0(SALU_CYCLE_1)
	s_mov_b32 s44, s17
	s_branch .LBB62_277
.LBB62_264:                             ;   in Loop: Header=BB62_33 Depth=1
	s_add_u32 s17, s93, s8
	s_addc_u32 s5, s94, s9
	s_mov_b32 s4, s67
	s_delay_alu instid0(SALU_CYCLE_1)
	s_cmp_lg_u64 s[4:5], 0
	s_cbranch_scc0 .LBB62_298
; %bb.265:                              ;   in Loop: Header=BB62_33 Depth=1
	v_cvt_f32_u32_e32 v2, s33
	s_sub_u32 s44, 0, s33
	s_subb_u32 s45, 0, 0
	s_delay_alu instid0(VALU_DEP_1) | instskip(NEXT) | instid1(VALU_DEP_1)
	v_fmac_f32_e32 v2, 0x4f800000, v44
	v_rcp_f32_e32 v2, v2
	s_waitcnt_depctr 0xfff
	v_mul_f32_e32 v2, 0x5f7ffffc, v2
	s_delay_alu instid0(VALU_DEP_1) | instskip(NEXT) | instid1(VALU_DEP_1)
	v_mul_f32_e32 v3, 0x2f800000, v2
	v_trunc_f32_e32 v3, v3
	s_delay_alu instid0(VALU_DEP_1) | instskip(SKIP_1) | instid1(VALU_DEP_2)
	v_fmac_f32_e32 v2, 0xcf800000, v3
	v_cvt_u32_f32_e32 v3, v3
	v_cvt_u32_f32_e32 v2, v2
	s_delay_alu instid0(VALU_DEP_2) | instskip(NEXT) | instid1(VALU_DEP_2)
	v_readfirstlane_b32 s4, v3
	v_readfirstlane_b32 s18, v2
	s_delay_alu instid0(VALU_DEP_2) | instskip(NEXT) | instid1(VALU_DEP_1)
	s_mul_i32 s46, s44, s4
	s_mul_hi_u32 s66, s44, s18
	s_mul_i32 s47, s45, s18
	s_add_i32 s46, s66, s46
	s_mul_i32 s72, s44, s18
	s_add_i32 s46, s46, s47
	s_mul_hi_u32 s66, s18, s72
	s_mul_hi_u32 s82, s4, s72
	s_mul_i32 s47, s4, s72
	s_mul_hi_u32 s72, s18, s46
	s_mul_i32 s18, s18, s46
	s_mul_hi_u32 s83, s4, s46
	s_add_u32 s18, s66, s18
	s_addc_u32 s66, 0, s72
	s_add_u32 s18, s18, s47
	s_mul_i32 s46, s4, s46
	s_addc_u32 s18, s66, s82
	s_addc_u32 s47, s83, 0
	s_add_u32 s18, s18, s46
	s_addc_u32 s46, 0, s47
	v_add_co_u32 v2, s18, v2, s18
	s_delay_alu instid0(VALU_DEP_1) | instskip(SKIP_1) | instid1(VALU_DEP_1)
	s_cmp_lg_u32 s18, 0
	s_addc_u32 s4, s4, s46
	v_readfirstlane_b32 s18, v2
	s_mul_i32 s46, s44, s4
	s_delay_alu instid0(VALU_DEP_1)
	s_mul_hi_u32 s47, s44, s18
	s_mul_i32 s45, s45, s18
	s_add_i32 s46, s47, s46
	s_mul_i32 s44, s44, s18
	s_add_i32 s46, s46, s45
	s_mul_hi_u32 s47, s4, s44
	s_mul_i32 s66, s4, s44
	s_mul_hi_u32 s44, s18, s44
	s_mul_hi_u32 s72, s18, s46
	s_mul_i32 s18, s18, s46
	s_mul_hi_u32 s45, s4, s46
	s_add_u32 s18, s44, s18
	s_addc_u32 s44, 0, s72
	s_add_u32 s18, s18, s66
	s_mul_i32 s46, s4, s46
	s_addc_u32 s18, s44, s47
	s_addc_u32 s44, s45, 0
	s_add_u32 s18, s18, s46
	s_addc_u32 s44, 0, s44
	v_add_co_u32 v2, s18, v2, s18
	s_delay_alu instid0(VALU_DEP_1) | instskip(SKIP_2) | instid1(VALU_DEP_1)
	s_cmp_lg_u32 s18, 0
	s_addc_u32 s4, s4, s44
	s_ashr_i32 s44, s5, 31
	v_readfirstlane_b32 s18, v2
	s_add_u32 s46, s17, s44
	s_mov_b32 s45, s44
	s_addc_u32 s47, s5, s44
	s_delay_alu instid0(SALU_CYCLE_1) | instskip(NEXT) | instid1(SALU_CYCLE_1)
	s_xor_b64 s[46:47], s[46:47], s[44:45]
	s_mul_i32 s66, s46, s4
	s_mul_hi_u32 s72, s46, s18
	s_mul_hi_u32 s45, s46, s4
	;; [unrolled: 1-line block ×3, first 2 shown]
	s_mul_i32 s18, s47, s18
	s_add_u32 s66, s72, s66
	s_addc_u32 s45, 0, s45
	s_mul_hi_u32 s82, s47, s4
	s_add_u32 s18, s66, s18
	s_mul_i32 s4, s47, s4
	s_addc_u32 s18, s45, s83
	s_addc_u32 s45, s82, 0
	s_add_u32 s4, s18, s4
	s_addc_u32 s18, 0, s45
	s_mul_hi_u32 s45, s33, s4
	s_mul_i32 s4, s33, s4
	s_mul_i32 s18, s33, s18
	v_sub_co_u32 v2, s4, s46, s4
	s_add_i32 s45, s45, s18
	s_cmp_lg_u32 s4, 0
	s_delay_alu instid0(VALU_DEP_1) | instskip(SKIP_2) | instid1(VALU_DEP_1)
	v_sub_co_u32 v3, s4, v2, s33
	s_subb_u32 s18, s47, s45
	s_cmp_lg_u32 s4, 0
	v_cmp_le_u32_e32 vcc_lo, s33, v3
	v_sub_co_u32 v4, s4, v3, s33
	s_subb_u32 s45, s18, 0
	s_cmp_lg_u32 s4, 0
	v_cmp_le_u32_e64 s4, s33, v2
	s_subb_u32 s46, s45, 0
	v_cndmask_b32_e64 v5, 0, -1, vcc_lo
	s_cmp_eq_u32 s45, 0
	s_cselect_b32 vcc_lo, -1, 0
	v_cndmask_b32_e64 v6, 0, -1, s4
	s_delay_alu instid0(VALU_DEP_2) | instskip(SKIP_2) | instid1(VALU_DEP_1)
	v_cndmask_b32_e32 v5, -1, v5, vcc_lo
	s_cmp_eq_u32 s18, 0
	s_cselect_b32 vcc_lo, -1, 0
	v_cmp_ne_u32_e64 s4, 0, v5
	v_dual_cndmask_b32 v5, -1, v6 :: v_dual_mov_b32 v6, s46
	s_delay_alu instid0(VALU_DEP_2) | instskip(NEXT) | instid1(VALU_DEP_2)
	v_cndmask_b32_e64 v3, v3, v4, s4
	v_cmp_ne_u32_e32 vcc_lo, 0, v5
	s_delay_alu instid0(VALU_DEP_3) | instskip(NEXT) | instid1(VALU_DEP_3)
	v_cndmask_b32_e64 v4, s45, v6, s4
	v_cndmask_b32_e32 v2, v2, v3, vcc_lo
	s_delay_alu instid0(VALU_DEP_2) | instskip(NEXT) | instid1(VALU_DEP_2)
	v_cndmask_b32_e32 v3, s18, v4, vcc_lo
	v_xor_b32_e32 v2, s44, v2
	s_delay_alu instid0(VALU_DEP_2) | instskip(NEXT) | instid1(VALU_DEP_2)
	v_xor_b32_e32 v3, s44, v3
	v_sub_co_u32 v2, vcc_lo, v2, s44
	s_delay_alu instid0(VALU_DEP_2)
	v_subrev_co_ci_u32_e32 v3, vcc_lo, s44, v3, vcc_lo
	s_cbranch_execnz .LBB62_267
.LBB62_266:                             ;   in Loop: Header=BB62_33 Depth=1
	v_cvt_f32_u32_e32 v2, s33
	s_sub_i32 s4, 0, s33
	s_delay_alu instid0(VALU_DEP_1) | instskip(SKIP_2) | instid1(VALU_DEP_1)
	v_rcp_iflag_f32_e32 v2, v2
	s_waitcnt_depctr 0xfff
	v_mul_f32_e32 v2, 0x4f7ffffe, v2
	v_cvt_u32_f32_e32 v2, v2
	s_delay_alu instid0(VALU_DEP_1) | instskip(NEXT) | instid1(VALU_DEP_1)
	v_mul_lo_u32 v3, s4, v2
	v_mul_hi_u32 v3, v2, v3
	s_delay_alu instid0(VALU_DEP_1) | instskip(NEXT) | instid1(VALU_DEP_1)
	v_add_nc_u32_e32 v2, v2, v3
	v_mul_hi_u32 v2, s17, v2
	s_delay_alu instid0(VALU_DEP_1) | instskip(NEXT) | instid1(VALU_DEP_1)
	v_mul_lo_u32 v2, v2, s33
	v_sub_nc_u32_e32 v2, s17, v2
	s_delay_alu instid0(VALU_DEP_1) | instskip(SKIP_1) | instid1(VALU_DEP_2)
	v_subrev_nc_u32_e32 v3, s33, v2
	v_cmp_le_u32_e32 vcc_lo, s33, v2
	v_cndmask_b32_e32 v2, v2, v3, vcc_lo
	s_delay_alu instid0(VALU_DEP_1) | instskip(SKIP_1) | instid1(VALU_DEP_2)
	v_subrev_nc_u32_e32 v3, s33, v2
	v_cmp_le_u32_e32 vcc_lo, s33, v2
	v_cndmask_b32_e32 v12, v2, v3, vcc_lo
	s_delay_alu instid0(VALU_DEP_1)
	v_dual_mov_b32 v2, v12 :: v_dual_mov_b32 v3, v13
.LBB62_267:                             ;   in Loop: Header=BB62_33 Depth=1
	s_delay_alu instid0(VALU_DEP_1) | instskip(NEXT) | instid1(VALU_DEP_2)
	v_sub_co_u32 v2, vcc_lo, s17, v2
	v_sub_co_ci_u32_e32 v3, vcc_lo, s5, v3, vcc_lo
	s_mov_b32 s45, 0
	s_mov_b32 s5, exec_lo
                                        ; implicit-def: $vgpr45
	s_delay_alu instid0(VALU_DEP_1)
	v_cmpx_gt_i64_e64 v[2:3], v[0:1]
	s_cbranch_execz .LBB62_276
; %bb.268:                              ;   in Loop: Header=BB62_33 Depth=1
	v_dual_mov_b32 v6, v34 :: v_dual_mov_b32 v5, v1
	v_mov_b32_e32 v4, v0
	s_mov_b32 s17, 0
                                        ; implicit-def: $sgpr18
	s_set_inst_prefetch_distance 0x1
	s_branch .LBB62_270
	.p2align	6
.LBB62_269:                             ;   in Loop: Header=BB62_270 Depth=2
	s_or_b32 exec_lo, exec_lo, s4
	s_waitcnt lgkmcnt(0)
	s_barrier
	buffer_gl0_inv
	ds_load_b32 v7, v13 offset:3072
	v_add_co_u32 v4, vcc_lo, v4, s33
	v_add_co_ci_u32_e32 v5, vcc_lo, 0, v5, vcc_lo
	v_add_nc_u32_e32 v6, s101, v6
	s_waitcnt lgkmcnt(0)
	s_barrier
	s_delay_alu instid0(VALU_DEP_2) | instskip(SKIP_2) | instid1(VALU_DEP_1)
	v_cmp_ge_i64_e32 vcc_lo, v[4:5], v[2:3]
	buffer_gl0_inv
	v_cmp_neq_f16_e64 s4, 0, v7
	s_or_b32 s44, s4, vcc_lo
	s_delay_alu instid0(SALU_CYCLE_1) | instskip(NEXT) | instid1(SALU_CYCLE_1)
	s_and_b32 s44, exec_lo, s44
	s_or_b32 s17, s44, s17
	s_and_not1_b32 s18, s18, exec_lo
	s_and_b32 s4, s4, exec_lo
	s_delay_alu instid0(SALU_CYCLE_1)
	s_or_b32 s18, s18, s4
	s_and_not1_b32 exec_lo, exec_lo, s17
	s_cbranch_execz .LBB62_275
.LBB62_270:                             ;   Parent Loop BB62_33 Depth=1
                                        ; =>  This Inner Loop Header: Depth=2
	s_delay_alu instid0(VALU_DEP_1)
	v_cmp_gt_i64_e32 vcc_lo, s[8:9], v[4:5]
	v_mov_b32_e32 v7, 0
	s_and_saveexec_b32 s4, vcc_lo
	s_cbranch_execz .LBB62_272
; %bb.271:                              ;   in Loop: Header=BB62_270 Depth=2
	ds_load_u16 v7, v6
.LBB62_272:                             ;   in Loop: Header=BB62_270 Depth=2
	s_or_b32 exec_lo, exec_lo, s4
	s_and_saveexec_b32 s4, vcc_lo
	s_cbranch_execz .LBB62_269
; %bb.273:                              ;   in Loop: Header=BB62_270 Depth=2
	s_waitcnt lgkmcnt(0)
	v_cmp_lt_i16_e32 vcc_lo, -1, v7
	v_and_b32_e32 v8, 0xffff, v7
	v_cndmask_b32_e32 v9, 0xffff, v43, vcc_lo
	v_cmp_o_f16_e32 vcc_lo, v7, v7
	s_delay_alu instid0(VALU_DEP_2) | instskip(NEXT) | instid1(VALU_DEP_1)
	v_xor_b32_e32 v8, v9, v8
	v_cndmask_b32_e32 v8, 0xffff, v8, vcc_lo
	s_delay_alu instid0(VALU_DEP_1) | instskip(NEXT) | instid1(VALU_DEP_1)
	v_and_b32_e32 v8, s58, v8
	v_cmp_eq_u32_e32 vcc_lo, s59, v8
	s_and_b32 exec_lo, exec_lo, vcc_lo
	s_cbranch_execz .LBB62_269
; %bb.274:                              ;   in Loop: Header=BB62_270 Depth=2
	v_perm_b32 v7, v7, s102, 0x5040100
	ds_store_b32 v13, v7 offset:3072
	s_branch .LBB62_269
.LBB62_275:                             ;   in Loop: Header=BB62_33 Depth=1
	s_set_inst_prefetch_distance 0x2
	s_or_b32 exec_lo, exec_lo, s17
	v_lshrrev_b32_e32 v45, 16, v7
	s_and_b32 s45, s18, exec_lo
.LBB62_276:                             ;   in Loop: Header=BB62_33 Depth=1
	s_or_b32 exec_lo, exec_lo, s5
	s_mov_b32 s44, -1
	s_mov_b32 s17, 0
	s_mov_b32 s18, 0
.LBB62_277:                             ;   in Loop: Header=BB62_33 Depth=1
	s_mov_b32 s9, 0
                                        ; implicit-def: $sgpr72
                                        ; implicit-def: $sgpr4_sgpr5
	s_and_saveexec_b32 s8, s45
	s_cbranch_execz .LBB62_290
; %bb.278:                              ;   in Loop: Header=BB62_33 Depth=1
	s_xor_b32 s9, s11, -1
	s_mov_b64 s[4:5], 1
	s_and_not1_b32 vcc_lo, exec_lo, s9
	s_mov_b32 s72, 1
	s_cbranch_vccnz .LBB62_289
; %bb.279:                              ;   in Loop: Header=BB62_33 Depth=1
	v_cmp_gt_i64_e64 s4, s[26:27], s[6:7]
	s_delay_alu instid0(VALU_DEP_1)
	s_and_b32 vcc_lo, exec_lo, s4
	s_cbranch_vccnz .LBB62_285
; %bb.280:                              ;   in Loop: Header=BB62_33 Depth=1
	ds_load_b64 v[2:3], v13 offset:5120
	s_waitcnt lgkmcnt(0)
	v_cmp_ne_u64_e32 vcc_lo, 0, v[2:3]
	s_cbranch_vccnz .LBB62_284
; %bb.281:                              ;   in Loop: Header=BB62_33 Depth=1
	s_and_saveexec_b32 s4, s0
	s_cbranch_execz .LBB62_283
; %bb.282:                              ;   in Loop: Header=BB62_33 Depth=1
	v_dual_mov_b32 v2, s6 :: v_dual_mov_b32 v3, s7
	ds_store_b64 v13, v[2:3] offset:5128
.LBB62_283:                             ;   in Loop: Header=BB62_33 Depth=1
	s_or_b32 exec_lo, exec_lo, s4
	s_waitcnt lgkmcnt(0)
	s_barrier
	buffer_gl0_inv
.LBB62_284:                             ;   in Loop: Header=BB62_33 Depth=1
	s_or_b32 s9, s59, s16
	s_or_b32 s11, s58, s16
	s_mov_b32 s4, 0
	s_mov_b32 s72, 8
	s_branch .LBB62_286
.LBB62_285:                             ;   in Loop: Header=BB62_33 Depth=1
	s_mov_b32 s4, -1
                                        ; implicit-def: $sgpr72
                                        ; implicit-def: $sgpr9
                                        ; implicit-def: $sgpr11
.LBB62_286:                             ;   in Loop: Header=BB62_33 Depth=1
	s_delay_alu instid0(SALU_CYCLE_1)
	s_and_not1_b32 vcc_lo, exec_lo, s4
	s_cbranch_vccnz .LBB62_288
; %bb.287:                              ;   in Loop: Header=BB62_33 Depth=1
	s_sub_u32 s26, s26, s6
	s_subb_u32 s27, s27, s7
	s_mov_b32 s72, 8
	s_mov_b32 s9, s59
	;; [unrolled: 1-line block ×3, first 2 shown]
.LBB62_288:                             ;   in Loop: Header=BB62_33 Depth=1
	s_mov_b64 s[4:5], s[26:27]
	s_mov_b32 s59, s9
	s_mov_b32 s58, s11
.LBB62_289:                             ;   in Loop: Header=BB62_33 Depth=1
	s_mov_b32 s9, exec_lo
.LBB62_290:                             ;   in Loop: Header=BB62_33 Depth=1
	s_or_b32 exec_lo, exec_lo, s8
	s_mov_b64 s[26:27], s[4:5]
.LBB62_291:                             ;   in Loop: Header=BB62_33 Depth=1
	s_and_not1_b32 s4, s13, exec_lo
	s_and_b32 s5, s17, exec_lo
	s_and_not1_b32 s6, s22, exec_lo
	s_or_b32 s13, s4, s5
	s_and_not1_b32 s4, s23, exec_lo
	s_and_b32 s5, s44, exec_lo
	s_and_b32 s7, s18, exec_lo
	s_or_b32 s23, s4, s5
	s_or_b32 s22, s6, s7
	s_and_b32 s5, s9, exec_lo
.LBB62_292:                             ;   in Loop: Header=BB62_33 Depth=1
	s_or_b32 exec_lo, exec_lo, s10
.LBB62_293:                             ;   in Loop: Header=BB62_33 Depth=1
	s_delay_alu instid0(SALU_CYCLE_1)
	s_and_not1_b32 s4, s20, exec_lo
	s_and_b32 s6, s13, exec_lo
	s_and_not1_b32 s7, s19, exec_lo
	s_or_b32 s20, s4, s6
	s_and_not1_b32 s4, s21, exec_lo
	s_and_b32 s6, s23, exec_lo
	s_and_b32 s8, s22, exec_lo
	s_or_b32 s21, s4, s6
	s_or_b32 s19, s7, s8
	s_and_b32 s5, s5, exec_lo
.LBB62_294:                             ;   in Loop: Header=BB62_33 Depth=1
	s_or_b32 exec_lo, exec_lo, s12
	s_and_saveexec_b32 s4, s5
	s_delay_alu instid0(SALU_CYCLE_1)
	s_xor_b32 s4, exec_lo, s4
	s_cbranch_execz .LBB62_31
.LBB62_295:                             ;   in Loop: Header=BB62_33 Depth=1
	s_and_b32 s5, s72, -9
	s_delay_alu instid0(SALU_CYCLE_1)
	s_cmp_eq_u32 s5, 0
	s_cbranch_scc1 .LBB62_29
; %bb.296:                              ;   in Loop: Header=BB62_33 Depth=1
	s_mov_b32 s5, -1
	s_mov_b32 s6, -1
                                        ; implicit-def: $sgpr58
                                        ; implicit-def: $sgpr62
                                        ; implicit-def: $sgpr64
	s_branch .LBB62_30
.LBB62_297:                             ;   in Loop: Header=BB62_33 Depth=1
                                        ; implicit-def: $vgpr2_vgpr3
	s_branch .LBB62_249
.LBB62_298:                             ;   in Loop: Header=BB62_33 Depth=1
                                        ; implicit-def: $vgpr2_vgpr3
	s_branch .LBB62_266
.LBB62_299:
	s_or_b32 exec_lo, exec_lo, s103
	s_xor_b32 s5, s63, -1
	s_xor_b32 s2, s104, -1
	s_xor_b32 s4, vcc_hi, -1
	s_mov_b32 s3, 0
	s_and_saveexec_b32 s6, s2
	s_delay_alu instid0(SALU_CYCLE_1)
	s_xor_b32 s2, exec_lo, s6
	s_cbranch_execz .LBB62_322
; %bb.300:
	s_and_saveexec_b32 s3, s5
	s_delay_alu instid0(SALU_CYCLE_1)
	s_xor_b32 s3, exec_lo, s3
	s_cbranch_execz .LBB62_320
; %bb.301:
	s_and_saveexec_b32 s5, s4
	s_delay_alu instid0(SALU_CYCLE_1)
	s_xor_b32 s4, exec_lo, s5
; %bb.302:
	v_and_b32_e32 v3, 0x8000, v2
	v_mov_b32_e32 v4, 0xffff
	s_delay_alu instid0(VALU_DEP_2) | instskip(NEXT) | instid1(VALU_DEP_2)
	v_cmp_eq_u32_e32 vcc_lo, 0, v3
	v_cndmask_b32_e32 v3, 0x8000, v4, vcc_lo
	s_delay_alu instid0(VALU_DEP_1)
	v_xor_b32_e32 v45, v3, v2
; %bb.303:
	s_or_b32 exec_lo, exec_lo, s4
	s_and_saveexec_b32 s4, s0
	s_cbranch_execz .LBB62_305
; %bb.304:
	v_dual_mov_b32 v2, 0 :: v_dual_mov_b32 v3, s24
	ds_store_b32 v2, v3 offset:5140
.LBB62_305:
	s_or_b32 exec_lo, exec_lo, s4
	s_waitcnt lgkmcnt(0)
	s_barrier
	buffer_gl0_inv
	s_and_saveexec_b32 s4, s1
	s_cbranch_execz .LBB62_317
; %bb.306:
	v_mov_b32_e32 v2, 0
	v_cmp_u_f16_e32 vcc_lo, v45, v45
	s_mov_b32 s5, 0
                                        ; implicit-def: $sgpr7
                                        ; implicit-def: $sgpr8
                                        ; implicit-def: $sgpr9
	ds_load_b32 v4, v2 offset:5140
	s_xor_b32 s6, vcc_lo, -1
	s_waitcnt lgkmcnt(0)
	v_ashrrev_i32_e32 v5, 31, v4
	s_set_inst_prefetch_distance 0x1
	s_branch .LBB62_309
	.p2align	6
.LBB62_307:                             ;   in Loop: Header=BB62_309 Depth=1
	s_or_b32 exec_lo, exec_lo, s13
	s_delay_alu instid0(SALU_CYCLE_1)
	s_and_not1_b32 s1, s9, exec_lo
	s_and_b32 s9, s11, exec_lo
	s_and_not1_b32 s8, s8, exec_lo
	s_and_b32 s11, s12, exec_lo
	s_or_b32 s9, s1, s9
	s_or_b32 s8, s8, s11
.LBB62_308:                             ;   in Loop: Header=BB62_309 Depth=1
	s_or_b32 exec_lo, exec_lo, s10
	s_delay_alu instid0(SALU_CYCLE_1) | instskip(NEXT) | instid1(SALU_CYCLE_1)
	s_and_b32 s1, exec_lo, s8
	s_or_b32 s5, s1, s5
	s_and_not1_b32 s1, s7, exec_lo
	s_and_b32 s7, s9, exec_lo
	s_delay_alu instid0(SALU_CYCLE_1)
	s_or_b32 s7, s1, s7
	s_and_not1_b32 exec_lo, exec_lo, s5
	s_cbranch_execz .LBB62_312
.LBB62_309:                             ; =>This Inner Loop Header: Depth=1
	v_dual_mov_b32 v3, v1 :: v_dual_mov_b32 v2, v0
	s_or_b32 s9, s9, exec_lo
	s_or_b32 s8, s8, exec_lo
	s_mov_b32 s10, exec_lo
                                        ; implicit-def: $vgpr0_vgpr1
	s_delay_alu instid0(VALU_DEP_1)
	v_cmpx_lt_i64_e64 v[2:3], v[4:5]
	s_cbranch_execz .LBB62_308
; %bb.310:                              ;   in Loop: Header=BB62_309 Depth=1
	global_load_u16 v0, v[10:11], off
	s_mov_b32 s12, -1
	s_waitcnt vmcnt(0)
	v_cmp_o_f16_e32 vcc_lo, v0, v0
	v_cmp_neq_f16_e64 s1, v0, v45
                                        ; implicit-def: $vgpr0_vgpr1
	s_or_b32 s11, s6, vcc_lo
	s_delay_alu instid0(VALU_DEP_1) | instid1(SALU_CYCLE_1)
	s_and_b32 s1, s1, s11
	s_mov_b32 s11, 0
	s_and_saveexec_b32 s13, s1
	s_cbranch_execz .LBB62_307
; %bb.311:                              ;   in Loop: Header=BB62_309 Depth=1
	v_add_co_u32 v0, vcc_lo, v2, s33
	v_add_co_ci_u32_e32 v1, vcc_lo, 0, v3, vcc_lo
	v_add_co_u32 v10, s1, v10, s68
	s_mov_b32 s11, exec_lo
	s_delay_alu instid0(VALU_DEP_2)
	v_cmp_le_i64_e32 vcc_lo, s[24:25], v[0:1]
	v_add_co_ci_u32_e64 v11, s1, s69, v11, s1
	s_or_not1_b32 s12, vcc_lo, exec_lo
	s_branch .LBB62_307
.LBB62_312:
	s_set_inst_prefetch_distance 0x2
	s_or_b32 exec_lo, exec_lo, s5
	s_xor_b32 s1, s7, -1
	s_delay_alu instid0(SALU_CYCLE_1) | instskip(NEXT) | instid1(SALU_CYCLE_1)
	s_and_saveexec_b32 s5, s1
	s_xor_b32 s5, exec_lo, s5
	s_cbranch_execz .LBB62_317
; %bb.313:
	s_mov_b32 s5, exec_lo
	s_brev_b32 s1, -2
.LBB62_314:                             ; =>This Inner Loop Header: Depth=1
	s_ctz_i32_b32 s6, s5
	s_delay_alu instid0(SALU_CYCLE_1) | instskip(SKIP_1) | instid1(SALU_CYCLE_1)
	v_readlane_b32 s7, v2, s6
	s_lshl_b32 s6, 1, s6
	s_and_not1_b32 s5, s5, s6
	s_delay_alu instid0(VALU_DEP_1)
	s_min_i32 s1, s1, s7
	s_cmp_lg_u32 s5, 0
	s_cbranch_scc1 .LBB62_314
; %bb.315:
	v_mbcnt_lo_u32_b32 v0, exec_lo, 0
	s_mov_b32 s5, exec_lo
	s_delay_alu instid0(VALU_DEP_1)
	v_cmpx_eq_u32_e32 0, v0
	s_xor_b32 s5, exec_lo, s5
	s_cbranch_execz .LBB62_317
; %bb.316:
	v_dual_mov_b32 v0, 0 :: v_dual_mov_b32 v1, s1
	ds_min_i32 v0, v1 offset:5140
.LBB62_317:
	s_or_b32 exec_lo, exec_lo, s4
	s_waitcnt lgkmcnt(0)
	s_barrier
	buffer_gl0_inv
	s_and_saveexec_b32 s4, s0
	s_cbranch_execz .LBB62_319
; %bb.318:
	s_mul_i32 s0, s54, s43
	s_mul_hi_u32 s1, s54, s42
	v_readlane_b32 s16, v49, 0
	s_add_i32 s0, s1, s0
	s_mul_i32 s1, s55, s42
	v_readlane_b32 s17, v49, 1
	s_mul_i32 s5, s54, s42
	s_add_i32 s0, s0, s1
	s_sub_u32 s5, s34, s5
	s_subb_u32 s0, 0, s0
	s_mul_i32 s1, s5, s17
	s_mul_hi_u32 s6, s5, s16
	s_mul_i32 s0, s0, s16
	s_add_i32 s1, s6, s1
	s_mul_i32 s6, s52, s37
	s_mul_hi_u32 s7, s52, s36
	s_add_i32 s1, s1, s0
	s_add_i32 s0, s7, s6
	s_mul_i32 s6, s53, s36
	s_mul_i32 s7, s52, s36
	s_add_i32 s0, s0, s6
	s_sub_u32 s6, s28, s7
	s_subb_u32 s0, s29, s0
	s_mul_i32 s7, s6, s51
	s_mul_hi_u32 s8, s6, s50
	s_mul_i32 s0, s0, s50
	s_add_i32 s7, s8, s7
	s_mul_i32 s8, s52, s49
	s_mul_hi_u32 s9, s52, s48
	s_add_i32 s7, s7, s0
	s_add_i32 s0, s9, s8
	s_mul_i32 s8, s53, s48
	s_mul_i32 s10, s28, s39
	s_mul_hi_u32 s11, s28, s38
	v_readlane_b32 s18, v49, 6
	s_add_i32 s9, s0, s8
	s_add_i32 s0, s11, s10
	s_mul_i32 s8, s29, s38
	v_readlane_b32 s19, v49, 7
	s_mul_i32 s10, s28, s38
	s_add_i32 s0, s0, s8
	s_sub_u32 s10, s34, s10
	s_subb_u32 s0, 0, s0
	s_mul_i32 s8, s10, s19
	s_mul_hi_u32 s11, s10, s18
	s_mul_i32 s0, s0, s18
	s_add_i32 s8, s11, s8
	s_mul_i32 s12, s60, s41
	s_mul_hi_u32 s13, s60, s40
	v_readlane_b32 s20, v49, 2
	s_add_i32 s11, s8, s0
	s_add_i32 s0, s13, s12
	s_mul_i32 s8, s61, s40
	v_readlane_b32 s22, v49, 4
	v_readlane_b32 s23, v49, 5
	v_mov_b32_e32 v2, 0
	s_mul_i32 s12, s60, s40
	s_add_i32 s0, s0, s8
	v_readlane_b32 s21, v49, 3
	s_sub_u32 s12, s54, s12
	ds_load_b32 v0, v2 offset:5140
	s_mul_i32 s13, s12, s23
	s_mul_hi_u32 s14, s12, s22
	s_subb_u32 s0, s55, s0
	s_add_i32 s13, s14, s13
	s_mul_i32 s14, s60, s21
	s_mul_hi_u32 s15, s60, s20
	v_readlane_b32 s24, v49, 10
	s_mul_i32 s8, s52, s48
	v_readlane_b32 s25, v49, 11
	s_mul_i32 s0, s0, s22
	s_add_i32 s14, s15, s14
	s_mul_i32 s15, s61, s20
	s_lshl_b64 s[8:9], s[8:9], 1
	s_mul_i32 s6, s6, s50
	s_add_i32 s13, s13, s0
	s_add_i32 s15, s14, s15
	s_add_u32 s0, s24, s8
	s_addc_u32 s8, s25, s9
	s_lshl_b64 s[6:7], s[6:7], 1
	s_mul_i32 s10, s10, s18
	s_add_u32 s0, s0, s6
	s_addc_u32 s8, s8, s7
	s_lshl_b64 s[6:7], s[10:11], 1
	v_readlane_b32 s10, v49, 8
	s_mul_i32 s14, s60, s20
	v_readlane_b32 s11, v49, 9
	s_add_u32 s6, s0, s6
	s_addc_u32 s7, s8, s7
	s_lshl_b64 s[8:9], s[14:15], 3
	s_mul_i32 s12, s12, s22
	s_add_u32 s10, s10, s8
	s_addc_u32 s11, s11, s9
	s_lshl_b64 s[8:9], s[12:13], 3
	s_mul_i32 s0, s5, s16
	s_add_u32 s5, s10, s8
	s_addc_u32 s8, s11, s9
	s_lshl_b64 s[0:1], s[0:1], 3
	s_waitcnt lgkmcnt(0)
	v_ashrrev_i32_e32 v1, 31, v0
	s_add_u32 s0, s5, s0
	s_addc_u32 s1, s8, s1
	s_clause 0x1
	global_store_b64 v2, v[0:1], s[0:1]
	global_store_b16 v2, v45, s[6:7]
.LBB62_319:
	s_or_b32 exec_lo, exec_lo, s4
.LBB62_320:
	s_or_saveexec_b32 s0, s3
	s_mov_b32 s1, 0
	s_xor_b32 exec_lo, exec_lo, s0
	s_cbranch_execnz .LBB62_328
.LBB62_321:
	s_or_b32 exec_lo, exec_lo, s0
	s_delay_alu instid0(SALU_CYCLE_1)
	s_and_b32 s3, s1, exec_lo
.LBB62_322:
	s_and_not1_saveexec_b32 s0, s2
	s_cbranch_execnz .LBB62_326
; %bb.323:
	s_or_b32 exec_lo, exec_lo, s0
	s_and_saveexec_b32 s0, s3
.LBB62_324:
	; divergent unreachable
.LBB62_325:
	s_nop 0
	s_sendmsg sendmsg(MSG_DEALLOC_VGPRS)
	s_endpgm
.LBB62_326:
	s_cbranch_execnz .LBB62_330
; %bb.327:
	s_or_b32 s3, s3, exec_lo
	s_or_b32 exec_lo, exec_lo, s0
	s_and_saveexec_b32 s0, s3
	s_cbranch_execnz .LBB62_324
	s_branch .LBB62_325
.LBB62_328:
	s_cbranch_execnz .LBB62_332
; %bb.329:
	s_mov_b32 s1, exec_lo
	s_branch .LBB62_321
.LBB62_330:
	s_trap 2
	s_sendmsg_rtn_b32 s0, sendmsg(MSG_RTN_GET_DOORBELL)
	s_mov_b32 ttmp2, m0
	s_waitcnt lgkmcnt(0)
	s_and_b32 s0, s0, 0x3ff
	s_delay_alu instid0(SALU_CYCLE_1) | instskip(NEXT) | instid1(SALU_CYCLE_1)
	s_bitset1_b32 s0, 10
	s_mov_b32 m0, s0
	s_sendmsg sendmsg(MSG_INTERRUPT)
	s_mov_b32 m0, ttmp2
.LBB62_331:                             ; =>This Inner Loop Header: Depth=1
	s_sethalt 5
	s_branch .LBB62_331
.LBB62_332:
	s_trap 2
	s_sendmsg_rtn_b32 s0, sendmsg(MSG_RTN_GET_DOORBELL)
	s_mov_b32 ttmp2, m0
	s_waitcnt lgkmcnt(0)
	s_and_b32 s0, s0, 0x3ff
	s_delay_alu instid0(SALU_CYCLE_1) | instskip(NEXT) | instid1(SALU_CYCLE_1)
	s_bitset1_b32 s0, 10
	s_mov_b32 m0, s0
	s_sendmsg sendmsg(MSG_INTERRUPT)
	s_mov_b32 m0, ttmp2
.LBB62_333:                             ; =>This Inner Loop Header: Depth=1
	s_sethalt 5
	s_branch .LBB62_333
	.section	.rodata,"a",@progbits
	.p2align	6, 0x0
	.amdhsa_kernel _ZN2at6native12_GLOBAL__N_114gatherKthValueIN3c104HalfElLi3EEEvNS_4cuda6detail10TensorInfoIKT_T0_EESA_SA_SA_SA_NS7_IS8_SA_EENS7_IlSA_EE
		.amdhsa_group_segment_fixed_size 5144
		.amdhsa_private_segment_fixed_size 0
		.amdhsa_kernarg_size 1536
		.amdhsa_user_sgpr_count 13
		.amdhsa_user_sgpr_dispatch_ptr 0
		.amdhsa_user_sgpr_queue_ptr 0
		.amdhsa_user_sgpr_kernarg_segment_ptr 1
		.amdhsa_user_sgpr_dispatch_id 0
		.amdhsa_user_sgpr_private_segment_size 0
		.amdhsa_wavefront_size32 1
		.amdhsa_uses_dynamic_stack 0
		.amdhsa_enable_private_segment 0
		.amdhsa_system_sgpr_workgroup_id_x 1
		.amdhsa_system_sgpr_workgroup_id_y 1
		.amdhsa_system_sgpr_workgroup_id_z 1
		.amdhsa_system_sgpr_workgroup_info 0
		.amdhsa_system_vgpr_workitem_id 0
		.amdhsa_next_free_vgpr 50
		.amdhsa_next_free_sgpr 105
		.amdhsa_reserve_vcc 1
		.amdhsa_float_round_mode_32 0
		.amdhsa_float_round_mode_16_64 0
		.amdhsa_float_denorm_mode_32 3
		.amdhsa_float_denorm_mode_16_64 3
		.amdhsa_dx10_clamp 1
		.amdhsa_ieee_mode 1
		.amdhsa_fp16_overflow 0
		.amdhsa_workgroup_processor_mode 1
		.amdhsa_memory_ordered 1
		.amdhsa_forward_progress 0
		.amdhsa_shared_vgpr_count 0
		.amdhsa_exception_fp_ieee_invalid_op 0
		.amdhsa_exception_fp_denorm_src 0
		.amdhsa_exception_fp_ieee_div_zero 0
		.amdhsa_exception_fp_ieee_overflow 0
		.amdhsa_exception_fp_ieee_underflow 0
		.amdhsa_exception_fp_ieee_inexact 0
		.amdhsa_exception_int_div_zero 0
	.end_amdhsa_kernel
	.section	.text._ZN2at6native12_GLOBAL__N_114gatherKthValueIN3c104HalfElLi3EEEvNS_4cuda6detail10TensorInfoIKT_T0_EESA_SA_SA_SA_NS7_IS8_SA_EENS7_IlSA_EE,"axG",@progbits,_ZN2at6native12_GLOBAL__N_114gatherKthValueIN3c104HalfElLi3EEEvNS_4cuda6detail10TensorInfoIKT_T0_EESA_SA_SA_SA_NS7_IS8_SA_EENS7_IlSA_EE,comdat
.Lfunc_end62:
	.size	_ZN2at6native12_GLOBAL__N_114gatherKthValueIN3c104HalfElLi3EEEvNS_4cuda6detail10TensorInfoIKT_T0_EESA_SA_SA_SA_NS7_IS8_SA_EENS7_IlSA_EE, .Lfunc_end62-_ZN2at6native12_GLOBAL__N_114gatherKthValueIN3c104HalfElLi3EEEvNS_4cuda6detail10TensorInfoIKT_T0_EESA_SA_SA_SA_NS7_IS8_SA_EENS7_IlSA_EE
                                        ; -- End function
	.section	.AMDGPU.csdata,"",@progbits
; Kernel info:
; codeLenInByte = 23160
; NumSgprs: 107
; NumVgprs: 50
; ScratchSize: 0
; MemoryBound: 0
; FloatMode: 240
; IeeeMode: 1
; LDSByteSize: 5144 bytes/workgroup (compile time only)
; SGPRBlocks: 13
; VGPRBlocks: 6
; NumSGPRsForWavesPerEU: 107
; NumVGPRsForWavesPerEU: 50
; Occupancy: 16
; WaveLimiterHint : 1
; COMPUTE_PGM_RSRC2:SCRATCH_EN: 0
; COMPUTE_PGM_RSRC2:USER_SGPR: 13
; COMPUTE_PGM_RSRC2:TRAP_HANDLER: 0
; COMPUTE_PGM_RSRC2:TGID_X_EN: 1
; COMPUTE_PGM_RSRC2:TGID_Y_EN: 1
; COMPUTE_PGM_RSRC2:TGID_Z_EN: 1
; COMPUTE_PGM_RSRC2:TIDIG_COMP_CNT: 0
	.section	.text._ZN2at6native12_GLOBAL__N_114gatherKthValueIN3c104HalfElLin1EEEvNS_4cuda6detail10TensorInfoIKT_T0_EESA_SA_SA_SA_NS7_IS8_SA_EENS7_IlSA_EE,"axG",@progbits,_ZN2at6native12_GLOBAL__N_114gatherKthValueIN3c104HalfElLin1EEEvNS_4cuda6detail10TensorInfoIKT_T0_EESA_SA_SA_SA_NS7_IS8_SA_EENS7_IlSA_EE,comdat
	.globl	_ZN2at6native12_GLOBAL__N_114gatherKthValueIN3c104HalfElLin1EEEvNS_4cuda6detail10TensorInfoIKT_T0_EESA_SA_SA_SA_NS7_IS8_SA_EENS7_IlSA_EE ; -- Begin function _ZN2at6native12_GLOBAL__N_114gatherKthValueIN3c104HalfElLin1EEEvNS_4cuda6detail10TensorInfoIKT_T0_EESA_SA_SA_SA_NS7_IS8_SA_EENS7_IlSA_EE
	.p2align	8
	.type	_ZN2at6native12_GLOBAL__N_114gatherKthValueIN3c104HalfElLin1EEEvNS_4cuda6detail10TensorInfoIKT_T0_EESA_SA_SA_SA_NS7_IS8_SA_EENS7_IlSA_EE,@function
_ZN2at6native12_GLOBAL__N_114gatherKthValueIN3c104HalfElLin1EEEvNS_4cuda6detail10TensorInfoIKT_T0_EESA_SA_SA_SA_NS7_IS8_SA_EENS7_IlSA_EE: ; @_ZN2at6native12_GLOBAL__N_114gatherKthValueIN3c104HalfElLin1EEEvNS_4cuda6detail10TensorInfoIKT_T0_EESA_SA_SA_SA_NS7_IS8_SA_EENS7_IlSA_EE
; %bb.0:
	s_clause 0x1
	s_load_b64 s[6:7], s[0:1], 0x500
	s_load_b256 s[24:31], s[0:1], 0x1a0
	s_add_u32 s4, s0, 0x500
	s_addc_u32 s5, s1, 0
	s_mov_b32 s9, 0
	s_waitcnt lgkmcnt(0)
	s_mul_i32 s2, s7, s15
	s_delay_alu instid0(SALU_CYCLE_1) | instskip(NEXT) | instid1(SALU_CYCLE_1)
	s_add_i32 s2, s2, s14
	s_mul_i32 s2, s2, s6
	s_delay_alu instid0(SALU_CYCLE_1) | instskip(NEXT) | instid1(SALU_CYCLE_1)
	s_add_i32 s8, s2, s13
	v_cmp_ge_i64_e64 s2, s[8:9], s[28:29]
	s_delay_alu instid0(VALU_DEP_1)
	s_and_b32 vcc_lo, exec_lo, s2
	s_cbranch_vccnz .LBB63_325
; %bb.1:
	s_load_b32 s7, s[0:1], 0x198
	s_mov_b64 s[2:3], 0
	s_mov_b64 s[10:11], s[8:9]
	s_waitcnt lgkmcnt(0)
	s_cmp_lt_i32 s7, 2
	s_cbranch_scc1 .LBB63_9
; %bb.2:
	s_mov_b32 s14, 0
	s_add_i32 s2, s7, -1
	s_mov_b32 s3, s14
	s_add_i32 s7, s7, 1
	s_lshl_b64 s[10:11], s[2:3], 3
	s_mov_b64 s[2:3], 0
	s_add_u32 s10, s10, s0
	s_addc_u32 s11, s11, s1
	s_add_u32 s16, s10, 8
	s_addc_u32 s17, s11, 0
	s_mov_b64 s[18:19], s[8:9]
.LBB63_3:                               ; =>This Inner Loop Header: Depth=1
	s_load_b64 s[20:21], s[16:17], 0x0
	s_mov_b32 s12, -1
	s_waitcnt lgkmcnt(0)
	s_or_b64 s[10:11], s[18:19], s[20:21]
	s_delay_alu instid0(SALU_CYCLE_1) | instskip(NEXT) | instid1(SALU_CYCLE_1)
	s_mov_b32 s15, s11
                                        ; implicit-def: $sgpr10_sgpr11
	s_cmp_lg_u64 s[14:15], 0
	s_cbranch_scc0 .LBB63_5
; %bb.4:                                ;   in Loop: Header=BB63_3 Depth=1
	s_ashr_i32 s10, s21, 31
	s_delay_alu instid0(SALU_CYCLE_1) | instskip(SKIP_2) | instid1(SALU_CYCLE_1)
	s_add_u32 s22, s20, s10
	s_mov_b32 s11, s10
	s_addc_u32 s23, s21, s10
	s_xor_b64 s[22:23], s[22:23], s[10:11]
	s_delay_alu instid0(SALU_CYCLE_1)
	v_cvt_f32_u32_e32 v1, s22
	v_cvt_f32_u32_e32 v2, s23
	s_sub_u32 s28, 0, s22
	s_subb_u32 s29, 0, s23
	s_waitcnt_depctr 0xfff
	v_fmac_f32_e32 v1, 0x4f800000, v2
	s_delay_alu instid0(VALU_DEP_1) | instskip(SKIP_2) | instid1(VALU_DEP_1)
	v_rcp_f32_e32 v1, v1
	s_waitcnt_depctr 0xfff
	v_mul_f32_e32 v1, 0x5f7ffffc, v1
	v_mul_f32_e32 v2, 0x2f800000, v1
	s_delay_alu instid0(VALU_DEP_1) | instskip(NEXT) | instid1(VALU_DEP_1)
	v_trunc_f32_e32 v2, v2
	v_fmac_f32_e32 v1, 0xcf800000, v2
	v_cvt_u32_f32_e32 v2, v2
	s_delay_alu instid0(VALU_DEP_2) | instskip(NEXT) | instid1(VALU_DEP_2)
	v_cvt_u32_f32_e32 v1, v1
	v_readfirstlane_b32 s12, v2
	s_delay_alu instid0(VALU_DEP_2) | instskip(NEXT) | instid1(VALU_DEP_2)
	v_readfirstlane_b32 s15, v1
	s_mul_i32 s33, s28, s12
	s_delay_alu instid0(VALU_DEP_1)
	s_mul_hi_u32 s35, s28, s15
	s_mul_i32 s34, s29, s15
	s_add_i32 s33, s35, s33
	s_mul_i32 s36, s28, s15
	s_add_i32 s33, s33, s34
	s_mul_hi_u32 s35, s15, s36
	s_mul_hi_u32 s37, s12, s36
	s_mul_i32 s34, s12, s36
	s_mul_hi_u32 s36, s15, s33
	s_mul_i32 s15, s15, s33
	s_mul_hi_u32 s38, s12, s33
	s_add_u32 s15, s35, s15
	s_addc_u32 s35, 0, s36
	s_add_u32 s15, s15, s34
	s_mul_i32 s33, s12, s33
	s_addc_u32 s15, s35, s37
	s_addc_u32 s34, s38, 0
	s_add_u32 s15, s15, s33
	s_addc_u32 s33, 0, s34
	v_add_co_u32 v1, s15, v1, s15
	s_delay_alu instid0(VALU_DEP_1) | instskip(SKIP_1) | instid1(VALU_DEP_1)
	s_cmp_lg_u32 s15, 0
	s_addc_u32 s12, s12, s33
	v_readfirstlane_b32 s15, v1
	s_mul_i32 s33, s28, s12
	s_delay_alu instid0(VALU_DEP_1)
	s_mul_hi_u32 s34, s28, s15
	s_mul_i32 s29, s29, s15
	s_add_i32 s33, s34, s33
	s_mul_i32 s28, s28, s15
	s_add_i32 s33, s33, s29
	s_mul_hi_u32 s34, s12, s28
	s_mul_i32 s35, s12, s28
	s_mul_hi_u32 s28, s15, s28
	s_mul_hi_u32 s36, s15, s33
	s_mul_i32 s15, s15, s33
	s_mul_hi_u32 s29, s12, s33
	s_add_u32 s15, s28, s15
	s_addc_u32 s28, 0, s36
	s_add_u32 s15, s15, s35
	s_mul_i32 s33, s12, s33
	s_addc_u32 s15, s28, s34
	s_addc_u32 s28, s29, 0
	s_add_u32 s15, s15, s33
	s_addc_u32 s28, 0, s28
	v_add_co_u32 v1, s15, v1, s15
	s_delay_alu instid0(VALU_DEP_1) | instskip(SKIP_2) | instid1(VALU_DEP_1)
	s_cmp_lg_u32 s15, 0
	s_addc_u32 s12, s12, s28
	s_ashr_i32 s28, s19, 31
	v_readfirstlane_b32 s15, v1
	s_add_u32 s34, s18, s28
	s_mov_b32 s29, s28
	s_addc_u32 s35, s19, s28
	s_delay_alu instid0(SALU_CYCLE_1) | instskip(NEXT) | instid1(SALU_CYCLE_1)
	s_xor_b64 s[34:35], s[34:35], s[28:29]
	s_mul_i32 s36, s34, s12
	s_mul_hi_u32 s37, s34, s15
	s_mul_hi_u32 s33, s34, s12
	;; [unrolled: 1-line block ×3, first 2 shown]
	s_mul_i32 s15, s35, s15
	s_add_u32 s36, s37, s36
	s_addc_u32 s33, 0, s33
	s_mul_hi_u32 s38, s35, s12
	s_add_u32 s15, s36, s15
	s_mul_i32 s12, s35, s12
	s_addc_u32 s15, s33, s39
	s_addc_u32 s33, s38, 0
	s_add_u32 s12, s15, s12
	s_addc_u32 s15, 0, s33
	s_mul_i32 s38, s22, s12
	s_mul_hi_u32 s33, s22, s12
	s_mul_i32 s37, s22, s15
	v_sub_co_u32 v1, s34, s34, s38
	s_mul_i32 s36, s23, s12
	s_add_i32 s33, s33, s37
	s_delay_alu instid0(SALU_CYCLE_1) | instskip(NEXT) | instid1(VALU_DEP_1)
	s_add_i32 s33, s33, s36
	v_sub_co_u32 v2, s37, v1, s22
	s_sub_i32 s36, s35, s33
	s_cmp_lg_u32 s34, 0
	s_subb_u32 s36, s36, s23
	s_cmp_lg_u32 s37, 0
	v_readfirstlane_b32 s37, v2
	s_subb_u32 s36, s36, 0
	s_delay_alu instid0(SALU_CYCLE_1) | instskip(SKIP_1) | instid1(VALU_DEP_1)
	s_cmp_ge_u32 s36, s23
	s_cselect_b32 s38, -1, 0
	s_cmp_ge_u32 s37, s22
	s_cselect_b32 s37, -1, 0
	s_cmp_eq_u32 s36, s23
	s_cselect_b32 s36, s37, s38
	s_add_u32 s37, s12, 1
	s_addc_u32 s38, s15, 0
	s_add_u32 s39, s12, 2
	s_addc_u32 s40, s15, 0
	s_cmp_lg_u32 s36, 0
	s_cselect_b32 s36, s39, s37
	s_cselect_b32 s37, s40, s38
	s_cmp_lg_u32 s34, 0
	v_readfirstlane_b32 s34, v1
	s_subb_u32 s33, s35, s33
	s_delay_alu instid0(SALU_CYCLE_1) | instskip(SKIP_1) | instid1(VALU_DEP_1)
	s_cmp_ge_u32 s33, s23
	s_cselect_b32 s35, -1, 0
	s_cmp_ge_u32 s34, s22
	s_cselect_b32 s22, -1, 0
	s_cmp_eq_u32 s33, s23
	s_cselect_b32 s22, s22, s35
	s_delay_alu instid0(SALU_CYCLE_1)
	s_cmp_lg_u32 s22, 0
	s_cselect_b32 s23, s37, s15
	s_cselect_b32 s22, s36, s12
	s_xor_b64 s[10:11], s[28:29], s[10:11]
	s_mov_b32 s12, 0
	s_xor_b64 s[22:23], s[22:23], s[10:11]
	s_delay_alu instid0(SALU_CYCLE_1)
	s_sub_u32 s10, s22, s10
	s_subb_u32 s11, s23, s11
.LBB63_5:                               ;   in Loop: Header=BB63_3 Depth=1
	s_and_not1_b32 vcc_lo, exec_lo, s12
	s_cbranch_vccnz .LBB63_7
; %bb.6:                                ;   in Loop: Header=BB63_3 Depth=1
	v_cvt_f32_u32_e32 v1, s20
	s_sub_i32 s11, 0, s20
	s_waitcnt_depctr 0xfff
	v_rcp_iflag_f32_e32 v1, v1
	s_waitcnt_depctr 0xfff
	v_mul_f32_e32 v1, 0x4f7ffffe, v1
	s_delay_alu instid0(VALU_DEP_1) | instskip(NEXT) | instid1(VALU_DEP_1)
	v_cvt_u32_f32_e32 v1, v1
	v_readfirstlane_b32 s10, v1
	s_delay_alu instid0(VALU_DEP_1) | instskip(NEXT) | instid1(SALU_CYCLE_1)
	s_mul_i32 s11, s11, s10
	s_mul_hi_u32 s11, s10, s11
	s_delay_alu instid0(SALU_CYCLE_1) | instskip(NEXT) | instid1(SALU_CYCLE_1)
	s_add_i32 s10, s10, s11
	s_mul_hi_u32 s10, s18, s10
	s_delay_alu instid0(SALU_CYCLE_1) | instskip(SKIP_2) | instid1(SALU_CYCLE_1)
	s_mul_i32 s11, s10, s20
	s_add_i32 s12, s10, 1
	s_sub_i32 s11, s18, s11
	s_sub_i32 s15, s11, s20
	s_cmp_ge_u32 s11, s20
	s_cselect_b32 s10, s12, s10
	s_cselect_b32 s11, s15, s11
	s_add_i32 s12, s10, 1
	s_cmp_ge_u32 s11, s20
	s_mov_b32 s11, s14
	s_cselect_b32 s10, s12, s10
.LBB63_7:                               ;   in Loop: Header=BB63_3 Depth=1
	s_load_b64 s[22:23], s[16:17], 0xc8
	s_mul_i32 s12, s10, s21
	s_mul_hi_u32 s15, s10, s20
	s_mul_i32 s21, s11, s20
	s_add_i32 s12, s15, s12
	s_mul_i32 s15, s10, s20
	s_add_i32 s12, s12, s21
	s_sub_u32 s15, s18, s15
	s_subb_u32 s12, s19, s12
	s_waitcnt lgkmcnt(0)
	s_mul_i32 s12, s22, s12
	s_mul_hi_u32 s18, s22, s15
	s_mul_i32 s19, s23, s15
	s_add_i32 s12, s18, s12
	s_mul_i32 s15, s22, s15
	s_add_i32 s12, s12, s19
	s_add_u32 s2, s15, s2
	s_addc_u32 s3, s12, s3
	s_add_i32 s7, s7, -1
	s_add_u32 s16, s16, -8
	s_addc_u32 s17, s17, -1
	s_cmp_gt_u32 s7, 2
	s_cbranch_scc0 .LBB63_9
; %bb.8:                                ;   in Loop: Header=BB63_3 Depth=1
	s_mov_b64 s[18:19], s[10:11]
	s_branch .LBB63_3
.LBB63_9:
	s_clause 0x1
	s_load_b32 s7, s[0:1], 0x358
	s_load_b64 s[14:15], s[0:1], 0xd0
	s_add_u32 s16, s0, 0x1c0
	s_addc_u32 s17, s1, 0
	s_mov_b64 s[28:29], 0
	s_mov_b64 s[34:35], s[8:9]
	s_waitcnt lgkmcnt(0)
	s_cmp_lt_i32 s7, 2
	s_cbranch_scc1 .LBB63_17
; %bb.10:
	s_mov_b32 s18, 0
	s_add_i32 s20, s7, -1
	s_mov_b32 s21, s18
	s_add_i32 s7, s7, 1
	s_lshl_b64 s[20:21], s[20:21], 3
	s_mov_b64 s[22:23], s[8:9]
	s_add_u32 s12, s20, s16
	s_addc_u32 s19, s21, s17
	s_add_u32 s20, s12, 8
	s_addc_u32 s21, s19, 0
.LBB63_11:                              ; =>This Inner Loop Header: Depth=1
	s_load_b64 s[36:37], s[20:21], 0x0
	s_mov_b32 s12, -1
	s_waitcnt lgkmcnt(0)
	s_or_b64 s[34:35], s[22:23], s[36:37]
	s_delay_alu instid0(SALU_CYCLE_1) | instskip(NEXT) | instid1(SALU_CYCLE_1)
	s_mov_b32 s19, s35
                                        ; implicit-def: $sgpr34_sgpr35
	s_cmp_lg_u64 s[18:19], 0
	s_cbranch_scc0 .LBB63_13
; %bb.12:                               ;   in Loop: Header=BB63_11 Depth=1
	s_ashr_i32 s34, s37, 31
	s_delay_alu instid0(SALU_CYCLE_1) | instskip(SKIP_2) | instid1(SALU_CYCLE_1)
	s_add_u32 s38, s36, s34
	s_mov_b32 s35, s34
	s_addc_u32 s39, s37, s34
	s_xor_b64 s[38:39], s[38:39], s[34:35]
	s_delay_alu instid0(SALU_CYCLE_1)
	v_cvt_f32_u32_e32 v1, s38
	v_cvt_f32_u32_e32 v2, s39
	s_sub_u32 s33, 0, s38
	s_subb_u32 s40, 0, s39
	s_waitcnt_depctr 0xfff
	v_fmac_f32_e32 v1, 0x4f800000, v2
	s_delay_alu instid0(VALU_DEP_1) | instskip(SKIP_2) | instid1(VALU_DEP_1)
	v_rcp_f32_e32 v1, v1
	s_waitcnt_depctr 0xfff
	v_mul_f32_e32 v1, 0x5f7ffffc, v1
	v_mul_f32_e32 v2, 0x2f800000, v1
	s_delay_alu instid0(VALU_DEP_1) | instskip(NEXT) | instid1(VALU_DEP_1)
	v_trunc_f32_e32 v2, v2
	v_fmac_f32_e32 v1, 0xcf800000, v2
	v_cvt_u32_f32_e32 v2, v2
	s_delay_alu instid0(VALU_DEP_2) | instskip(NEXT) | instid1(VALU_DEP_2)
	v_cvt_u32_f32_e32 v1, v1
	v_readfirstlane_b32 s12, v2
	s_delay_alu instid0(VALU_DEP_2) | instskip(NEXT) | instid1(VALU_DEP_2)
	v_readfirstlane_b32 s19, v1
	s_mul_i32 s41, s33, s12
	s_delay_alu instid0(VALU_DEP_1)
	s_mul_hi_u32 s43, s33, s19
	s_mul_i32 s42, s40, s19
	s_add_i32 s41, s43, s41
	s_mul_i32 s44, s33, s19
	s_add_i32 s41, s41, s42
	s_mul_hi_u32 s43, s19, s44
	s_mul_hi_u32 s45, s12, s44
	s_mul_i32 s42, s12, s44
	s_mul_hi_u32 s44, s19, s41
	s_mul_i32 s19, s19, s41
	s_mul_hi_u32 s46, s12, s41
	s_add_u32 s19, s43, s19
	s_addc_u32 s43, 0, s44
	s_add_u32 s19, s19, s42
	s_mul_i32 s41, s12, s41
	s_addc_u32 s19, s43, s45
	s_addc_u32 s42, s46, 0
	s_add_u32 s19, s19, s41
	s_addc_u32 s41, 0, s42
	v_add_co_u32 v1, s19, v1, s19
	s_delay_alu instid0(VALU_DEP_1) | instskip(SKIP_1) | instid1(VALU_DEP_1)
	s_cmp_lg_u32 s19, 0
	s_addc_u32 s12, s12, s41
	v_readfirstlane_b32 s19, v1
	s_mul_i32 s41, s33, s12
	s_delay_alu instid0(VALU_DEP_1)
	s_mul_hi_u32 s42, s33, s19
	s_mul_i32 s40, s40, s19
	s_add_i32 s41, s42, s41
	s_mul_i32 s33, s33, s19
	s_add_i32 s41, s41, s40
	s_mul_hi_u32 s42, s12, s33
	s_mul_i32 s43, s12, s33
	s_mul_hi_u32 s33, s19, s33
	s_mul_hi_u32 s44, s19, s41
	s_mul_i32 s19, s19, s41
	s_mul_hi_u32 s40, s12, s41
	s_add_u32 s19, s33, s19
	s_addc_u32 s33, 0, s44
	s_add_u32 s19, s19, s43
	s_mul_i32 s41, s12, s41
	s_addc_u32 s19, s33, s42
	s_addc_u32 s33, s40, 0
	s_add_u32 s19, s19, s41
	s_addc_u32 s33, 0, s33
	v_add_co_u32 v1, s19, v1, s19
	s_delay_alu instid0(VALU_DEP_1) | instskip(SKIP_2) | instid1(VALU_DEP_1)
	s_cmp_lg_u32 s19, 0
	s_addc_u32 s12, s12, s33
	s_ashr_i32 s40, s23, 31
	v_readfirstlane_b32 s19, v1
	s_add_u32 s42, s22, s40
	s_mov_b32 s41, s40
	s_addc_u32 s43, s23, s40
	s_delay_alu instid0(SALU_CYCLE_1) | instskip(NEXT) | instid1(SALU_CYCLE_1)
	s_xor_b64 s[42:43], s[42:43], s[40:41]
	s_mul_i32 s44, s42, s12
	s_mul_hi_u32 s45, s42, s19
	s_mul_hi_u32 s33, s42, s12
	;; [unrolled: 1-line block ×3, first 2 shown]
	s_mul_i32 s19, s43, s19
	s_add_u32 s44, s45, s44
	s_addc_u32 s33, 0, s33
	s_mul_hi_u32 s46, s43, s12
	s_add_u32 s19, s44, s19
	s_mul_i32 s12, s43, s12
	s_addc_u32 s19, s33, s47
	s_addc_u32 s33, s46, 0
	s_add_u32 s12, s19, s12
	s_addc_u32 s19, 0, s33
	s_mul_i32 s46, s38, s12
	s_mul_hi_u32 s33, s38, s12
	s_mul_i32 s45, s38, s19
	v_sub_co_u32 v1, s42, s42, s46
	s_mul_i32 s44, s39, s12
	s_add_i32 s33, s33, s45
	s_delay_alu instid0(SALU_CYCLE_1) | instskip(NEXT) | instid1(VALU_DEP_1)
	s_add_i32 s33, s33, s44
	v_sub_co_u32 v2, s45, v1, s38
	s_sub_i32 s44, s43, s33
	s_cmp_lg_u32 s42, 0
	s_subb_u32 s44, s44, s39
	s_cmp_lg_u32 s45, 0
	v_readfirstlane_b32 s45, v2
	s_subb_u32 s44, s44, 0
	s_delay_alu instid0(SALU_CYCLE_1) | instskip(SKIP_1) | instid1(VALU_DEP_1)
	s_cmp_ge_u32 s44, s39
	s_cselect_b32 s46, -1, 0
	s_cmp_ge_u32 s45, s38
	s_cselect_b32 s45, -1, 0
	s_cmp_eq_u32 s44, s39
	s_cselect_b32 s44, s45, s46
	s_add_u32 s45, s12, 1
	s_addc_u32 s46, s19, 0
	s_add_u32 s47, s12, 2
	s_addc_u32 s48, s19, 0
	s_cmp_lg_u32 s44, 0
	s_cselect_b32 s44, s47, s45
	s_cselect_b32 s45, s48, s46
	s_cmp_lg_u32 s42, 0
	v_readfirstlane_b32 s42, v1
	s_subb_u32 s33, s43, s33
	s_delay_alu instid0(SALU_CYCLE_1) | instskip(SKIP_1) | instid1(VALU_DEP_1)
	s_cmp_ge_u32 s33, s39
	s_cselect_b32 s43, -1, 0
	s_cmp_ge_u32 s42, s38
	s_cselect_b32 s38, -1, 0
	s_cmp_eq_u32 s33, s39
	s_cselect_b32 s33, s38, s43
	s_delay_alu instid0(SALU_CYCLE_1)
	s_cmp_lg_u32 s33, 0
	s_cselect_b32 s39, s45, s19
	s_cselect_b32 s38, s44, s12
	s_xor_b64 s[34:35], s[40:41], s[34:35]
	s_mov_b32 s12, 0
	s_xor_b64 s[38:39], s[38:39], s[34:35]
	s_delay_alu instid0(SALU_CYCLE_1)
	s_sub_u32 s34, s38, s34
	s_subb_u32 s35, s39, s35
.LBB63_13:                              ;   in Loop: Header=BB63_11 Depth=1
	s_and_not1_b32 vcc_lo, exec_lo, s12
	s_cbranch_vccnz .LBB63_15
; %bb.14:                               ;   in Loop: Header=BB63_11 Depth=1
	v_cvt_f32_u32_e32 v1, s36
	s_sub_i32 s19, 0, s36
	s_mov_b32 s35, s18
	s_waitcnt_depctr 0xfff
	v_rcp_iflag_f32_e32 v1, v1
	s_waitcnt_depctr 0xfff
	v_mul_f32_e32 v1, 0x4f7ffffe, v1
	s_delay_alu instid0(VALU_DEP_1) | instskip(NEXT) | instid1(VALU_DEP_1)
	v_cvt_u32_f32_e32 v1, v1
	v_readfirstlane_b32 s12, v1
	s_delay_alu instid0(VALU_DEP_1) | instskip(NEXT) | instid1(SALU_CYCLE_1)
	s_mul_i32 s19, s19, s12
	s_mul_hi_u32 s19, s12, s19
	s_delay_alu instid0(SALU_CYCLE_1) | instskip(NEXT) | instid1(SALU_CYCLE_1)
	s_add_i32 s12, s12, s19
	s_mul_hi_u32 s12, s22, s12
	s_delay_alu instid0(SALU_CYCLE_1) | instskip(SKIP_2) | instid1(SALU_CYCLE_1)
	s_mul_i32 s19, s12, s36
	s_add_i32 s33, s12, 1
	s_sub_i32 s19, s22, s19
	s_sub_i32 s34, s19, s36
	s_cmp_ge_u32 s19, s36
	s_cselect_b32 s12, s33, s12
	s_cselect_b32 s19, s34, s19
	s_add_i32 s33, s12, 1
	s_cmp_ge_u32 s19, s36
	s_cselect_b32 s34, s33, s12
.LBB63_15:                              ;   in Loop: Header=BB63_11 Depth=1
	s_load_b64 s[38:39], s[20:21], 0xc8
	s_mul_i32 s12, s34, s37
	s_mul_hi_u32 s19, s34, s36
	s_mul_i32 s33, s35, s36
	s_add_i32 s12, s19, s12
	s_mul_i32 s19, s34, s36
	s_add_i32 s12, s12, s33
	s_sub_u32 s19, s22, s19
	s_subb_u32 s12, s23, s12
	s_waitcnt lgkmcnt(0)
	s_mul_i32 s12, s38, s12
	s_mul_hi_u32 s22, s38, s19
	s_mul_i32 s23, s39, s19
	s_add_i32 s12, s22, s12
	s_mul_i32 s19, s38, s19
	s_add_i32 s12, s12, s23
	s_add_u32 s28, s19, s28
	s_addc_u32 s29, s12, s29
	s_add_i32 s7, s7, -1
	s_add_u32 s20, s20, -8
	s_addc_u32 s21, s21, -1
	s_cmp_gt_u32 s7, 2
	s_cbranch_scc0 .LBB63_17
; %bb.16:                               ;   in Loop: Header=BB63_11 Depth=1
	s_mov_b64 s[22:23], s[34:35]
	s_branch .LBB63_11
.LBB63_17:
	s_clause 0x1
	s_load_b32 s7, s[0:1], 0x4f8
	s_load_b64 s[36:37], s[16:17], 0xd0
	s_add_u32 s12, s0, 0x360
	s_addc_u32 s17, s1, 0
	s_mov_b64 s[38:39], 0
	s_waitcnt lgkmcnt(0)
	s_cmp_lt_i32 s7, 2
	s_cbranch_scc1 .LBB63_25
; %bb.18:
	s_mov_b32 s16, 0
	s_add_i32 s18, s7, -1
	s_mov_b32 s19, s16
	s_add_i32 s7, s7, 1
	s_lshl_b64 s[18:19], s[18:19], 3
	s_delay_alu instid0(SALU_CYCLE_1)
	s_add_u32 s12, s18, s12
	s_addc_u32 s17, s19, s17
	s_add_u32 s18, s12, 8
	s_addc_u32 s19, s17, 0
.LBB63_19:                              ; =>This Inner Loop Header: Depth=1
	s_load_b64 s[20:21], s[18:19], 0x0
	s_mov_b32 s12, -1
                                        ; implicit-def: $sgpr40_sgpr41
	s_waitcnt lgkmcnt(0)
	s_or_b64 s[22:23], s[8:9], s[20:21]
	s_delay_alu instid0(SALU_CYCLE_1) | instskip(NEXT) | instid1(SALU_CYCLE_1)
	s_mov_b32 s17, s23
	s_cmp_lg_u64 s[16:17], 0
	s_cbranch_scc0 .LBB63_21
; %bb.20:                               ;   in Loop: Header=BB63_19 Depth=1
	s_ashr_i32 s22, s21, 31
	s_delay_alu instid0(SALU_CYCLE_1) | instskip(SKIP_2) | instid1(SALU_CYCLE_1)
	s_add_u32 s40, s20, s22
	s_mov_b32 s23, s22
	s_addc_u32 s41, s21, s22
	s_xor_b64 s[40:41], s[40:41], s[22:23]
	s_delay_alu instid0(SALU_CYCLE_1)
	v_cvt_f32_u32_e32 v1, s40
	v_cvt_f32_u32_e32 v2, s41
	s_sub_u32 s33, 0, s40
	s_subb_u32 s42, 0, s41
	s_waitcnt_depctr 0xfff
	v_fmac_f32_e32 v1, 0x4f800000, v2
	s_delay_alu instid0(VALU_DEP_1) | instskip(SKIP_2) | instid1(VALU_DEP_1)
	v_rcp_f32_e32 v1, v1
	s_waitcnt_depctr 0xfff
	v_mul_f32_e32 v1, 0x5f7ffffc, v1
	v_mul_f32_e32 v2, 0x2f800000, v1
	s_delay_alu instid0(VALU_DEP_1) | instskip(NEXT) | instid1(VALU_DEP_1)
	v_trunc_f32_e32 v2, v2
	v_fmac_f32_e32 v1, 0xcf800000, v2
	v_cvt_u32_f32_e32 v2, v2
	s_delay_alu instid0(VALU_DEP_2) | instskip(NEXT) | instid1(VALU_DEP_2)
	v_cvt_u32_f32_e32 v1, v1
	v_readfirstlane_b32 s12, v2
	s_delay_alu instid0(VALU_DEP_2) | instskip(NEXT) | instid1(VALU_DEP_2)
	v_readfirstlane_b32 s17, v1
	s_mul_i32 s43, s33, s12
	s_delay_alu instid0(VALU_DEP_1)
	s_mul_hi_u32 s45, s33, s17
	s_mul_i32 s44, s42, s17
	s_add_i32 s43, s45, s43
	s_mul_i32 s46, s33, s17
	s_add_i32 s43, s43, s44
	s_mul_hi_u32 s45, s17, s46
	s_mul_hi_u32 s47, s12, s46
	s_mul_i32 s44, s12, s46
	s_mul_hi_u32 s46, s17, s43
	s_mul_i32 s17, s17, s43
	s_mul_hi_u32 s48, s12, s43
	s_add_u32 s17, s45, s17
	s_addc_u32 s45, 0, s46
	s_add_u32 s17, s17, s44
	s_mul_i32 s43, s12, s43
	s_addc_u32 s17, s45, s47
	s_addc_u32 s44, s48, 0
	s_add_u32 s17, s17, s43
	s_addc_u32 s43, 0, s44
	v_add_co_u32 v1, s17, v1, s17
	s_delay_alu instid0(VALU_DEP_1) | instskip(SKIP_1) | instid1(VALU_DEP_1)
	s_cmp_lg_u32 s17, 0
	s_addc_u32 s12, s12, s43
	v_readfirstlane_b32 s17, v1
	s_mul_i32 s43, s33, s12
	s_delay_alu instid0(VALU_DEP_1)
	s_mul_hi_u32 s44, s33, s17
	s_mul_i32 s42, s42, s17
	s_add_i32 s43, s44, s43
	s_mul_i32 s33, s33, s17
	s_add_i32 s43, s43, s42
	s_mul_hi_u32 s44, s12, s33
	s_mul_i32 s45, s12, s33
	s_mul_hi_u32 s33, s17, s33
	s_mul_hi_u32 s46, s17, s43
	s_mul_i32 s17, s17, s43
	s_mul_hi_u32 s42, s12, s43
	s_add_u32 s17, s33, s17
	s_addc_u32 s33, 0, s46
	s_add_u32 s17, s17, s45
	s_mul_i32 s43, s12, s43
	s_addc_u32 s17, s33, s44
	s_addc_u32 s33, s42, 0
	s_add_u32 s17, s17, s43
	s_addc_u32 s33, 0, s33
	v_add_co_u32 v1, s17, v1, s17
	s_delay_alu instid0(VALU_DEP_1) | instskip(SKIP_2) | instid1(VALU_DEP_1)
	s_cmp_lg_u32 s17, 0
	s_addc_u32 s12, s12, s33
	s_ashr_i32 s42, s9, 31
	v_readfirstlane_b32 s17, v1
	s_add_u32 s44, s8, s42
	s_mov_b32 s43, s42
	s_addc_u32 s45, s9, s42
	s_delay_alu instid0(SALU_CYCLE_1) | instskip(NEXT) | instid1(SALU_CYCLE_1)
	s_xor_b64 s[44:45], s[44:45], s[42:43]
	s_mul_i32 s46, s44, s12
	s_mul_hi_u32 s47, s44, s17
	s_mul_hi_u32 s33, s44, s12
	;; [unrolled: 1-line block ×3, first 2 shown]
	s_mul_i32 s17, s45, s17
	s_add_u32 s46, s47, s46
	s_addc_u32 s33, 0, s33
	s_mul_hi_u32 s48, s45, s12
	s_add_u32 s17, s46, s17
	s_mul_i32 s12, s45, s12
	s_addc_u32 s17, s33, s49
	s_addc_u32 s33, s48, 0
	s_add_u32 s12, s17, s12
	s_addc_u32 s17, 0, s33
	s_mul_i32 s48, s40, s12
	s_mul_hi_u32 s33, s40, s12
	s_mul_i32 s47, s40, s17
	v_sub_co_u32 v1, s44, s44, s48
	s_mul_i32 s46, s41, s12
	s_add_i32 s33, s33, s47
	s_delay_alu instid0(SALU_CYCLE_1) | instskip(NEXT) | instid1(VALU_DEP_1)
	s_add_i32 s33, s33, s46
	v_sub_co_u32 v2, s47, v1, s40
	s_sub_i32 s46, s45, s33
	s_cmp_lg_u32 s44, 0
	s_subb_u32 s46, s46, s41
	s_cmp_lg_u32 s47, 0
	v_readfirstlane_b32 s47, v2
	s_subb_u32 s46, s46, 0
	s_delay_alu instid0(SALU_CYCLE_1) | instskip(SKIP_1) | instid1(VALU_DEP_1)
	s_cmp_ge_u32 s46, s41
	s_cselect_b32 s48, -1, 0
	s_cmp_ge_u32 s47, s40
	s_cselect_b32 s47, -1, 0
	s_cmp_eq_u32 s46, s41
	s_cselect_b32 s46, s47, s48
	s_add_u32 s47, s12, 1
	s_addc_u32 s48, s17, 0
	s_add_u32 s49, s12, 2
	s_addc_u32 s50, s17, 0
	s_cmp_lg_u32 s46, 0
	s_cselect_b32 s46, s49, s47
	s_cselect_b32 s47, s50, s48
	s_cmp_lg_u32 s44, 0
	v_readfirstlane_b32 s44, v1
	s_subb_u32 s33, s45, s33
	s_delay_alu instid0(SALU_CYCLE_1) | instskip(SKIP_1) | instid1(VALU_DEP_1)
	s_cmp_ge_u32 s33, s41
	s_cselect_b32 s45, -1, 0
	s_cmp_ge_u32 s44, s40
	s_cselect_b32 s40, -1, 0
	s_cmp_eq_u32 s33, s41
	s_cselect_b32 s33, s40, s45
	s_delay_alu instid0(SALU_CYCLE_1)
	s_cmp_lg_u32 s33, 0
	s_cselect_b32 s41, s47, s17
	s_cselect_b32 s40, s46, s12
	s_xor_b64 s[22:23], s[42:43], s[22:23]
	s_mov_b32 s12, 0
	s_xor_b64 s[40:41], s[40:41], s[22:23]
	s_delay_alu instid0(SALU_CYCLE_1)
	s_sub_u32 s40, s40, s22
	s_subb_u32 s41, s41, s23
.LBB63_21:                              ;   in Loop: Header=BB63_19 Depth=1
	s_and_not1_b32 vcc_lo, exec_lo, s12
	s_cbranch_vccnz .LBB63_23
; %bb.22:                               ;   in Loop: Header=BB63_19 Depth=1
	v_cvt_f32_u32_e32 v1, s20
	s_sub_i32 s17, 0, s20
	s_mov_b32 s41, s16
	s_waitcnt_depctr 0xfff
	v_rcp_iflag_f32_e32 v1, v1
	s_waitcnt_depctr 0xfff
	v_mul_f32_e32 v1, 0x4f7ffffe, v1
	s_delay_alu instid0(VALU_DEP_1) | instskip(NEXT) | instid1(VALU_DEP_1)
	v_cvt_u32_f32_e32 v1, v1
	v_readfirstlane_b32 s12, v1
	s_delay_alu instid0(VALU_DEP_1) | instskip(NEXT) | instid1(SALU_CYCLE_1)
	s_mul_i32 s17, s17, s12
	s_mul_hi_u32 s17, s12, s17
	s_delay_alu instid0(SALU_CYCLE_1) | instskip(NEXT) | instid1(SALU_CYCLE_1)
	s_add_i32 s12, s12, s17
	s_mul_hi_u32 s12, s8, s12
	s_delay_alu instid0(SALU_CYCLE_1) | instskip(SKIP_2) | instid1(SALU_CYCLE_1)
	s_mul_i32 s17, s12, s20
	s_add_i32 s22, s12, 1
	s_sub_i32 s17, s8, s17
	s_sub_i32 s23, s17, s20
	s_cmp_ge_u32 s17, s20
	s_cselect_b32 s12, s22, s12
	s_cselect_b32 s17, s23, s17
	s_add_i32 s22, s12, 1
	s_cmp_ge_u32 s17, s20
	s_cselect_b32 s40, s22, s12
.LBB63_23:                              ;   in Loop: Header=BB63_19 Depth=1
	s_load_b64 s[22:23], s[18:19], 0xc8
	s_mul_i32 s12, s40, s21
	s_mul_hi_u32 s17, s40, s20
	s_mul_i32 s21, s41, s20
	s_add_i32 s12, s17, s12
	s_mul_i32 s17, s40, s20
	s_add_i32 s12, s12, s21
	s_sub_u32 s8, s8, s17
	s_subb_u32 s9, s9, s12
	s_waitcnt lgkmcnt(0)
	s_mul_i32 s9, s22, s9
	s_mul_hi_u32 s12, s22, s8
	s_mul_i32 s17, s23, s8
	s_add_i32 s9, s12, s9
	s_mul_i32 s8, s22, s8
	s_add_i32 s9, s9, s17
	s_add_u32 s38, s8, s38
	s_addc_u32 s39, s9, s39
	s_add_i32 s7, s7, -1
	s_add_u32 s18, s18, -8
	s_addc_u32 s19, s19, -1
	s_cmp_gt_u32 s7, 2
	s_cbranch_scc0 .LBB63_26
; %bb.24:                               ;   in Loop: Header=BB63_19 Depth=1
	s_mov_b64 s[8:9], s[40:41]
	s_branch .LBB63_19
.LBB63_25:
	s_mov_b64 s[40:41], s[8:9]
.LBB63_26:
	s_clause 0x3
	s_load_b64 s[8:9], s[0:1], 0x0
	s_load_b64 s[46:47], s[0:1], 0x1c0
	;; [unrolled: 1-line block ×4, first 2 shown]
	v_cmp_eq_u32_e64 s0, 0, v0
	s_mov_b32 s49, 0
	s_delay_alu instid0(VALU_DEP_1)
	s_and_saveexec_b32 s1, s0
	s_cbranch_execz .LBB63_28
; %bb.27:
	v_dual_mov_b32 v1, 0 :: v_dual_mov_b32 v4, s25
	s_delay_alu instid0(VALU_DEP_1)
	v_dual_mov_b32 v3, s24 :: v_dual_mov_b32 v2, v1
	ds_store_b32 v1, v1 offset:5136
	ds_store_b128 v1, v[1:4] offset:5120
.LBB63_28:
	s_or_b32 exec_lo, exec_lo, s1
	s_mul_i32 s1, s14, s11
	s_mul_hi_u32 s7, s14, s10
	v_dual_mov_b32 v13, 0 :: v_dual_lshlrev_b32 v16, 2, v0
	s_add_i32 s1, s7, s1
	s_mul_i32 s7, s15, s10
	s_waitcnt lgkmcnt(0)
	s_add_i32 s11, s1, s7
	s_barrier
	buffer_gl0_inv
	s_load_b32 s7, s[4:5], 0xc
	v_dual_mov_b32 v17, v13 :: v_dual_lshlrev_b32 v44, 3, v0
	s_mul_i32 s10, s14, s10
	s_lshl_b64 s[52:53], s[2:3], 1
	s_lshl_b64 s[10:11], s[10:11], 1
	v_mbcnt_lo_u32_b32 v40, -1, 0
	v_or_b32_e32 v11, 6, v44
	s_add_u32 s14, s8, s10
	v_lshrrev_b32_e32 v6, 3, v0
	s_addc_u32 s15, s9, s11
	v_mad_u64_u32 v[2:3], null, v0, s30, 0
	v_mad_u64_u32 v[18:19], null, s30, v11, s[14:15]
	v_or_b32_e32 v12, 4, v44
	v_and_b32_e32 v43, 0x7c, v6
	v_lshlrev_b64 v[6:7], v40, -1
	v_cmp_gt_u32_e32 vcc_lo, 32, v0
	v_cmp_gt_i32_e64 s1, 4, v40
	s_add_u32 s74, s14, s52
	v_mad_u64_u32 v[20:21], null, s30, v12, s[14:15]
	s_addc_u32 s75, s15, s53
	s_waitcnt lgkmcnt(0)
	s_and_b32 s33, s7, 0xffff
	v_or_b32_e32 v24, 2, v44
	v_lshlrev_b32_e32 v41, 1, v0
	s_and_b32 s76, vcc_lo, s1
	s_bfe_u32 s12, s7, 0xb0005
	v_not_b32_e32 v45, v6
	v_mov_b32_e32 v6, v19
	v_dual_mov_b32 v1, v3 :: v_dual_add_nc_u32 v42, 0xc00, v41
	s_add_u32 s78, s33, -1
	s_addc_u32 s79, 0, -1
	s_add_u32 s80, s78, s24
	s_addc_u32 s55, s79, s25
	v_mad_u64_u32 v[22:23], null, s30, v24, s[14:15]
	v_mad_u64_u32 v[3:4], null, v0, s31, v[1:2]
	s_cmp_lt_u32 s13, s6
	v_mov_b32_e32 v7, v21
	s_cselect_b32 s6, 12, 18
	s_delay_alu instid0(VALU_DEP_3)
	v_dual_mov_b32 v1, v13 :: v_dual_mov_b32 v8, v23
	s_add_u32 s56, s4, s6
	s_addc_u32 s57, s5, 0
	s_add_i32 s4, s12, -1
	s_bfe_u32 s81, s33, 0x30005
	v_mad_u64_u32 v[9:10], null, s31, v11, v[6:7]
	s_cmp_gt_u32 s4, 6
	v_lshlrev_b64 v[4:5], 1, v[2:3]
	s_cselect_b32 s82, -1, 0
	s_and_b32 s83, s12, 0x7f8
	s_cmp_lg_u32 s81, 0
	v_lshlrev_b64 v[2:3], 3, v[2:3]
	s_cselect_b32 s85, -1, 0
	s_add_u32 s4, s10, s52
	v_mad_u64_u32 v[10:11], null, s31, v12, v[7:8]
	s_addc_u32 s5, s11, s53
	v_add_co_u32 v14, vcc_lo, s74, v4
	v_mad_u64_u32 v[6:7], null, s31, v24, v[8:9]
	s_add_u32 s58, s8, s4
	v_add_co_u32 v46, s4, s24, v0
	s_addc_u32 s59, s9, s5
	s_lshl_b64 s[60:61], s[30:31], 1
	s_lshl_b64 s[62:63], s[30:31], 3
	v_add_co_ci_u32_e32 v15, vcc_lo, s75, v5, vcc_lo
	v_add_co_ci_u32_e64 v47, null, s25, 0, s4
	s_add_u32 s4, s8, s52
	v_add_co_u32 v24, vcc_lo, s14, v2
	s_addc_u32 s5, s9, s53
	s_add_u32 s6, s4, s10
	v_add_co_ci_u32_e32 v25, vcc_lo, s15, v3, vcc_lo
	v_mov_b32_e32 v21, v10
	s_addc_u32 s8, s5, s11
	v_add_co_u32 v10, vcc_lo, s6, v4
	v_cmp_lt_i64_e64 s77, 0x600, s[24:25]
	v_cmp_gt_i64_e64 s1, s[24:25], v[0:1]
	v_cmp_gt_u16_e64 s84, s7, 31
	s_mul_i32 s4, s31, s33
	s_mul_hi_u32 s7, s30, s33
	v_cmp_eq_u32_e64 s2, 0, v40
	v_cmp_gt_u32_e64 s3, 2, v0
	v_mov_b32_e32 v19, v9
	v_mov_b32_e32 v23, v6
	v_lshl_or_b32 v48, v40, 3, 0xc00
	v_add_co_ci_u32_e32 v11, vcc_lo, s8, v5, vcc_lo
	v_mov_b32_e32 v49, 0x8000
	v_cvt_f32_ubyte0_e32 v50, 0
	v_mov_b32_e32 v51, 0
	s_add_i32 s5, s7, s4
	s_mul_i32 s4, s30, s33
	s_lshl_b32 s86, s33, 1
	s_lshl_b64 s[50:51], s[4:5], 1
	s_mov_b32 s91, 14
	s_movk_i32 s87, 0x3c00
	s_mov_b32 s88, 0
	s_mov_b32 s93, 0
	;; [unrolled: 1-line block ×4, first 2 shown]
                                        ; implicit-def: $sgpr89
                                        ; implicit-def: $sgpr92
                                        ; implicit-def: $sgpr90
                                        ; implicit-def: $sgpr95
                                        ; implicit-def: $sgpr96
                                        ; implicit-def: $sgpr94
	s_branch .LBB63_33
.LBB63_29:                              ;   in Loop: Header=BB63_33 Depth=1
	s_xor_b32 s93, s93, 1
	s_add_i32 s7, s91, -2
	s_cmp_eq_u32 s91, 0
	s_mov_b32 s5, 0
	s_cselect_b32 s6, -1, 0
	s_mov_b32 s91, s7
.LBB63_30:                              ;   in Loop: Header=BB63_33 Depth=1
	s_and_not1_b32 s7, s20, exec_lo
	s_and_b32 s5, s5, exec_lo
	s_and_not1_b32 s21, s21, exec_lo
	s_or_b32 s20, s7, s5
	s_and_not1_b32 s19, s19, exec_lo
	s_or_not1_b32 s15, s6, exec_lo
.LBB63_31:                              ;   in Loop: Header=BB63_33 Depth=1
	s_or_b32 exec_lo, exec_lo, s4
	s_delay_alu instid0(SALU_CYCLE_1)
	s_and_not1_b32 s4, s94, exec_lo
	s_and_b32 s5, s20, exec_lo
	s_and_not1_b32 s6, s95, exec_lo
	s_or_b32 s94, s4, s5
	s_and_not1_b32 s4, s96, exec_lo
	s_and_b32 s5, s21, exec_lo
	s_and_b32 s7, s19, exec_lo
	s_or_b32 s96, s4, s5
	s_or_b32 s95, s6, s7
	s_or_not1_b32 s19, s15, exec_lo
.LBB63_32:                              ;   in Loop: Header=BB63_33 Depth=1
	s_or_b32 exec_lo, exec_lo, s14
	s_delay_alu instid0(SALU_CYCLE_1)
	s_and_b32 s4, exec_lo, s19
	v_mov_b32_e32 v2, s98
	s_or_b32 s88, s4, s88
	s_and_not1_b32 s4, s90, exec_lo
	s_and_b32 s5, s94, exec_lo
	s_and_not1_b32 s6, s89, exec_lo
	s_or_b32 s90, s4, s5
	s_and_not1_b32 s4, s92, exec_lo
	s_and_b32 s5, s96, exec_lo
	s_and_b32 s7, s95, exec_lo
	s_or_b32 s92, s4, s5
	s_or_b32 s89, s6, s7
	s_and_not1_b32 exec_lo, exec_lo, s88
	s_cbranch_execz .LBB63_299
.LBB63_33:                              ; =>This Loop Header: Depth=1
                                        ;     Child Loop BB63_38 Depth 2
                                        ;     Child Loop BB63_57 Depth 2
	;; [unrolled: 1-line block ×16, first 2 shown]
	ds_load_b128 v[2:5], v13 offset:5120
	s_waitcnt lgkmcnt(0)
	v_readfirstlane_b32 s65, v3
	v_readfirstlane_b32 s64, v2
	s_delay_alu instid0(VALU_DEP_1) | instskip(NEXT) | instid1(VALU_DEP_1)
	v_cmp_gt_i64_e64 s4, s[64:65], 0
	s_and_b32 vcc_lo, exec_lo, s4
	s_cbranch_vccnz .LBB63_64
; %bb.34:                               ;   in Loop: Header=BB63_33 Depth=1
	s_and_b32 vcc_lo, exec_lo, s77
	s_cbranch_vccz .LBB63_46
; %bb.35:                               ;   in Loop: Header=BB63_33 Depth=1
	v_cmp_gt_i64_e32 vcc_lo, 0x601, v[4:5]
	s_mov_b32 s6, 0
	s_mov_b32 s4, 0
	s_cbranch_vccz .LBB63_51
; %bb.36:                               ;   in Loop: Header=BB63_33 Depth=1
	global_load_u16 v6, v13, s[56:57]
	global_load_u16 v7, v[14:15], off
	s_mov_b32 s8, 0
	s_waitcnt vmcnt(1)
	v_readfirstlane_b32 s4, v6
	v_and_b32_e32 v6, 0xffff, v6
	s_delay_alu instid0(VALU_DEP_2) | instskip(NEXT) | instid1(SALU_CYCLE_1)
	s_and_b32 s4, 0xffff, s4
	v_add_nc_u32_e32 v8, s4, v0
	s_mul_i32 s5, s61, s4
	s_mul_hi_u32 s7, s60, s4
	s_mul_i32 s9, s60, s4
	s_add_i32 s7, s7, s5
	v_mad_u64_u32 v[2:3], null, s60, v8, s[58:59]
	s_delay_alu instid0(VALU_DEP_1) | instskip(NEXT) | instid1(VALU_DEP_1)
	v_mad_u64_u32 v[4:5], null, s61, v8, v[3:4]
	v_mov_b32_e32 v3, v4
	v_dual_mov_b32 v5, v1 :: v_dual_mov_b32 v4, v0
	s_branch .LBB63_38
.LBB63_37:                              ;   in Loop: Header=BB63_38 Depth=2
	s_or_b32 exec_lo, exec_lo, s5
	v_add_co_u32 v2, vcc_lo, v2, s9
	v_add_co_ci_u32_e32 v3, vcc_lo, s7, v3, vcc_lo
	v_mov_b32_e32 v7, v8
	s_and_not1_b32 exec_lo, exec_lo, s8
	s_cbranch_execz .LBB63_47
.LBB63_38:                              ;   Parent Loop BB63_33 Depth=1
                                        ; =>  This Inner Loop Header: Depth=2
	s_delay_alu instid0(VALU_DEP_1) | instskip(NEXT) | instid1(VALU_DEP_2)
	v_add_co_u32 v4, vcc_lo, v4, v6
	v_add_co_ci_u32_e32 v5, vcc_lo, 0, v5, vcc_lo
	s_waitcnt lgkmcnt(0)
	v_dual_mov_b32 v9, 0 :: v_dual_mov_b32 v8, 0
	s_mov_b32 s5, exec_lo
	s_delay_alu instid0(VALU_DEP_2)
	v_cmp_le_i64_e32 vcc_lo, s[24:25], v[4:5]
	v_cmpx_gt_i64_e64 s[24:25], v[4:5]
	s_cbranch_execz .LBB63_40
; %bb.39:                               ;   in Loop: Header=BB63_38 Depth=2
	global_load_u16 v8, v[2:3], off
.LBB63_40:                              ;   in Loop: Header=BB63_38 Depth=2
	s_or_b32 exec_lo, exec_lo, s5
	s_waitcnt vmcnt(0)
	v_cmp_lt_i16_e64 s4, -1, v7
	v_and_b32_e32 v12, 0xffff, v7
	s_delay_alu instid0(VALU_DEP_2) | instskip(SKIP_1) | instid1(VALU_DEP_2)
	v_cndmask_b32_e64 v26, 0xffff, v49, s4
	v_cmp_o_f16_e64 s4, v7, v7
	v_xor_b32_e32 v12, v26, v12
	s_delay_alu instid0(VALU_DEP_1) | instskip(NEXT) | instid1(VALU_DEP_1)
	v_cndmask_b32_e64 v12, 0xffff, v12, s4
	v_and_b32_e32 v12, s97, v12
	s_delay_alu instid0(VALU_DEP_1) | instskip(NEXT) | instid1(VALU_DEP_1)
	v_cmp_eq_u32_e64 s4, s98, v12
	s_cmp_lg_u32 s4, 0
	s_cselect_b32 s5, -1, 0
	s_delay_alu instid0(SALU_CYCLE_1) | instskip(NEXT) | instid1(SALU_CYCLE_1)
	s_and_b32 s5, s2, s5
	s_and_saveexec_b32 s10, s5
	s_cbranch_execz .LBB63_44
; %bb.41:                               ;   in Loop: Header=BB63_38 Depth=2
	s_mov_b32 s13, exec_lo
	s_bcnt1_i32_b32 s11, s4
	v_mbcnt_lo_u32_b32 v9, s13, 0
	s_mov_b32 s12, exec_lo
                                        ; implicit-def: $vgpr12
	s_delay_alu instid0(VALU_DEP_1)
	v_cmpx_eq_u32_e32 0, v9
	s_cbranch_execz .LBB63_43
; %bb.42:                               ;   in Loop: Header=BB63_38 Depth=2
	s_bcnt1_i32_b32 s5, s13
	s_delay_alu instid0(SALU_CYCLE_1) | instskip(NEXT) | instid1(SALU_CYCLE_1)
	s_mul_i32 s5, s11, s5
	v_mov_b32_e32 v12, s5
	ds_add_rtn_u32 v12, v13, v12 offset:5136
.LBB63_43:                              ;   in Loop: Header=BB63_38 Depth=2
	s_or_b32 exec_lo, exec_lo, s12
	s_waitcnt lgkmcnt(0)
	v_readfirstlane_b32 s5, v12
	s_delay_alu instid0(VALU_DEP_1)
	v_mad_u32_u24 v9, s11, v9, s5
.LBB63_44:                              ;   in Loop: Header=BB63_38 Depth=2
	s_or_b32 exec_lo, exec_lo, s10
	ds_bpermute_b32 v9, v13, v9
	s_and_b32 s5, exec_lo, vcc_lo
	s_delay_alu instid0(SALU_CYCLE_1)
	s_or_b32 s8, s5, s8
	s_and_saveexec_b32 s5, s4
	s_cbranch_execz .LBB63_37
; %bb.45:                               ;   in Loop: Header=BB63_38 Depth=2
	v_and_b32_e32 v12, s4, v45
	s_delay_alu instid0(VALU_DEP_1) | instskip(NEXT) | instid1(VALU_DEP_1)
	v_bcnt_u32_b32 v12, v12, 0
	v_lshlrev_b32_e32 v12, 1, v12
	s_waitcnt lgkmcnt(0)
	s_delay_alu instid0(VALU_DEP_1)
	v_lshl_add_u32 v9, v9, 1, v12
	ds_store_b16 v9, v7
	s_branch .LBB63_37
.LBB63_46:                              ;   in Loop: Header=BB63_33 Depth=1
	s_mov_b32 s6, -1
	s_mov_b32 s4, 0
	s_branch .LBB63_50
.LBB63_47:                              ;   in Loop: Header=BB63_33 Depth=1
	s_or_b32 exec_lo, exec_lo, s8
	s_waitcnt lgkmcnt(0)
	s_barrier
	buffer_gl0_inv
	s_and_saveexec_b32 s4, s0
	s_cbranch_execz .LBB63_49
; %bb.48:                               ;   in Loop: Header=BB63_33 Depth=1
	ds_load_b32 v2, v13 offset:5136
	s_waitcnt lgkmcnt(0)
	v_ashrrev_i32_e32 v3, 31, v2
	ds_store_b64 v13, v[2:3] offset:5120
.LBB63_49:                              ;   in Loop: Header=BB63_33 Depth=1
	s_or_b32 exec_lo, exec_lo, s4
	s_waitcnt lgkmcnt(0)
	s_mov_b32 s4, -1
	s_barrier
.LBB63_50:                              ;   in Loop: Header=BB63_33 Depth=1
                                        ; implicit-def: $sgpr64_sgpr65
.LBB63_51:                              ;   in Loop: Header=BB63_33 Depth=1
	s_and_b32 vcc_lo, exec_lo, s6
	s_cbranch_vccz .LBB63_62
; %bb.52:                               ;   in Loop: Header=BB63_33 Depth=1
	v_mov_b32_e32 v6, 0
	s_and_saveexec_b32 s4, s1
	s_cbranch_execz .LBB63_54
; %bb.53:                               ;   in Loop: Header=BB63_33 Depth=1
	global_load_u16 v6, v[14:15], off
.LBB63_54:                              ;   in Loop: Header=BB63_33 Depth=1
	s_or_b32 exec_lo, exec_lo, s4
	s_and_saveexec_b32 s5, s1
	s_cbranch_execz .LBB63_59
; %bb.55:                               ;   in Loop: Header=BB63_33 Depth=1
	global_load_u16 v8, v13, s[56:57]
	s_mov_b32 s9, 0
	s_waitcnt vmcnt(0)
	v_readfirstlane_b32 s4, v8
	v_and_b32_e32 v8, 0xffff, v8
	s_delay_alu instid0(VALU_DEP_2) | instskip(NEXT) | instid1(SALU_CYCLE_1)
	s_and_b32 s4, 0xffff, s4
	v_add_nc_u32_e32 v7, s4, v0
	s_mul_i32 s7, s61, s4
	s_mul_hi_u32 s8, s60, s4
	s_lshl_b32 s6, s4, 1
	s_add_i32 s7, s8, s7
	v_mad_u64_u32 v[2:3], null, s60, v7, s[58:59]
	s_mul_i32 s8, s60, s4
	s_delay_alu instid0(VALU_DEP_1) | instskip(SKIP_1) | instid1(VALU_DEP_2)
	v_mad_u64_u32 v[4:5], null, s61, v7, v[3:4]
	v_mov_b32_e32 v7, v41
	v_mov_b32_e32 v3, v4
	v_dual_mov_b32 v5, v1 :: v_dual_mov_b32 v4, v0
	s_branch .LBB63_57
	.p2align	6
.LBB63_56:                              ;   in Loop: Header=BB63_57 Depth=2
	s_or_b32 exec_lo, exec_lo, s10
	s_delay_alu instid0(SALU_CYCLE_1)
	s_and_b32 s4, exec_lo, vcc_lo
	v_add_co_u32 v2, vcc_lo, v2, s8
	ds_store_b16 v7, v6
	s_waitcnt vmcnt(0)
	v_dual_mov_b32 v6, v9 :: v_dual_add_nc_u32 v7, s6, v7
	v_add_co_ci_u32_e32 v3, vcc_lo, s7, v3, vcc_lo
	s_or_b32 s9, s4, s9
	s_delay_alu instid0(SALU_CYCLE_1)
	s_and_not1_b32 exec_lo, exec_lo, s9
	s_cbranch_execz .LBB63_59
.LBB63_57:                              ;   Parent Loop BB63_33 Depth=1
                                        ; =>  This Inner Loop Header: Depth=2
	s_delay_alu instid0(VALU_DEP_1) | instskip(NEXT) | instid1(VALU_DEP_2)
	v_add_co_u32 v4, vcc_lo, v4, v8
	v_add_co_ci_u32_e32 v5, vcc_lo, 0, v5, vcc_lo
	v_mov_b32_e32 v9, 0
	s_mov_b32 s10, exec_lo
	s_delay_alu instid0(VALU_DEP_2)
	v_cmp_le_i64_e32 vcc_lo, s[24:25], v[4:5]
	v_cmpx_gt_i64_e64 s[24:25], v[4:5]
	s_cbranch_execz .LBB63_56
; %bb.58:                               ;   in Loop: Header=BB63_57 Depth=2
	global_load_u16 v9, v[2:3], off
	s_branch .LBB63_56
.LBB63_59:                              ;   in Loop: Header=BB63_33 Depth=1
	s_or_b32 exec_lo, exec_lo, s5
	s_waitcnt vmcnt(0) lgkmcnt(0)
	s_barrier
	buffer_gl0_inv
	s_and_saveexec_b32 s4, s0
	s_cbranch_execz .LBB63_61
; %bb.60:                               ;   in Loop: Header=BB63_33 Depth=1
	v_dual_mov_b32 v2, s24 :: v_dual_mov_b32 v3, s25
	ds_store_b64 v13, v[2:3] offset:5120
.LBB63_61:                              ;   in Loop: Header=BB63_33 Depth=1
	s_or_b32 exec_lo, exec_lo, s4
	s_mov_b32 s4, -1
	s_waitcnt lgkmcnt(0)
	s_barrier
                                        ; implicit-def: $sgpr64_sgpr65
.LBB63_62:                              ;   in Loop: Header=BB63_33 Depth=1
	s_and_b32 vcc_lo, exec_lo, s4
	s_cbranch_vccz .LBB63_64
; %bb.63:                               ;   in Loop: Header=BB63_33 Depth=1
	buffer_gl0_inv
	ds_load_b64 v[2:3], v13 offset:5120
	s_waitcnt lgkmcnt(0)
	v_readfirstlane_b32 s64, v2
.LBB63_64:                              ;   in Loop: Header=BB63_33 Depth=1
	s_delay_alu instid0(VALU_DEP_1)
	s_cmp_lt_i32 s64, 1
	s_cbranch_scc0 .LBB63_79
; %bb.65:                               ;   in Loop: Header=BB63_33 Depth=1
	global_load_u16 v2, v13, s[56:57]
	s_mov_b32 s5, s25
	s_waitcnt vmcnt(0)
	v_readfirstlane_b32 s4, v2
	s_delay_alu instid0(VALU_DEP_1)
	s_and_b32 s48, s4, 0xffff
	s_mov_b32 s4, s49
	s_lshl_b32 s54, s48, 2
	s_cmp_lg_u64 s[4:5], 0
	s_cbranch_scc0 .LBB63_99
; %bb.66:                               ;   in Loop: Header=BB63_33 Depth=1
	v_cvt_f32_u32_e32 v2, s54
	s_sub_u32 s6, 0, s54
	s_subb_u32 s7, 0, 0
	s_delay_alu instid0(VALU_DEP_1) | instskip(NEXT) | instid1(VALU_DEP_1)
	v_fmac_f32_e32 v2, 0x4f800000, v50
	v_rcp_f32_e32 v2, v2
	s_waitcnt_depctr 0xfff
	v_mul_f32_e32 v2, 0x5f7ffffc, v2
	s_delay_alu instid0(VALU_DEP_1) | instskip(NEXT) | instid1(VALU_DEP_1)
	v_mul_f32_e32 v3, 0x2f800000, v2
	v_trunc_f32_e32 v3, v3
	s_delay_alu instid0(VALU_DEP_1) | instskip(SKIP_1) | instid1(VALU_DEP_2)
	v_fmac_f32_e32 v2, 0xcf800000, v3
	v_cvt_u32_f32_e32 v3, v3
	v_cvt_u32_f32_e32 v2, v2
	s_delay_alu instid0(VALU_DEP_2) | instskip(NEXT) | instid1(VALU_DEP_2)
	v_readfirstlane_b32 s4, v3
	v_readfirstlane_b32 s5, v2
	s_delay_alu instid0(VALU_DEP_2) | instskip(NEXT) | instid1(VALU_DEP_1)
	s_mul_i32 s8, s6, s4
	s_mul_hi_u32 s10, s6, s5
	s_mul_i32 s9, s7, s5
	s_add_i32 s8, s10, s8
	s_mul_i32 s11, s6, s5
	s_add_i32 s8, s8, s9
	s_mul_hi_u32 s10, s5, s11
	s_mul_hi_u32 s12, s4, s11
	s_mul_i32 s9, s4, s11
	s_mul_hi_u32 s11, s5, s8
	s_mul_i32 s5, s5, s8
	s_mul_hi_u32 s13, s4, s8
	s_add_u32 s5, s10, s5
	s_addc_u32 s10, 0, s11
	s_add_u32 s5, s5, s9
	s_mul_i32 s8, s4, s8
	s_addc_u32 s5, s10, s12
	s_addc_u32 s9, s13, 0
	s_add_u32 s5, s5, s8
	s_addc_u32 s8, 0, s9
	v_add_co_u32 v2, s5, v2, s5
	s_delay_alu instid0(VALU_DEP_1) | instskip(SKIP_1) | instid1(VALU_DEP_1)
	s_cmp_lg_u32 s5, 0
	s_addc_u32 s4, s4, s8
	v_readfirstlane_b32 s5, v2
	s_mul_i32 s8, s6, s4
	s_delay_alu instid0(VALU_DEP_1)
	s_mul_hi_u32 s9, s6, s5
	s_mul_i32 s7, s7, s5
	s_add_i32 s8, s9, s8
	s_mul_i32 s6, s6, s5
	s_add_i32 s8, s8, s7
	s_mul_hi_u32 s9, s4, s6
	s_mul_i32 s10, s4, s6
	s_mul_hi_u32 s6, s5, s6
	s_mul_hi_u32 s11, s5, s8
	s_mul_i32 s5, s5, s8
	s_mul_hi_u32 s7, s4, s8
	s_add_u32 s5, s6, s5
	s_addc_u32 s6, 0, s11
	s_add_u32 s5, s5, s10
	s_mul_i32 s8, s4, s8
	s_addc_u32 s5, s6, s9
	s_addc_u32 s6, s7, 0
	s_add_u32 s5, s5, s8
	s_addc_u32 s6, 0, s6
	v_add_co_u32 v2, s5, v2, s5
	s_delay_alu instid0(VALU_DEP_1) | instskip(SKIP_2) | instid1(VALU_DEP_1)
	s_cmp_lg_u32 s5, 0
	s_addc_u32 s8, s4, s6
	s_ashr_i32 s6, s25, 31
	v_readfirstlane_b32 s9, v2
	s_add_u32 s4, s24, s6
	s_mov_b32 s7, s6
	s_addc_u32 s5, s25, s6
	s_delay_alu instid0(SALU_CYCLE_1) | instskip(NEXT) | instid1(SALU_CYCLE_1)
	s_xor_b64 s[4:5], s[4:5], s[6:7]
	s_mul_i32 s10, s4, s8
	s_mul_hi_u32 s11, s4, s9
	s_mul_hi_u32 s7, s4, s8
	;; [unrolled: 1-line block ×3, first 2 shown]
	s_mul_i32 s9, s5, s9
	s_add_u32 s10, s11, s10
	s_addc_u32 s7, 0, s7
	s_mul_hi_u32 s12, s5, s8
	s_add_u32 s9, s10, s9
	s_mul_i32 s8, s5, s8
	s_addc_u32 s7, s7, s13
	s_addc_u32 s9, s12, 0
	s_add_u32 s7, s7, s8
	s_addc_u32 s8, 0, s9
	s_mul_hi_u32 s9, s54, s7
	s_mul_i32 s7, s54, s7
	s_mul_i32 s8, s54, s8
	v_sub_co_u32 v2, s4, s4, s7
	s_add_i32 s9, s9, s8
	s_cmp_lg_u32 s4, 0
	s_delay_alu instid0(VALU_DEP_1) | instskip(SKIP_2) | instid1(VALU_DEP_1)
	v_sub_co_u32 v3, s4, v2, s54
	s_subb_u32 s5, s5, s9
	s_cmp_lg_u32 s4, 0
	v_cmp_le_u32_e32 vcc_lo, s54, v3
	v_sub_co_u32 v4, s4, v3, s54
	s_subb_u32 s7, s5, 0
	s_cmp_lg_u32 s4, 0
	v_cndmask_b32_e64 v5, 0, -1, vcc_lo
	s_subb_u32 s4, s7, 0
	s_cmp_eq_u32 s7, 0
	v_mov_b32_e32 v7, s4
	s_cselect_b32 vcc_lo, -1, 0
	s_cmp_eq_u32 s5, 0
	v_cndmask_b32_e32 v5, -1, v5, vcc_lo
	v_cmp_le_u32_e32 vcc_lo, s54, v2
	s_cselect_b32 s4, -1, 0
	v_cndmask_b32_e64 v6, 0, -1, vcc_lo
	s_delay_alu instid0(VALU_DEP_3) | instskip(NEXT) | instid1(VALU_DEP_2)
	v_cmp_ne_u32_e32 vcc_lo, 0, v5
	v_cndmask_b32_e64 v5, -1, v6, s4
	v_cndmask_b32_e32 v3, v3, v4, vcc_lo
	v_cndmask_b32_e32 v6, s7, v7, vcc_lo
	s_delay_alu instid0(VALU_DEP_3) | instskip(NEXT) | instid1(VALU_DEP_3)
	v_cmp_ne_u32_e32 vcc_lo, 0, v5
	v_cndmask_b32_e32 v2, v2, v3, vcc_lo
	s_delay_alu instid0(VALU_DEP_3) | instskip(NEXT) | instid1(VALU_DEP_2)
	v_cndmask_b32_e32 v4, s5, v6, vcc_lo
	v_xor_b32_e32 v2, s6, v2
	s_delay_alu instid0(VALU_DEP_2) | instskip(NEXT) | instid1(VALU_DEP_2)
	v_xor_b32_e32 v3, s6, v4
	v_sub_co_u32 v26, vcc_lo, v2, s6
	s_delay_alu instid0(VALU_DEP_2)
	v_subrev_co_ci_u32_e32 v27, vcc_lo, s6, v3, vcc_lo
	s_cbranch_execnz .LBB63_68
.LBB63_67:                              ;   in Loop: Header=BB63_33 Depth=1
	v_cvt_f32_u32_e32 v2, s54
	s_sub_i32 s4, 0, s54
	s_delay_alu instid0(VALU_DEP_1) | instskip(SKIP_2) | instid1(VALU_DEP_1)
	v_rcp_iflag_f32_e32 v2, v2
	s_waitcnt_depctr 0xfff
	v_mul_f32_e32 v2, 0x4f7ffffe, v2
	v_cvt_u32_f32_e32 v2, v2
	s_delay_alu instid0(VALU_DEP_1) | instskip(NEXT) | instid1(VALU_DEP_1)
	v_mul_lo_u32 v3, s4, v2
	v_mul_hi_u32 v3, v2, v3
	s_delay_alu instid0(VALU_DEP_1) | instskip(NEXT) | instid1(VALU_DEP_1)
	v_add_nc_u32_e32 v2, v2, v3
	v_mul_hi_u32 v2, s24, v2
	s_delay_alu instid0(VALU_DEP_1) | instskip(NEXT) | instid1(VALU_DEP_1)
	v_mul_lo_u32 v2, v2, s54
	v_sub_nc_u32_e32 v2, s24, v2
	s_delay_alu instid0(VALU_DEP_1) | instskip(SKIP_1) | instid1(VALU_DEP_2)
	v_subrev_nc_u32_e32 v3, s54, v2
	v_cmp_le_u32_e32 vcc_lo, s54, v2
	v_cndmask_b32_e32 v2, v2, v3, vcc_lo
	s_delay_alu instid0(VALU_DEP_1) | instskip(SKIP_1) | instid1(VALU_DEP_2)
	v_subrev_nc_u32_e32 v3, s54, v2
	v_cmp_le_u32_e32 vcc_lo, s54, v2
	v_cndmask_b32_e32 v12, v2, v3, vcc_lo
	s_delay_alu instid0(VALU_DEP_1)
	v_dual_mov_b32 v27, v13 :: v_dual_mov_b32 v26, v12
.LBB63_68:                              ;   in Loop: Header=BB63_33 Depth=1
	v_mov_b32_e32 v2, 0
	v_mov_b32_e32 v3, 0
	s_delay_alu instid0(VALU_DEP_3) | instskip(NEXT) | instid1(VALU_DEP_4)
	v_sub_co_u32 v28, vcc_lo, s24, v26
	v_sub_co_ci_u32_e32 v29, vcc_lo, s25, v27, vcc_lo
	s_delay_alu instid0(VALU_DEP_3)
	v_dual_mov_b32 v5, v3 :: v_dual_mov_b32 v4, v2
	v_dual_mov_b32 v7, v3 :: v_dual_mov_b32 v6, v2
	;; [unrolled: 1-line block ×3, first 2 shown]
	s_mov_b64 s[66:67], 0
	s_mov_b32 s65, exec_lo
	v_cmpx_gt_i64_e64 v[28:29], v[16:17]
	s_cbranch_execz .LBB63_72
; %bb.69:                               ;   in Loop: Header=BB63_33 Depth=1
	v_dual_mov_b32 v31, v25 :: v_dual_mov_b32 v30, v24
	v_dual_mov_b32 v33, v23 :: v_dual_mov_b32 v32, v22
	;; [unrolled: 1-line block ×5, first 2 shown]
	s_mul_i32 s4, s63, s48
	s_mul_hi_u32 s5, s62, s48
	s_and_b32 s99, s91, 0xfe
	s_add_i32 s100, s5, s4
	s_mul_i32 s101, s62, s48
	s_mov_b32 s102, 0
	s_mov_b64 s[68:69], 0
	s_mov_b64 s[70:71], 0
	;; [unrolled: 1-line block ×3, first 2 shown]
.LBB63_70:                              ;   Parent Loop BB63_33 Depth=1
                                        ; =>  This Inner Loop Header: Depth=2
	v_add_co_u32 v2, vcc_lo, v30, s52
	v_add_co_ci_u32_e32 v3, vcc_lo, s53, v31, vcc_lo
	v_add_co_u32 v4, vcc_lo, v32, s52
	v_add_co_ci_u32_e32 v5, vcc_lo, s53, v33, vcc_lo
	;; [unrolled: 2-line block ×4, first 2 shown]
	global_load_u16 v2, v[2:3], off
	global_load_u16 v3, v[4:5], off
	;; [unrolled: 1-line block ×4, first 2 shown]
	v_add_co_u32 v38, vcc_lo, v38, s54
	v_add_co_ci_u32_e32 v39, vcc_lo, 0, v39, vcc_lo
	v_add_co_u32 v36, vcc_lo, v36, s101
	v_add_co_ci_u32_e32 v37, vcc_lo, s100, v37, vcc_lo
	v_add_co_u32 v34, vcc_lo, v34, s101
	v_add_co_ci_u32_e32 v35, vcc_lo, s100, v35, vcc_lo
	v_add_co_u32 v32, vcc_lo, v32, s101
	v_add_co_ci_u32_e32 v33, vcc_lo, s100, v33, vcc_lo
	v_add_co_u32 v30, vcc_lo, v30, s101
	v_add_co_ci_u32_e32 v31, vcc_lo, s100, v31, vcc_lo
	v_cmp_ge_i64_e32 vcc_lo, v[38:39], v[28:29]
	s_waitcnt vmcnt(3)
	v_cmp_lt_i16_e64 s4, -1, v2
	v_and_b32_e32 v6, 0xffff, v2
	s_waitcnt vmcnt(2)
	v_and_b32_e32 v8, 0xffff, v3
	s_waitcnt vmcnt(1)
	v_and_b32_e32 v12, 0xffff, v4
	v_cmp_o_f16_e64 s7, v2, v2
	v_cndmask_b32_e64 v7, 0xffff, v49, s4
	v_cmp_lt_i16_e64 s4, -1, v3
	s_waitcnt vmcnt(0)
	v_and_b32_e32 v53, 0xffff, v5
	v_cmp_o_f16_e64 s5, v4, v4
	v_cmp_o_f16_e64 s6, v5, v5
	v_xor_b32_e32 v6, v7, v6
	v_cndmask_b32_e64 v9, 0xffff, v49, s4
	v_cmp_lt_i16_e64 s4, -1, v4
	s_delay_alu instid0(VALU_DEP_3) | instskip(NEXT) | instid1(VALU_DEP_3)
	v_cndmask_b32_e64 v2, 0xffff, v6, s7
	v_xor_b32_e32 v7, v9, v8
	s_delay_alu instid0(VALU_DEP_3) | instskip(SKIP_1) | instid1(VALU_DEP_4)
	v_cndmask_b32_e64 v52, 0xffff, v49, s4
	v_cmp_lt_i16_e64 s4, -1, v5
	v_and_b32_e32 v6, s97, v2
	v_bfe_u32 v2, v2, s99, 2
	s_delay_alu instid0(VALU_DEP_3) | instskip(SKIP_2) | instid1(VALU_DEP_4)
	v_cndmask_b32_e64 v54, 0xffff, v49, s4
	v_cmp_o_f16_e64 s4, v3, v3
	v_xor_b32_e32 v3, v52, v12
	v_cmp_eq_u32_e64 s8, 0, v2
	v_cmp_eq_u32_e64 s12, 1, v2
	v_xor_b32_e32 v4, v54, v53
	v_cndmask_b32_e64 v5, 0xffff, v7, s4
	v_cndmask_b32_e64 v3, 0xffff, v3, s5
	v_cmp_eq_u32_e64 s4, s98, v6
	v_cmp_eq_u32_e64 s16, 2, v2
	v_cndmask_b32_e64 v4, 0xffff, v4, s6
	v_and_b32_e32 v7, s97, v5
	v_bfe_u32 v5, v5, s99, 2
	v_and_b32_e32 v8, s97, v3
	v_bfe_u32 v3, v3, s99, 2
	;; [unrolled: 2-line block ×3, first 2 shown]
	v_cmp_eq_u32_e64 s5, s98, v7
	v_cmp_eq_u32_e64 s9, 0, v5
	;; [unrolled: 1-line block ×4, first 2 shown]
	s_and_b32 s8, s4, s8
	v_cmp_eq_u32_e64 s7, s98, v9
	v_cmp_eq_u32_e64 s11, 0, v4
	v_cmp_eq_u32_e64 s20, 3, v2
	v_cndmask_b32_e64 v2, 0, 1, s8
	s_and_b32 s8, s5, s9
	v_cmp_eq_u32_e64 s14, 1, v3
	v_cmp_eq_u32_e64 s18, 2, v3
	v_cmp_eq_u32_e64 s22, 3, v3
	v_cndmask_b32_e64 v3, 0, 1, s8
	s_and_b32 s8, s6, s10
	v_cmp_eq_u32_e64 s15, 1, v4
	v_cmp_eq_u32_e64 s19, 2, v4
	v_cmp_eq_u32_e64 s23, 3, v4
	v_cndmask_b32_e64 v4, 0, 1, s8
	s_and_b32 s8, s7, s11
	v_cmp_eq_u32_e64 s13, 1, v5
	v_cmp_eq_u32_e64 s17, 2, v5
	v_cmp_eq_u32_e64 s21, 3, v5
	v_cndmask_b32_e64 v5, 0, 1, s8
	v_cmp_ne_u32_e64 s8, 0, v2
	v_cmp_ne_u32_e64 s9, 0, v3
	;; [unrolled: 1-line block ×3, first 2 shown]
	s_delay_alu instid0(VALU_DEP_4) | instskip(NEXT) | instid1(VALU_DEP_4)
	v_cmp_ne_u32_e64 s11, 0, v5
	s_bcnt1_i32_b32 s8, s8
	s_delay_alu instid0(VALU_DEP_3) | instskip(NEXT) | instid1(VALU_DEP_2)
	s_bcnt1_i32_b32 s9, s9
	s_bcnt1_i32_b32 s10, s10
	s_add_i32 s8, s9, s8
	s_bcnt1_i32_b32 s11, s11
	s_add_i32 s8, s8, s10
	s_delay_alu instid0(SALU_CYCLE_1) | instskip(NEXT) | instid1(SALU_CYCLE_1)
	s_add_i32 s8, s8, s11
	s_add_u32 s72, s72, s8
	s_addc_u32 s73, s73, 0
	s_and_b32 s8, s4, s12
	s_delay_alu instid0(SALU_CYCLE_1) | instskip(SKIP_1) | instid1(SALU_CYCLE_1)
	v_cndmask_b32_e64 v2, 0, 1, s8
	s_and_b32 s8, s5, s13
	v_cndmask_b32_e64 v3, 0, 1, s8
	s_and_b32 s8, s6, s14
	s_delay_alu instid0(SALU_CYCLE_1) | instskip(SKIP_1) | instid1(VALU_DEP_2)
	v_cndmask_b32_e64 v4, 0, 1, s8
	s_and_b32 s8, s7, s15
	v_cmp_ne_u32_e64 s9, 0, v3
	v_cndmask_b32_e64 v5, 0, 1, s8
	v_cmp_ne_u32_e64 s8, 0, v2
	v_cmp_ne_u32_e64 s10, 0, v4
	s_delay_alu instid0(VALU_DEP_4) | instskip(NEXT) | instid1(VALU_DEP_3)
	s_bcnt1_i32_b32 s9, s9
	v_cmp_ne_u32_e64 s11, 0, v5
	s_delay_alu instid0(VALU_DEP_3) | instskip(NEXT) | instid1(VALU_DEP_2)
	s_bcnt1_i32_b32 s8, s8
	s_bcnt1_i32_b32 s10, s10
	s_add_i32 s8, s9, s8
	s_delay_alu instid0(VALU_DEP_1) | instskip(SKIP_1) | instid1(SALU_CYCLE_1)
	s_bcnt1_i32_b32 s11, s11
	s_add_i32 s8, s8, s10
	s_add_i32 s8, s8, s11
	s_delay_alu instid0(SALU_CYCLE_1) | instskip(SKIP_2) | instid1(SALU_CYCLE_1)
	s_add_u32 s70, s70, s8
	s_addc_u32 s71, s71, 0
	s_and_b32 s8, s4, s16
	v_cndmask_b32_e64 v2, 0, 1, s8
	s_and_b32 s8, s5, s17
	s_delay_alu instid0(SALU_CYCLE_1) | instskip(SKIP_1) | instid1(SALU_CYCLE_1)
	v_cndmask_b32_e64 v3, 0, 1, s8
	s_and_b32 s8, s6, s18
	v_cndmask_b32_e64 v4, 0, 1, s8
	s_and_b32 s8, s7, s19
	s_delay_alu instid0(VALU_DEP_2) | instskip(SKIP_3) | instid1(VALU_DEP_4)
	v_cmp_ne_u32_e64 s9, 0, v3
	v_cndmask_b32_e64 v5, 0, 1, s8
	v_cmp_ne_u32_e64 s8, 0, v2
	v_cmp_ne_u32_e64 s10, 0, v4
	s_bcnt1_i32_b32 s9, s9
	s_delay_alu instid0(VALU_DEP_3) | instskip(NEXT) | instid1(VALU_DEP_3)
	v_cmp_ne_u32_e64 s11, 0, v5
	s_bcnt1_i32_b32 s8, s8
	s_delay_alu instid0(VALU_DEP_2) | instskip(SKIP_1) | instid1(VALU_DEP_1)
	s_bcnt1_i32_b32 s10, s10
	s_add_i32 s8, s9, s8
	s_bcnt1_i32_b32 s11, s11
	s_add_i32 s8, s8, s10
	s_delay_alu instid0(SALU_CYCLE_1) | instskip(NEXT) | instid1(SALU_CYCLE_1)
	s_add_i32 s8, s8, s11
	s_add_u32 s68, s68, s8
	s_addc_u32 s69, s69, 0
	v_mov_b32_e32 v6, s68
	s_and_b32 s4, s4, s20
	v_mov_b32_e32 v7, s69
	v_cndmask_b32_e64 v2, 0, 1, s4
	s_and_b32 s4, s5, s21
	s_delay_alu instid0(SALU_CYCLE_1) | instskip(SKIP_1) | instid1(SALU_CYCLE_1)
	v_cndmask_b32_e64 v3, 0, 1, s4
	s_and_b32 s4, s6, s22
	v_cndmask_b32_e64 v4, 0, 1, s4
	s_and_b32 s4, s7, s23
	s_delay_alu instid0(VALU_DEP_2)
	v_cmp_ne_u32_e64 s5, 0, v3
	v_cndmask_b32_e64 v5, 0, 1, s4
	v_cmp_ne_u32_e64 s4, 0, v2
	v_cmp_ne_u32_e64 s6, 0, v4
	v_mov_b32_e32 v2, s72
	s_bcnt1_i32_b32 s5, s5
	v_cmp_ne_u32_e64 s7, 0, v5
	s_bcnt1_i32_b32 s4, s4
	s_bcnt1_i32_b32 s6, s6
	s_add_i32 s4, s5, s4
	v_mov_b32_e32 v4, s70
	s_bcnt1_i32_b32 s5, s7
	s_add_i32 s4, s4, s6
	v_mov_b32_e32 v3, s73
	s_add_i32 s4, s4, s5
	v_mov_b32_e32 v5, s71
	s_add_u32 s66, s66, s4
	s_addc_u32 s67, s67, 0
	s_delay_alu instid0(SALU_CYCLE_1) | instskip(SKIP_1) | instid1(SALU_CYCLE_1)
	v_dual_mov_b32 v8, s66 :: v_dual_mov_b32 v9, s67
	s_or_b32 s102, vcc_lo, s102
	s_and_not1_b32 exec_lo, exec_lo, s102
	s_cbranch_execnz .LBB63_70
; %bb.71:                               ;   in Loop: Header=BB63_33 Depth=1
	s_or_b32 exec_lo, exec_lo, s102
.LBB63_72:                              ;   in Loop: Header=BB63_33 Depth=1
	s_delay_alu instid0(SALU_CYCLE_1) | instskip(SKIP_3) | instid1(VALU_DEP_2)
	s_or_b32 exec_lo, exec_lo, s65
	v_add_co_u32 v28, vcc_lo, v28, v0
	v_add_co_ci_u32_e32 v29, vcc_lo, 0, v29, vcc_lo
	v_mov_b32_e32 v12, 0
	v_cmp_gt_i64_e32 vcc_lo, s[24:25], v[28:29]
	s_and_saveexec_b32 s5, vcc_lo
	s_cbranch_execz .LBB63_74
; %bb.73:                               ;   in Loop: Header=BB63_33 Depth=1
	v_mul_lo_u32 v12, v29, s30
	v_mul_lo_u32 v32, v28, s31
	v_mad_u64_u32 v[30:31], null, v28, s30, 0
	s_delay_alu instid0(VALU_DEP_1) | instskip(NEXT) | instid1(VALU_DEP_1)
	v_add3_u32 v31, v31, v32, v12
	v_lshlrev_b64 v[30:31], 1, v[30:31]
	s_delay_alu instid0(VALU_DEP_1) | instskip(NEXT) | instid1(VALU_DEP_1)
	v_add_co_u32 v30, s4, s74, v30
	v_add_co_ci_u32_e64 v31, s4, s75, v31, s4
	global_load_u16 v12, v[30:31], off
.LBB63_74:                              ;   in Loop: Header=BB63_33 Depth=1
	s_or_b32 exec_lo, exec_lo, s5
	s_and_saveexec_b32 s8, vcc_lo
	s_cbranch_execz .LBB63_81
; %bb.75:                               ;   in Loop: Header=BB63_33 Depth=1
	v_add_co_u32 v30, vcc_lo, v46, s48
	v_add_co_ci_u32_e32 v31, vcc_lo, 0, v47, vcc_lo
	s_mul_i32 s4, s61, s48
	s_delay_alu instid0(VALU_DEP_2) | instskip(NEXT) | instid1(VALU_DEP_2)
	v_sub_co_u32 v30, vcc_lo, v30, v26
	v_sub_co_ci_u32_e32 v26, vcc_lo, v31, v27, vcc_lo
	s_mul_hi_u32 s5, s60, s48
	s_delay_alu instid0(VALU_DEP_2) | instskip(SKIP_1) | instid1(VALU_DEP_2)
	v_mul_lo_u32 v32, s61, v30
	s_and_b32 s9, s91, 0xfe
	v_mul_lo_u32 v31, s60, v26
	v_mad_u64_u32 v[26:27], null, s60, v30, s[58:59]
	s_add_i32 s10, s5, s4
	s_mul_i32 s11, s60, s48
	s_mov_b32 s12, 0
	s_delay_alu instid0(VALU_DEP_1)
	v_add3_u32 v27, v32, v27, v31
	s_branch .LBB63_77
.LBB63_76:                              ;   in Loop: Header=BB63_77 Depth=2
	s_or_b32 exec_lo, exec_lo, s5
	s_waitcnt vmcnt(0)
	v_cmp_lt_i16_e64 s4, -1, v12
	v_and_b32_e32 v31, 0xffff, v12
	s_and_b32 s5, exec_lo, vcc_lo
	s_delay_alu instid0(SALU_CYCLE_1) | instskip(NEXT) | instid1(VALU_DEP_2)
	s_or_b32 s12, s5, s12
	v_cndmask_b32_e64 v32, 0xffff, v49, s4
	v_cmp_o_f16_e64 s4, v12, v12
	s_delay_alu instid0(VALU_DEP_2) | instskip(NEXT) | instid1(VALU_DEP_1)
	v_xor_b32_e32 v31, v32, v31
	v_cndmask_b32_e64 v12, 0xffff, v31, s4
	s_delay_alu instid0(VALU_DEP_1) | instskip(SKIP_1) | instid1(VALU_DEP_2)
	v_and_b32_e32 v31, s97, v12
	v_bfe_u32 v12, v12, s9, 2
	v_cmp_eq_u32_e32 vcc_lo, s98, v31
	s_delay_alu instid0(VALU_DEP_2) | instskip(SKIP_3) | instid1(VALU_DEP_4)
	v_cmp_eq_u32_e64 s4, 0, v12
	v_cmp_eq_u32_e64 s5, 1, v12
	;; [unrolled: 1-line block ×4, first 2 shown]
	s_and_b32 s4, vcc_lo, s4
	s_delay_alu instid0(SALU_CYCLE_1) | instskip(SKIP_1) | instid1(SALU_CYCLE_1)
	v_cndmask_b32_e64 v12, 0, 1, s4
	s_and_b32 s4, vcc_lo, s5
	v_cndmask_b32_e64 v31, 0, 1, s4
	s_and_b32 s4, vcc_lo, s6
	s_delay_alu instid0(SALU_CYCLE_1)
	v_cndmask_b32_e64 v32, 0, 1, s4
	s_and_b32 s4, vcc_lo, s7
	v_cmp_ne_u32_e32 vcc_lo, 0, v12
	v_mov_b32_e32 v12, v30
	v_cndmask_b32_e64 v33, 0, 1, s4
	v_cmp_ne_u32_e64 s4, 0, v31
	v_cmp_ne_u32_e64 s5, 0, v32
	s_bcnt1_i32_b32 s7, vcc_lo
	s_delay_alu instid0(SALU_CYCLE_1) | instskip(NEXT) | instid1(VALU_DEP_3)
	v_add_co_u32 v2, vcc_lo, v2, s7
	s_bcnt1_i32_b32 s4, s4
	v_cmp_ne_u32_e64 s6, 0, v33
	v_add_co_ci_u32_e32 v3, vcc_lo, 0, v3, vcc_lo
	v_add_co_u32 v4, vcc_lo, v4, s4
	s_bcnt1_i32_b32 s5, s5
	v_add_co_ci_u32_e32 v5, vcc_lo, 0, v5, vcc_lo
	v_add_co_u32 v6, vcc_lo, v6, s5
	s_bcnt1_i32_b32 s4, s6
	v_add_co_ci_u32_e32 v7, vcc_lo, 0, v7, vcc_lo
	v_add_co_u32 v8, vcc_lo, v8, s4
	v_add_co_ci_u32_e32 v9, vcc_lo, 0, v9, vcc_lo
	v_add_co_u32 v26, vcc_lo, v26, s11
	v_add_co_ci_u32_e32 v27, vcc_lo, s10, v27, vcc_lo
	s_and_not1_b32 exec_lo, exec_lo, s12
	s_cbranch_execz .LBB63_80
.LBB63_77:                              ;   Parent Loop BB63_33 Depth=1
                                        ; =>  This Inner Loop Header: Depth=2
	v_add_co_u32 v28, vcc_lo, v28, s48
	v_add_co_ci_u32_e32 v29, vcc_lo, 0, v29, vcc_lo
	v_mov_b32_e32 v30, 0
	s_mov_b32 s5, exec_lo
	s_delay_alu instid0(VALU_DEP_2)
	v_cmp_le_i64_e32 vcc_lo, s[24:25], v[28:29]
	v_cmpx_gt_i64_e64 s[24:25], v[28:29]
	s_cbranch_execz .LBB63_76
; %bb.78:                               ;   in Loop: Header=BB63_77 Depth=2
	global_load_u16 v30, v[26:27], off
	s_branch .LBB63_76
.LBB63_79:                              ;   in Loop: Header=BB63_33 Depth=1
                                        ; implicit-def: $vgpr8_vgpr9
                                        ; implicit-def: $vgpr4_vgpr5
	s_cbranch_execnz .LBB63_82
	s_branch .LBB63_91
.LBB63_80:                              ;   in Loop: Header=BB63_33 Depth=1
	s_or_b32 exec_lo, exec_lo, s12
.LBB63_81:                              ;   in Loop: Header=BB63_33 Depth=1
	s_delay_alu instid0(SALU_CYCLE_1)
	s_or_b32 exec_lo, exec_lo, s8
	s_branch .LBB63_91
.LBB63_82:                              ;   in Loop: Header=BB63_33 Depth=1
	global_load_u16 v8, v13, s[56:57]
	s_mov_b64 s[66:67], 0
	s_mov_b32 s65, exec_lo
	s_waitcnt vmcnt(0)
	v_readfirstlane_b32 s4, v8
	v_and_b32_e32 v28, 0xffff, v8
	s_delay_alu instid0(VALU_DEP_2) | instskip(NEXT) | instid1(SALU_CYCLE_1)
	s_and_b32 s4, 0xffff, s4
	s_lshl_b32 s54, s4, 2
	s_delay_alu instid0(SALU_CYCLE_1) | instskip(SKIP_1) | instid1(VALU_DEP_1)
	v_cvt_f32_u32_e32 v2, s54
	s_sub_i32 s5, 0, s54
	v_rcp_iflag_f32_e32 v2, v2
	s_waitcnt_depctr 0xfff
	v_mul_f32_e32 v2, 0x4f7ffffe, v2
	s_delay_alu instid0(VALU_DEP_1) | instskip(NEXT) | instid1(VALU_DEP_1)
	v_cvt_u32_f32_e32 v2, v2
	v_readfirstlane_b32 s4, v2
	v_mov_b32_e32 v2, 0
	v_mov_b32_e32 v3, 0
	s_delay_alu instid0(VALU_DEP_3) | instskip(NEXT) | instid1(VALU_DEP_1)
	s_mul_i32 s5, s5, s4
	v_dual_mov_b32 v5, v3 :: v_dual_mov_b32 v4, v2
	s_mul_hi_u32 s5, s4, s5
	v_dual_mov_b32 v7, v3 :: v_dual_mov_b32 v6, v2
	s_add_i32 s4, s4, s5
	v_dual_mov_b32 v9, v3 :: v_dual_mov_b32 v8, v2
	s_mul_hi_u32 s4, s64, s4
	s_delay_alu instid0(SALU_CYCLE_1) | instskip(NEXT) | instid1(SALU_CYCLE_1)
	s_mul_i32 s4, s4, s54
	s_sub_i32 s4, s64, s4
	s_delay_alu instid0(SALU_CYCLE_1) | instskip(SKIP_2) | instid1(SALU_CYCLE_1)
	s_sub_i32 s5, s4, s54
	s_cmp_ge_u32 s4, s54
	s_cselect_b32 s4, s5, s4
	s_sub_i32 s5, s4, s54
	s_cmp_ge_u32 s4, s54
	s_cselect_b32 s4, s5, s4
	s_delay_alu instid0(SALU_CYCLE_1) | instskip(NEXT) | instid1(SALU_CYCLE_1)
	s_sub_i32 s48, s64, s4
	v_cmpx_gt_u32_e64 s48, v16
	s_cbranch_execz .LBB63_86
; %bb.83:                               ;   in Loop: Header=BB63_33 Depth=1
	v_dual_mov_b32 v29, v44 :: v_dual_lshlrev_b32 v12, 3, v28
	v_dual_mov_b32 v27, v17 :: v_dual_mov_b32 v26, v16
	s_and_b32 s99, s91, 0xfe
	s_mov_b32 s100, 0
	s_mov_b64 s[68:69], 0
	s_mov_b64 s[70:71], 0
	;; [unrolled: 1-line block ×3, first 2 shown]
.LBB63_84:                              ;   Parent Loop BB63_33 Depth=1
                                        ; =>  This Inner Loop Header: Depth=2
	ds_load_b64 v[2:3], v29
	v_add_co_u32 v26, vcc_lo, v26, s54
	v_add_co_ci_u32_e32 v27, vcc_lo, 0, v27, vcc_lo
	s_delay_alu instid0(VALU_DEP_1)
	v_cmp_le_u64_e32 vcc_lo, s[48:49], v[26:27]
	s_waitcnt lgkmcnt(0)
	v_cmp_lt_i16_e64 s4, -1, v2
	v_lshrrev_b32_e32 v4, 16, v2
	v_lshrrev_b32_e32 v9, 16, v3
	v_and_b32_e32 v5, 0xffff, v2
	v_and_b32_e32 v7, 0xffff, v3
	v_cndmask_b32_e64 v6, 0xffff, v49, s4
	v_cmp_lt_i16_e64 s4, -1, v3
	v_cmp_lt_i16_e64 s5, -1, v9
	s_delay_alu instid0(VALU_DEP_3) | instskip(NEXT) | instid1(VALU_DEP_3)
	v_xor_b32_e32 v5, v6, v5
	v_cndmask_b32_e64 v8, 0xffff, v49, s4
	v_cmp_lt_i16_e64 s4, -1, v4
	s_delay_alu instid0(VALU_DEP_2) | instskip(NEXT) | instid1(VALU_DEP_2)
	v_xor_b32_e32 v7, v8, v7
	v_cndmask_b32_e64 v6, 0xffff, v49, s4
	v_cmp_o_f16_e64 s4, v3, v3
	v_cndmask_b32_e64 v3, 0xffff, v49, s5
	v_cmp_o_f16_e64 s5, v2, v2
	s_delay_alu instid0(VALU_DEP_2) | instskip(NEXT) | instid1(VALU_DEP_2)
	v_xor_b32_e32 v3, v3, v9
	v_cndmask_b32_e64 v2, 0xffff, v5, s5
	v_xor_b32_e32 v5, v6, v4
	v_cmp_o_f16_e64 s5, v4, v4
	v_cndmask_b32_e64 v6, 0xffff, v7, s4
	v_cmp_o_f16_e64 s4, v9, v9
	s_delay_alu instid0(VALU_DEP_3) | instskip(SKIP_1) | instid1(VALU_DEP_3)
	v_cndmask_b32_e64 v4, 0xffff, v5, s5
	v_and_b32_e32 v5, s97, v2
	v_cndmask_b32_e64 v3, 0xffff, v3, s4
	v_and_b32_e32 v7, s97, v6
	v_bfe_u32 v2, v2, s99, 2
	v_bfe_u32 v6, v6, s99, 2
	v_cmp_eq_u32_e64 s4, s98, v5
	v_and_b32_e32 v5, s97, v4
	v_bfe_u32 v4, v4, s99, 2
	v_cmp_eq_u32_e64 s5, s98, v7
	v_and_b32_e32 v7, s97, v3
	v_bfe_u32 v3, v3, s99, 2
	v_cmp_eq_u32_e64 s6, 0, v2
	v_cmp_eq_u32_e64 s14, s98, v5
	;; [unrolled: 1-line block ×6, first 2 shown]
	s_and_b32 s6, s4, s6
	s_and_b32 s16, s14, s16
	v_cmp_eq_u32_e64 s8, 1, v2
	v_cmp_eq_u32_e64 s10, 2, v2
	;; [unrolled: 1-line block ×3, first 2 shown]
	v_cndmask_b32_e64 v2, 0, 1, s6
	s_and_b32 s6, s5, s7
	v_cmp_eq_u32_e64 s7, 1, v3
	v_cmp_eq_u32_e64 s19, 2, v3
	;; [unrolled: 1-line block ×3, first 2 shown]
	v_cndmask_b32_e64 v3, 0, 1, s16
	v_cndmask_b32_e64 v5, 0, 1, s6
	s_and_b32 s16, s15, s17
	v_cmp_eq_u32_e64 s6, 1, v4
	v_cmp_eq_u32_e64 s18, 2, v4
	;; [unrolled: 1-line block ×3, first 2 shown]
	v_cndmask_b32_e64 v4, 0, 1, s16
	v_cmp_ne_u32_e64 s16, 0, v2
	v_cmp_ne_u32_e64 s22, 0, v3
	;; [unrolled: 1-line block ×3, first 2 shown]
	v_cmp_eq_u32_e64 s9, 1, v6
	v_cmp_ne_u32_e64 s23, 0, v4
	s_bcnt1_i32_b32 s16, s16
	s_bcnt1_i32_b32 s22, s22
	;; [unrolled: 1-line block ×3, first 2 shown]
	s_add_i32 s16, s22, s16
	s_bcnt1_i32_b32 s23, s23
	s_add_i32 s16, s16, s17
	v_cmp_eq_u32_e64 s11, 2, v6
	s_add_i32 s16, s16, s23
	v_cmp_eq_u32_e64 s13, 3, v6
	s_add_u32 s72, s72, s16
	s_addc_u32 s73, s73, 0
	s_and_b32 s8, s4, s8
	s_and_b32 s6, s14, s6
	v_cndmask_b32_e64 v2, 0, 1, s8
	v_cndmask_b32_e64 v3, 0, 1, s6
	s_and_b32 s6, s5, s9
	v_add_nc_u32_e32 v29, v29, v12
	v_cndmask_b32_e64 v4, 0, 1, s6
	s_and_b32 s6, s15, s7
	v_cmp_ne_u32_e64 s7, 0, v3
	v_cndmask_b32_e64 v5, 0, 1, s6
	v_cmp_ne_u32_e64 s6, 0, v2
	v_cmp_ne_u32_e64 s8, 0, v4
	s_delay_alu instid0(VALU_DEP_4) | instskip(NEXT) | instid1(VALU_DEP_3)
	s_bcnt1_i32_b32 s7, s7
	v_cmp_ne_u32_e64 s9, 0, v5
	s_delay_alu instid0(VALU_DEP_3) | instskip(NEXT) | instid1(VALU_DEP_2)
	s_bcnt1_i32_b32 s6, s6
	s_bcnt1_i32_b32 s8, s8
	s_add_i32 s6, s7, s6
	s_delay_alu instid0(VALU_DEP_1) | instskip(SKIP_1) | instid1(SALU_CYCLE_1)
	s_bcnt1_i32_b32 s9, s9
	s_add_i32 s6, s6, s8
	s_add_i32 s6, s6, s9
	s_delay_alu instid0(SALU_CYCLE_1) | instskip(SKIP_2) | instid1(SALU_CYCLE_1)
	s_add_u32 s70, s70, s6
	s_addc_u32 s71, s71, 0
	s_and_b32 s6, s4, s10
	v_cndmask_b32_e64 v2, 0, 1, s6
	s_and_b32 s6, s14, s18
	s_delay_alu instid0(SALU_CYCLE_1) | instskip(SKIP_1) | instid1(SALU_CYCLE_1)
	v_cndmask_b32_e64 v3, 0, 1, s6
	s_and_b32 s6, s5, s11
	v_cndmask_b32_e64 v4, 0, 1, s6
	s_and_b32 s6, s15, s19
	s_delay_alu instid0(VALU_DEP_2) | instskip(SKIP_3) | instid1(VALU_DEP_4)
	v_cmp_ne_u32_e64 s7, 0, v3
	v_cndmask_b32_e64 v5, 0, 1, s6
	v_cmp_ne_u32_e64 s6, 0, v2
	v_cmp_ne_u32_e64 s8, 0, v4
	s_bcnt1_i32_b32 s7, s7
	s_delay_alu instid0(VALU_DEP_3) | instskip(NEXT) | instid1(VALU_DEP_3)
	v_cmp_ne_u32_e64 s9, 0, v5
	s_bcnt1_i32_b32 s6, s6
	s_delay_alu instid0(VALU_DEP_2) | instskip(SKIP_1) | instid1(VALU_DEP_1)
	s_bcnt1_i32_b32 s8, s8
	s_add_i32 s6, s7, s6
	s_bcnt1_i32_b32 s9, s9
	s_add_i32 s6, s6, s8
	s_delay_alu instid0(SALU_CYCLE_1) | instskip(NEXT) | instid1(SALU_CYCLE_1)
	s_add_i32 s6, s6, s9
	s_add_u32 s68, s68, s6
	s_addc_u32 s69, s69, 0
	s_and_b32 s4, s4, s12
	v_mov_b32_e32 v6, s68
	v_cndmask_b32_e64 v2, 0, 1, s4
	s_and_b32 s4, s14, s20
	v_mov_b32_e32 v7, s69
	v_cndmask_b32_e64 v3, 0, 1, s4
	s_and_b32 s4, s5, s13
	s_delay_alu instid0(SALU_CYCLE_1) | instskip(SKIP_1) | instid1(VALU_DEP_2)
	v_cndmask_b32_e64 v4, 0, 1, s4
	s_and_b32 s4, s15, s21
	v_cmp_ne_u32_e64 s5, 0, v3
	v_cndmask_b32_e64 v5, 0, 1, s4
	v_cmp_ne_u32_e64 s4, 0, v2
	v_mov_b32_e32 v2, s72
	v_cmp_ne_u32_e64 s6, 0, v4
	s_bcnt1_i32_b32 s5, s5
	v_cmp_ne_u32_e64 s7, 0, v5
	s_bcnt1_i32_b32 s4, s4
	v_mov_b32_e32 v4, s70
	s_bcnt1_i32_b32 s6, s6
	s_add_i32 s4, s5, s4
	s_bcnt1_i32_b32 s5, s7
	s_add_i32 s4, s4, s6
	v_mov_b32_e32 v3, s73
	s_add_i32 s4, s4, s5
	v_mov_b32_e32 v5, s71
	s_add_u32 s66, s66, s4
	s_addc_u32 s67, s67, 0
	s_delay_alu instid0(SALU_CYCLE_1) | instskip(SKIP_1) | instid1(SALU_CYCLE_1)
	v_dual_mov_b32 v8, s66 :: v_dual_mov_b32 v9, s67
	s_or_b32 s100, vcc_lo, s100
	s_and_not1_b32 exec_lo, exec_lo, s100
	s_cbranch_execnz .LBB63_84
; %bb.85:                               ;   in Loop: Header=BB63_33 Depth=1
	s_or_b32 exec_lo, exec_lo, s100
.LBB63_86:                              ;   in Loop: Header=BB63_33 Depth=1
	s_delay_alu instid0(SALU_CYCLE_1) | instskip(SKIP_2) | instid1(VALU_DEP_1)
	s_or_b32 exec_lo, exec_lo, s65
	v_add_nc_u32_e32 v12, s48, v0
	s_mov_b32 s9, exec_lo
	v_cmpx_gt_u32_e64 s64, v12
	s_cbranch_execz .LBB63_90
; %bb.87:                               ;   in Loop: Header=BB63_33 Depth=1
	v_dual_mov_b32 v27, v13 :: v_dual_lshlrev_b32 v30, 1, v28
	v_dual_mov_b32 v26, v12 :: v_dual_lshlrev_b32 v29, 1, v12
	s_mov_b32 s11, 0
	s_and_b32 s10, s64, 0x7fffffff
	s_and_b32 s13, s91, 0xfe
	s_mov_b32 s12, s11
.LBB63_88:                              ;   Parent Loop BB63_33 Depth=1
                                        ; =>  This Inner Loop Header: Depth=2
	ds_load_u16 v12, v29
	v_add_co_u32 v26, vcc_lo, v26, v28
	v_add_co_ci_u32_e32 v27, vcc_lo, 0, v27, vcc_lo
	v_add_nc_u32_e32 v29, v29, v30
	s_delay_alu instid0(VALU_DEP_2) | instskip(SKIP_3) | instid1(VALU_DEP_2)
	v_cmp_le_u64_e32 vcc_lo, s[10:11], v[26:27]
	s_waitcnt lgkmcnt(0)
	v_cmp_lt_i16_e64 s4, -1, v12
	v_and_b32_e32 v31, 0xffff, v12
	v_cndmask_b32_e64 v32, 0xffff, v49, s4
	v_cmp_o_f16_e64 s4, v12, v12
	s_delay_alu instid0(VALU_DEP_2) | instskip(NEXT) | instid1(VALU_DEP_1)
	v_xor_b32_e32 v31, v32, v31
	v_cndmask_b32_e64 v12, 0xffff, v31, s4
	s_delay_alu instid0(VALU_DEP_1) | instskip(SKIP_1) | instid1(VALU_DEP_2)
	v_and_b32_e32 v31, s97, v12
	v_bfe_u32 v12, v12, s13, 2
	v_cmp_eq_u32_e64 s4, s98, v31
	s_delay_alu instid0(VALU_DEP_2) | instskip(SKIP_3) | instid1(VALU_DEP_4)
	v_cmp_eq_u32_e64 s5, 0, v12
	v_cmp_eq_u32_e64 s6, 1, v12
	;; [unrolled: 1-line block ×4, first 2 shown]
	s_and_b32 s5, s4, s5
	s_delay_alu instid0(SALU_CYCLE_1) | instskip(SKIP_1) | instid1(SALU_CYCLE_1)
	v_cndmask_b32_e64 v12, 0, 1, s5
	s_and_b32 s5, s4, s6
	v_cndmask_b32_e64 v31, 0, 1, s5
	s_and_b32 s5, s4, s7
	s_and_b32 s4, s4, s8
	v_cndmask_b32_e64 v32, 0, 1, s5
	v_cndmask_b32_e64 v33, 0, 1, s4
	v_cmp_ne_u32_e64 s4, 0, v12
	v_cmp_ne_u32_e64 s5, 0, v31
	s_delay_alu instid0(VALU_DEP_4) | instskip(NEXT) | instid1(VALU_DEP_4)
	v_cmp_ne_u32_e64 s6, 0, v32
	v_cmp_ne_u32_e64 s7, 0, v33
	s_delay_alu instid0(VALU_DEP_4) | instskip(NEXT) | instid1(VALU_DEP_3)
	s_bcnt1_i32_b32 s4, s4
	s_bcnt1_i32_b32 s5, s5
	v_add_co_u32 v2, s4, v2, s4
	s_delay_alu instid0(VALU_DEP_1)
	v_add_co_ci_u32_e64 v3, s4, 0, v3, s4
	v_add_co_u32 v4, s4, v4, s5
	s_bcnt1_i32_b32 s6, s6
	v_add_co_ci_u32_e64 v5, s4, 0, v5, s4
	v_add_co_u32 v6, s4, v6, s6
	s_bcnt1_i32_b32 s7, s7
	v_add_co_ci_u32_e64 v7, s4, 0, v7, s4
	v_add_co_u32 v8, s4, v8, s7
	s_delay_alu instid0(VALU_DEP_1) | instskip(SKIP_1) | instid1(SALU_CYCLE_1)
	v_add_co_ci_u32_e64 v9, s4, 0, v9, s4
	s_or_b32 s12, vcc_lo, s12
	s_and_not1_b32 exec_lo, exec_lo, s12
	s_cbranch_execnz .LBB63_88
; %bb.89:                               ;   in Loop: Header=BB63_33 Depth=1
	s_or_b32 exec_lo, exec_lo, s12
.LBB63_90:                              ;   in Loop: Header=BB63_33 Depth=1
	s_delay_alu instid0(SALU_CYCLE_1)
	s_or_b32 exec_lo, exec_lo, s9
.LBB63_91:                              ;   in Loop: Header=BB63_33 Depth=1
	s_lshl_b32 s4, s93, 7
	s_and_saveexec_b32 s5, s2
	s_cbranch_execz .LBB63_93
; %bb.92:                               ;   in Loop: Header=BB63_33 Depth=1
	s_waitcnt vmcnt(0)
	v_or_b32_e32 v12, s4, v43
	s_delay_alu instid0(VALU_DEP_1)
	v_lshlrev_b32_e32 v12, 3, v12
	ds_store_b128 v12, v[2:5] offset:3072
	ds_store_b128 v12, v[6:9] offset:3088
.LBB63_93:                              ;   in Loop: Header=BB63_33 Depth=1
	s_or_b32 exec_lo, exec_lo, s5
	s_waitcnt vmcnt(0) lgkmcnt(0)
	s_barrier
	buffer_gl0_inv
	s_and_saveexec_b32 s5, s76
	s_cbranch_execz .LBB63_104
; %bb.94:                               ;   in Loop: Header=BB63_33 Depth=1
	v_mov_b32_e32 v2, 0
	v_mov_b32_e32 v3, 0
	s_and_not1_b32 vcc_lo, exec_lo, s84
	s_cbranch_vccnz .LBB63_103
; %bb.95:                               ;   in Loop: Header=BB63_33 Depth=1
	v_mov_b32_e32 v2, 0
	v_mov_b32_e32 v3, 0
	s_and_not1_b32 vcc_lo, exec_lo, s82
	s_cbranch_vccnz .LBB63_100
; %bb.96:                               ;   in Loop: Header=BB63_33 Depth=1
	v_lshl_add_u32 v4, s93, 10, v48
	s_mov_b32 s6, 0
	s_set_inst_prefetch_distance 0x1
	.p2align	6
.LBB63_97:                              ;   Parent Loop BB63_33 Depth=1
                                        ; =>  This Inner Loop Header: Depth=2
	ds_load_2addr_b64 v[5:8], v4 offset1:4
	ds_load_2addr_b64 v[26:29], v4 offset0:8 offset1:12
	ds_load_2addr_b64 v[30:33], v4 offset0:16 offset1:20
	s_add_i32 s6, s6, 8
	s_delay_alu instid0(SALU_CYCLE_1) | instskip(SKIP_3) | instid1(VALU_DEP_2)
	s_cmp_eq_u32 s83, s6
	s_waitcnt lgkmcnt(2)
	v_add_co_u32 v2, vcc_lo, v5, v2
	v_add_co_ci_u32_e32 v3, vcc_lo, v6, v3, vcc_lo
	v_add_co_u32 v2, vcc_lo, v7, v2
	s_delay_alu instid0(VALU_DEP_2)
	v_add_co_ci_u32_e32 v3, vcc_lo, v8, v3, vcc_lo
	ds_load_2addr_b64 v[5:8], v4 offset0:24 offset1:28
	s_waitcnt lgkmcnt(2)
	v_add_co_u32 v2, vcc_lo, v26, v2
	v_add_co_ci_u32_e32 v3, vcc_lo, v27, v3, vcc_lo
	v_add_nc_u32_e32 v4, 0x100, v4
	s_delay_alu instid0(VALU_DEP_3) | instskip(NEXT) | instid1(VALU_DEP_3)
	v_add_co_u32 v2, vcc_lo, v28, v2
	v_add_co_ci_u32_e32 v3, vcc_lo, v29, v3, vcc_lo
	s_waitcnt lgkmcnt(1)
	s_delay_alu instid0(VALU_DEP_2) | instskip(NEXT) | instid1(VALU_DEP_2)
	v_add_co_u32 v2, vcc_lo, v30, v2
	v_add_co_ci_u32_e32 v3, vcc_lo, v31, v3, vcc_lo
	s_delay_alu instid0(VALU_DEP_2) | instskip(NEXT) | instid1(VALU_DEP_2)
	v_add_co_u32 v2, vcc_lo, v32, v2
	v_add_co_ci_u32_e32 v3, vcc_lo, v33, v3, vcc_lo
	s_waitcnt lgkmcnt(0)
	s_delay_alu instid0(VALU_DEP_2) | instskip(NEXT) | instid1(VALU_DEP_2)
	v_add_co_u32 v2, vcc_lo, v5, v2
	v_add_co_ci_u32_e32 v3, vcc_lo, v6, v3, vcc_lo
	s_delay_alu instid0(VALU_DEP_2) | instskip(NEXT) | instid1(VALU_DEP_2)
	v_add_co_u32 v2, vcc_lo, v7, v2
	v_add_co_ci_u32_e32 v3, vcc_lo, v8, v3, vcc_lo
	s_cbranch_scc0 .LBB63_97
; %bb.98:                               ;   in Loop: Header=BB63_33 Depth=1
	s_set_inst_prefetch_distance 0x2
	s_mov_b32 s6, s83
	s_and_not1_b32 vcc_lo, exec_lo, s85
	s_cbranch_vccz .LBB63_101
	s_branch .LBB63_103
.LBB63_99:                              ;   in Loop: Header=BB63_33 Depth=1
                                        ; implicit-def: $vgpr26_vgpr27
	s_branch .LBB63_67
.LBB63_100:                             ;   in Loop: Header=BB63_33 Depth=1
	s_mov_b32 s6, 0
	s_and_not1_b32 vcc_lo, exec_lo, s85
	s_cbranch_vccnz .LBB63_103
.LBB63_101:                             ;   in Loop: Header=BB63_33 Depth=1
	s_lshl_b32 s7, s93, 10
	s_lshl_b32 s6, s6, 5
	s_delay_alu instid0(SALU_CYCLE_1)
	v_add3_u32 v4, s7, s6, v48
	s_mov_b32 s6, s81
.LBB63_102:                             ;   Parent Loop BB63_33 Depth=1
                                        ; =>  This Inner Loop Header: Depth=2
	ds_load_b64 v[5:6], v4
	v_add_nc_u32_e32 v4, 32, v4
	s_add_i32 s6, s6, -1
	s_delay_alu instid0(SALU_CYCLE_1)
	s_cmp_lg_u32 s6, 0
	s_waitcnt lgkmcnt(0)
	v_add_co_u32 v2, vcc_lo, v5, v2
	v_add_co_ci_u32_e32 v3, vcc_lo, v6, v3, vcc_lo
	s_cbranch_scc1 .LBB63_102
.LBB63_103:                             ;   in Loop: Header=BB63_33 Depth=1
	v_add_lshl_u32 v4, s4, v40, 3
	ds_store_b64 v4, v[2:3] offset:3072
.LBB63_104:                             ;   in Loop: Header=BB63_33 Depth=1
	s_or_b32 exec_lo, exec_lo, s5
	s_lshl_b32 s4, s4, 3
	s_waitcnt lgkmcnt(0)
	v_mov_b32_e32 v6, s4
	s_barrier
	buffer_gl0_inv
	s_and_b32 s17, s91, 0xfe
	s_mov_b32 s19, -1
	ds_load_b128 v[2:5], v6 offset:3072
	ds_load_b128 v[6:9], v6 offset:3088
	s_lshl_b32 s16, 3, s17
	s_delay_alu instid0(SALU_CYCLE_1)
	s_not_b32 s18, s16
	s_waitcnt lgkmcnt(1)
	v_readfirstlane_b32 s13, v3
	v_readfirstlane_b32 s12, v2
	;; [unrolled: 1-line block ×4, first 2 shown]
	s_waitcnt lgkmcnt(0)
	v_readfirstlane_b32 s8, v6
	v_readfirstlane_b32 s9, v7
	s_cmp_eq_u64 s[12:13], 1
	v_readfirstlane_b32 s6, v8
	s_cselect_b32 s4, -1, 0
	s_cmp_eq_u64 s[26:27], 1
	v_readfirstlane_b32 s7, v9
	s_cselect_b32 s5, -1, 0
	s_delay_alu instid0(SALU_CYCLE_1) | instskip(NEXT) | instid1(SALU_CYCLE_1)
	s_and_b32 s20, s4, s5
	s_and_b32 vcc_lo, exec_lo, s20
	s_cbranch_vccz .LBB63_119
; %bb.105:                              ;   in Loop: Header=BB63_33 Depth=1
	ds_load_b64 v[2:3], v13 offset:5120
	s_waitcnt lgkmcnt(0)
	s_barrier
	buffer_gl0_inv
	v_readfirstlane_b32 s14, v2
	v_readfirstlane_b32 s15, v3
	s_and_saveexec_b32 s4, s3
	s_cbranch_execz .LBB63_107
; %bb.106:                              ;   in Loop: Header=BB63_33 Depth=1
	ds_store_b16 v42, v13
.LBB63_107:                             ;   in Loop: Header=BB63_33 Depth=1
	s_or_b32 exec_lo, exec_lo, s4
	s_delay_alu instid0(VALU_DEP_1)
	v_cmp_lt_i64_e64 s4, s[14:15], 1
	s_and_b32 s98, s98, s18
	s_or_b32 s97, s97, s16
	s_waitcnt lgkmcnt(0)
	s_barrier
	buffer_gl0_inv
	s_and_b32 vcc_lo, exec_lo, s4
	s_cbranch_vccz .LBB63_120
; %bb.108:                              ;   in Loop: Header=BB63_33 Depth=1
	s_mov_b32 s54, s49
	s_delay_alu instid0(SALU_CYCLE_1)
	s_cmp_lg_u64 s[54:55], 0
	s_cbranch_scc0 .LBB63_165
; %bb.109:                              ;   in Loop: Header=BB63_33 Depth=1
	v_cvt_f32_u32_e32 v2, s33
	s_sub_u32 s21, 0, s33
	s_subb_u32 s22, 0, 0
	s_delay_alu instid0(VALU_DEP_1) | instskip(NEXT) | instid1(VALU_DEP_1)
	v_fmac_f32_e32 v2, 0x4f800000, v50
	v_rcp_f32_e32 v2, v2
	s_waitcnt_depctr 0xfff
	v_mul_f32_e32 v2, 0x5f7ffffc, v2
	s_delay_alu instid0(VALU_DEP_1) | instskip(NEXT) | instid1(VALU_DEP_1)
	v_mul_f32_e32 v3, 0x2f800000, v2
	v_trunc_f32_e32 v3, v3
	s_delay_alu instid0(VALU_DEP_1) | instskip(SKIP_1) | instid1(VALU_DEP_2)
	v_fmac_f32_e32 v2, 0xcf800000, v3
	v_cvt_u32_f32_e32 v3, v3
	v_cvt_u32_f32_e32 v2, v2
	s_delay_alu instid0(VALU_DEP_2) | instskip(NEXT) | instid1(VALU_DEP_2)
	v_readfirstlane_b32 s4, v3
	v_readfirstlane_b32 s5, v2
	s_delay_alu instid0(VALU_DEP_2) | instskip(NEXT) | instid1(VALU_DEP_1)
	s_mul_i32 s23, s21, s4
	s_mul_hi_u32 s54, s21, s5
	s_mul_i32 s48, s22, s5
	s_add_i32 s23, s54, s23
	s_mul_i32 s64, s21, s5
	s_add_i32 s23, s23, s48
	s_mul_hi_u32 s54, s5, s64
	s_mul_hi_u32 s65, s4, s64
	s_mul_i32 s48, s4, s64
	s_mul_hi_u32 s64, s5, s23
	s_mul_i32 s5, s5, s23
	s_mul_hi_u32 s66, s4, s23
	s_add_u32 s5, s54, s5
	s_addc_u32 s54, 0, s64
	s_add_u32 s5, s5, s48
	s_mul_i32 s23, s4, s23
	s_addc_u32 s5, s54, s65
	s_addc_u32 s48, s66, 0
	s_add_u32 s5, s5, s23
	s_addc_u32 s23, 0, s48
	v_add_co_u32 v2, s5, v2, s5
	s_delay_alu instid0(VALU_DEP_1) | instskip(SKIP_1) | instid1(VALU_DEP_1)
	s_cmp_lg_u32 s5, 0
	s_addc_u32 s4, s4, s23
	v_readfirstlane_b32 s5, v2
	s_mul_i32 s23, s21, s4
	s_delay_alu instid0(VALU_DEP_1)
	s_mul_hi_u32 s48, s21, s5
	s_mul_i32 s22, s22, s5
	s_add_i32 s23, s48, s23
	s_mul_i32 s21, s21, s5
	s_add_i32 s23, s23, s22
	s_mul_hi_u32 s48, s4, s21
	s_mul_i32 s54, s4, s21
	s_mul_hi_u32 s21, s5, s21
	s_mul_hi_u32 s64, s5, s23
	s_mul_i32 s5, s5, s23
	s_mul_hi_u32 s22, s4, s23
	s_add_u32 s5, s21, s5
	s_addc_u32 s21, 0, s64
	s_add_u32 s5, s5, s54
	s_mul_i32 s23, s4, s23
	s_addc_u32 s5, s21, s48
	s_addc_u32 s21, s22, 0
	s_add_u32 s5, s5, s23
	s_addc_u32 s21, 0, s21
	v_add_co_u32 v2, s5, v2, s5
	s_delay_alu instid0(VALU_DEP_1) | instskip(SKIP_2) | instid1(VALU_DEP_1)
	s_cmp_lg_u32 s5, 0
	s_addc_u32 s21, s4, s21
	s_ashr_i32 s22, s55, 31
	v_readfirstlane_b32 s48, v2
	s_add_u32 s4, s80, s22
	s_mov_b32 s23, s22
	s_addc_u32 s5, s55, s22
	s_delay_alu instid0(SALU_CYCLE_1) | instskip(NEXT) | instid1(SALU_CYCLE_1)
	s_xor_b64 s[4:5], s[4:5], s[22:23]
	s_mul_i32 s54, s4, s21
	s_mul_hi_u32 s64, s4, s48
	s_mul_hi_u32 s23, s4, s21
	;; [unrolled: 1-line block ×3, first 2 shown]
	s_mul_i32 s48, s5, s48
	s_add_u32 s54, s64, s54
	s_addc_u32 s23, 0, s23
	s_mul_hi_u32 s65, s5, s21
	s_add_u32 s48, s54, s48
	s_mul_i32 s21, s5, s21
	s_addc_u32 s23, s23, s66
	s_addc_u32 s48, s65, 0
	s_add_u32 s21, s23, s21
	s_addc_u32 s23, 0, s48
	s_mul_hi_u32 s48, s33, s21
	s_mul_i32 s21, s33, s21
	s_mul_i32 s23, s33, s23
	v_sub_co_u32 v2, s4, s4, s21
	s_add_i32 s48, s48, s23
	s_cmp_lg_u32 s4, 0
	s_delay_alu instid0(VALU_DEP_1) | instskip(SKIP_2) | instid1(VALU_DEP_1)
	v_sub_co_u32 v3, s4, v2, s33
	s_subb_u32 s5, s5, s48
	s_cmp_lg_u32 s4, 0
	v_cmp_le_u32_e32 vcc_lo, s33, v3
	v_sub_co_u32 v4, s4, v3, s33
	s_subb_u32 s21, s5, 0
	s_cmp_lg_u32 s4, 0
	v_cndmask_b32_e64 v5, 0, -1, vcc_lo
	s_subb_u32 s4, s21, 0
	s_cmp_eq_u32 s21, 0
	v_mov_b32_e32 v7, s4
	s_cselect_b32 vcc_lo, -1, 0
	s_cmp_eq_u32 s5, 0
	v_cndmask_b32_e32 v5, -1, v5, vcc_lo
	v_cmp_le_u32_e32 vcc_lo, s33, v2
	s_cselect_b32 s4, -1, 0
	v_cndmask_b32_e64 v6, 0, -1, vcc_lo
	s_delay_alu instid0(VALU_DEP_3) | instskip(NEXT) | instid1(VALU_DEP_2)
	v_cmp_ne_u32_e32 vcc_lo, 0, v5
	v_cndmask_b32_e64 v5, -1, v6, s4
	v_cndmask_b32_e32 v3, v3, v4, vcc_lo
	v_cndmask_b32_e32 v6, s21, v7, vcc_lo
	s_delay_alu instid0(VALU_DEP_3) | instskip(NEXT) | instid1(VALU_DEP_3)
	v_cmp_ne_u32_e32 vcc_lo, 0, v5
	v_cndmask_b32_e32 v2, v2, v3, vcc_lo
	s_delay_alu instid0(VALU_DEP_3) | instskip(NEXT) | instid1(VALU_DEP_2)
	v_cndmask_b32_e32 v4, s5, v6, vcc_lo
	v_xor_b32_e32 v2, s22, v2
	s_delay_alu instid0(VALU_DEP_2) | instskip(NEXT) | instid1(VALU_DEP_2)
	v_xor_b32_e32 v3, s22, v4
	v_sub_co_u32 v2, vcc_lo, v2, s22
	s_delay_alu instid0(VALU_DEP_2)
	v_subrev_co_ci_u32_e32 v3, vcc_lo, s22, v3, vcc_lo
	s_cbranch_execnz .LBB63_111
.LBB63_110:                             ;   in Loop: Header=BB63_33 Depth=1
	v_cvt_f32_u32_e32 v2, s33
	s_sub_i32 s4, 0, s33
	s_delay_alu instid0(VALU_DEP_1) | instskip(SKIP_2) | instid1(VALU_DEP_1)
	v_rcp_iflag_f32_e32 v2, v2
	s_waitcnt_depctr 0xfff
	v_mul_f32_e32 v2, 0x4f7ffffe, v2
	v_cvt_u32_f32_e32 v2, v2
	s_delay_alu instid0(VALU_DEP_1) | instskip(NEXT) | instid1(VALU_DEP_1)
	v_mul_lo_u32 v3, s4, v2
	v_mul_hi_u32 v3, v2, v3
	s_delay_alu instid0(VALU_DEP_1) | instskip(NEXT) | instid1(VALU_DEP_1)
	v_add_nc_u32_e32 v2, v2, v3
	v_mul_hi_u32 v2, s80, v2
	s_delay_alu instid0(VALU_DEP_1) | instskip(NEXT) | instid1(VALU_DEP_1)
	v_mul_lo_u32 v2, v2, s33
	v_sub_nc_u32_e32 v2, s80, v2
	s_delay_alu instid0(VALU_DEP_1) | instskip(SKIP_1) | instid1(VALU_DEP_2)
	v_subrev_nc_u32_e32 v3, s33, v2
	v_cmp_le_u32_e32 vcc_lo, s33, v2
	v_cndmask_b32_e32 v2, v2, v3, vcc_lo
	s_delay_alu instid0(VALU_DEP_1) | instskip(SKIP_1) | instid1(VALU_DEP_2)
	v_subrev_nc_u32_e32 v3, s33, v2
	v_cmp_le_u32_e32 vcc_lo, s33, v2
	v_cndmask_b32_e32 v12, v2, v3, vcc_lo
	s_delay_alu instid0(VALU_DEP_1)
	v_dual_mov_b32 v2, v12 :: v_dual_mov_b32 v3, v13
.LBB63_111:                             ;   in Loop: Header=BB63_33 Depth=1
	s_delay_alu instid0(VALU_DEP_1) | instskip(NEXT) | instid1(VALU_DEP_2)
	v_sub_co_u32 v2, vcc_lo, s80, v2
	v_sub_co_ci_u32_e32 v3, vcc_lo, s55, v3, vcc_lo
	s_mov_b32 s4, 0
	s_mov_b32 s5, exec_lo
                                        ; implicit-def: $vgpr51
	s_delay_alu instid0(VALU_DEP_1)
	v_cmpx_gt_i64_e64 v[2:3], v[0:1]
	s_cbranch_execz .LBB63_122
; %bb.112:                              ;   in Loop: Header=BB63_33 Depth=1
	v_dual_mov_b32 v4, v10 :: v_dual_mov_b32 v5, v11
	v_dual_mov_b32 v7, v1 :: v_dual_mov_b32 v6, v0
	s_mov_b32 s21, 0
                                        ; implicit-def: $sgpr22
	s_branch .LBB63_114
.LBB63_113:                             ;   in Loop: Header=BB63_114 Depth=2
	s_or_b32 exec_lo, exec_lo, s4
	s_waitcnt vmcnt(0) lgkmcnt(0)
	s_barrier
	buffer_gl0_inv
	ds_load_b32 v8, v13 offset:3072
	v_add_co_u32 v6, vcc_lo, v6, s33
	v_add_co_ci_u32_e32 v7, vcc_lo, 0, v7, vcc_lo
	s_waitcnt lgkmcnt(0)
	s_barrier
	buffer_gl0_inv
	v_cmp_ge_i64_e32 vcc_lo, v[6:7], v[2:3]
	v_cmp_neq_f16_e64 s4, 0, v8
	s_delay_alu instid0(VALU_DEP_1)
	s_or_b32 s23, s4, vcc_lo
	v_add_co_u32 v4, vcc_lo, v4, s50
	s_and_b32 s23, exec_lo, s23
	v_add_co_ci_u32_e32 v5, vcc_lo, s51, v5, vcc_lo
	s_or_b32 s21, s23, s21
	s_and_not1_b32 s22, s22, exec_lo
	s_and_b32 s4, s4, exec_lo
	s_delay_alu instid0(SALU_CYCLE_1)
	s_or_b32 s22, s22, s4
	s_and_not1_b32 exec_lo, exec_lo, s21
	s_cbranch_execz .LBB63_121
.LBB63_114:                             ;   Parent Loop BB63_33 Depth=1
                                        ; =>  This Inner Loop Header: Depth=2
	s_delay_alu instid0(VALU_DEP_1)
	v_cmp_gt_i64_e32 vcc_lo, s[24:25], v[6:7]
	v_mov_b32_e32 v8, 0
	s_and_saveexec_b32 s4, vcc_lo
	s_cbranch_execz .LBB63_116
; %bb.115:                              ;   in Loop: Header=BB63_114 Depth=2
	global_load_u16 v8, v[4:5], off
.LBB63_116:                             ;   in Loop: Header=BB63_114 Depth=2
	s_or_b32 exec_lo, exec_lo, s4
	s_and_saveexec_b32 s4, vcc_lo
	s_cbranch_execz .LBB63_113
; %bb.117:                              ;   in Loop: Header=BB63_114 Depth=2
	s_waitcnt vmcnt(0)
	v_cmp_lt_i16_e32 vcc_lo, -1, v8
	v_dual_cndmask_b32 v12, 0xffff, v49 :: v_dual_and_b32 v9, 0xffff, v8
	v_cmp_o_f16_e32 vcc_lo, v8, v8
	s_delay_alu instid0(VALU_DEP_2) | instskip(NEXT) | instid1(VALU_DEP_1)
	v_xor_b32_e32 v9, v12, v9
	v_cndmask_b32_e32 v9, 0xffff, v9, vcc_lo
	s_delay_alu instid0(VALU_DEP_1) | instskip(NEXT) | instid1(VALU_DEP_1)
	v_and_b32_e32 v9, s97, v9
	v_cmp_eq_u32_e32 vcc_lo, s98, v9
	s_and_b32 exec_lo, exec_lo, vcc_lo
	s_cbranch_execz .LBB63_113
; %bb.118:                              ;   in Loop: Header=BB63_114 Depth=2
	v_perm_b32 v8, v8, s87, 0x5040100
	ds_store_b32 v13, v8 offset:3072
	s_branch .LBB63_113
.LBB63_119:                             ;   in Loop: Header=BB63_33 Depth=1
	s_mov_b32 s4, -1
                                        ; implicit-def: $sgpr5
                                        ; implicit-def: $sgpr22
                                        ; implicit-def: $sgpr21
	s_branch .LBB63_136
.LBB63_120:                             ;   in Loop: Header=BB63_33 Depth=1
	s_mov_b32 s5, -1
	s_mov_b32 s4, 0
                                        ; implicit-def: $sgpr21
                                        ; implicit-def: $vgpr51
	s_mov_b32 s22, s5
	s_cbranch_execnz .LBB63_123
	s_branch .LBB63_136
.LBB63_121:                             ;   in Loop: Header=BB63_33 Depth=1
	s_or_b32 exec_lo, exec_lo, s21
	v_lshrrev_b32_e32 v51, 16, v8
	s_and_b32 s4, s22, exec_lo
.LBB63_122:                             ;   in Loop: Header=BB63_33 Depth=1
	s_or_b32 exec_lo, exec_lo, s5
	s_mov_b32 s21, -1
	s_mov_b32 s5, 0
	s_delay_alu instid0(SALU_CYCLE_1)
	s_mov_b32 s22, s5
	s_branch .LBB63_136
.LBB63_123:                             ;   in Loop: Header=BB63_33 Depth=1
	s_add_u32 s21, s78, s14
	s_addc_u32 s5, s79, s15
	s_mov_b32 s4, s49
	s_delay_alu instid0(SALU_CYCLE_1)
	s_cmp_lg_u64 s[4:5], 0
	s_cbranch_scc0 .LBB63_166
; %bb.124:                              ;   in Loop: Header=BB63_33 Depth=1
	v_cvt_f32_u32_e32 v2, s33
	s_sub_u32 s23, 0, s33
	s_subb_u32 s48, 0, 0
	s_delay_alu instid0(VALU_DEP_1) | instskip(NEXT) | instid1(VALU_DEP_1)
	v_fmac_f32_e32 v2, 0x4f800000, v50
	v_rcp_f32_e32 v2, v2
	s_waitcnt_depctr 0xfff
	v_mul_f32_e32 v2, 0x5f7ffffc, v2
	s_delay_alu instid0(VALU_DEP_1) | instskip(NEXT) | instid1(VALU_DEP_1)
	v_mul_f32_e32 v3, 0x2f800000, v2
	v_trunc_f32_e32 v3, v3
	s_delay_alu instid0(VALU_DEP_1) | instskip(SKIP_1) | instid1(VALU_DEP_2)
	v_fmac_f32_e32 v2, 0xcf800000, v3
	v_cvt_u32_f32_e32 v3, v3
	v_cvt_u32_f32_e32 v2, v2
	s_delay_alu instid0(VALU_DEP_2) | instskip(NEXT) | instid1(VALU_DEP_2)
	v_readfirstlane_b32 s4, v3
	v_readfirstlane_b32 s22, v2
	s_delay_alu instid0(VALU_DEP_2) | instskip(NEXT) | instid1(VALU_DEP_1)
	s_mul_i32 s54, s23, s4
	s_mul_hi_u32 s65, s23, s22
	s_mul_i32 s64, s48, s22
	s_add_i32 s54, s65, s54
	s_mul_i32 s66, s23, s22
	s_add_i32 s54, s54, s64
	s_mul_hi_u32 s65, s22, s66
	s_mul_hi_u32 s67, s4, s66
	s_mul_i32 s64, s4, s66
	s_mul_hi_u32 s66, s22, s54
	s_mul_i32 s22, s22, s54
	s_mul_hi_u32 s68, s4, s54
	s_add_u32 s22, s65, s22
	s_addc_u32 s65, 0, s66
	s_add_u32 s22, s22, s64
	s_mul_i32 s54, s4, s54
	s_addc_u32 s22, s65, s67
	s_addc_u32 s64, s68, 0
	s_add_u32 s22, s22, s54
	s_addc_u32 s54, 0, s64
	v_add_co_u32 v2, s22, v2, s22
	s_delay_alu instid0(VALU_DEP_1) | instskip(SKIP_1) | instid1(VALU_DEP_1)
	s_cmp_lg_u32 s22, 0
	s_addc_u32 s4, s4, s54
	v_readfirstlane_b32 s22, v2
	s_mul_i32 s54, s23, s4
	s_delay_alu instid0(VALU_DEP_1)
	s_mul_hi_u32 s64, s23, s22
	s_mul_i32 s48, s48, s22
	s_add_i32 s54, s64, s54
	s_mul_i32 s23, s23, s22
	s_add_i32 s54, s54, s48
	s_mul_hi_u32 s64, s4, s23
	s_mul_i32 s65, s4, s23
	s_mul_hi_u32 s23, s22, s23
	s_mul_hi_u32 s66, s22, s54
	s_mul_i32 s22, s22, s54
	s_mul_hi_u32 s48, s4, s54
	s_add_u32 s22, s23, s22
	s_addc_u32 s23, 0, s66
	s_add_u32 s22, s22, s65
	s_mul_i32 s54, s4, s54
	s_addc_u32 s22, s23, s64
	s_addc_u32 s23, s48, 0
	s_add_u32 s22, s22, s54
	s_addc_u32 s23, 0, s23
	v_add_co_u32 v2, s22, v2, s22
	s_delay_alu instid0(VALU_DEP_1) | instskip(SKIP_2) | instid1(VALU_DEP_1)
	s_cmp_lg_u32 s22, 0
	s_addc_u32 s4, s4, s23
	s_ashr_i32 s22, s5, 31
	v_readfirstlane_b32 s48, v2
	s_add_u32 s64, s21, s22
	s_mov_b32 s23, s22
	s_addc_u32 s65, s5, s22
	s_delay_alu instid0(SALU_CYCLE_1) | instskip(NEXT) | instid1(SALU_CYCLE_1)
	s_xor_b64 s[64:65], s[64:65], s[22:23]
	s_mul_i32 s54, s64, s4
	s_mul_hi_u32 s66, s64, s48
	s_mul_hi_u32 s23, s64, s4
	;; [unrolled: 1-line block ×3, first 2 shown]
	s_mul_i32 s48, s65, s48
	s_add_u32 s54, s66, s54
	s_addc_u32 s23, 0, s23
	s_mul_hi_u32 s67, s65, s4
	s_add_u32 s48, s54, s48
	s_mul_i32 s4, s65, s4
	s_addc_u32 s23, s23, s68
	s_addc_u32 s48, s67, 0
	s_add_u32 s4, s23, s4
	s_addc_u32 s23, 0, s48
	s_mul_hi_u32 s48, s33, s4
	s_mul_i32 s4, s33, s4
	s_mul_i32 s23, s33, s23
	v_sub_co_u32 v2, s4, s64, s4
	s_add_i32 s48, s48, s23
	s_cmp_lg_u32 s4, 0
	s_delay_alu instid0(VALU_DEP_1) | instskip(SKIP_2) | instid1(VALU_DEP_1)
	v_sub_co_u32 v3, s4, v2, s33
	s_subb_u32 s23, s65, s48
	s_cmp_lg_u32 s4, 0
	v_cmp_le_u32_e32 vcc_lo, s33, v3
	v_sub_co_u32 v4, s4, v3, s33
	s_subb_u32 s48, s23, 0
	s_cmp_lg_u32 s4, 0
	v_cndmask_b32_e64 v5, 0, -1, vcc_lo
	s_subb_u32 s4, s48, 0
	s_cmp_eq_u32 s48, 0
	v_mov_b32_e32 v7, s4
	s_cselect_b32 vcc_lo, -1, 0
	s_cmp_eq_u32 s23, 0
	v_cndmask_b32_e32 v5, -1, v5, vcc_lo
	v_cmp_le_u32_e32 vcc_lo, s33, v2
	s_cselect_b32 s4, -1, 0
	v_cndmask_b32_e64 v6, 0, -1, vcc_lo
	s_delay_alu instid0(VALU_DEP_3) | instskip(NEXT) | instid1(VALU_DEP_2)
	v_cmp_ne_u32_e32 vcc_lo, 0, v5
	v_cndmask_b32_e64 v5, -1, v6, s4
	v_cndmask_b32_e32 v3, v3, v4, vcc_lo
	v_cndmask_b32_e32 v6, s48, v7, vcc_lo
	s_delay_alu instid0(VALU_DEP_3) | instskip(NEXT) | instid1(VALU_DEP_3)
	v_cmp_ne_u32_e32 vcc_lo, 0, v5
	v_cndmask_b32_e32 v2, v2, v3, vcc_lo
	s_delay_alu instid0(VALU_DEP_3) | instskip(NEXT) | instid1(VALU_DEP_2)
	v_cndmask_b32_e32 v4, s23, v6, vcc_lo
	v_xor_b32_e32 v2, s22, v2
	s_delay_alu instid0(VALU_DEP_2) | instskip(NEXT) | instid1(VALU_DEP_2)
	v_xor_b32_e32 v3, s22, v4
	v_sub_co_u32 v2, vcc_lo, v2, s22
	s_delay_alu instid0(VALU_DEP_2)
	v_subrev_co_ci_u32_e32 v3, vcc_lo, s22, v3, vcc_lo
	s_cbranch_execnz .LBB63_126
.LBB63_125:                             ;   in Loop: Header=BB63_33 Depth=1
	v_cvt_f32_u32_e32 v2, s33
	s_sub_i32 s4, 0, s33
	s_delay_alu instid0(VALU_DEP_1) | instskip(SKIP_2) | instid1(VALU_DEP_1)
	v_rcp_iflag_f32_e32 v2, v2
	s_waitcnt_depctr 0xfff
	v_mul_f32_e32 v2, 0x4f7ffffe, v2
	v_cvt_u32_f32_e32 v2, v2
	s_delay_alu instid0(VALU_DEP_1) | instskip(NEXT) | instid1(VALU_DEP_1)
	v_mul_lo_u32 v3, s4, v2
	v_mul_hi_u32 v3, v2, v3
	s_delay_alu instid0(VALU_DEP_1) | instskip(NEXT) | instid1(VALU_DEP_1)
	v_add_nc_u32_e32 v2, v2, v3
	v_mul_hi_u32 v2, s21, v2
	s_delay_alu instid0(VALU_DEP_1) | instskip(NEXT) | instid1(VALU_DEP_1)
	v_mul_lo_u32 v2, v2, s33
	v_sub_nc_u32_e32 v2, s21, v2
	s_delay_alu instid0(VALU_DEP_1) | instskip(SKIP_1) | instid1(VALU_DEP_2)
	v_subrev_nc_u32_e32 v3, s33, v2
	v_cmp_le_u32_e32 vcc_lo, s33, v2
	v_cndmask_b32_e32 v2, v2, v3, vcc_lo
	s_delay_alu instid0(VALU_DEP_1) | instskip(SKIP_1) | instid1(VALU_DEP_2)
	v_subrev_nc_u32_e32 v3, s33, v2
	v_cmp_le_u32_e32 vcc_lo, s33, v2
	v_cndmask_b32_e32 v12, v2, v3, vcc_lo
	s_delay_alu instid0(VALU_DEP_1)
	v_dual_mov_b32 v2, v12 :: v_dual_mov_b32 v3, v13
.LBB63_126:                             ;   in Loop: Header=BB63_33 Depth=1
	s_delay_alu instid0(VALU_DEP_1) | instskip(NEXT) | instid1(VALU_DEP_2)
	v_sub_co_u32 v2, vcc_lo, s21, v2
	v_sub_co_ci_u32_e32 v3, vcc_lo, s5, v3, vcc_lo
	s_mov_b32 s4, 0
	s_mov_b32 s5, exec_lo
                                        ; implicit-def: $vgpr51
	s_delay_alu instid0(VALU_DEP_1)
	v_cmpx_gt_i64_e64 v[2:3], v[0:1]
	s_cbranch_execz .LBB63_135
; %bb.127:                              ;   in Loop: Header=BB63_33 Depth=1
	v_mov_b32_e32 v6, v41
	v_dual_mov_b32 v5, v1 :: v_dual_mov_b32 v4, v0
	s_mov_b32 s21, 0
                                        ; implicit-def: $sgpr22
	s_set_inst_prefetch_distance 0x1
	s_branch .LBB63_129
	.p2align	6
.LBB63_128:                             ;   in Loop: Header=BB63_129 Depth=2
	s_or_b32 exec_lo, exec_lo, s4
	s_waitcnt lgkmcnt(0)
	s_barrier
	buffer_gl0_inv
	ds_load_b32 v7, v13 offset:3072
	v_add_co_u32 v4, vcc_lo, v4, s33
	v_add_co_ci_u32_e32 v5, vcc_lo, 0, v5, vcc_lo
	v_add_nc_u32_e32 v6, s86, v6
	s_waitcnt lgkmcnt(0)
	s_barrier
	s_delay_alu instid0(VALU_DEP_2) | instskip(SKIP_2) | instid1(VALU_DEP_1)
	v_cmp_ge_i64_e32 vcc_lo, v[4:5], v[2:3]
	buffer_gl0_inv
	v_cmp_neq_f16_e64 s4, 0, v7
	s_or_b32 s23, s4, vcc_lo
	s_delay_alu instid0(SALU_CYCLE_1) | instskip(NEXT) | instid1(SALU_CYCLE_1)
	s_and_b32 s23, exec_lo, s23
	s_or_b32 s21, s23, s21
	s_and_not1_b32 s22, s22, exec_lo
	s_and_b32 s4, s4, exec_lo
	s_delay_alu instid0(SALU_CYCLE_1)
	s_or_b32 s22, s22, s4
	s_and_not1_b32 exec_lo, exec_lo, s21
	s_cbranch_execz .LBB63_134
.LBB63_129:                             ;   Parent Loop BB63_33 Depth=1
                                        ; =>  This Inner Loop Header: Depth=2
	s_delay_alu instid0(VALU_DEP_1)
	v_cmp_gt_i64_e32 vcc_lo, s[14:15], v[4:5]
	v_mov_b32_e32 v7, 0
	s_and_saveexec_b32 s4, vcc_lo
	s_cbranch_execz .LBB63_131
; %bb.130:                              ;   in Loop: Header=BB63_129 Depth=2
	ds_load_u16 v7, v6
.LBB63_131:                             ;   in Loop: Header=BB63_129 Depth=2
	s_or_b32 exec_lo, exec_lo, s4
	s_and_saveexec_b32 s4, vcc_lo
	s_cbranch_execz .LBB63_128
; %bb.132:                              ;   in Loop: Header=BB63_129 Depth=2
	s_waitcnt lgkmcnt(0)
	v_cmp_lt_i16_e32 vcc_lo, -1, v7
	v_dual_cndmask_b32 v9, 0xffff, v49 :: v_dual_and_b32 v8, 0xffff, v7
	v_cmp_o_f16_e32 vcc_lo, v7, v7
	s_delay_alu instid0(VALU_DEP_2) | instskip(NEXT) | instid1(VALU_DEP_1)
	v_xor_b32_e32 v8, v9, v8
	v_cndmask_b32_e32 v8, 0xffff, v8, vcc_lo
	s_delay_alu instid0(VALU_DEP_1) | instskip(NEXT) | instid1(VALU_DEP_1)
	v_and_b32_e32 v8, s97, v8
	v_cmp_eq_u32_e32 vcc_lo, s98, v8
	s_and_b32 exec_lo, exec_lo, vcc_lo
	s_cbranch_execz .LBB63_128
; %bb.133:                              ;   in Loop: Header=BB63_129 Depth=2
	v_perm_b32 v7, v7, s87, 0x5040100
	ds_store_b32 v13, v7 offset:3072
	s_branch .LBB63_128
.LBB63_134:                             ;   in Loop: Header=BB63_33 Depth=1
	s_set_inst_prefetch_distance 0x2
	s_or_b32 exec_lo, exec_lo, s21
	v_lshrrev_b32_e32 v51, 16, v7
	s_and_b32 s4, s22, exec_lo
.LBB63_135:                             ;   in Loop: Header=BB63_33 Depth=1
	s_or_b32 exec_lo, exec_lo, s5
	s_mov_b32 s22, -1
	s_mov_b32 s5, 0
	s_mov_b32 s21, 0
.LBB63_136:                             ;   in Loop: Header=BB63_33 Depth=1
	s_and_not1_b32 s14, s94, exec_lo
	s_and_b32 s5, s5, exec_lo
	s_and_not1_b32 s15, s95, exec_lo
	s_or_b32 s94, s14, s5
	s_and_not1_b32 s5, s96, exec_lo
	s_and_b32 s14, s22, exec_lo
	s_and_b32 s21, s21, exec_lo
	s_or_b32 s96, s5, s14
	s_or_b32 s95, s15, s21
	s_and_saveexec_b32 s14, s4
	s_cbranch_execz .LBB63_32
; %bb.137:                              ;   in Loop: Header=BB63_33 Depth=1
	s_xor_b32 s4, s20, -1
	s_mov_b32 s54, 1
	s_and_not1_b32 vcc_lo, exec_lo, s4
	s_cbranch_vccnz .LBB63_148
; %bb.138:                              ;   in Loop: Header=BB63_33 Depth=1
	v_cmp_gt_i64_e64 s4, s[26:27], s[12:13]
                                        ; implicit-def: $sgpr54
                                        ; implicit-def: $sgpr5
                                        ; implicit-def: $sgpr15
	s_delay_alu instid0(VALU_DEP_1)
	s_and_b32 vcc_lo, exec_lo, s4
	s_mov_b32 s4, -1
	s_cbranch_vccnz .LBB63_144
; %bb.139:                              ;   in Loop: Header=BB63_33 Depth=1
	ds_load_b64 v[2:3], v13 offset:5120
	s_waitcnt lgkmcnt(0)
	v_cmp_ne_u64_e32 vcc_lo, 0, v[2:3]
	s_cbranch_vccnz .LBB63_143
; %bb.140:                              ;   in Loop: Header=BB63_33 Depth=1
	s_and_saveexec_b32 s4, s0
	s_cbranch_execz .LBB63_142
; %bb.141:                              ;   in Loop: Header=BB63_33 Depth=1
	v_dual_mov_b32 v2, s12 :: v_dual_mov_b32 v3, s13
	ds_store_b64 v13, v[2:3] offset:5128
.LBB63_142:                             ;   in Loop: Header=BB63_33 Depth=1
	s_or_b32 exec_lo, exec_lo, s4
	s_waitcnt lgkmcnt(0)
	s_barrier
	buffer_gl0_inv
.LBB63_143:                             ;   in Loop: Header=BB63_33 Depth=1
	s_and_b32 s5, s98, s18
	s_or_b32 s15, s97, s16
	s_mov_b32 s4, 0
	s_mov_b32 s54, 8
.LBB63_144:                             ;   in Loop: Header=BB63_33 Depth=1
	s_and_not1_b32 vcc_lo, exec_lo, s4
	s_cbranch_vccnz .LBB63_146
; %bb.145:                              ;   in Loop: Header=BB63_33 Depth=1
	s_sub_u32 s26, s26, s12
	s_subb_u32 s27, s27, s13
	s_mov_b32 s4, -1
	s_mov_b32 s54, 0
	s_mov_b32 s5, s98
	;; [unrolled: 1-line block ×3, first 2 shown]
.LBB63_146:                             ;   in Loop: Header=BB63_33 Depth=1
	s_delay_alu instid0(SALU_CYCLE_1)
	s_mov_b32 s97, s15
	s_mov_b32 s98, s5
	s_and_b32 vcc_lo, exec_lo, s4
	s_mov_b32 s15, -1
	s_cbranch_vccnz .LBB63_149
.LBB63_147:                             ;   in Loop: Header=BB63_33 Depth=1
	s_mov_b32 s5, -1
                                        ; implicit-def: $sgpr19
                                        ; implicit-def: $sgpr21
                                        ; implicit-def: $sgpr20
	s_delay_alu instid0(SALU_CYCLE_1) | instskip(NEXT) | instid1(SALU_CYCLE_1)
	s_and_saveexec_b32 s4, s5
	s_xor_b32 s4, exec_lo, s4
	s_cbranch_execz .LBB63_31
	s_branch .LBB63_295
.LBB63_148:                             ;   in Loop: Header=BB63_33 Depth=1
	s_mov_b64 s[26:27], 1
	s_mov_b32 s15, -1
	s_branch .LBB63_147
.LBB63_149:                             ;   in Loop: Header=BB63_33 Depth=1
	s_cmp_eq_u64 s[10:11], 1
	s_cselect_b32 s4, -1, 0
	s_cmp_eq_u64 s[26:27], 1
	s_cselect_b32 s5, -1, 0
	s_delay_alu instid0(SALU_CYCLE_1)
	s_and_b32 s22, s4, s5
	s_mov_b32 s4, -1
	s_and_b32 vcc_lo, exec_lo, s22
	s_cbranch_vccz .LBB63_164
; %bb.150:                              ;   in Loop: Header=BB63_33 Depth=1
	ds_load_b64 v[2:3], v13 offset:5120
	s_waitcnt lgkmcnt(0)
	s_barrier
	buffer_gl0_inv
	v_readfirstlane_b32 s12, v2
	v_readfirstlane_b32 s13, v3
	s_and_saveexec_b32 s4, s3
	s_cbranch_execz .LBB63_152
; %bb.151:                              ;   in Loop: Header=BB63_33 Depth=1
	ds_store_b16 v42, v13
.LBB63_152:                             ;   in Loop: Header=BB63_33 Depth=1
	s_or_b32 exec_lo, exec_lo, s4
	s_delay_alu instid0(VALU_DEP_1)
	v_cmp_gt_i64_e64 s19, s[12:13], 0
	s_lshl_b32 s4, 1, s17
	s_and_b32 s5, s98, s18
	s_or_b32 s97, s97, s16
	s_or_b32 s98, s5, s4
	s_waitcnt lgkmcnt(0)
	s_and_b32 vcc_lo, exec_lo, s19
	s_barrier
	buffer_gl0_inv
	s_cbranch_vccnz .LBB63_167
; %bb.153:                              ;   in Loop: Header=BB63_33 Depth=1
	s_mov_b32 s54, s49
	s_delay_alu instid0(SALU_CYCLE_1)
	s_cmp_lg_u64 s[54:55], 0
	s_cbranch_scc0 .LBB63_212
; %bb.154:                              ;   in Loop: Header=BB63_33 Depth=1
	v_cvt_f32_u32_e32 v2, s33
	s_sub_u32 s19, 0, s33
	s_subb_u32 s20, 0, 0
	s_delay_alu instid0(VALU_DEP_1) | instskip(NEXT) | instid1(VALU_DEP_1)
	v_fmac_f32_e32 v2, 0x4f800000, v50
	v_rcp_f32_e32 v2, v2
	s_waitcnt_depctr 0xfff
	v_mul_f32_e32 v2, 0x5f7ffffc, v2
	s_delay_alu instid0(VALU_DEP_1) | instskip(NEXT) | instid1(VALU_DEP_1)
	v_mul_f32_e32 v3, 0x2f800000, v2
	v_trunc_f32_e32 v3, v3
	s_delay_alu instid0(VALU_DEP_1) | instskip(SKIP_1) | instid1(VALU_DEP_2)
	v_fmac_f32_e32 v2, 0xcf800000, v3
	v_cvt_u32_f32_e32 v3, v3
	v_cvt_u32_f32_e32 v2, v2
	s_delay_alu instid0(VALU_DEP_2) | instskip(NEXT) | instid1(VALU_DEP_2)
	v_readfirstlane_b32 s4, v3
	v_readfirstlane_b32 s5, v2
	s_delay_alu instid0(VALU_DEP_2) | instskip(NEXT) | instid1(VALU_DEP_1)
	s_mul_i32 s21, s19, s4
	s_mul_hi_u32 s48, s19, s5
	s_mul_i32 s23, s20, s5
	s_add_i32 s21, s48, s21
	s_mul_i32 s54, s19, s5
	s_add_i32 s21, s21, s23
	s_mul_hi_u32 s48, s5, s54
	s_mul_hi_u32 s64, s4, s54
	s_mul_i32 s23, s4, s54
	s_mul_hi_u32 s54, s5, s21
	s_mul_i32 s5, s5, s21
	s_mul_hi_u32 s65, s4, s21
	s_add_u32 s5, s48, s5
	s_addc_u32 s48, 0, s54
	s_add_u32 s5, s5, s23
	s_mul_i32 s21, s4, s21
	s_addc_u32 s5, s48, s64
	s_addc_u32 s23, s65, 0
	s_add_u32 s5, s5, s21
	s_addc_u32 s21, 0, s23
	v_add_co_u32 v2, s5, v2, s5
	s_delay_alu instid0(VALU_DEP_1) | instskip(SKIP_1) | instid1(VALU_DEP_1)
	s_cmp_lg_u32 s5, 0
	s_addc_u32 s4, s4, s21
	v_readfirstlane_b32 s5, v2
	s_mul_i32 s21, s19, s4
	s_delay_alu instid0(VALU_DEP_1)
	s_mul_hi_u32 s23, s19, s5
	s_mul_i32 s20, s20, s5
	s_add_i32 s21, s23, s21
	s_mul_i32 s19, s19, s5
	s_add_i32 s21, s21, s20
	s_mul_hi_u32 s23, s4, s19
	s_mul_i32 s48, s4, s19
	s_mul_hi_u32 s19, s5, s19
	s_mul_hi_u32 s54, s5, s21
	s_mul_i32 s5, s5, s21
	s_mul_hi_u32 s20, s4, s21
	s_add_u32 s5, s19, s5
	s_addc_u32 s19, 0, s54
	s_add_u32 s5, s5, s48
	s_mul_i32 s21, s4, s21
	s_addc_u32 s5, s19, s23
	s_addc_u32 s19, s20, 0
	s_add_u32 s5, s5, s21
	s_addc_u32 s19, 0, s19
	v_add_co_u32 v2, s5, v2, s5
	s_delay_alu instid0(VALU_DEP_1) | instskip(SKIP_2) | instid1(VALU_DEP_1)
	s_cmp_lg_u32 s5, 0
	s_addc_u32 s19, s4, s19
	s_ashr_i32 s20, s55, 31
	v_readfirstlane_b32 s23, v2
	s_add_u32 s4, s80, s20
	s_mov_b32 s21, s20
	s_addc_u32 s5, s55, s20
	s_delay_alu instid0(SALU_CYCLE_1) | instskip(NEXT) | instid1(SALU_CYCLE_1)
	s_xor_b64 s[4:5], s[4:5], s[20:21]
	s_mul_i32 s48, s4, s19
	s_mul_hi_u32 s54, s4, s23
	s_mul_hi_u32 s21, s4, s19
	;; [unrolled: 1-line block ×3, first 2 shown]
	s_mul_i32 s23, s5, s23
	s_add_u32 s48, s54, s48
	s_addc_u32 s21, 0, s21
	s_mul_hi_u32 s64, s5, s19
	s_add_u32 s23, s48, s23
	s_mul_i32 s19, s5, s19
	s_addc_u32 s21, s21, s65
	s_addc_u32 s23, s64, 0
	s_add_u32 s19, s21, s19
	s_addc_u32 s21, 0, s23
	s_mul_hi_u32 s23, s33, s19
	s_mul_i32 s19, s33, s19
	s_mul_i32 s21, s33, s21
	v_sub_co_u32 v2, s4, s4, s19
	s_add_i32 s23, s23, s21
	s_cmp_lg_u32 s4, 0
	s_delay_alu instid0(VALU_DEP_1) | instskip(SKIP_2) | instid1(VALU_DEP_1)
	v_sub_co_u32 v3, s4, v2, s33
	s_subb_u32 s5, s5, s23
	s_cmp_lg_u32 s4, 0
	v_cmp_le_u32_e32 vcc_lo, s33, v3
	v_sub_co_u32 v4, s4, v3, s33
	s_subb_u32 s19, s5, 0
	s_cmp_lg_u32 s4, 0
	v_cndmask_b32_e64 v5, 0, -1, vcc_lo
	s_subb_u32 s4, s19, 0
	s_cmp_eq_u32 s19, 0
	v_mov_b32_e32 v7, s4
	s_cselect_b32 vcc_lo, -1, 0
	s_cmp_eq_u32 s5, 0
	v_cndmask_b32_e32 v5, -1, v5, vcc_lo
	v_cmp_le_u32_e32 vcc_lo, s33, v2
	s_cselect_b32 s4, -1, 0
	v_cndmask_b32_e64 v6, 0, -1, vcc_lo
	s_delay_alu instid0(VALU_DEP_3) | instskip(NEXT) | instid1(VALU_DEP_2)
	v_cmp_ne_u32_e32 vcc_lo, 0, v5
	v_cndmask_b32_e64 v5, -1, v6, s4
	v_cndmask_b32_e32 v3, v3, v4, vcc_lo
	v_cndmask_b32_e32 v6, s19, v7, vcc_lo
	s_delay_alu instid0(VALU_DEP_3) | instskip(NEXT) | instid1(VALU_DEP_3)
	v_cmp_ne_u32_e32 vcc_lo, 0, v5
	v_cndmask_b32_e32 v2, v2, v3, vcc_lo
	s_delay_alu instid0(VALU_DEP_3) | instskip(NEXT) | instid1(VALU_DEP_2)
	v_cndmask_b32_e32 v4, s5, v6, vcc_lo
	v_xor_b32_e32 v2, s20, v2
	s_delay_alu instid0(VALU_DEP_2) | instskip(NEXT) | instid1(VALU_DEP_2)
	v_xor_b32_e32 v3, s20, v4
	v_sub_co_u32 v2, vcc_lo, v2, s20
	s_delay_alu instid0(VALU_DEP_2)
	v_subrev_co_ci_u32_e32 v3, vcc_lo, s20, v3, vcc_lo
	s_cbranch_execnz .LBB63_156
.LBB63_155:                             ;   in Loop: Header=BB63_33 Depth=1
	v_cvt_f32_u32_e32 v2, s33
	s_sub_i32 s4, 0, s33
	s_delay_alu instid0(VALU_DEP_1) | instskip(SKIP_2) | instid1(VALU_DEP_1)
	v_rcp_iflag_f32_e32 v2, v2
	s_waitcnt_depctr 0xfff
	v_mul_f32_e32 v2, 0x4f7ffffe, v2
	v_cvt_u32_f32_e32 v2, v2
	s_delay_alu instid0(VALU_DEP_1) | instskip(NEXT) | instid1(VALU_DEP_1)
	v_mul_lo_u32 v3, s4, v2
	v_mul_hi_u32 v3, v2, v3
	s_delay_alu instid0(VALU_DEP_1) | instskip(NEXT) | instid1(VALU_DEP_1)
	v_add_nc_u32_e32 v2, v2, v3
	v_mul_hi_u32 v2, s80, v2
	s_delay_alu instid0(VALU_DEP_1) | instskip(NEXT) | instid1(VALU_DEP_1)
	v_mul_lo_u32 v2, v2, s33
	v_sub_nc_u32_e32 v2, s80, v2
	s_delay_alu instid0(VALU_DEP_1) | instskip(SKIP_1) | instid1(VALU_DEP_2)
	v_subrev_nc_u32_e32 v3, s33, v2
	v_cmp_le_u32_e32 vcc_lo, s33, v2
	v_cndmask_b32_e32 v2, v2, v3, vcc_lo
	s_delay_alu instid0(VALU_DEP_1) | instskip(SKIP_1) | instid1(VALU_DEP_2)
	v_subrev_nc_u32_e32 v3, s33, v2
	v_cmp_le_u32_e32 vcc_lo, s33, v2
	v_cndmask_b32_e32 v12, v2, v3, vcc_lo
	s_delay_alu instid0(VALU_DEP_1)
	v_dual_mov_b32 v2, v12 :: v_dual_mov_b32 v3, v13
.LBB63_156:                             ;   in Loop: Header=BB63_33 Depth=1
	s_delay_alu instid0(VALU_DEP_1) | instskip(NEXT) | instid1(VALU_DEP_2)
	v_sub_co_u32 v2, vcc_lo, s80, v2
	v_sub_co_ci_u32_e32 v3, vcc_lo, s55, v3, vcc_lo
	s_mov_b32 s4, 0
	s_mov_b32 s5, exec_lo
                                        ; implicit-def: $vgpr51
	s_delay_alu instid0(VALU_DEP_1)
	v_cmpx_gt_i64_e64 v[2:3], v[0:1]
	s_cbranch_execz .LBB63_169
; %bb.157:                              ;   in Loop: Header=BB63_33 Depth=1
	v_dual_mov_b32 v4, v10 :: v_dual_mov_b32 v5, v11
	v_dual_mov_b32 v7, v1 :: v_dual_mov_b32 v6, v0
	s_mov_b32 s19, 0
                                        ; implicit-def: $sgpr20
	s_branch .LBB63_159
.LBB63_158:                             ;   in Loop: Header=BB63_159 Depth=2
	s_or_b32 exec_lo, exec_lo, s4
	s_waitcnt vmcnt(0) lgkmcnt(0)
	s_barrier
	buffer_gl0_inv
	ds_load_b32 v8, v13 offset:3072
	v_add_co_u32 v6, vcc_lo, v6, s33
	v_add_co_ci_u32_e32 v7, vcc_lo, 0, v7, vcc_lo
	s_waitcnt lgkmcnt(0)
	s_barrier
	buffer_gl0_inv
	v_cmp_ge_i64_e32 vcc_lo, v[6:7], v[2:3]
	v_cmp_neq_f16_e64 s4, 0, v8
	s_delay_alu instid0(VALU_DEP_1)
	s_or_b32 s21, s4, vcc_lo
	v_add_co_u32 v4, vcc_lo, v4, s50
	s_and_b32 s21, exec_lo, s21
	v_add_co_ci_u32_e32 v5, vcc_lo, s51, v5, vcc_lo
	s_or_b32 s19, s21, s19
	s_and_not1_b32 s20, s20, exec_lo
	s_and_b32 s4, s4, exec_lo
	s_delay_alu instid0(SALU_CYCLE_1)
	s_or_b32 s20, s20, s4
	s_and_not1_b32 exec_lo, exec_lo, s19
	s_cbranch_execz .LBB63_168
.LBB63_159:                             ;   Parent Loop BB63_33 Depth=1
                                        ; =>  This Inner Loop Header: Depth=2
	s_delay_alu instid0(VALU_DEP_1)
	v_cmp_gt_i64_e32 vcc_lo, s[24:25], v[6:7]
	v_mov_b32_e32 v8, 0
	s_and_saveexec_b32 s4, vcc_lo
	s_cbranch_execz .LBB63_161
; %bb.160:                              ;   in Loop: Header=BB63_159 Depth=2
	global_load_u16 v8, v[4:5], off
.LBB63_161:                             ;   in Loop: Header=BB63_159 Depth=2
	s_or_b32 exec_lo, exec_lo, s4
	s_and_saveexec_b32 s4, vcc_lo
	s_cbranch_execz .LBB63_158
; %bb.162:                              ;   in Loop: Header=BB63_159 Depth=2
	s_waitcnt vmcnt(0)
	v_cmp_lt_i16_e32 vcc_lo, -1, v8
	v_dual_cndmask_b32 v12, 0xffff, v49 :: v_dual_and_b32 v9, 0xffff, v8
	v_cmp_o_f16_e32 vcc_lo, v8, v8
	s_delay_alu instid0(VALU_DEP_2) | instskip(NEXT) | instid1(VALU_DEP_1)
	v_xor_b32_e32 v9, v12, v9
	v_cndmask_b32_e32 v9, 0xffff, v9, vcc_lo
	s_delay_alu instid0(VALU_DEP_1) | instskip(NEXT) | instid1(VALU_DEP_1)
	v_and_b32_e32 v9, s97, v9
	v_cmp_eq_u32_e32 vcc_lo, s98, v9
	s_and_b32 exec_lo, exec_lo, vcc_lo
	s_cbranch_execz .LBB63_158
; %bb.163:                              ;   in Loop: Header=BB63_159 Depth=2
	v_perm_b32 v8, v8, s87, 0x5040100
	ds_store_b32 v13, v8 offset:3072
	s_branch .LBB63_158
.LBB63_164:                             ;   in Loop: Header=BB63_33 Depth=1
                                        ; implicit-def: $sgpr20
                                        ; implicit-def: $sgpr21
                                        ; implicit-def: $sgpr19
	s_branch .LBB63_183
.LBB63_165:                             ;   in Loop: Header=BB63_33 Depth=1
                                        ; implicit-def: $vgpr2_vgpr3
	s_branch .LBB63_110
.LBB63_166:                             ;   in Loop: Header=BB63_33 Depth=1
                                        ; implicit-def: $vgpr2_vgpr3
	s_branch .LBB63_125
.LBB63_167:                             ;   in Loop: Header=BB63_33 Depth=1
	s_mov_b32 s20, -1
	s_mov_b32 s4, 0
                                        ; implicit-def: $sgpr19
                                        ; implicit-def: $vgpr51
	s_mov_b32 s21, s20
	s_cbranch_execnz .LBB63_170
	s_branch .LBB63_183
.LBB63_168:                             ;   in Loop: Header=BB63_33 Depth=1
	s_or_b32 exec_lo, exec_lo, s19
	v_lshrrev_b32_e32 v51, 16, v8
	s_and_b32 s4, s20, exec_lo
.LBB63_169:                             ;   in Loop: Header=BB63_33 Depth=1
	s_or_b32 exec_lo, exec_lo, s5
	s_mov_b32 s19, -1
	s_mov_b32 s20, 0
	s_delay_alu instid0(SALU_CYCLE_1)
	s_mov_b32 s21, s20
	s_branch .LBB63_183
.LBB63_170:                             ;   in Loop: Header=BB63_33 Depth=1
	s_add_u32 s19, s78, s12
	s_addc_u32 s5, s79, s13
	s_mov_b32 s4, s49
	s_delay_alu instid0(SALU_CYCLE_1)
	s_cmp_lg_u64 s[4:5], 0
	s_cbranch_scc0 .LBB63_213
; %bb.171:                              ;   in Loop: Header=BB63_33 Depth=1
	v_cvt_f32_u32_e32 v2, s33
	s_sub_u32 s21, 0, s33
	s_subb_u32 s23, 0, 0
	s_delay_alu instid0(VALU_DEP_1) | instskip(NEXT) | instid1(VALU_DEP_1)
	v_fmac_f32_e32 v2, 0x4f800000, v50
	v_rcp_f32_e32 v2, v2
	s_waitcnt_depctr 0xfff
	v_mul_f32_e32 v2, 0x5f7ffffc, v2
	s_delay_alu instid0(VALU_DEP_1) | instskip(NEXT) | instid1(VALU_DEP_1)
	v_mul_f32_e32 v3, 0x2f800000, v2
	v_trunc_f32_e32 v3, v3
	s_delay_alu instid0(VALU_DEP_1) | instskip(SKIP_1) | instid1(VALU_DEP_2)
	v_fmac_f32_e32 v2, 0xcf800000, v3
	v_cvt_u32_f32_e32 v3, v3
	v_cvt_u32_f32_e32 v2, v2
	s_delay_alu instid0(VALU_DEP_2) | instskip(NEXT) | instid1(VALU_DEP_2)
	v_readfirstlane_b32 s4, v3
	v_readfirstlane_b32 s20, v2
	s_delay_alu instid0(VALU_DEP_2) | instskip(NEXT) | instid1(VALU_DEP_1)
	s_mul_i32 s48, s21, s4
	s_mul_hi_u32 s64, s21, s20
	s_mul_i32 s54, s23, s20
	s_add_i32 s48, s64, s48
	s_mul_i32 s65, s21, s20
	s_add_i32 s48, s48, s54
	s_mul_hi_u32 s64, s20, s65
	s_mul_hi_u32 s66, s4, s65
	s_mul_i32 s54, s4, s65
	s_mul_hi_u32 s65, s20, s48
	s_mul_i32 s20, s20, s48
	s_mul_hi_u32 s67, s4, s48
	s_add_u32 s20, s64, s20
	s_addc_u32 s64, 0, s65
	s_add_u32 s20, s20, s54
	s_mul_i32 s48, s4, s48
	s_addc_u32 s20, s64, s66
	s_addc_u32 s54, s67, 0
	s_add_u32 s20, s20, s48
	s_addc_u32 s48, 0, s54
	v_add_co_u32 v2, s20, v2, s20
	s_delay_alu instid0(VALU_DEP_1) | instskip(SKIP_1) | instid1(VALU_DEP_1)
	s_cmp_lg_u32 s20, 0
	s_addc_u32 s4, s4, s48
	v_readfirstlane_b32 s20, v2
	s_mul_i32 s48, s21, s4
	s_delay_alu instid0(VALU_DEP_1)
	s_mul_hi_u32 s54, s21, s20
	s_mul_i32 s23, s23, s20
	s_add_i32 s48, s54, s48
	s_mul_i32 s21, s21, s20
	s_add_i32 s48, s48, s23
	s_mul_hi_u32 s54, s4, s21
	s_mul_i32 s64, s4, s21
	s_mul_hi_u32 s21, s20, s21
	s_mul_hi_u32 s65, s20, s48
	s_mul_i32 s20, s20, s48
	s_mul_hi_u32 s23, s4, s48
	s_add_u32 s20, s21, s20
	s_addc_u32 s21, 0, s65
	s_add_u32 s20, s20, s64
	s_mul_i32 s48, s4, s48
	s_addc_u32 s20, s21, s54
	s_addc_u32 s21, s23, 0
	s_add_u32 s20, s20, s48
	s_addc_u32 s21, 0, s21
	v_add_co_u32 v2, s20, v2, s20
	s_delay_alu instid0(VALU_DEP_1) | instskip(SKIP_2) | instid1(VALU_DEP_1)
	s_cmp_lg_u32 s20, 0
	s_addc_u32 s4, s4, s21
	s_ashr_i32 s20, s5, 31
	v_readfirstlane_b32 s23, v2
	s_add_u32 s64, s19, s20
	s_mov_b32 s21, s20
	s_addc_u32 s65, s5, s20
	s_delay_alu instid0(SALU_CYCLE_1) | instskip(NEXT) | instid1(SALU_CYCLE_1)
	s_xor_b64 s[64:65], s[64:65], s[20:21]
	s_mul_i32 s48, s64, s4
	s_mul_hi_u32 s54, s64, s23
	s_mul_hi_u32 s21, s64, s4
	s_mul_hi_u32 s67, s65, s23
	s_mul_i32 s23, s65, s23
	s_add_u32 s48, s54, s48
	s_addc_u32 s21, 0, s21
	s_mul_hi_u32 s66, s65, s4
	s_add_u32 s23, s48, s23
	s_mul_i32 s4, s65, s4
	s_addc_u32 s21, s21, s67
	s_addc_u32 s23, s66, 0
	s_add_u32 s4, s21, s4
	s_addc_u32 s21, 0, s23
	s_mul_hi_u32 s23, s33, s4
	s_mul_i32 s4, s33, s4
	s_mul_i32 s21, s33, s21
	v_sub_co_u32 v2, s4, s64, s4
	s_add_i32 s23, s23, s21
	s_cmp_lg_u32 s4, 0
	s_delay_alu instid0(VALU_DEP_1) | instskip(SKIP_2) | instid1(VALU_DEP_1)
	v_sub_co_u32 v3, s4, v2, s33
	s_subb_u32 s21, s65, s23
	s_cmp_lg_u32 s4, 0
	v_cmp_le_u32_e32 vcc_lo, s33, v3
	v_sub_co_u32 v4, s4, v3, s33
	s_subb_u32 s23, s21, 0
	s_cmp_lg_u32 s4, 0
	v_cndmask_b32_e64 v5, 0, -1, vcc_lo
	s_subb_u32 s4, s23, 0
	s_cmp_eq_u32 s23, 0
	v_mov_b32_e32 v7, s4
	s_cselect_b32 vcc_lo, -1, 0
	s_cmp_eq_u32 s21, 0
	v_cndmask_b32_e32 v5, -1, v5, vcc_lo
	v_cmp_le_u32_e32 vcc_lo, s33, v2
	s_cselect_b32 s4, -1, 0
	v_cndmask_b32_e64 v6, 0, -1, vcc_lo
	s_delay_alu instid0(VALU_DEP_3) | instskip(NEXT) | instid1(VALU_DEP_2)
	v_cmp_ne_u32_e32 vcc_lo, 0, v5
	v_cndmask_b32_e64 v5, -1, v6, s4
	v_cndmask_b32_e32 v3, v3, v4, vcc_lo
	v_cndmask_b32_e32 v6, s23, v7, vcc_lo
	s_delay_alu instid0(VALU_DEP_3) | instskip(NEXT) | instid1(VALU_DEP_3)
	v_cmp_ne_u32_e32 vcc_lo, 0, v5
	v_cndmask_b32_e32 v2, v2, v3, vcc_lo
	s_delay_alu instid0(VALU_DEP_3) | instskip(NEXT) | instid1(VALU_DEP_2)
	v_cndmask_b32_e32 v4, s21, v6, vcc_lo
	v_xor_b32_e32 v2, s20, v2
	s_delay_alu instid0(VALU_DEP_2) | instskip(NEXT) | instid1(VALU_DEP_2)
	v_xor_b32_e32 v3, s20, v4
	v_sub_co_u32 v2, vcc_lo, v2, s20
	s_delay_alu instid0(VALU_DEP_2)
	v_subrev_co_ci_u32_e32 v3, vcc_lo, s20, v3, vcc_lo
	s_cbranch_execnz .LBB63_173
.LBB63_172:                             ;   in Loop: Header=BB63_33 Depth=1
	v_cvt_f32_u32_e32 v2, s33
	s_sub_i32 s4, 0, s33
	s_delay_alu instid0(VALU_DEP_1) | instskip(SKIP_2) | instid1(VALU_DEP_1)
	v_rcp_iflag_f32_e32 v2, v2
	s_waitcnt_depctr 0xfff
	v_mul_f32_e32 v2, 0x4f7ffffe, v2
	v_cvt_u32_f32_e32 v2, v2
	s_delay_alu instid0(VALU_DEP_1) | instskip(NEXT) | instid1(VALU_DEP_1)
	v_mul_lo_u32 v3, s4, v2
	v_mul_hi_u32 v3, v2, v3
	s_delay_alu instid0(VALU_DEP_1) | instskip(NEXT) | instid1(VALU_DEP_1)
	v_add_nc_u32_e32 v2, v2, v3
	v_mul_hi_u32 v2, s19, v2
	s_delay_alu instid0(VALU_DEP_1) | instskip(NEXT) | instid1(VALU_DEP_1)
	v_mul_lo_u32 v2, v2, s33
	v_sub_nc_u32_e32 v2, s19, v2
	s_delay_alu instid0(VALU_DEP_1) | instskip(SKIP_1) | instid1(VALU_DEP_2)
	v_subrev_nc_u32_e32 v3, s33, v2
	v_cmp_le_u32_e32 vcc_lo, s33, v2
	v_cndmask_b32_e32 v2, v2, v3, vcc_lo
	s_delay_alu instid0(VALU_DEP_1) | instskip(SKIP_1) | instid1(VALU_DEP_2)
	v_subrev_nc_u32_e32 v3, s33, v2
	v_cmp_le_u32_e32 vcc_lo, s33, v2
	v_cndmask_b32_e32 v12, v2, v3, vcc_lo
	s_delay_alu instid0(VALU_DEP_1)
	v_dual_mov_b32 v2, v12 :: v_dual_mov_b32 v3, v13
.LBB63_173:                             ;   in Loop: Header=BB63_33 Depth=1
	s_delay_alu instid0(VALU_DEP_1) | instskip(NEXT) | instid1(VALU_DEP_2)
	v_sub_co_u32 v2, vcc_lo, s19, v2
	v_sub_co_ci_u32_e32 v3, vcc_lo, s5, v3, vcc_lo
	s_mov_b32 s4, 0
	s_mov_b32 s5, exec_lo
                                        ; implicit-def: $vgpr51
	s_delay_alu instid0(VALU_DEP_1)
	v_cmpx_gt_i64_e64 v[2:3], v[0:1]
	s_cbranch_execz .LBB63_182
; %bb.174:                              ;   in Loop: Header=BB63_33 Depth=1
	v_mov_b32_e32 v6, v41
	v_dual_mov_b32 v5, v1 :: v_dual_mov_b32 v4, v0
	s_mov_b32 s19, 0
                                        ; implicit-def: $sgpr20
	s_set_inst_prefetch_distance 0x1
	s_branch .LBB63_176
	.p2align	6
.LBB63_175:                             ;   in Loop: Header=BB63_176 Depth=2
	s_or_b32 exec_lo, exec_lo, s4
	s_waitcnt lgkmcnt(0)
	s_barrier
	buffer_gl0_inv
	ds_load_b32 v7, v13 offset:3072
	v_add_co_u32 v4, vcc_lo, v4, s33
	v_add_co_ci_u32_e32 v5, vcc_lo, 0, v5, vcc_lo
	v_add_nc_u32_e32 v6, s86, v6
	s_waitcnt lgkmcnt(0)
	s_barrier
	s_delay_alu instid0(VALU_DEP_2) | instskip(SKIP_2) | instid1(VALU_DEP_1)
	v_cmp_ge_i64_e32 vcc_lo, v[4:5], v[2:3]
	buffer_gl0_inv
	v_cmp_neq_f16_e64 s4, 0, v7
	s_or_b32 s21, s4, vcc_lo
	s_delay_alu instid0(SALU_CYCLE_1) | instskip(NEXT) | instid1(SALU_CYCLE_1)
	s_and_b32 s21, exec_lo, s21
	s_or_b32 s19, s21, s19
	s_and_not1_b32 s20, s20, exec_lo
	s_and_b32 s4, s4, exec_lo
	s_delay_alu instid0(SALU_CYCLE_1)
	s_or_b32 s20, s20, s4
	s_and_not1_b32 exec_lo, exec_lo, s19
	s_cbranch_execz .LBB63_181
.LBB63_176:                             ;   Parent Loop BB63_33 Depth=1
                                        ; =>  This Inner Loop Header: Depth=2
	s_delay_alu instid0(VALU_DEP_1)
	v_cmp_gt_i64_e32 vcc_lo, s[12:13], v[4:5]
	v_mov_b32_e32 v7, 0
	s_and_saveexec_b32 s4, vcc_lo
	s_cbranch_execz .LBB63_178
; %bb.177:                              ;   in Loop: Header=BB63_176 Depth=2
	ds_load_u16 v7, v6
.LBB63_178:                             ;   in Loop: Header=BB63_176 Depth=2
	s_or_b32 exec_lo, exec_lo, s4
	s_and_saveexec_b32 s4, vcc_lo
	s_cbranch_execz .LBB63_175
; %bb.179:                              ;   in Loop: Header=BB63_176 Depth=2
	s_waitcnt lgkmcnt(0)
	v_cmp_lt_i16_e32 vcc_lo, -1, v7
	v_dual_cndmask_b32 v9, 0xffff, v49 :: v_dual_and_b32 v8, 0xffff, v7
	v_cmp_o_f16_e32 vcc_lo, v7, v7
	s_delay_alu instid0(VALU_DEP_2) | instskip(NEXT) | instid1(VALU_DEP_1)
	v_xor_b32_e32 v8, v9, v8
	v_cndmask_b32_e32 v8, 0xffff, v8, vcc_lo
	s_delay_alu instid0(VALU_DEP_1) | instskip(NEXT) | instid1(VALU_DEP_1)
	v_and_b32_e32 v8, s97, v8
	v_cmp_eq_u32_e32 vcc_lo, s98, v8
	s_and_b32 exec_lo, exec_lo, vcc_lo
	s_cbranch_execz .LBB63_175
; %bb.180:                              ;   in Loop: Header=BB63_176 Depth=2
	v_perm_b32 v7, v7, s87, 0x5040100
	ds_store_b32 v13, v7 offset:3072
	s_branch .LBB63_175
.LBB63_181:                             ;   in Loop: Header=BB63_33 Depth=1
	s_set_inst_prefetch_distance 0x2
	s_or_b32 exec_lo, exec_lo, s19
	v_lshrrev_b32_e32 v51, 16, v7
	s_and_b32 s4, s20, exec_lo
.LBB63_182:                             ;   in Loop: Header=BB63_33 Depth=1
	s_or_b32 exec_lo, exec_lo, s5
	s_mov_b32 s21, -1
	s_mov_b32 s20, 0
	s_mov_b32 s19, 0
.LBB63_183:                             ;   in Loop: Header=BB63_33 Depth=1
	s_mov_b32 s5, 0
                                        ; implicit-def: $sgpr54
	s_and_saveexec_b32 s12, s4
	s_cbranch_execz .LBB63_294
; %bb.184:                              ;   in Loop: Header=BB63_33 Depth=1
	s_xor_b32 s4, s22, -1
	s_mov_b32 s54, 1
	s_and_not1_b32 vcc_lo, exec_lo, s4
	s_cbranch_vccnz .LBB63_195
; %bb.185:                              ;   in Loop: Header=BB63_33 Depth=1
	v_cmp_gt_i64_e64 s4, s[26:27], s[10:11]
                                        ; implicit-def: $sgpr54
                                        ; implicit-def: $sgpr5
                                        ; implicit-def: $sgpr13
	s_delay_alu instid0(VALU_DEP_1)
	s_and_b32 vcc_lo, exec_lo, s4
	s_mov_b32 s4, -1
	s_cbranch_vccnz .LBB63_191
; %bb.186:                              ;   in Loop: Header=BB63_33 Depth=1
	ds_load_b64 v[2:3], v13 offset:5120
	s_waitcnt lgkmcnt(0)
	v_cmp_ne_u64_e32 vcc_lo, 0, v[2:3]
	s_cbranch_vccnz .LBB63_190
; %bb.187:                              ;   in Loop: Header=BB63_33 Depth=1
	s_and_saveexec_b32 s4, s0
	s_cbranch_execz .LBB63_189
; %bb.188:                              ;   in Loop: Header=BB63_33 Depth=1
	v_dual_mov_b32 v2, s10 :: v_dual_mov_b32 v3, s11
	ds_store_b64 v13, v[2:3] offset:5128
.LBB63_189:                             ;   in Loop: Header=BB63_33 Depth=1
	s_or_b32 exec_lo, exec_lo, s4
	s_waitcnt lgkmcnt(0)
	s_barrier
	buffer_gl0_inv
.LBB63_190:                             ;   in Loop: Header=BB63_33 Depth=1
	s_lshl_b32 s4, 1, s17
	s_and_b32 s5, s98, s18
	s_or_b32 s13, s97, s16
	s_or_b32 s5, s5, s4
	s_mov_b32 s4, 0
	s_mov_b32 s54, 8
.LBB63_191:                             ;   in Loop: Header=BB63_33 Depth=1
	s_and_not1_b32 vcc_lo, exec_lo, s4
	s_cbranch_vccnz .LBB63_193
; %bb.192:                              ;   in Loop: Header=BB63_33 Depth=1
	s_sub_u32 s26, s26, s10
	s_subb_u32 s27, s27, s11
	s_mov_b32 s4, -1
	s_mov_b32 s54, 0
	s_mov_b32 s5, s98
	;; [unrolled: 1-line block ×3, first 2 shown]
.LBB63_193:                             ;   in Loop: Header=BB63_33 Depth=1
	s_delay_alu instid0(SALU_CYCLE_1)
	s_mov_b32 s97, s13
	s_mov_b32 s98, s5
	s_and_not1_b32 vcc_lo, exec_lo, s4
	s_mov_b32 s5, -1
	s_cbranch_vccz .LBB63_196
.LBB63_194:                             ;   in Loop: Header=BB63_33 Depth=1
                                        ; implicit-def: $sgpr22
                                        ; implicit-def: $sgpr23
                                        ; implicit-def: $sgpr13
	s_branch .LBB63_293
.LBB63_195:                             ;   in Loop: Header=BB63_33 Depth=1
	s_mov_b64 s[26:27], 1
	s_mov_b32 s5, -1
	s_cbranch_execnz .LBB63_194
.LBB63_196:                             ;   in Loop: Header=BB63_33 Depth=1
	s_cmp_eq_u64 s[8:9], 1
	s_cselect_b32 s4, -1, 0
	s_cmp_eq_u64 s[26:27], 1
	s_cselect_b32 s5, -1, 0
	s_delay_alu instid0(SALU_CYCLE_1)
	s_and_b32 s48, s4, s5
	s_mov_b32 s4, -1
	s_and_b32 vcc_lo, exec_lo, s48
	s_cbranch_vccz .LBB63_211
; %bb.197:                              ;   in Loop: Header=BB63_33 Depth=1
	ds_load_b64 v[2:3], v13 offset:5120
	s_waitcnt lgkmcnt(0)
	s_barrier
	buffer_gl0_inv
	v_readfirstlane_b32 s10, v2
	v_readfirstlane_b32 s11, v3
	s_and_saveexec_b32 s4, s3
	s_cbranch_execz .LBB63_199
; %bb.198:                              ;   in Loop: Header=BB63_33 Depth=1
	ds_store_b16 v42, v13
.LBB63_199:                             ;   in Loop: Header=BB63_33 Depth=1
	s_or_b32 exec_lo, exec_lo, s4
	s_delay_alu instid0(VALU_DEP_1)
	v_cmp_gt_i64_e64 s13, s[10:11], 0
	s_lshl_b32 s4, 2, s17
	s_and_b32 s5, s98, s18
	s_or_b32 s97, s97, s16
	s_or_b32 s98, s5, s4
	s_waitcnt lgkmcnt(0)
	s_and_b32 vcc_lo, exec_lo, s13
	s_barrier
	buffer_gl0_inv
	s_cbranch_vccnz .LBB63_214
; %bb.200:                              ;   in Loop: Header=BB63_33 Depth=1
	s_mov_b32 s54, s49
	s_delay_alu instid0(SALU_CYCLE_1)
	s_cmp_lg_u64 s[54:55], 0
	s_cbranch_scc0 .LBB63_259
; %bb.201:                              ;   in Loop: Header=BB63_33 Depth=1
	v_cvt_f32_u32_e32 v2, s33
	s_sub_u32 s13, 0, s33
	s_subb_u32 s22, 0, 0
	s_delay_alu instid0(VALU_DEP_1) | instskip(NEXT) | instid1(VALU_DEP_1)
	v_fmac_f32_e32 v2, 0x4f800000, v50
	v_rcp_f32_e32 v2, v2
	s_waitcnt_depctr 0xfff
	v_mul_f32_e32 v2, 0x5f7ffffc, v2
	s_delay_alu instid0(VALU_DEP_1) | instskip(NEXT) | instid1(VALU_DEP_1)
	v_mul_f32_e32 v3, 0x2f800000, v2
	v_trunc_f32_e32 v3, v3
	s_delay_alu instid0(VALU_DEP_1) | instskip(SKIP_1) | instid1(VALU_DEP_2)
	v_fmac_f32_e32 v2, 0xcf800000, v3
	v_cvt_u32_f32_e32 v3, v3
	v_cvt_u32_f32_e32 v2, v2
	s_delay_alu instid0(VALU_DEP_2) | instskip(NEXT) | instid1(VALU_DEP_2)
	v_readfirstlane_b32 s4, v3
	v_readfirstlane_b32 s5, v2
	s_delay_alu instid0(VALU_DEP_2) | instskip(NEXT) | instid1(VALU_DEP_1)
	s_mul_i32 s23, s13, s4
	s_mul_hi_u32 s64, s13, s5
	s_mul_i32 s54, s22, s5
	s_add_i32 s23, s64, s23
	s_mul_i32 s65, s13, s5
	s_add_i32 s23, s23, s54
	s_mul_hi_u32 s64, s5, s65
	s_mul_hi_u32 s66, s4, s65
	s_mul_i32 s54, s4, s65
	s_mul_hi_u32 s65, s5, s23
	s_mul_i32 s5, s5, s23
	s_mul_hi_u32 s67, s4, s23
	s_add_u32 s5, s64, s5
	s_addc_u32 s64, 0, s65
	s_add_u32 s5, s5, s54
	s_mul_i32 s23, s4, s23
	s_addc_u32 s5, s64, s66
	s_addc_u32 s54, s67, 0
	s_add_u32 s5, s5, s23
	s_addc_u32 s23, 0, s54
	v_add_co_u32 v2, s5, v2, s5
	s_delay_alu instid0(VALU_DEP_1) | instskip(SKIP_1) | instid1(VALU_DEP_1)
	s_cmp_lg_u32 s5, 0
	s_addc_u32 s4, s4, s23
	v_readfirstlane_b32 s5, v2
	s_mul_i32 s23, s13, s4
	s_delay_alu instid0(VALU_DEP_1)
	s_mul_hi_u32 s54, s13, s5
	s_mul_i32 s22, s22, s5
	s_add_i32 s23, s54, s23
	s_mul_i32 s13, s13, s5
	s_add_i32 s23, s23, s22
	s_mul_hi_u32 s54, s4, s13
	s_mul_i32 s64, s4, s13
	s_mul_hi_u32 s13, s5, s13
	s_mul_hi_u32 s65, s5, s23
	s_mul_i32 s5, s5, s23
	s_mul_hi_u32 s22, s4, s23
	s_add_u32 s5, s13, s5
	s_addc_u32 s13, 0, s65
	s_add_u32 s5, s5, s64
	s_mul_i32 s23, s4, s23
	s_addc_u32 s5, s13, s54
	s_addc_u32 s13, s22, 0
	s_add_u32 s5, s5, s23
	s_addc_u32 s13, 0, s13
	v_add_co_u32 v2, s5, v2, s5
	s_delay_alu instid0(VALU_DEP_1) | instskip(SKIP_2) | instid1(VALU_DEP_1)
	s_cmp_lg_u32 s5, 0
	s_addc_u32 s13, s4, s13
	s_ashr_i32 s22, s55, 31
	v_readfirstlane_b32 s54, v2
	s_add_u32 s4, s80, s22
	s_mov_b32 s23, s22
	s_addc_u32 s5, s55, s22
	s_delay_alu instid0(SALU_CYCLE_1) | instskip(NEXT) | instid1(SALU_CYCLE_1)
	s_xor_b64 s[4:5], s[4:5], s[22:23]
	s_mul_i32 s64, s4, s13
	s_mul_hi_u32 s65, s4, s54
	s_mul_hi_u32 s23, s4, s13
	s_mul_hi_u32 s67, s5, s54
	s_mul_i32 s54, s5, s54
	s_add_u32 s64, s65, s64
	s_addc_u32 s23, 0, s23
	s_mul_hi_u32 s66, s5, s13
	s_add_u32 s54, s64, s54
	s_mul_i32 s13, s5, s13
	s_addc_u32 s23, s23, s67
	s_addc_u32 s54, s66, 0
	s_add_u32 s13, s23, s13
	s_addc_u32 s23, 0, s54
	s_mul_hi_u32 s54, s33, s13
	s_mul_i32 s13, s33, s13
	s_mul_i32 s23, s33, s23
	v_sub_co_u32 v2, s4, s4, s13
	s_add_i32 s54, s54, s23
	s_cmp_lg_u32 s4, 0
	s_delay_alu instid0(VALU_DEP_1) | instskip(SKIP_2) | instid1(VALU_DEP_1)
	v_sub_co_u32 v3, s4, v2, s33
	s_subb_u32 s5, s5, s54
	s_cmp_lg_u32 s4, 0
	v_cmp_le_u32_e32 vcc_lo, s33, v3
	v_sub_co_u32 v4, s4, v3, s33
	s_subb_u32 s13, s5, 0
	s_cmp_lg_u32 s4, 0
	v_cndmask_b32_e64 v5, 0, -1, vcc_lo
	s_subb_u32 s4, s13, 0
	s_cmp_eq_u32 s13, 0
	v_mov_b32_e32 v7, s4
	s_cselect_b32 vcc_lo, -1, 0
	s_cmp_eq_u32 s5, 0
	v_cndmask_b32_e32 v5, -1, v5, vcc_lo
	v_cmp_le_u32_e32 vcc_lo, s33, v2
	s_cselect_b32 s4, -1, 0
	v_cndmask_b32_e64 v6, 0, -1, vcc_lo
	s_delay_alu instid0(VALU_DEP_3) | instskip(NEXT) | instid1(VALU_DEP_2)
	v_cmp_ne_u32_e32 vcc_lo, 0, v5
	v_cndmask_b32_e64 v5, -1, v6, s4
	v_cndmask_b32_e32 v3, v3, v4, vcc_lo
	v_cndmask_b32_e32 v6, s13, v7, vcc_lo
	s_delay_alu instid0(VALU_DEP_3) | instskip(NEXT) | instid1(VALU_DEP_3)
	v_cmp_ne_u32_e32 vcc_lo, 0, v5
	v_cndmask_b32_e32 v2, v2, v3, vcc_lo
	s_delay_alu instid0(VALU_DEP_3) | instskip(NEXT) | instid1(VALU_DEP_2)
	v_cndmask_b32_e32 v4, s5, v6, vcc_lo
	v_xor_b32_e32 v2, s22, v2
	s_delay_alu instid0(VALU_DEP_2) | instskip(NEXT) | instid1(VALU_DEP_2)
	v_xor_b32_e32 v3, s22, v4
	v_sub_co_u32 v2, vcc_lo, v2, s22
	s_delay_alu instid0(VALU_DEP_2)
	v_subrev_co_ci_u32_e32 v3, vcc_lo, s22, v3, vcc_lo
	s_cbranch_execnz .LBB63_203
.LBB63_202:                             ;   in Loop: Header=BB63_33 Depth=1
	v_cvt_f32_u32_e32 v2, s33
	s_sub_i32 s4, 0, s33
	s_delay_alu instid0(VALU_DEP_1) | instskip(SKIP_2) | instid1(VALU_DEP_1)
	v_rcp_iflag_f32_e32 v2, v2
	s_waitcnt_depctr 0xfff
	v_mul_f32_e32 v2, 0x4f7ffffe, v2
	v_cvt_u32_f32_e32 v2, v2
	s_delay_alu instid0(VALU_DEP_1) | instskip(NEXT) | instid1(VALU_DEP_1)
	v_mul_lo_u32 v3, s4, v2
	v_mul_hi_u32 v3, v2, v3
	s_delay_alu instid0(VALU_DEP_1) | instskip(NEXT) | instid1(VALU_DEP_1)
	v_add_nc_u32_e32 v2, v2, v3
	v_mul_hi_u32 v2, s80, v2
	s_delay_alu instid0(VALU_DEP_1) | instskip(NEXT) | instid1(VALU_DEP_1)
	v_mul_lo_u32 v2, v2, s33
	v_sub_nc_u32_e32 v2, s80, v2
	s_delay_alu instid0(VALU_DEP_1) | instskip(SKIP_1) | instid1(VALU_DEP_2)
	v_subrev_nc_u32_e32 v3, s33, v2
	v_cmp_le_u32_e32 vcc_lo, s33, v2
	v_cndmask_b32_e32 v2, v2, v3, vcc_lo
	s_delay_alu instid0(VALU_DEP_1) | instskip(SKIP_1) | instid1(VALU_DEP_2)
	v_subrev_nc_u32_e32 v3, s33, v2
	v_cmp_le_u32_e32 vcc_lo, s33, v2
	v_cndmask_b32_e32 v12, v2, v3, vcc_lo
	s_delay_alu instid0(VALU_DEP_1)
	v_dual_mov_b32 v2, v12 :: v_dual_mov_b32 v3, v13
.LBB63_203:                             ;   in Loop: Header=BB63_33 Depth=1
	s_delay_alu instid0(VALU_DEP_1) | instskip(NEXT) | instid1(VALU_DEP_2)
	v_sub_co_u32 v2, vcc_lo, s80, v2
	v_sub_co_ci_u32_e32 v3, vcc_lo, s55, v3, vcc_lo
	s_mov_b32 s4, 0
	s_mov_b32 s5, exec_lo
                                        ; implicit-def: $vgpr51
	s_delay_alu instid0(VALU_DEP_1)
	v_cmpx_gt_i64_e64 v[2:3], v[0:1]
	s_cbranch_execz .LBB63_216
; %bb.204:                              ;   in Loop: Header=BB63_33 Depth=1
	v_dual_mov_b32 v4, v10 :: v_dual_mov_b32 v5, v11
	v_dual_mov_b32 v7, v1 :: v_dual_mov_b32 v6, v0
	s_mov_b32 s13, 0
                                        ; implicit-def: $sgpr22
	s_branch .LBB63_206
.LBB63_205:                             ;   in Loop: Header=BB63_206 Depth=2
	s_or_b32 exec_lo, exec_lo, s4
	s_waitcnt vmcnt(0) lgkmcnt(0)
	s_barrier
	buffer_gl0_inv
	ds_load_b32 v8, v13 offset:3072
	v_add_co_u32 v6, vcc_lo, v6, s33
	v_add_co_ci_u32_e32 v7, vcc_lo, 0, v7, vcc_lo
	s_waitcnt lgkmcnt(0)
	s_barrier
	buffer_gl0_inv
	v_cmp_ge_i64_e32 vcc_lo, v[6:7], v[2:3]
	v_cmp_neq_f16_e64 s4, 0, v8
	s_delay_alu instid0(VALU_DEP_1)
	s_or_b32 s23, s4, vcc_lo
	v_add_co_u32 v4, vcc_lo, v4, s50
	s_and_b32 s23, exec_lo, s23
	v_add_co_ci_u32_e32 v5, vcc_lo, s51, v5, vcc_lo
	s_or_b32 s13, s23, s13
	s_and_not1_b32 s22, s22, exec_lo
	s_and_b32 s4, s4, exec_lo
	s_delay_alu instid0(SALU_CYCLE_1)
	s_or_b32 s22, s22, s4
	s_and_not1_b32 exec_lo, exec_lo, s13
	s_cbranch_execz .LBB63_215
.LBB63_206:                             ;   Parent Loop BB63_33 Depth=1
                                        ; =>  This Inner Loop Header: Depth=2
	s_delay_alu instid0(VALU_DEP_1)
	v_cmp_gt_i64_e32 vcc_lo, s[24:25], v[6:7]
	v_mov_b32_e32 v8, 0
	s_and_saveexec_b32 s4, vcc_lo
	s_cbranch_execz .LBB63_208
; %bb.207:                              ;   in Loop: Header=BB63_206 Depth=2
	global_load_u16 v8, v[4:5], off
.LBB63_208:                             ;   in Loop: Header=BB63_206 Depth=2
	s_or_b32 exec_lo, exec_lo, s4
	s_and_saveexec_b32 s4, vcc_lo
	s_cbranch_execz .LBB63_205
; %bb.209:                              ;   in Loop: Header=BB63_206 Depth=2
	s_waitcnt vmcnt(0)
	v_cmp_lt_i16_e32 vcc_lo, -1, v8
	v_dual_cndmask_b32 v12, 0xffff, v49 :: v_dual_and_b32 v9, 0xffff, v8
	v_cmp_o_f16_e32 vcc_lo, v8, v8
	s_delay_alu instid0(VALU_DEP_2) | instskip(NEXT) | instid1(VALU_DEP_1)
	v_xor_b32_e32 v9, v12, v9
	v_cndmask_b32_e32 v9, 0xffff, v9, vcc_lo
	s_delay_alu instid0(VALU_DEP_1) | instskip(NEXT) | instid1(VALU_DEP_1)
	v_and_b32_e32 v9, s97, v9
	v_cmp_eq_u32_e32 vcc_lo, s98, v9
	s_and_b32 exec_lo, exec_lo, vcc_lo
	s_cbranch_execz .LBB63_205
; %bb.210:                              ;   in Loop: Header=BB63_206 Depth=2
	v_perm_b32 v8, v8, s87, 0x5040100
	ds_store_b32 v13, v8 offset:3072
	s_branch .LBB63_205
.LBB63_211:                             ;   in Loop: Header=BB63_33 Depth=1
                                        ; implicit-def: $sgpr13
                                        ; implicit-def: $sgpr23
                                        ; implicit-def: $sgpr22
	s_branch .LBB63_230
.LBB63_212:                             ;   in Loop: Header=BB63_33 Depth=1
                                        ; implicit-def: $vgpr2_vgpr3
	s_branch .LBB63_155
.LBB63_213:                             ;   in Loop: Header=BB63_33 Depth=1
                                        ; implicit-def: $vgpr2_vgpr3
	s_branch .LBB63_172
.LBB63_214:                             ;   in Loop: Header=BB63_33 Depth=1
	s_mov_b32 s13, -1
	s_mov_b32 s4, 0
                                        ; implicit-def: $sgpr22
                                        ; implicit-def: $vgpr51
	s_mov_b32 s23, s13
	s_cbranch_execnz .LBB63_217
	s_branch .LBB63_230
.LBB63_215:                             ;   in Loop: Header=BB63_33 Depth=1
	s_or_b32 exec_lo, exec_lo, s13
	v_lshrrev_b32_e32 v51, 16, v8
	s_and_b32 s4, s22, exec_lo
.LBB63_216:                             ;   in Loop: Header=BB63_33 Depth=1
	s_or_b32 exec_lo, exec_lo, s5
	s_mov_b32 s22, -1
	s_mov_b32 s13, 0
	s_delay_alu instid0(SALU_CYCLE_1)
	s_mov_b32 s23, s13
	s_branch .LBB63_230
.LBB63_217:                             ;   in Loop: Header=BB63_33 Depth=1
	s_add_u32 s13, s78, s10
	s_addc_u32 s5, s79, s11
	s_mov_b32 s4, s49
	s_delay_alu instid0(SALU_CYCLE_1)
	s_cmp_lg_u64 s[4:5], 0
	s_cbranch_scc0 .LBB63_260
; %bb.218:                              ;   in Loop: Header=BB63_33 Depth=1
	v_cvt_f32_u32_e32 v2, s33
	s_sub_u32 s23, 0, s33
	s_subb_u32 s54, 0, 0
	s_delay_alu instid0(VALU_DEP_1) | instskip(NEXT) | instid1(VALU_DEP_1)
	v_fmac_f32_e32 v2, 0x4f800000, v50
	v_rcp_f32_e32 v2, v2
	s_waitcnt_depctr 0xfff
	v_mul_f32_e32 v2, 0x5f7ffffc, v2
	s_delay_alu instid0(VALU_DEP_1) | instskip(NEXT) | instid1(VALU_DEP_1)
	v_mul_f32_e32 v3, 0x2f800000, v2
	v_trunc_f32_e32 v3, v3
	s_delay_alu instid0(VALU_DEP_1) | instskip(SKIP_1) | instid1(VALU_DEP_2)
	v_fmac_f32_e32 v2, 0xcf800000, v3
	v_cvt_u32_f32_e32 v3, v3
	v_cvt_u32_f32_e32 v2, v2
	s_delay_alu instid0(VALU_DEP_2) | instskip(NEXT) | instid1(VALU_DEP_2)
	v_readfirstlane_b32 s4, v3
	v_readfirstlane_b32 s22, v2
	s_delay_alu instid0(VALU_DEP_2) | instskip(NEXT) | instid1(VALU_DEP_1)
	s_mul_i32 s64, s23, s4
	s_mul_hi_u32 s66, s23, s22
	s_mul_i32 s65, s54, s22
	s_add_i32 s64, s66, s64
	s_mul_i32 s67, s23, s22
	s_add_i32 s64, s64, s65
	s_mul_hi_u32 s66, s22, s67
	s_mul_hi_u32 s68, s4, s67
	s_mul_i32 s65, s4, s67
	s_mul_hi_u32 s67, s22, s64
	s_mul_i32 s22, s22, s64
	s_mul_hi_u32 s69, s4, s64
	s_add_u32 s22, s66, s22
	s_addc_u32 s66, 0, s67
	s_add_u32 s22, s22, s65
	s_mul_i32 s64, s4, s64
	s_addc_u32 s22, s66, s68
	s_addc_u32 s65, s69, 0
	s_add_u32 s22, s22, s64
	s_addc_u32 s64, 0, s65
	v_add_co_u32 v2, s22, v2, s22
	s_delay_alu instid0(VALU_DEP_1) | instskip(SKIP_1) | instid1(VALU_DEP_1)
	s_cmp_lg_u32 s22, 0
	s_addc_u32 s4, s4, s64
	v_readfirstlane_b32 s22, v2
	s_mul_i32 s64, s23, s4
	s_delay_alu instid0(VALU_DEP_1)
	s_mul_hi_u32 s65, s23, s22
	s_mul_i32 s54, s54, s22
	s_add_i32 s64, s65, s64
	s_mul_i32 s23, s23, s22
	s_add_i32 s64, s64, s54
	s_mul_hi_u32 s65, s4, s23
	s_mul_i32 s66, s4, s23
	s_mul_hi_u32 s23, s22, s23
	s_mul_hi_u32 s67, s22, s64
	s_mul_i32 s22, s22, s64
	s_mul_hi_u32 s54, s4, s64
	s_add_u32 s22, s23, s22
	s_addc_u32 s23, 0, s67
	s_add_u32 s22, s22, s66
	s_mul_i32 s64, s4, s64
	s_addc_u32 s22, s23, s65
	s_addc_u32 s23, s54, 0
	s_add_u32 s22, s22, s64
	s_addc_u32 s23, 0, s23
	v_add_co_u32 v2, s22, v2, s22
	s_delay_alu instid0(VALU_DEP_1) | instskip(SKIP_2) | instid1(VALU_DEP_1)
	s_cmp_lg_u32 s22, 0
	s_addc_u32 s4, s4, s23
	s_ashr_i32 s22, s5, 31
	v_readfirstlane_b32 s54, v2
	s_add_u32 s64, s13, s22
	s_mov_b32 s23, s22
	s_addc_u32 s65, s5, s22
	s_delay_alu instid0(SALU_CYCLE_1) | instskip(NEXT) | instid1(SALU_CYCLE_1)
	s_xor_b64 s[64:65], s[64:65], s[22:23]
	s_mul_i32 s66, s64, s4
	s_mul_hi_u32 s67, s64, s54
	s_mul_hi_u32 s23, s64, s4
	;; [unrolled: 1-line block ×3, first 2 shown]
	s_mul_i32 s54, s65, s54
	s_add_u32 s66, s67, s66
	s_addc_u32 s23, 0, s23
	s_mul_hi_u32 s68, s65, s4
	s_add_u32 s54, s66, s54
	s_mul_i32 s4, s65, s4
	s_addc_u32 s23, s23, s69
	s_addc_u32 s54, s68, 0
	s_add_u32 s4, s23, s4
	s_addc_u32 s23, 0, s54
	s_mul_hi_u32 s54, s33, s4
	s_mul_i32 s4, s33, s4
	s_mul_i32 s23, s33, s23
	v_sub_co_u32 v2, s4, s64, s4
	s_add_i32 s54, s54, s23
	s_cmp_lg_u32 s4, 0
	s_delay_alu instid0(VALU_DEP_1) | instskip(SKIP_2) | instid1(VALU_DEP_1)
	v_sub_co_u32 v3, s4, v2, s33
	s_subb_u32 s23, s65, s54
	s_cmp_lg_u32 s4, 0
	v_cmp_le_u32_e32 vcc_lo, s33, v3
	v_sub_co_u32 v4, s4, v3, s33
	s_subb_u32 s54, s23, 0
	s_cmp_lg_u32 s4, 0
	v_cndmask_b32_e64 v5, 0, -1, vcc_lo
	s_subb_u32 s4, s54, 0
	s_cmp_eq_u32 s54, 0
	v_mov_b32_e32 v7, s4
	s_cselect_b32 vcc_lo, -1, 0
	s_cmp_eq_u32 s23, 0
	v_cndmask_b32_e32 v5, -1, v5, vcc_lo
	v_cmp_le_u32_e32 vcc_lo, s33, v2
	s_cselect_b32 s4, -1, 0
	v_cndmask_b32_e64 v6, 0, -1, vcc_lo
	s_delay_alu instid0(VALU_DEP_3) | instskip(NEXT) | instid1(VALU_DEP_2)
	v_cmp_ne_u32_e32 vcc_lo, 0, v5
	v_cndmask_b32_e64 v5, -1, v6, s4
	v_cndmask_b32_e32 v3, v3, v4, vcc_lo
	v_cndmask_b32_e32 v6, s54, v7, vcc_lo
	s_delay_alu instid0(VALU_DEP_3) | instskip(NEXT) | instid1(VALU_DEP_3)
	v_cmp_ne_u32_e32 vcc_lo, 0, v5
	v_cndmask_b32_e32 v2, v2, v3, vcc_lo
	s_delay_alu instid0(VALU_DEP_3) | instskip(NEXT) | instid1(VALU_DEP_2)
	v_cndmask_b32_e32 v4, s23, v6, vcc_lo
	v_xor_b32_e32 v2, s22, v2
	s_delay_alu instid0(VALU_DEP_2) | instskip(NEXT) | instid1(VALU_DEP_2)
	v_xor_b32_e32 v3, s22, v4
	v_sub_co_u32 v2, vcc_lo, v2, s22
	s_delay_alu instid0(VALU_DEP_2)
	v_subrev_co_ci_u32_e32 v3, vcc_lo, s22, v3, vcc_lo
	s_cbranch_execnz .LBB63_220
.LBB63_219:                             ;   in Loop: Header=BB63_33 Depth=1
	v_cvt_f32_u32_e32 v2, s33
	s_sub_i32 s4, 0, s33
	s_delay_alu instid0(VALU_DEP_1) | instskip(SKIP_2) | instid1(VALU_DEP_1)
	v_rcp_iflag_f32_e32 v2, v2
	s_waitcnt_depctr 0xfff
	v_mul_f32_e32 v2, 0x4f7ffffe, v2
	v_cvt_u32_f32_e32 v2, v2
	s_delay_alu instid0(VALU_DEP_1) | instskip(NEXT) | instid1(VALU_DEP_1)
	v_mul_lo_u32 v3, s4, v2
	v_mul_hi_u32 v3, v2, v3
	s_delay_alu instid0(VALU_DEP_1) | instskip(NEXT) | instid1(VALU_DEP_1)
	v_add_nc_u32_e32 v2, v2, v3
	v_mul_hi_u32 v2, s13, v2
	s_delay_alu instid0(VALU_DEP_1) | instskip(NEXT) | instid1(VALU_DEP_1)
	v_mul_lo_u32 v2, v2, s33
	v_sub_nc_u32_e32 v2, s13, v2
	s_delay_alu instid0(VALU_DEP_1) | instskip(SKIP_1) | instid1(VALU_DEP_2)
	v_subrev_nc_u32_e32 v3, s33, v2
	v_cmp_le_u32_e32 vcc_lo, s33, v2
	v_cndmask_b32_e32 v2, v2, v3, vcc_lo
	s_delay_alu instid0(VALU_DEP_1) | instskip(SKIP_1) | instid1(VALU_DEP_2)
	v_subrev_nc_u32_e32 v3, s33, v2
	v_cmp_le_u32_e32 vcc_lo, s33, v2
	v_cndmask_b32_e32 v12, v2, v3, vcc_lo
	s_delay_alu instid0(VALU_DEP_1)
	v_dual_mov_b32 v2, v12 :: v_dual_mov_b32 v3, v13
.LBB63_220:                             ;   in Loop: Header=BB63_33 Depth=1
	s_delay_alu instid0(VALU_DEP_1) | instskip(NEXT) | instid1(VALU_DEP_2)
	v_sub_co_u32 v2, vcc_lo, s13, v2
	v_sub_co_ci_u32_e32 v3, vcc_lo, s5, v3, vcc_lo
	s_mov_b32 s4, 0
	s_mov_b32 s5, exec_lo
                                        ; implicit-def: $vgpr51
	s_delay_alu instid0(VALU_DEP_1)
	v_cmpx_gt_i64_e64 v[2:3], v[0:1]
	s_cbranch_execz .LBB63_229
; %bb.221:                              ;   in Loop: Header=BB63_33 Depth=1
	v_mov_b32_e32 v6, v41
	v_dual_mov_b32 v5, v1 :: v_dual_mov_b32 v4, v0
	s_mov_b32 s13, 0
                                        ; implicit-def: $sgpr22
	s_set_inst_prefetch_distance 0x1
	s_branch .LBB63_223
	.p2align	6
.LBB63_222:                             ;   in Loop: Header=BB63_223 Depth=2
	s_or_b32 exec_lo, exec_lo, s4
	s_waitcnt lgkmcnt(0)
	s_barrier
	buffer_gl0_inv
	ds_load_b32 v7, v13 offset:3072
	v_add_co_u32 v4, vcc_lo, v4, s33
	v_add_co_ci_u32_e32 v5, vcc_lo, 0, v5, vcc_lo
	v_add_nc_u32_e32 v6, s86, v6
	s_waitcnt lgkmcnt(0)
	s_barrier
	s_delay_alu instid0(VALU_DEP_2) | instskip(SKIP_2) | instid1(VALU_DEP_1)
	v_cmp_ge_i64_e32 vcc_lo, v[4:5], v[2:3]
	buffer_gl0_inv
	v_cmp_neq_f16_e64 s4, 0, v7
	s_or_b32 s23, s4, vcc_lo
	s_delay_alu instid0(SALU_CYCLE_1) | instskip(NEXT) | instid1(SALU_CYCLE_1)
	s_and_b32 s23, exec_lo, s23
	s_or_b32 s13, s23, s13
	s_and_not1_b32 s22, s22, exec_lo
	s_and_b32 s4, s4, exec_lo
	s_delay_alu instid0(SALU_CYCLE_1)
	s_or_b32 s22, s22, s4
	s_and_not1_b32 exec_lo, exec_lo, s13
	s_cbranch_execz .LBB63_228
.LBB63_223:                             ;   Parent Loop BB63_33 Depth=1
                                        ; =>  This Inner Loop Header: Depth=2
	s_delay_alu instid0(VALU_DEP_1)
	v_cmp_gt_i64_e32 vcc_lo, s[10:11], v[4:5]
	v_mov_b32_e32 v7, 0
	s_and_saveexec_b32 s4, vcc_lo
	s_cbranch_execz .LBB63_225
; %bb.224:                              ;   in Loop: Header=BB63_223 Depth=2
	ds_load_u16 v7, v6
.LBB63_225:                             ;   in Loop: Header=BB63_223 Depth=2
	s_or_b32 exec_lo, exec_lo, s4
	s_and_saveexec_b32 s4, vcc_lo
	s_cbranch_execz .LBB63_222
; %bb.226:                              ;   in Loop: Header=BB63_223 Depth=2
	s_waitcnt lgkmcnt(0)
	v_cmp_lt_i16_e32 vcc_lo, -1, v7
	v_dual_cndmask_b32 v9, 0xffff, v49 :: v_dual_and_b32 v8, 0xffff, v7
	v_cmp_o_f16_e32 vcc_lo, v7, v7
	s_delay_alu instid0(VALU_DEP_2) | instskip(NEXT) | instid1(VALU_DEP_1)
	v_xor_b32_e32 v8, v9, v8
	v_cndmask_b32_e32 v8, 0xffff, v8, vcc_lo
	s_delay_alu instid0(VALU_DEP_1) | instskip(NEXT) | instid1(VALU_DEP_1)
	v_and_b32_e32 v8, s97, v8
	v_cmp_eq_u32_e32 vcc_lo, s98, v8
	s_and_b32 exec_lo, exec_lo, vcc_lo
	s_cbranch_execz .LBB63_222
; %bb.227:                              ;   in Loop: Header=BB63_223 Depth=2
	v_perm_b32 v7, v7, s87, 0x5040100
	ds_store_b32 v13, v7 offset:3072
	s_branch .LBB63_222
.LBB63_228:                             ;   in Loop: Header=BB63_33 Depth=1
	s_set_inst_prefetch_distance 0x2
	s_or_b32 exec_lo, exec_lo, s13
	v_lshrrev_b32_e32 v51, 16, v7
	s_and_b32 s4, s22, exec_lo
.LBB63_229:                             ;   in Loop: Header=BB63_33 Depth=1
	s_or_b32 exec_lo, exec_lo, s5
	s_mov_b32 s23, -1
	s_mov_b32 s13, 0
	s_mov_b32 s22, 0
.LBB63_230:                             ;   in Loop: Header=BB63_33 Depth=1
	s_mov_b32 s5, 0
                                        ; implicit-def: $sgpr54
	s_and_saveexec_b32 s10, s4
	s_cbranch_execz .LBB63_292
; %bb.231:                              ;   in Loop: Header=BB63_33 Depth=1
	s_xor_b32 s4, s48, -1
	s_mov_b32 s54, 1
	s_and_not1_b32 vcc_lo, exec_lo, s4
	s_cbranch_vccnz .LBB63_242
; %bb.232:                              ;   in Loop: Header=BB63_33 Depth=1
	v_cmp_gt_i64_e64 s4, s[26:27], s[8:9]
                                        ; implicit-def: $sgpr54
                                        ; implicit-def: $sgpr5
                                        ; implicit-def: $sgpr11
	s_delay_alu instid0(VALU_DEP_1)
	s_and_b32 vcc_lo, exec_lo, s4
	s_mov_b32 s4, -1
	s_cbranch_vccnz .LBB63_238
; %bb.233:                              ;   in Loop: Header=BB63_33 Depth=1
	ds_load_b64 v[2:3], v13 offset:5120
	s_waitcnt lgkmcnt(0)
	v_cmp_ne_u64_e32 vcc_lo, 0, v[2:3]
	s_cbranch_vccnz .LBB63_237
; %bb.234:                              ;   in Loop: Header=BB63_33 Depth=1
	s_and_saveexec_b32 s4, s0
	s_cbranch_execz .LBB63_236
; %bb.235:                              ;   in Loop: Header=BB63_33 Depth=1
	v_dual_mov_b32 v2, s8 :: v_dual_mov_b32 v3, s9
	ds_store_b64 v13, v[2:3] offset:5128
.LBB63_236:                             ;   in Loop: Header=BB63_33 Depth=1
	s_or_b32 exec_lo, exec_lo, s4
	s_waitcnt lgkmcnt(0)
	s_barrier
	buffer_gl0_inv
.LBB63_237:                             ;   in Loop: Header=BB63_33 Depth=1
	s_lshl_b32 s4, 2, s17
	s_and_b32 s5, s98, s18
	s_or_b32 s11, s97, s16
	s_or_b32 s5, s5, s4
	s_mov_b32 s4, 0
	s_mov_b32 s54, 8
.LBB63_238:                             ;   in Loop: Header=BB63_33 Depth=1
	s_and_not1_b32 vcc_lo, exec_lo, s4
	s_cbranch_vccnz .LBB63_240
; %bb.239:                              ;   in Loop: Header=BB63_33 Depth=1
	s_sub_u32 s26, s26, s8
	s_subb_u32 s27, s27, s9
	s_mov_b32 s4, -1
	s_mov_b32 s54, 0
	s_mov_b32 s5, s98
	;; [unrolled: 1-line block ×3, first 2 shown]
.LBB63_240:                             ;   in Loop: Header=BB63_33 Depth=1
	s_delay_alu instid0(SALU_CYCLE_1)
	s_mov_b32 s97, s11
	s_mov_b32 s98, s5
	s_and_not1_b32 vcc_lo, exec_lo, s4
	s_mov_b32 s9, -1
	s_cbranch_vccz .LBB63_243
.LBB63_241:                             ;   in Loop: Header=BB63_33 Depth=1
                                        ; implicit-def: $sgpr17
                                        ; implicit-def: $sgpr48
                                        ; implicit-def: $sgpr18
	s_branch .LBB63_291
.LBB63_242:                             ;   in Loop: Header=BB63_33 Depth=1
	s_mov_b64 s[26:27], 1
	s_mov_b32 s9, -1
	s_cbranch_execnz .LBB63_241
.LBB63_243:                             ;   in Loop: Header=BB63_33 Depth=1
	s_cmp_eq_u64 s[6:7], 1
	s_mov_b32 s64, -1
	s_cselect_b32 s4, -1, 0
	s_cmp_eq_u64 s[26:27], 1
	s_cselect_b32 s5, -1, 0
	s_delay_alu instid0(SALU_CYCLE_1) | instskip(NEXT) | instid1(SALU_CYCLE_1)
	s_and_b32 s11, s4, s5
	s_and_b32 vcc_lo, exec_lo, s11
	s_cbranch_vccz .LBB63_258
; %bb.244:                              ;   in Loop: Header=BB63_33 Depth=1
	ds_load_b64 v[2:3], v13 offset:5120
	s_waitcnt lgkmcnt(0)
	s_barrier
	buffer_gl0_inv
	v_readfirstlane_b32 s8, v2
	v_readfirstlane_b32 s9, v3
	s_and_saveexec_b32 s4, s3
	s_cbranch_execz .LBB63_246
; %bb.245:                              ;   in Loop: Header=BB63_33 Depth=1
	ds_store_b16 v42, v13
.LBB63_246:                             ;   in Loop: Header=BB63_33 Depth=1
	s_or_b32 exec_lo, exec_lo, s4
	s_delay_alu instid0(VALU_DEP_1)
	v_cmp_gt_i64_e64 s4, s[8:9], 0
	s_or_b32 s98, s98, s16
	s_or_b32 s97, s97, s16
	s_waitcnt lgkmcnt(0)
	s_barrier
	buffer_gl0_inv
	s_and_b32 vcc_lo, exec_lo, s4
	s_cbranch_vccnz .LBB63_261
; %bb.247:                              ;   in Loop: Header=BB63_33 Depth=1
	s_mov_b32 s54, s49
	s_delay_alu instid0(SALU_CYCLE_1)
	s_cmp_lg_u64 s[54:55], 0
	s_cbranch_scc0 .LBB63_297
; %bb.248:                              ;   in Loop: Header=BB63_33 Depth=1
	v_cvt_f32_u32_e32 v2, s33
	s_sub_u32 s17, 0, s33
	s_subb_u32 s18, 0, 0
	s_delay_alu instid0(VALU_DEP_1) | instskip(NEXT) | instid1(VALU_DEP_1)
	v_fmac_f32_e32 v2, 0x4f800000, v50
	v_rcp_f32_e32 v2, v2
	s_waitcnt_depctr 0xfff
	v_mul_f32_e32 v2, 0x5f7ffffc, v2
	s_delay_alu instid0(VALU_DEP_1) | instskip(NEXT) | instid1(VALU_DEP_1)
	v_mul_f32_e32 v3, 0x2f800000, v2
	v_trunc_f32_e32 v3, v3
	s_delay_alu instid0(VALU_DEP_1) | instskip(SKIP_1) | instid1(VALU_DEP_2)
	v_fmac_f32_e32 v2, 0xcf800000, v3
	v_cvt_u32_f32_e32 v3, v3
	v_cvt_u32_f32_e32 v2, v2
	s_delay_alu instid0(VALU_DEP_2) | instskip(NEXT) | instid1(VALU_DEP_2)
	v_readfirstlane_b32 s4, v3
	v_readfirstlane_b32 s5, v2
	s_delay_alu instid0(VALU_DEP_2) | instskip(NEXT) | instid1(VALU_DEP_1)
	s_mul_i32 s48, s17, s4
	s_mul_hi_u32 s64, s17, s5
	s_mul_i32 s54, s18, s5
	s_add_i32 s48, s64, s48
	s_mul_i32 s65, s17, s5
	s_add_i32 s48, s48, s54
	s_mul_hi_u32 s64, s5, s65
	s_mul_hi_u32 s66, s4, s65
	s_mul_i32 s54, s4, s65
	s_mul_hi_u32 s65, s5, s48
	s_mul_i32 s5, s5, s48
	s_mul_hi_u32 s67, s4, s48
	s_add_u32 s5, s64, s5
	s_addc_u32 s64, 0, s65
	s_add_u32 s5, s5, s54
	s_mul_i32 s48, s4, s48
	s_addc_u32 s5, s64, s66
	s_addc_u32 s54, s67, 0
	s_add_u32 s5, s5, s48
	s_addc_u32 s48, 0, s54
	v_add_co_u32 v2, s5, v2, s5
	s_delay_alu instid0(VALU_DEP_1) | instskip(SKIP_1) | instid1(VALU_DEP_1)
	s_cmp_lg_u32 s5, 0
	s_addc_u32 s4, s4, s48
	v_readfirstlane_b32 s5, v2
	s_mul_i32 s48, s17, s4
	s_delay_alu instid0(VALU_DEP_1)
	s_mul_hi_u32 s54, s17, s5
	s_mul_i32 s18, s18, s5
	s_add_i32 s48, s54, s48
	s_mul_i32 s17, s17, s5
	s_add_i32 s48, s48, s18
	s_mul_hi_u32 s54, s4, s17
	s_mul_i32 s64, s4, s17
	s_mul_hi_u32 s17, s5, s17
	s_mul_hi_u32 s65, s5, s48
	s_mul_i32 s5, s5, s48
	s_mul_hi_u32 s18, s4, s48
	s_add_u32 s5, s17, s5
	s_addc_u32 s17, 0, s65
	s_add_u32 s5, s5, s64
	s_mul_i32 s48, s4, s48
	s_addc_u32 s5, s17, s54
	s_addc_u32 s17, s18, 0
	s_add_u32 s5, s5, s48
	s_addc_u32 s17, 0, s17
	v_add_co_u32 v2, s5, v2, s5
	s_delay_alu instid0(VALU_DEP_1) | instskip(SKIP_2) | instid1(VALU_DEP_1)
	s_cmp_lg_u32 s5, 0
	s_addc_u32 s17, s4, s17
	s_ashr_i32 s64, s55, 31
	v_readfirstlane_b32 s18, v2
	s_add_u32 s4, s80, s64
	s_mov_b32 s65, s64
	s_addc_u32 s5, s55, s64
	s_delay_alu instid0(SALU_CYCLE_1) | instskip(NEXT) | instid1(SALU_CYCLE_1)
	s_xor_b64 s[4:5], s[4:5], s[64:65]
	s_mul_i32 s54, s4, s17
	s_mul_hi_u32 s65, s4, s18
	s_mul_hi_u32 s48, s4, s17
	;; [unrolled: 1-line block ×3, first 2 shown]
	s_mul_i32 s18, s5, s18
	s_add_u32 s54, s65, s54
	s_addc_u32 s48, 0, s48
	s_mul_hi_u32 s66, s5, s17
	s_add_u32 s18, s54, s18
	s_mul_i32 s17, s5, s17
	s_addc_u32 s18, s48, s67
	s_addc_u32 s48, s66, 0
	s_add_u32 s17, s18, s17
	s_addc_u32 s18, 0, s48
	s_mul_hi_u32 s48, s33, s17
	s_mul_i32 s17, s33, s17
	s_mul_i32 s18, s33, s18
	v_sub_co_u32 v2, s4, s4, s17
	s_add_i32 s48, s48, s18
	s_cmp_lg_u32 s4, 0
	s_delay_alu instid0(VALU_DEP_1) | instskip(SKIP_2) | instid1(VALU_DEP_1)
	v_sub_co_u32 v3, s4, v2, s33
	s_subb_u32 s5, s5, s48
	s_cmp_lg_u32 s4, 0
	v_cmp_le_u32_e32 vcc_lo, s33, v3
	v_sub_co_u32 v4, s4, v3, s33
	s_subb_u32 s17, s5, 0
	s_cmp_lg_u32 s4, 0
	v_cndmask_b32_e64 v5, 0, -1, vcc_lo
	s_subb_u32 s4, s17, 0
	s_cmp_eq_u32 s17, 0
	v_mov_b32_e32 v7, s4
	s_cselect_b32 vcc_lo, -1, 0
	s_cmp_eq_u32 s5, 0
	v_cndmask_b32_e32 v5, -1, v5, vcc_lo
	v_cmp_le_u32_e32 vcc_lo, s33, v2
	s_cselect_b32 s4, -1, 0
	v_cndmask_b32_e64 v6, 0, -1, vcc_lo
	s_delay_alu instid0(VALU_DEP_3) | instskip(NEXT) | instid1(VALU_DEP_2)
	v_cmp_ne_u32_e32 vcc_lo, 0, v5
	v_cndmask_b32_e64 v5, -1, v6, s4
	v_cndmask_b32_e32 v3, v3, v4, vcc_lo
	v_cndmask_b32_e32 v6, s17, v7, vcc_lo
	s_delay_alu instid0(VALU_DEP_3) | instskip(NEXT) | instid1(VALU_DEP_3)
	v_cmp_ne_u32_e32 vcc_lo, 0, v5
	v_cndmask_b32_e32 v2, v2, v3, vcc_lo
	s_delay_alu instid0(VALU_DEP_3) | instskip(NEXT) | instid1(VALU_DEP_2)
	v_cndmask_b32_e32 v4, s5, v6, vcc_lo
	v_xor_b32_e32 v2, s64, v2
	s_delay_alu instid0(VALU_DEP_2) | instskip(NEXT) | instid1(VALU_DEP_2)
	v_xor_b32_e32 v3, s64, v4
	v_sub_co_u32 v2, vcc_lo, v2, s64
	s_delay_alu instid0(VALU_DEP_2)
	v_subrev_co_ci_u32_e32 v3, vcc_lo, s64, v3, vcc_lo
	s_cbranch_execnz .LBB63_250
.LBB63_249:                             ;   in Loop: Header=BB63_33 Depth=1
	v_cvt_f32_u32_e32 v2, s33
	s_sub_i32 s4, 0, s33
	s_delay_alu instid0(VALU_DEP_1) | instskip(SKIP_2) | instid1(VALU_DEP_1)
	v_rcp_iflag_f32_e32 v2, v2
	s_waitcnt_depctr 0xfff
	v_mul_f32_e32 v2, 0x4f7ffffe, v2
	v_cvt_u32_f32_e32 v2, v2
	s_delay_alu instid0(VALU_DEP_1) | instskip(NEXT) | instid1(VALU_DEP_1)
	v_mul_lo_u32 v3, s4, v2
	v_mul_hi_u32 v3, v2, v3
	s_delay_alu instid0(VALU_DEP_1) | instskip(NEXT) | instid1(VALU_DEP_1)
	v_add_nc_u32_e32 v2, v2, v3
	v_mul_hi_u32 v2, s80, v2
	s_delay_alu instid0(VALU_DEP_1) | instskip(NEXT) | instid1(VALU_DEP_1)
	v_mul_lo_u32 v2, v2, s33
	v_sub_nc_u32_e32 v2, s80, v2
	s_delay_alu instid0(VALU_DEP_1) | instskip(SKIP_1) | instid1(VALU_DEP_2)
	v_subrev_nc_u32_e32 v3, s33, v2
	v_cmp_le_u32_e32 vcc_lo, s33, v2
	v_cndmask_b32_e32 v2, v2, v3, vcc_lo
	s_delay_alu instid0(VALU_DEP_1) | instskip(SKIP_1) | instid1(VALU_DEP_2)
	v_subrev_nc_u32_e32 v3, s33, v2
	v_cmp_le_u32_e32 vcc_lo, s33, v2
	v_cndmask_b32_e32 v12, v2, v3, vcc_lo
	s_delay_alu instid0(VALU_DEP_1)
	v_dual_mov_b32 v2, v12 :: v_dual_mov_b32 v3, v13
.LBB63_250:                             ;   in Loop: Header=BB63_33 Depth=1
	s_delay_alu instid0(VALU_DEP_1) | instskip(NEXT) | instid1(VALU_DEP_2)
	v_sub_co_u32 v2, vcc_lo, s80, v2
	v_sub_co_ci_u32_e32 v3, vcc_lo, s55, v3, vcc_lo
	s_mov_b32 s64, 0
	s_mov_b32 s5, exec_lo
                                        ; implicit-def: $vgpr51
	s_delay_alu instid0(VALU_DEP_1)
	v_cmpx_gt_i64_e64 v[2:3], v[0:1]
	s_cbranch_execz .LBB63_263
; %bb.251:                              ;   in Loop: Header=BB63_33 Depth=1
	v_dual_mov_b32 v4, v10 :: v_dual_mov_b32 v5, v11
	v_dual_mov_b32 v7, v1 :: v_dual_mov_b32 v6, v0
	s_mov_b32 s17, 0
                                        ; implicit-def: $sgpr18
	s_branch .LBB63_253
.LBB63_252:                             ;   in Loop: Header=BB63_253 Depth=2
	s_or_b32 exec_lo, exec_lo, s4
	s_waitcnt vmcnt(0) lgkmcnt(0)
	s_barrier
	buffer_gl0_inv
	ds_load_b32 v8, v13 offset:3072
	v_add_co_u32 v6, vcc_lo, v6, s33
	v_add_co_ci_u32_e32 v7, vcc_lo, 0, v7, vcc_lo
	s_waitcnt lgkmcnt(0)
	s_barrier
	buffer_gl0_inv
	v_cmp_ge_i64_e32 vcc_lo, v[6:7], v[2:3]
	v_cmp_neq_f16_e64 s4, 0, v8
	s_delay_alu instid0(VALU_DEP_1)
	s_or_b32 s48, s4, vcc_lo
	v_add_co_u32 v4, vcc_lo, v4, s50
	s_and_b32 s48, exec_lo, s48
	v_add_co_ci_u32_e32 v5, vcc_lo, s51, v5, vcc_lo
	s_or_b32 s17, s48, s17
	s_and_not1_b32 s18, s18, exec_lo
	s_and_b32 s4, s4, exec_lo
	s_delay_alu instid0(SALU_CYCLE_1)
	s_or_b32 s18, s18, s4
	s_and_not1_b32 exec_lo, exec_lo, s17
	s_cbranch_execz .LBB63_262
.LBB63_253:                             ;   Parent Loop BB63_33 Depth=1
                                        ; =>  This Inner Loop Header: Depth=2
	s_delay_alu instid0(VALU_DEP_1)
	v_cmp_gt_i64_e32 vcc_lo, s[24:25], v[6:7]
	v_mov_b32_e32 v8, 0
	s_and_saveexec_b32 s4, vcc_lo
	s_cbranch_execz .LBB63_255
; %bb.254:                              ;   in Loop: Header=BB63_253 Depth=2
	global_load_u16 v8, v[4:5], off
.LBB63_255:                             ;   in Loop: Header=BB63_253 Depth=2
	s_or_b32 exec_lo, exec_lo, s4
	s_and_saveexec_b32 s4, vcc_lo
	s_cbranch_execz .LBB63_252
; %bb.256:                              ;   in Loop: Header=BB63_253 Depth=2
	s_waitcnt vmcnt(0)
	v_cmp_lt_i16_e32 vcc_lo, -1, v8
	v_dual_cndmask_b32 v12, 0xffff, v49 :: v_dual_and_b32 v9, 0xffff, v8
	v_cmp_o_f16_e32 vcc_lo, v8, v8
	s_delay_alu instid0(VALU_DEP_2) | instskip(NEXT) | instid1(VALU_DEP_1)
	v_xor_b32_e32 v9, v12, v9
	v_cndmask_b32_e32 v9, 0xffff, v9, vcc_lo
	s_delay_alu instid0(VALU_DEP_1) | instskip(NEXT) | instid1(VALU_DEP_1)
	v_and_b32_e32 v9, s97, v9
	v_cmp_eq_u32_e32 vcc_lo, s98, v9
	s_and_b32 exec_lo, exec_lo, vcc_lo
	s_cbranch_execz .LBB63_252
; %bb.257:                              ;   in Loop: Header=BB63_253 Depth=2
	v_perm_b32 v8, v8, s87, 0x5040100
	ds_store_b32 v13, v8 offset:3072
	s_branch .LBB63_252
.LBB63_258:                             ;   in Loop: Header=BB63_33 Depth=1
                                        ; implicit-def: $sgpr17
                                        ; implicit-def: $sgpr48
                                        ; implicit-def: $sgpr18
	s_branch .LBB63_277
.LBB63_259:                             ;   in Loop: Header=BB63_33 Depth=1
                                        ; implicit-def: $vgpr2_vgpr3
	s_branch .LBB63_202
.LBB63_260:                             ;   in Loop: Header=BB63_33 Depth=1
                                        ; implicit-def: $vgpr2_vgpr3
	s_branch .LBB63_219
.LBB63_261:                             ;   in Loop: Header=BB63_33 Depth=1
	s_mov_b32 s17, -1
	s_mov_b32 s64, 0
                                        ; implicit-def: $sgpr18
                                        ; implicit-def: $vgpr51
	s_mov_b32 s48, s17
	s_cbranch_execnz .LBB63_264
	s_branch .LBB63_277
.LBB63_262:                             ;   in Loop: Header=BB63_33 Depth=1
	s_or_b32 exec_lo, exec_lo, s17
	v_lshrrev_b32_e32 v51, 16, v8
	s_and_b32 s64, s18, exec_lo
.LBB63_263:                             ;   in Loop: Header=BB63_33 Depth=1
	s_or_b32 exec_lo, exec_lo, s5
	s_mov_b32 s18, -1
	s_mov_b32 s17, 0
	s_delay_alu instid0(SALU_CYCLE_1)
	s_mov_b32 s48, s17
	s_branch .LBB63_277
.LBB63_264:                             ;   in Loop: Header=BB63_33 Depth=1
	s_add_u32 s17, s78, s8
	s_addc_u32 s5, s79, s9
	s_mov_b32 s4, s49
	s_delay_alu instid0(SALU_CYCLE_1)
	s_cmp_lg_u64 s[4:5], 0
	s_cbranch_scc0 .LBB63_298
; %bb.265:                              ;   in Loop: Header=BB63_33 Depth=1
	v_cvt_f32_u32_e32 v2, s33
	s_sub_u32 s48, 0, s33
	s_subb_u32 s54, 0, 0
	s_delay_alu instid0(VALU_DEP_1) | instskip(NEXT) | instid1(VALU_DEP_1)
	v_fmac_f32_e32 v2, 0x4f800000, v50
	v_rcp_f32_e32 v2, v2
	s_waitcnt_depctr 0xfff
	v_mul_f32_e32 v2, 0x5f7ffffc, v2
	s_delay_alu instid0(VALU_DEP_1) | instskip(NEXT) | instid1(VALU_DEP_1)
	v_mul_f32_e32 v3, 0x2f800000, v2
	v_trunc_f32_e32 v3, v3
	s_delay_alu instid0(VALU_DEP_1) | instskip(SKIP_1) | instid1(VALU_DEP_2)
	v_fmac_f32_e32 v2, 0xcf800000, v3
	v_cvt_u32_f32_e32 v3, v3
	v_cvt_u32_f32_e32 v2, v2
	s_delay_alu instid0(VALU_DEP_2) | instskip(NEXT) | instid1(VALU_DEP_2)
	v_readfirstlane_b32 s4, v3
	v_readfirstlane_b32 s18, v2
	s_delay_alu instid0(VALU_DEP_2) | instskip(NEXT) | instid1(VALU_DEP_1)
	s_mul_i32 s64, s48, s4
	s_mul_hi_u32 s66, s48, s18
	s_mul_i32 s65, s54, s18
	s_add_i32 s64, s66, s64
	s_mul_i32 s67, s48, s18
	s_add_i32 s64, s64, s65
	s_mul_hi_u32 s66, s18, s67
	s_mul_hi_u32 s68, s4, s67
	s_mul_i32 s65, s4, s67
	s_mul_hi_u32 s67, s18, s64
	s_mul_i32 s18, s18, s64
	s_mul_hi_u32 s69, s4, s64
	s_add_u32 s18, s66, s18
	s_addc_u32 s66, 0, s67
	s_add_u32 s18, s18, s65
	s_mul_i32 s64, s4, s64
	s_addc_u32 s18, s66, s68
	s_addc_u32 s65, s69, 0
	s_add_u32 s18, s18, s64
	s_addc_u32 s64, 0, s65
	v_add_co_u32 v2, s18, v2, s18
	s_delay_alu instid0(VALU_DEP_1) | instskip(SKIP_1) | instid1(VALU_DEP_1)
	s_cmp_lg_u32 s18, 0
	s_addc_u32 s4, s4, s64
	v_readfirstlane_b32 s18, v2
	s_mul_i32 s64, s48, s4
	s_delay_alu instid0(VALU_DEP_1)
	s_mul_hi_u32 s65, s48, s18
	s_mul_i32 s54, s54, s18
	s_add_i32 s64, s65, s64
	s_mul_i32 s48, s48, s18
	s_add_i32 s64, s64, s54
	s_mul_hi_u32 s65, s4, s48
	s_mul_i32 s66, s4, s48
	s_mul_hi_u32 s48, s18, s48
	s_mul_hi_u32 s67, s18, s64
	s_mul_i32 s18, s18, s64
	s_mul_hi_u32 s54, s4, s64
	s_add_u32 s18, s48, s18
	s_addc_u32 s48, 0, s67
	s_add_u32 s18, s18, s66
	s_mul_i32 s64, s4, s64
	s_addc_u32 s18, s48, s65
	s_addc_u32 s48, s54, 0
	s_add_u32 s18, s18, s64
	s_addc_u32 s48, 0, s48
	v_add_co_u32 v2, s18, v2, s18
	s_delay_alu instid0(VALU_DEP_1) | instskip(SKIP_2) | instid1(VALU_DEP_1)
	s_cmp_lg_u32 s18, 0
	s_addc_u32 s4, s4, s48
	s_ashr_i32 s64, s5, 31
	v_readfirstlane_b32 s18, v2
	s_add_u32 s66, s17, s64
	s_mov_b32 s65, s64
	s_addc_u32 s67, s5, s64
	s_delay_alu instid0(SALU_CYCLE_1) | instskip(NEXT) | instid1(SALU_CYCLE_1)
	s_xor_b64 s[66:67], s[66:67], s[64:65]
	s_mul_i32 s54, s66, s4
	s_mul_hi_u32 s65, s66, s18
	s_mul_hi_u32 s48, s66, s4
	;; [unrolled: 1-line block ×3, first 2 shown]
	s_mul_i32 s18, s67, s18
	s_add_u32 s54, s65, s54
	s_addc_u32 s48, 0, s48
	s_mul_hi_u32 s68, s67, s4
	s_add_u32 s18, s54, s18
	s_mul_i32 s4, s67, s4
	s_addc_u32 s18, s48, s69
	s_addc_u32 s48, s68, 0
	s_add_u32 s4, s18, s4
	s_addc_u32 s18, 0, s48
	s_mul_hi_u32 s48, s33, s4
	s_mul_i32 s4, s33, s4
	s_mul_i32 s18, s33, s18
	v_sub_co_u32 v2, s4, s66, s4
	s_add_i32 s48, s48, s18
	s_cmp_lg_u32 s4, 0
	s_delay_alu instid0(VALU_DEP_1) | instskip(SKIP_2) | instid1(VALU_DEP_1)
	v_sub_co_u32 v3, s4, v2, s33
	s_subb_u32 s18, s67, s48
	s_cmp_lg_u32 s4, 0
	v_cmp_le_u32_e32 vcc_lo, s33, v3
	v_sub_co_u32 v4, s4, v3, s33
	s_subb_u32 s48, s18, 0
	s_cmp_lg_u32 s4, 0
	v_cndmask_b32_e64 v5, 0, -1, vcc_lo
	s_subb_u32 s4, s48, 0
	s_cmp_eq_u32 s48, 0
	v_mov_b32_e32 v7, s4
	s_cselect_b32 vcc_lo, -1, 0
	s_cmp_eq_u32 s18, 0
	v_cndmask_b32_e32 v5, -1, v5, vcc_lo
	v_cmp_le_u32_e32 vcc_lo, s33, v2
	s_cselect_b32 s4, -1, 0
	v_cndmask_b32_e64 v6, 0, -1, vcc_lo
	s_delay_alu instid0(VALU_DEP_3) | instskip(NEXT) | instid1(VALU_DEP_2)
	v_cmp_ne_u32_e32 vcc_lo, 0, v5
	v_cndmask_b32_e64 v5, -1, v6, s4
	v_cndmask_b32_e32 v3, v3, v4, vcc_lo
	v_cndmask_b32_e32 v6, s48, v7, vcc_lo
	s_delay_alu instid0(VALU_DEP_3) | instskip(NEXT) | instid1(VALU_DEP_3)
	v_cmp_ne_u32_e32 vcc_lo, 0, v5
	v_cndmask_b32_e32 v2, v2, v3, vcc_lo
	s_delay_alu instid0(VALU_DEP_3) | instskip(NEXT) | instid1(VALU_DEP_2)
	v_cndmask_b32_e32 v4, s18, v6, vcc_lo
	v_xor_b32_e32 v2, s64, v2
	s_delay_alu instid0(VALU_DEP_2) | instskip(NEXT) | instid1(VALU_DEP_2)
	v_xor_b32_e32 v3, s64, v4
	v_sub_co_u32 v2, vcc_lo, v2, s64
	s_delay_alu instid0(VALU_DEP_2)
	v_subrev_co_ci_u32_e32 v3, vcc_lo, s64, v3, vcc_lo
	s_cbranch_execnz .LBB63_267
.LBB63_266:                             ;   in Loop: Header=BB63_33 Depth=1
	v_cvt_f32_u32_e32 v2, s33
	s_sub_i32 s4, 0, s33
	s_delay_alu instid0(VALU_DEP_1) | instskip(SKIP_2) | instid1(VALU_DEP_1)
	v_rcp_iflag_f32_e32 v2, v2
	s_waitcnt_depctr 0xfff
	v_mul_f32_e32 v2, 0x4f7ffffe, v2
	v_cvt_u32_f32_e32 v2, v2
	s_delay_alu instid0(VALU_DEP_1) | instskip(NEXT) | instid1(VALU_DEP_1)
	v_mul_lo_u32 v3, s4, v2
	v_mul_hi_u32 v3, v2, v3
	s_delay_alu instid0(VALU_DEP_1) | instskip(NEXT) | instid1(VALU_DEP_1)
	v_add_nc_u32_e32 v2, v2, v3
	v_mul_hi_u32 v2, s17, v2
	s_delay_alu instid0(VALU_DEP_1) | instskip(NEXT) | instid1(VALU_DEP_1)
	v_mul_lo_u32 v2, v2, s33
	v_sub_nc_u32_e32 v2, s17, v2
	s_delay_alu instid0(VALU_DEP_1) | instskip(SKIP_1) | instid1(VALU_DEP_2)
	v_subrev_nc_u32_e32 v3, s33, v2
	v_cmp_le_u32_e32 vcc_lo, s33, v2
	v_cndmask_b32_e32 v2, v2, v3, vcc_lo
	s_delay_alu instid0(VALU_DEP_1) | instskip(SKIP_1) | instid1(VALU_DEP_2)
	v_subrev_nc_u32_e32 v3, s33, v2
	v_cmp_le_u32_e32 vcc_lo, s33, v2
	v_cndmask_b32_e32 v12, v2, v3, vcc_lo
	s_delay_alu instid0(VALU_DEP_1)
	v_dual_mov_b32 v2, v12 :: v_dual_mov_b32 v3, v13
.LBB63_267:                             ;   in Loop: Header=BB63_33 Depth=1
	s_delay_alu instid0(VALU_DEP_1) | instskip(NEXT) | instid1(VALU_DEP_2)
	v_sub_co_u32 v2, vcc_lo, s17, v2
	v_sub_co_ci_u32_e32 v3, vcc_lo, s5, v3, vcc_lo
	s_mov_b32 s64, 0
	s_mov_b32 s5, exec_lo
                                        ; implicit-def: $vgpr51
	s_delay_alu instid0(VALU_DEP_1)
	v_cmpx_gt_i64_e64 v[2:3], v[0:1]
	s_cbranch_execz .LBB63_276
; %bb.268:                              ;   in Loop: Header=BB63_33 Depth=1
	v_mov_b32_e32 v6, v41
	v_dual_mov_b32 v5, v1 :: v_dual_mov_b32 v4, v0
	s_mov_b32 s17, 0
                                        ; implicit-def: $sgpr18
	s_set_inst_prefetch_distance 0x1
	s_branch .LBB63_270
	.p2align	6
.LBB63_269:                             ;   in Loop: Header=BB63_270 Depth=2
	s_or_b32 exec_lo, exec_lo, s4
	s_waitcnt lgkmcnt(0)
	s_barrier
	buffer_gl0_inv
	ds_load_b32 v7, v13 offset:3072
	v_add_co_u32 v4, vcc_lo, v4, s33
	v_add_co_ci_u32_e32 v5, vcc_lo, 0, v5, vcc_lo
	v_add_nc_u32_e32 v6, s86, v6
	s_waitcnt lgkmcnt(0)
	s_barrier
	s_delay_alu instid0(VALU_DEP_2) | instskip(SKIP_2) | instid1(VALU_DEP_1)
	v_cmp_ge_i64_e32 vcc_lo, v[4:5], v[2:3]
	buffer_gl0_inv
	v_cmp_neq_f16_e64 s4, 0, v7
	s_or_b32 s48, s4, vcc_lo
	s_delay_alu instid0(SALU_CYCLE_1) | instskip(NEXT) | instid1(SALU_CYCLE_1)
	s_and_b32 s48, exec_lo, s48
	s_or_b32 s17, s48, s17
	s_and_not1_b32 s18, s18, exec_lo
	s_and_b32 s4, s4, exec_lo
	s_delay_alu instid0(SALU_CYCLE_1)
	s_or_b32 s18, s18, s4
	s_and_not1_b32 exec_lo, exec_lo, s17
	s_cbranch_execz .LBB63_275
.LBB63_270:                             ;   Parent Loop BB63_33 Depth=1
                                        ; =>  This Inner Loop Header: Depth=2
	s_delay_alu instid0(VALU_DEP_1)
	v_cmp_gt_i64_e32 vcc_lo, s[8:9], v[4:5]
	v_mov_b32_e32 v7, 0
	s_and_saveexec_b32 s4, vcc_lo
	s_cbranch_execz .LBB63_272
; %bb.271:                              ;   in Loop: Header=BB63_270 Depth=2
	ds_load_u16 v7, v6
.LBB63_272:                             ;   in Loop: Header=BB63_270 Depth=2
	s_or_b32 exec_lo, exec_lo, s4
	s_and_saveexec_b32 s4, vcc_lo
	s_cbranch_execz .LBB63_269
; %bb.273:                              ;   in Loop: Header=BB63_270 Depth=2
	s_waitcnt lgkmcnt(0)
	v_cmp_lt_i16_e32 vcc_lo, -1, v7
	v_dual_cndmask_b32 v9, 0xffff, v49 :: v_dual_and_b32 v8, 0xffff, v7
	v_cmp_o_f16_e32 vcc_lo, v7, v7
	s_delay_alu instid0(VALU_DEP_2) | instskip(NEXT) | instid1(VALU_DEP_1)
	v_xor_b32_e32 v8, v9, v8
	v_cndmask_b32_e32 v8, 0xffff, v8, vcc_lo
	s_delay_alu instid0(VALU_DEP_1) | instskip(NEXT) | instid1(VALU_DEP_1)
	v_and_b32_e32 v8, s97, v8
	v_cmp_eq_u32_e32 vcc_lo, s98, v8
	s_and_b32 exec_lo, exec_lo, vcc_lo
	s_cbranch_execz .LBB63_269
; %bb.274:                              ;   in Loop: Header=BB63_270 Depth=2
	v_perm_b32 v7, v7, s87, 0x5040100
	ds_store_b32 v13, v7 offset:3072
	s_branch .LBB63_269
.LBB63_275:                             ;   in Loop: Header=BB63_33 Depth=1
	s_set_inst_prefetch_distance 0x2
	s_or_b32 exec_lo, exec_lo, s17
	v_lshrrev_b32_e32 v51, 16, v7
	s_and_b32 s64, s18, exec_lo
.LBB63_276:                             ;   in Loop: Header=BB63_33 Depth=1
	s_or_b32 exec_lo, exec_lo, s5
	s_mov_b32 s48, -1
	s_mov_b32 s17, 0
	s_mov_b32 s18, 0
.LBB63_277:                             ;   in Loop: Header=BB63_33 Depth=1
	s_mov_b32 s9, 0
                                        ; implicit-def: $sgpr54
                                        ; implicit-def: $sgpr4_sgpr5
	s_and_saveexec_b32 s8, s64
	s_cbranch_execz .LBB63_290
; %bb.278:                              ;   in Loop: Header=BB63_33 Depth=1
	s_xor_b32 s9, s11, -1
	s_mov_b64 s[4:5], 1
	s_and_not1_b32 vcc_lo, exec_lo, s9
	s_mov_b32 s54, 1
	s_cbranch_vccnz .LBB63_289
; %bb.279:                              ;   in Loop: Header=BB63_33 Depth=1
	v_cmp_gt_i64_e64 s4, s[26:27], s[6:7]
	s_delay_alu instid0(VALU_DEP_1)
	s_and_b32 vcc_lo, exec_lo, s4
	s_cbranch_vccnz .LBB63_285
; %bb.280:                              ;   in Loop: Header=BB63_33 Depth=1
	ds_load_b64 v[2:3], v13 offset:5120
	s_waitcnt lgkmcnt(0)
	v_cmp_ne_u64_e32 vcc_lo, 0, v[2:3]
	s_cbranch_vccnz .LBB63_284
; %bb.281:                              ;   in Loop: Header=BB63_33 Depth=1
	s_and_saveexec_b32 s4, s0
	s_cbranch_execz .LBB63_283
; %bb.282:                              ;   in Loop: Header=BB63_33 Depth=1
	v_dual_mov_b32 v2, s6 :: v_dual_mov_b32 v3, s7
	ds_store_b64 v13, v[2:3] offset:5128
.LBB63_283:                             ;   in Loop: Header=BB63_33 Depth=1
	s_or_b32 exec_lo, exec_lo, s4
	s_waitcnt lgkmcnt(0)
	s_barrier
	buffer_gl0_inv
.LBB63_284:                             ;   in Loop: Header=BB63_33 Depth=1
	s_or_b32 s9, s98, s16
	s_or_b32 s11, s97, s16
	s_mov_b32 s4, 0
	s_mov_b32 s54, 8
	s_branch .LBB63_286
.LBB63_285:                             ;   in Loop: Header=BB63_33 Depth=1
	s_mov_b32 s4, -1
                                        ; implicit-def: $sgpr54
                                        ; implicit-def: $sgpr9
                                        ; implicit-def: $sgpr11
.LBB63_286:                             ;   in Loop: Header=BB63_33 Depth=1
	s_delay_alu instid0(SALU_CYCLE_1)
	s_and_not1_b32 vcc_lo, exec_lo, s4
	s_cbranch_vccnz .LBB63_288
; %bb.287:                              ;   in Loop: Header=BB63_33 Depth=1
	s_sub_u32 s26, s26, s6
	s_subb_u32 s27, s27, s7
	s_mov_b32 s54, 8
	s_mov_b32 s9, s98
	s_mov_b32 s11, s97
.LBB63_288:                             ;   in Loop: Header=BB63_33 Depth=1
	s_mov_b64 s[4:5], s[26:27]
	s_mov_b32 s98, s9
	s_mov_b32 s97, s11
.LBB63_289:                             ;   in Loop: Header=BB63_33 Depth=1
	s_mov_b32 s9, exec_lo
.LBB63_290:                             ;   in Loop: Header=BB63_33 Depth=1
	s_or_b32 exec_lo, exec_lo, s8
	s_mov_b64 s[26:27], s[4:5]
.LBB63_291:                             ;   in Loop: Header=BB63_33 Depth=1
	s_and_not1_b32 s4, s13, exec_lo
	s_and_b32 s5, s17, exec_lo
	s_and_not1_b32 s6, s22, exec_lo
	s_or_b32 s13, s4, s5
	s_and_not1_b32 s4, s23, exec_lo
	s_and_b32 s5, s48, exec_lo
	s_and_b32 s7, s18, exec_lo
	s_or_b32 s23, s4, s5
	s_or_b32 s22, s6, s7
	s_and_b32 s5, s9, exec_lo
.LBB63_292:                             ;   in Loop: Header=BB63_33 Depth=1
	s_or_b32 exec_lo, exec_lo, s10
.LBB63_293:                             ;   in Loop: Header=BB63_33 Depth=1
	s_delay_alu instid0(SALU_CYCLE_1)
	s_and_not1_b32 s4, s20, exec_lo
	s_and_b32 s6, s13, exec_lo
	s_and_not1_b32 s7, s19, exec_lo
	s_or_b32 s20, s4, s6
	s_and_not1_b32 s4, s21, exec_lo
	s_and_b32 s6, s23, exec_lo
	s_and_b32 s8, s22, exec_lo
	s_or_b32 s21, s4, s6
	s_or_b32 s19, s7, s8
	s_and_b32 s5, s5, exec_lo
.LBB63_294:                             ;   in Loop: Header=BB63_33 Depth=1
	s_or_b32 exec_lo, exec_lo, s12
	s_and_saveexec_b32 s4, s5
	s_delay_alu instid0(SALU_CYCLE_1)
	s_xor_b32 s4, exec_lo, s4
	s_cbranch_execz .LBB63_31
.LBB63_295:                             ;   in Loop: Header=BB63_33 Depth=1
	s_and_b32 s5, s54, -9
	s_delay_alu instid0(SALU_CYCLE_1)
	s_cmp_eq_u32 s5, 0
	s_cbranch_scc1 .LBB63_29
; %bb.296:                              ;   in Loop: Header=BB63_33 Depth=1
	s_mov_b32 s5, -1
	s_mov_b32 s6, -1
                                        ; implicit-def: $sgpr97
                                        ; implicit-def: $sgpr91
                                        ; implicit-def: $sgpr93
	s_branch .LBB63_30
.LBB63_297:                             ;   in Loop: Header=BB63_33 Depth=1
                                        ; implicit-def: $vgpr2_vgpr3
	s_branch .LBB63_249
.LBB63_298:                             ;   in Loop: Header=BB63_33 Depth=1
                                        ; implicit-def: $vgpr2_vgpr3
	s_branch .LBB63_266
.LBB63_299:
	s_or_b32 exec_lo, exec_lo, s88
	s_xor_b32 s5, s92, -1
	s_xor_b32 s2, s89, -1
	;; [unrolled: 1-line block ×3, first 2 shown]
	s_mov_b32 s3, 0
	s_and_saveexec_b32 s6, s2
	s_delay_alu instid0(SALU_CYCLE_1)
	s_xor_b32 s2, exec_lo, s6
	s_cbranch_execz .LBB63_322
; %bb.300:
	s_and_saveexec_b32 s3, s5
	s_delay_alu instid0(SALU_CYCLE_1)
	s_xor_b32 s3, exec_lo, s3
	s_cbranch_execz .LBB63_320
; %bb.301:
	s_and_saveexec_b32 s5, s4
	s_delay_alu instid0(SALU_CYCLE_1)
	s_xor_b32 s4, exec_lo, s5
; %bb.302:
	v_and_b32_e32 v3, 0x8000, v2
	v_mov_b32_e32 v4, 0xffff
	s_delay_alu instid0(VALU_DEP_2) | instskip(NEXT) | instid1(VALU_DEP_2)
	v_cmp_eq_u32_e32 vcc_lo, 0, v3
	v_cndmask_b32_e32 v3, 0x8000, v4, vcc_lo
	s_delay_alu instid0(VALU_DEP_1)
	v_xor_b32_e32 v51, v3, v2
; %bb.303:
	s_or_b32 exec_lo, exec_lo, s4
	s_and_saveexec_b32 s4, s0
	s_cbranch_execz .LBB63_305
; %bb.304:
	v_dual_mov_b32 v2, 0 :: v_dual_mov_b32 v3, s24
	ds_store_b32 v2, v3 offset:5140
.LBB63_305:
	s_or_b32 exec_lo, exec_lo, s4
	s_waitcnt lgkmcnt(0)
	s_barrier
	buffer_gl0_inv
	s_and_saveexec_b32 s4, s1
	s_cbranch_execz .LBB63_317
; %bb.306:
	v_mov_b32_e32 v2, 0
	v_cmp_u_f16_e32 vcc_lo, v51, v51
	s_mov_b32 s5, 0
                                        ; implicit-def: $sgpr7
                                        ; implicit-def: $sgpr8
                                        ; implicit-def: $sgpr9
	ds_load_b32 v4, v2 offset:5140
	s_xor_b32 s6, vcc_lo, -1
	s_waitcnt lgkmcnt(0)
	v_ashrrev_i32_e32 v5, 31, v4
	s_set_inst_prefetch_distance 0x1
	s_branch .LBB63_309
	.p2align	6
.LBB63_307:                             ;   in Loop: Header=BB63_309 Depth=1
	s_or_b32 exec_lo, exec_lo, s13
	s_delay_alu instid0(SALU_CYCLE_1)
	s_and_not1_b32 s1, s9, exec_lo
	s_and_b32 s9, s11, exec_lo
	s_and_not1_b32 s8, s8, exec_lo
	s_and_b32 s11, s12, exec_lo
	s_or_b32 s9, s1, s9
	s_or_b32 s8, s8, s11
.LBB63_308:                             ;   in Loop: Header=BB63_309 Depth=1
	s_or_b32 exec_lo, exec_lo, s10
	s_delay_alu instid0(SALU_CYCLE_1) | instskip(NEXT) | instid1(SALU_CYCLE_1)
	s_and_b32 s1, exec_lo, s8
	s_or_b32 s5, s1, s5
	s_and_not1_b32 s1, s7, exec_lo
	s_and_b32 s7, s9, exec_lo
	s_delay_alu instid0(SALU_CYCLE_1)
	s_or_b32 s7, s1, s7
	s_and_not1_b32 exec_lo, exec_lo, s5
	s_cbranch_execz .LBB63_312
.LBB63_309:                             ; =>This Inner Loop Header: Depth=1
	v_dual_mov_b32 v3, v1 :: v_dual_mov_b32 v2, v0
	s_or_b32 s9, s9, exec_lo
	s_or_b32 s8, s8, exec_lo
	s_mov_b32 s10, exec_lo
                                        ; implicit-def: $vgpr0_vgpr1
	s_delay_alu instid0(VALU_DEP_1)
	v_cmpx_lt_i64_e64 v[2:3], v[4:5]
	s_cbranch_execz .LBB63_308
; %bb.310:                              ;   in Loop: Header=BB63_309 Depth=1
	global_load_u16 v0, v[10:11], off
	s_mov_b32 s12, -1
	s_waitcnt vmcnt(0)
	v_cmp_o_f16_e32 vcc_lo, v0, v0
	v_cmp_neq_f16_e64 s1, v0, v51
                                        ; implicit-def: $vgpr0_vgpr1
	s_or_b32 s11, s6, vcc_lo
	s_delay_alu instid0(VALU_DEP_1) | instid1(SALU_CYCLE_1)
	s_and_b32 s1, s1, s11
	s_mov_b32 s11, 0
	s_and_saveexec_b32 s13, s1
	s_cbranch_execz .LBB63_307
; %bb.311:                              ;   in Loop: Header=BB63_309 Depth=1
	v_add_co_u32 v0, vcc_lo, v2, s33
	v_add_co_ci_u32_e32 v1, vcc_lo, 0, v3, vcc_lo
	v_add_co_u32 v10, s1, v10, s50
	s_mov_b32 s11, exec_lo
	s_delay_alu instid0(VALU_DEP_2)
	v_cmp_le_i64_e32 vcc_lo, s[24:25], v[0:1]
	v_add_co_ci_u32_e64 v11, s1, s51, v11, s1
	s_or_not1_b32 s12, vcc_lo, exec_lo
	s_branch .LBB63_307
.LBB63_312:
	s_set_inst_prefetch_distance 0x2
	s_or_b32 exec_lo, exec_lo, s5
	s_xor_b32 s1, s7, -1
	s_delay_alu instid0(SALU_CYCLE_1) | instskip(NEXT) | instid1(SALU_CYCLE_1)
	s_and_saveexec_b32 s5, s1
	s_xor_b32 s5, exec_lo, s5
	s_cbranch_execz .LBB63_317
; %bb.313:
	s_mov_b32 s5, exec_lo
	s_brev_b32 s1, -2
.LBB63_314:                             ; =>This Inner Loop Header: Depth=1
	s_ctz_i32_b32 s6, s5
	s_delay_alu instid0(SALU_CYCLE_1) | instskip(SKIP_1) | instid1(SALU_CYCLE_1)
	v_readlane_b32 s7, v2, s6
	s_lshl_b32 s6, 1, s6
	s_and_not1_b32 s5, s5, s6
	s_delay_alu instid0(VALU_DEP_1)
	s_min_i32 s1, s1, s7
	s_cmp_lg_u32 s5, 0
	s_cbranch_scc1 .LBB63_314
; %bb.315:
	v_mbcnt_lo_u32_b32 v0, exec_lo, 0
	s_mov_b32 s5, exec_lo
	s_delay_alu instid0(VALU_DEP_1)
	v_cmpx_eq_u32_e32 0, v0
	s_xor_b32 s5, exec_lo, s5
	s_cbranch_execz .LBB63_317
; %bb.316:
	v_dual_mov_b32 v0, 0 :: v_dual_mov_b32 v1, s1
	ds_min_i32 v0, v1 offset:5140
.LBB63_317:
	s_or_b32 exec_lo, exec_lo, s4
	s_waitcnt lgkmcnt(0)
	s_barrier
	buffer_gl0_inv
	s_and_saveexec_b32 s1, s0
	s_cbranch_execz .LBB63_319
; %bb.318:
	v_mov_b32_e32 v2, 0
	s_mul_i32 s0, s36, s35
	s_mul_hi_u32 s5, s36, s34
	s_mul_i32 s6, s37, s34
	s_add_i32 s0, s5, s0
	ds_load_b32 v0, v2 offset:5140
	s_mul_i32 s7, s44, s41
	s_mul_hi_u32 s8, s44, s40
	s_mul_i32 s4, s36, s34
	s_add_i32 s5, s0, s6
	s_mul_i32 s9, s45, s40
	s_add_i32 s0, s8, s7
	s_lshl_b64 s[4:5], s[4:5], 1
	s_add_i32 s7, s0, s9
	s_add_u32 s0, s46, s4
	s_addc_u32 s8, s47, s5
	s_lshl_b64 s[4:5], s[28:29], 1
	s_mul_i32 s6, s44, s40
	s_add_u32 s4, s0, s4
	s_addc_u32 s5, s8, s5
	s_lshl_b64 s[6:7], s[6:7], 3
	s_delay_alu instid0(SALU_CYCLE_1)
	s_add_u32 s0, s42, s6
	s_addc_u32 s8, s43, s7
	s_lshl_b64 s[6:7], s[38:39], 3
	s_waitcnt lgkmcnt(0)
	v_ashrrev_i32_e32 v1, 31, v0
	s_add_u32 s6, s0, s6
	s_addc_u32 s7, s8, s7
	s_clause 0x1
	global_store_b64 v2, v[0:1], s[6:7]
	global_store_b16 v2, v51, s[4:5]
.LBB63_319:
	s_or_b32 exec_lo, exec_lo, s1
.LBB63_320:
	s_or_saveexec_b32 s0, s3
	s_mov_b32 s1, 0
	s_xor_b32 exec_lo, exec_lo, s0
	s_cbranch_execnz .LBB63_328
.LBB63_321:
	s_or_b32 exec_lo, exec_lo, s0
	s_delay_alu instid0(SALU_CYCLE_1)
	s_and_b32 s3, s1, exec_lo
.LBB63_322:
	s_and_not1_saveexec_b32 s0, s2
	s_cbranch_execnz .LBB63_326
; %bb.323:
	s_or_b32 exec_lo, exec_lo, s0
	s_and_saveexec_b32 s0, s3
.LBB63_324:
	; divergent unreachable
.LBB63_325:
	s_nop 0
	s_sendmsg sendmsg(MSG_DEALLOC_VGPRS)
	s_endpgm
.LBB63_326:
	s_cbranch_execnz .LBB63_330
; %bb.327:
	s_or_b32 s3, s3, exec_lo
	s_or_b32 exec_lo, exec_lo, s0
	s_and_saveexec_b32 s0, s3
	s_cbranch_execnz .LBB63_324
	s_branch .LBB63_325
.LBB63_328:
	s_cbranch_execnz .LBB63_332
; %bb.329:
	s_mov_b32 s1, exec_lo
	s_branch .LBB63_321
.LBB63_330:
	s_trap 2
	s_sendmsg_rtn_b32 s0, sendmsg(MSG_RTN_GET_DOORBELL)
	s_mov_b32 ttmp2, m0
	s_waitcnt lgkmcnt(0)
	s_and_b32 s0, s0, 0x3ff
	s_delay_alu instid0(SALU_CYCLE_1) | instskip(NEXT) | instid1(SALU_CYCLE_1)
	s_bitset1_b32 s0, 10
	s_mov_b32 m0, s0
	s_sendmsg sendmsg(MSG_INTERRUPT)
	s_mov_b32 m0, ttmp2
.LBB63_331:                             ; =>This Inner Loop Header: Depth=1
	s_sethalt 5
	s_branch .LBB63_331
.LBB63_332:
	s_trap 2
	s_sendmsg_rtn_b32 s0, sendmsg(MSG_RTN_GET_DOORBELL)
	s_mov_b32 ttmp2, m0
	s_waitcnt lgkmcnt(0)
	s_and_b32 s0, s0, 0x3ff
	s_delay_alu instid0(SALU_CYCLE_1) | instskip(NEXT) | instid1(SALU_CYCLE_1)
	s_bitset1_b32 s0, 10
	s_mov_b32 m0, s0
	s_sendmsg sendmsg(MSG_INTERRUPT)
	s_mov_b32 m0, ttmp2
.LBB63_333:                             ; =>This Inner Loop Header: Depth=1
	s_sethalt 5
	s_branch .LBB63_333
	.section	.rodata,"a",@progbits
	.p2align	6, 0x0
	.amdhsa_kernel _ZN2at6native12_GLOBAL__N_114gatherKthValueIN3c104HalfElLin1EEEvNS_4cuda6detail10TensorInfoIKT_T0_EESA_SA_SA_SA_NS7_IS8_SA_EENS7_IlSA_EE
		.amdhsa_group_segment_fixed_size 5144
		.amdhsa_private_segment_fixed_size 0
		.amdhsa_kernarg_size 1536
		.amdhsa_user_sgpr_count 13
		.amdhsa_user_sgpr_dispatch_ptr 0
		.amdhsa_user_sgpr_queue_ptr 0
		.amdhsa_user_sgpr_kernarg_segment_ptr 1
		.amdhsa_user_sgpr_dispatch_id 0
		.amdhsa_user_sgpr_private_segment_size 0
		.amdhsa_wavefront_size32 1
		.amdhsa_uses_dynamic_stack 0
		.amdhsa_enable_private_segment 0
		.amdhsa_system_sgpr_workgroup_id_x 1
		.amdhsa_system_sgpr_workgroup_id_y 1
		.amdhsa_system_sgpr_workgroup_id_z 1
		.amdhsa_system_sgpr_workgroup_info 0
		.amdhsa_system_vgpr_workitem_id 0
		.amdhsa_next_free_vgpr 55
		.amdhsa_next_free_sgpr 103
		.amdhsa_reserve_vcc 1
		.amdhsa_float_round_mode_32 0
		.amdhsa_float_round_mode_16_64 0
		.amdhsa_float_denorm_mode_32 3
		.amdhsa_float_denorm_mode_16_64 3
		.amdhsa_dx10_clamp 1
		.amdhsa_ieee_mode 1
		.amdhsa_fp16_overflow 0
		.amdhsa_workgroup_processor_mode 1
		.amdhsa_memory_ordered 1
		.amdhsa_forward_progress 0
		.amdhsa_shared_vgpr_count 0
		.amdhsa_exception_fp_ieee_invalid_op 0
		.amdhsa_exception_fp_denorm_src 0
		.amdhsa_exception_fp_ieee_div_zero 0
		.amdhsa_exception_fp_ieee_overflow 0
		.amdhsa_exception_fp_ieee_underflow 0
		.amdhsa_exception_fp_ieee_inexact 0
		.amdhsa_exception_int_div_zero 0
	.end_amdhsa_kernel
	.section	.text._ZN2at6native12_GLOBAL__N_114gatherKthValueIN3c104HalfElLin1EEEvNS_4cuda6detail10TensorInfoIKT_T0_EESA_SA_SA_SA_NS7_IS8_SA_EENS7_IlSA_EE,"axG",@progbits,_ZN2at6native12_GLOBAL__N_114gatherKthValueIN3c104HalfElLin1EEEvNS_4cuda6detail10TensorInfoIKT_T0_EESA_SA_SA_SA_NS7_IS8_SA_EENS7_IlSA_EE,comdat
.Lfunc_end63:
	.size	_ZN2at6native12_GLOBAL__N_114gatherKthValueIN3c104HalfElLin1EEEvNS_4cuda6detail10TensorInfoIKT_T0_EESA_SA_SA_SA_NS7_IS8_SA_EENS7_IlSA_EE, .Lfunc_end63-_ZN2at6native12_GLOBAL__N_114gatherKthValueIN3c104HalfElLin1EEEvNS_4cuda6detail10TensorInfoIKT_T0_EESA_SA_SA_SA_NS7_IS8_SA_EENS7_IlSA_EE
                                        ; -- End function
	.section	.AMDGPU.csdata,"",@progbits
; Kernel info:
; codeLenInByte = 20792
; NumSgprs: 105
; NumVgprs: 55
; ScratchSize: 0
; MemoryBound: 0
; FloatMode: 240
; IeeeMode: 1
; LDSByteSize: 5144 bytes/workgroup (compile time only)
; SGPRBlocks: 13
; VGPRBlocks: 6
; NumSGPRsForWavesPerEU: 105
; NumVGPRsForWavesPerEU: 55
; Occupancy: 16
; WaveLimiterHint : 1
; COMPUTE_PGM_RSRC2:SCRATCH_EN: 0
; COMPUTE_PGM_RSRC2:USER_SGPR: 13
; COMPUTE_PGM_RSRC2:TRAP_HANDLER: 0
; COMPUTE_PGM_RSRC2:TGID_X_EN: 1
; COMPUTE_PGM_RSRC2:TGID_Y_EN: 1
; COMPUTE_PGM_RSRC2:TGID_Z_EN: 1
; COMPUTE_PGM_RSRC2:TIDIG_COMP_CNT: 0
	.section	.text._ZN2at6native12_GLOBAL__N_114gatherKthValueIN3c108BFloat16EiLi1EEEvNS_4cuda6detail10TensorInfoIKT_T0_EESA_SA_SA_SA_NS7_IS8_SA_EENS7_IlSA_EE,"axG",@progbits,_ZN2at6native12_GLOBAL__N_114gatherKthValueIN3c108BFloat16EiLi1EEEvNS_4cuda6detail10TensorInfoIKT_T0_EESA_SA_SA_SA_NS7_IS8_SA_EENS7_IlSA_EE,comdat
	.globl	_ZN2at6native12_GLOBAL__N_114gatherKthValueIN3c108BFloat16EiLi1EEEvNS_4cuda6detail10TensorInfoIKT_T0_EESA_SA_SA_SA_NS7_IS8_SA_EENS7_IlSA_EE ; -- Begin function _ZN2at6native12_GLOBAL__N_114gatherKthValueIN3c108BFloat16EiLi1EEEvNS_4cuda6detail10TensorInfoIKT_T0_EESA_SA_SA_SA_NS7_IS8_SA_EENS7_IlSA_EE
	.p2align	8
	.type	_ZN2at6native12_GLOBAL__N_114gatherKthValueIN3c108BFloat16EiLi1EEEvNS_4cuda6detail10TensorInfoIKT_T0_EESA_SA_SA_SA_NS7_IS8_SA_EENS7_IlSA_EE,@function
_ZN2at6native12_GLOBAL__N_114gatherKthValueIN3c108BFloat16EiLi1EEEvNS_4cuda6detail10TensorInfoIKT_T0_EESA_SA_SA_SA_NS7_IS8_SA_EENS7_IlSA_EE: ; @_ZN2at6native12_GLOBAL__N_114gatherKthValueIN3c108BFloat16EiLi1EEEvNS_4cuda6detail10TensorInfoIKT_T0_EESA_SA_SA_SA_NS7_IS8_SA_EENS7_IlSA_EE
; %bb.0:
	s_clause 0x1
	s_load_b64 s[6:7], s[0:1], 0x298
	s_load_b128 s[36:39], s[0:1], 0xd8
	s_add_u32 s4, s0, 0x298
	s_addc_u32 s5, s1, 0
	s_waitcnt lgkmcnt(0)
	s_mul_i32 s2, s7, s15
	s_delay_alu instid0(SALU_CYCLE_1) | instskip(NEXT) | instid1(SALU_CYCLE_1)
	s_add_i32 s2, s2, s14
	s_mul_i32 s29, s2, s6
	s_delay_alu instid0(SALU_CYCLE_1) | instskip(NEXT) | instid1(SALU_CYCLE_1)
	s_add_i32 s29, s29, s13
	s_cmp_ge_i32 s29, s38
	s_cbranch_scc1 .LBB64_263
; %bb.1:
	s_clause 0x3
	s_load_b64 s[30:31], s[0:1], 0x1c0
	s_load_b64 s[34:35], s[0:1], 0xe8
	s_load_b32 s3, s[0:1], 0x6c
	s_load_b64 s[8:9], s[0:1], 0x0
	v_cmp_eq_u32_e64 s2, 0, v0
	s_mov_b32 s45, 0
	s_delay_alu instid0(VALU_DEP_1)
	s_and_saveexec_b32 s7, s2
	s_cbranch_execz .LBB64_3
; %bb.2:
	v_dual_mov_b32 v1, 0 :: v_dual_mov_b32 v2, s36
	s_delay_alu instid0(VALU_DEP_1)
	v_mov_b32_e32 v3, v1
	ds_store_b96 v1, v[1:3] offset:4096
.LBB64_3:
	s_or_b32 exec_lo, exec_lo, s7
	s_waitcnt lgkmcnt(0)
	s_barrier
	buffer_gl0_inv
	s_load_b32 s7, s[4:5], 0xc
	s_clause 0x1
	s_load_b32 s33, s[0:1], 0x22c
	s_load_b32 s38, s[0:1], 0x154
	s_mul_i32 s0, s3, s29
	v_mbcnt_lo_u32_b32 v15, -1, 0
	s_ashr_i32 s1, s0, 31
	v_cmp_gt_u32_e32 vcc_lo, 32, v0
	s_lshl_b64 s[10:11], s[0:1], 1
	v_mul_lo_u32 v5, v0, s39
	s_add_u32 s42, s8, s10
	s_addc_u32 s43, s9, s11
	v_cmp_gt_i32_e64 s1, 4, v15
	v_mov_b32_e32 v7, 0
	v_lshrrev_b32_e32 v3, 3, v0
	v_lshlrev_b32_e32 v17, 1, v0
	s_mov_b32 s10, s39
	s_and_b32 s47, vcc_lo, s1
	v_mov_b32_e32 v6, v7
	v_dual_mov_b32 v29, 0 :: v_dual_and_b32 v20, 0x7c, v3
	s_waitcnt lgkmcnt(0)
	s_and_b32 s44, s7, 0xffff
	s_bfe_u32 s1, s7, 0xb0005
	s_lshl_b32 s46, s44, 2
	s_add_i32 s49, s44, -1
	v_cvt_f32_u32_e32 v1, s46
	s_add_i32 s59, s49, s36
	s_cmpk_gt_i32 s36, 0x600
	v_cvt_f32_u32_e32 v2, s44
	s_cselect_b32 s50, -1, 0
	v_rcp_iflag_f32_e32 v1, v1
	s_cmp_gt_u32 s44, 31
	v_lshlrev_b32_e32 v16, 2, v0
	s_cselect_b32 s51, -1, 0
	s_cmp_lt_u32 s13, s6
	v_rcp_iflag_f32_e32 v2, v2
	s_cselect_b32 s3, 12, 18
	v_lshlrev_b64 v[8:9], 1, v[5:6]
	s_add_u32 s40, s4, s3
	s_addc_u32 s41, s5, 0
	s_waitcnt_depctr 0xfff
	v_mul_f32_e32 v1, 0x4f7ffffe, v1
	s_add_i32 s3, s1, -1
	s_bfe_u32 s52, s44, 0x30005
	s_cmp_gt_u32 s3, 6
	v_add_co_u32 v8, vcc_lo, s42, v8
	v_cvt_u32_f32_e32 v1, v1
	s_cselect_b32 s53, -1, 0
	s_and_b32 s54, s1, 0x7f8
	s_cmp_lg_u32 s52, 0
	v_lshlrev_b32_e32 v24, 2, v5
	v_readfirstlane_b32 s4, v1
	s_cselect_b32 s55, -1, 0
	s_sub_i32 s3, 0, s46
	v_mul_f32_e32 v1, 0x4f7ffffe, v2
	v_add_co_ci_u32_e32 v9, vcc_lo, s43, v9, vcc_lo
	s_mul_i32 s5, s3, s4
	v_mad_u64_u32 v[12:13], null, s39, v16, s[10:11]
	s_mul_hi_u32 s5, s4, s5
	v_cvt_u32_f32_e32 v1, v1
	s_add_i32 s56, s4, s5
	v_cmp_gt_u32_e64 s0, 2, v0
	s_mul_hi_u32 s5, s36, s56
	v_cmp_gt_u32_e64 s1, s36, v0
	s_mul_i32 s5, s5, s46
	v_cmp_gt_i32_e64 s3, s36, v0
	s_sub_i32 s5, s36, s5
	v_cmp_eq_u32_e64 s4, 0, v15
	s_sub_i32 s6, s5, s46
	s_cmp_ge_u32 s5, s46
	v_add_nc_u32_e32 v18, 0xc00, v17
	s_cselect_b32 s5, s6, s5
	v_readfirstlane_b32 s6, v1
	s_sub_i32 s7, s5, s46
	s_cmp_ge_u32 s5, s46
	v_lshlrev_b64 v[1:2], v15, -1
	s_cselect_b32 s9, s7, s5
	v_mov_b32_e32 v28, 0x8000
	s_sub_i32 s57, s36, s9
	s_sub_i32 s5, 0, s44
	v_add_nc_u32_e32 v19, s57, v0
	s_mul_i32 s5, s5, s6
	s_abs_i32 s7, s59
	s_mul_hi_u32 s5, s6, s5
	v_not_b32_e32 v21, v1
	v_mul_lo_u32 v2, v19, s39
	s_add_i32 s58, s6, s5
	v_lshlrev_b32_e32 v26, 3, v0
	s_mul_hi_u32 s5, s7, s58
	v_lshl_or_b32 v27, v15, 2, 0xc00
	s_mul_i32 s5, s5, s44
	s_mul_i32 s48, s39, s44
	s_sub_i32 s5, s7, s5
	v_ashrrev_i32_e32 v3, 31, v2
	s_ashr_i32 s7, s59, 31
	s_sub_i32 s6, s5, s44
	s_cmp_ge_u32 s5, s44
	s_mov_b32 s67, 14
	v_lshlrev_b64 v[1:2], 1, v[2:3]
	s_cselect_b32 s5, s6, s5
	v_or_b32_e32 v3, 3, v16
	s_sub_i32 s6, s5, s44
	s_cmp_ge_u32 s5, s44
	s_movk_i32 s63, 0x3f80
	v_add_co_u32 v10, vcc_lo, s42, v1
	v_add3_u32 v1, s44, s36, v0
	s_cselect_b32 s6, s6, s5
	v_add_co_ci_u32_e32 v11, vcc_lo, s43, v2, vcc_lo
	v_or_b32_e32 v2, 2, v16
	s_delay_alu instid0(VALU_DEP_3)
	v_subrev_nc_u32_e32 v1, s9, v1
	s_xor_b32 s8, s6, s7
	v_mul_lo_u32 v23, s39, v3
	s_sub_i32 s7, s7, s8
	v_mul_lo_u32 v22, s39, v2
	v_mul_lo_u32 v25, s39, v1
	s_add_i32 s59, s59, s7
	v_cmp_gt_i32_e64 s5, s57, v16
	v_cmp_gt_u32_e64 s6, s36, v19
	v_cmp_gt_i32_e64 s7, s36, v19
	v_cmp_gt_i32_e64 s8, s59, v0
	s_lshl_b32 s60, s48, 2
	s_lshl_b32 s61, s44, 3
	;; [unrolled: 1-line block ×3, first 2 shown]
	s_mov_b32 s70, 0
	s_mov_b32 s72, 0
	;; [unrolled: 1-line block ×3, first 2 shown]
                                        ; implicit-def: $sgpr64
                                        ; implicit-def: $sgpr66
                                        ; implicit-def: $sgpr65
                                        ; implicit-def: $sgpr69
                                        ; implicit-def: $sgpr71
                                        ; implicit-def: $sgpr68
	s_branch .LBB64_8
.LBB64_4:                               ;   in Loop: Header=BB64_8 Depth=1
	s_xor_b32 s70, s70, 1
	s_add_i32 s13, s67, -2
	s_cmp_eq_u32 s67, 0
	s_mov_b32 s9, 0
	s_cselect_b32 s11, -1, 0
	s_mov_b32 s67, s13
.LBB64_5:                               ;   in Loop: Header=BB64_8 Depth=1
	s_and_not1_b32 s13, s15, exec_lo
	s_and_b32 s9, s9, exec_lo
	s_and_not1_b32 s19, s19, exec_lo
	s_or_b32 s15, s13, s9
	s_and_not1_b32 s14, s14, exec_lo
	s_or_not1_b32 s13, s11, exec_lo
	s_mov_b32 s37, s22
.LBB64_6:                               ;   in Loop: Header=BB64_8 Depth=1
	s_or_b32 exec_lo, exec_lo, s10
	s_delay_alu instid0(SALU_CYCLE_1)
	s_and_not1_b32 s9, s68, exec_lo
	s_and_b32 s10, s15, exec_lo
	s_and_not1_b32 s11, s69, exec_lo
	s_or_b32 s68, s9, s10
	s_and_not1_b32 s9, s71, exec_lo
	s_and_b32 s10, s19, exec_lo
	s_and_b32 s14, s14, exec_lo
	s_or_b32 s71, s9, s10
	s_or_b32 s69, s11, s14
	s_or_not1_b32 s14, s13, exec_lo
.LBB64_7:                               ;   in Loop: Header=BB64_8 Depth=1
	s_or_b32 exec_lo, exec_lo, s12
	s_delay_alu instid0(SALU_CYCLE_1)
	s_and_b32 s9, exec_lo, s14
	v_mov_b32_e32 v1, s72
	s_or_b32 s45, s9, s45
	s_and_not1_b32 s9, s65, exec_lo
	s_and_b32 s10, s68, exec_lo
	s_and_not1_b32 s11, s64, exec_lo
	s_or_b32 s65, s9, s10
	s_and_not1_b32 s9, s66, exec_lo
	s_and_b32 s10, s71, exec_lo
	s_and_b32 s12, s69, exec_lo
	s_or_b32 s66, s9, s10
	s_or_b32 s64, s11, s12
	s_and_not1_b32 exec_lo, exec_lo, s45
	s_cbranch_execz .LBB64_239
.LBB64_8:                               ; =>This Loop Header: Depth=1
                                        ;     Child Loop BB64_13 Depth 2
                                        ;     Child Loop BB64_32 Depth 2
	;; [unrolled: 1-line block ×16, first 2 shown]
	ds_load_b64 v[1:2], v7 offset:4096
	s_waitcnt lgkmcnt(0)
	v_readfirstlane_b32 s74, v1
	s_delay_alu instid0(VALU_DEP_1)
	s_cmp_gt_i32 s74, 0
	s_cbranch_scc1 .LBB64_39
; %bb.9:                                ;   in Loop: Header=BB64_8 Depth=1
	s_and_b32 vcc_lo, exec_lo, s50
	s_cbranch_vccz .LBB64_21
; %bb.10:                               ;   in Loop: Header=BB64_8 Depth=1
	v_cmp_gt_i32_e32 vcc_lo, 0x601, v2
	s_mov_b32 s10, 0
	s_mov_b32 s9, 0
	s_cbranch_vccz .LBB64_26
; %bb.11:                               ;   in Loop: Header=BB64_8 Depth=1
	global_load_u16 v1, v7, s[40:41]
	global_load_u16 v4, v[8:9], off
	v_mov_b32_e32 v3, v0
	s_mov_b32 s11, 0
	s_waitcnt vmcnt(1)
	v_add_nc_u32_e32 v2, v0, v1
	s_delay_alu instid0(VALU_DEP_1)
	v_mul_lo_u32 v6, s39, v2
	v_mul_lo_u32 v2, s39, v1
	s_branch .LBB64_13
.LBB64_12:                              ;   in Loop: Header=BB64_13 Depth=2
	s_or_b32 exec_lo, exec_lo, s9
	v_cmp_le_i32_e32 vcc_lo, s36, v3
	v_add_nc_u32_e32 v6, v6, v2
	v_mov_b32_e32 v4, v13
	s_or_b32 s11, vcc_lo, s11
	s_delay_alu instid0(SALU_CYCLE_1)
	s_and_not1_b32 exec_lo, exec_lo, s11
	s_cbranch_execz .LBB64_22
.LBB64_13:                              ;   Parent Loop BB64_8 Depth=1
                                        ; =>  This Inner Loop Header: Depth=2
	s_waitcnt lgkmcnt(0)
	v_dual_mov_b32 v14, 0 :: v_dual_add_nc_u32 v3, v3, v1
	v_mov_b32_e32 v13, 0
	s_mov_b32 s9, exec_lo
	s_delay_alu instid0(VALU_DEP_2)
	v_cmpx_gt_u32_e64 s36, v3
	s_cbranch_execz .LBB64_15
; %bb.14:                               ;   in Loop: Header=BB64_13 Depth=2
	v_lshlrev_b64 v[30:31], 1, v[6:7]
	s_delay_alu instid0(VALU_DEP_1) | instskip(NEXT) | instid1(VALU_DEP_2)
	v_add_co_u32 v30, vcc_lo, s42, v30
	v_add_co_ci_u32_e32 v31, vcc_lo, s43, v31, vcc_lo
	global_load_u16 v13, v[30:31], off
.LBB64_15:                              ;   in Loop: Header=BB64_13 Depth=2
	s_or_b32 exec_lo, exec_lo, s9
	s_waitcnt vmcnt(0)
	v_cmp_lt_i16_e32 vcc_lo, -1, v4
	v_and_b32_e32 v30, 0xffff, v4
	v_lshlrev_b32_e32 v32, 16, v4
	v_cndmask_b32_e32 v31, 0xffff, v28, vcc_lo
	s_delay_alu instid0(VALU_DEP_2) | instskip(NEXT) | instid1(VALU_DEP_2)
	v_cmp_o_f32_e32 vcc_lo, v32, v32
	v_xor_b32_e32 v30, v31, v30
	s_delay_alu instid0(VALU_DEP_1) | instskip(NEXT) | instid1(VALU_DEP_1)
	v_cndmask_b32_e32 v30, 0xffff, v30, vcc_lo
	v_and_b32_e32 v30, s73, v30
	s_delay_alu instid0(VALU_DEP_1) | instskip(SKIP_2) | instid1(SALU_CYCLE_1)
	v_cmp_eq_u32_e32 vcc_lo, s72, v30
	s_cmp_lg_u32 vcc_lo, 0
	s_cselect_b32 s9, -1, 0
	s_and_b32 s9, s4, s9
	s_delay_alu instid0(SALU_CYCLE_1)
	s_and_saveexec_b32 s12, s9
	s_cbranch_execz .LBB64_19
; %bb.16:                               ;   in Loop: Header=BB64_13 Depth=2
	s_mov_b32 s15, exec_lo
	s_bcnt1_i32_b32 s13, vcc_lo
	v_mbcnt_lo_u32_b32 v14, s15, 0
	s_mov_b32 s14, exec_lo
                                        ; implicit-def: $vgpr30
	s_delay_alu instid0(VALU_DEP_1)
	v_cmpx_eq_u32_e32 0, v14
	s_cbranch_execz .LBB64_18
; %bb.17:                               ;   in Loop: Header=BB64_13 Depth=2
	s_bcnt1_i32_b32 s9, s15
	s_delay_alu instid0(SALU_CYCLE_1) | instskip(NEXT) | instid1(SALU_CYCLE_1)
	s_mul_i32 s9, s13, s9
	v_mov_b32_e32 v30, s9
	ds_add_rtn_u32 v30, v7, v30 offset:4104
.LBB64_18:                              ;   in Loop: Header=BB64_13 Depth=2
	s_or_b32 exec_lo, exec_lo, s14
	s_waitcnt lgkmcnt(0)
	v_readfirstlane_b32 s9, v30
	s_delay_alu instid0(VALU_DEP_1)
	v_mad_u32_u24 v14, s13, v14, s9
.LBB64_19:                              ;   in Loop: Header=BB64_13 Depth=2
	s_or_b32 exec_lo, exec_lo, s12
	ds_bpermute_b32 v14, v7, v14
	s_and_saveexec_b32 s9, vcc_lo
	s_cbranch_execz .LBB64_12
; %bb.20:                               ;   in Loop: Header=BB64_13 Depth=2
	v_and_b32_e32 v30, vcc_lo, v21
	s_delay_alu instid0(VALU_DEP_1) | instskip(NEXT) | instid1(VALU_DEP_1)
	v_bcnt_u32_b32 v30, v30, 0
	v_lshlrev_b32_e32 v30, 1, v30
	s_waitcnt lgkmcnt(0)
	s_delay_alu instid0(VALU_DEP_1)
	v_lshl_add_u32 v14, v14, 1, v30
	ds_store_b16 v14, v4
	s_branch .LBB64_12
.LBB64_21:                              ;   in Loop: Header=BB64_8 Depth=1
	s_mov_b32 s10, -1
	s_mov_b32 s9, 0
	s_branch .LBB64_25
.LBB64_22:                              ;   in Loop: Header=BB64_8 Depth=1
	s_or_b32 exec_lo, exec_lo, s11
	s_waitcnt lgkmcnt(0)
	s_barrier
	buffer_gl0_inv
	s_and_saveexec_b32 s9, s2
	s_cbranch_execz .LBB64_24
; %bb.23:                               ;   in Loop: Header=BB64_8 Depth=1
	ds_load_b32 v1, v7 offset:4104
	s_waitcnt lgkmcnt(0)
	ds_store_b32 v7, v1 offset:4096
.LBB64_24:                              ;   in Loop: Header=BB64_8 Depth=1
	s_or_b32 exec_lo, exec_lo, s9
	s_waitcnt lgkmcnt(0)
	s_mov_b32 s9, -1
	s_barrier
.LBB64_25:                              ;   in Loop: Header=BB64_8 Depth=1
                                        ; implicit-def: $sgpr74
.LBB64_26:                              ;   in Loop: Header=BB64_8 Depth=1
	s_and_b32 vcc_lo, exec_lo, s10
	s_cbranch_vccz .LBB64_37
; %bb.27:                               ;   in Loop: Header=BB64_8 Depth=1
	v_mov_b32_e32 v1, 0
	s_and_saveexec_b32 s9, s1
	s_cbranch_execz .LBB64_29
; %bb.28:                               ;   in Loop: Header=BB64_8 Depth=1
	global_load_u16 v1, v[8:9], off
.LBB64_29:                              ;   in Loop: Header=BB64_8 Depth=1
	s_or_b32 exec_lo, exec_lo, s9
	s_and_saveexec_b32 s9, s3
	s_cbranch_execz .LBB64_34
; %bb.30:                               ;   in Loop: Header=BB64_8 Depth=1
	global_load_u16 v2, v7, s[40:41]
	v_mov_b32_e32 v14, v0
	s_mov_b32 s10, 0
	v_mov_b32_e32 v13, v17
	s_waitcnt vmcnt(0)
	v_add_nc_u32_e32 v3, v0, v2
	v_lshlrev_b32_e32 v4, 1, v2
	s_delay_alu instid0(VALU_DEP_2)
	v_mul_lo_u32 v6, s39, v3
	v_mul_lo_u32 v3, s39, v2
	s_branch .LBB64_32
	.p2align	6
.LBB64_31:                              ;   in Loop: Header=BB64_32 Depth=2
	s_or_b32 exec_lo, exec_lo, s11
	v_cmp_le_i32_e32 vcc_lo, s36, v14
	ds_store_b16 v13, v1
	v_add_nc_u32_e32 v13, v13, v4
	v_add_nc_u32_e32 v6, v6, v3
	s_waitcnt vmcnt(0)
	v_mov_b32_e32 v1, v30
	s_or_b32 s10, vcc_lo, s10
	s_delay_alu instid0(SALU_CYCLE_1)
	s_and_not1_b32 exec_lo, exec_lo, s10
	s_cbranch_execz .LBB64_34
.LBB64_32:                              ;   Parent Loop BB64_8 Depth=1
                                        ; =>  This Inner Loop Header: Depth=2
	v_add_nc_u32_e32 v14, v14, v2
	v_mov_b32_e32 v30, 0
	s_mov_b32 s11, exec_lo
	s_delay_alu instid0(VALU_DEP_2)
	v_cmpx_gt_u32_e64 s36, v14
	s_cbranch_execz .LBB64_31
; %bb.33:                               ;   in Loop: Header=BB64_32 Depth=2
	v_lshlrev_b64 v[30:31], 1, v[6:7]
	s_delay_alu instid0(VALU_DEP_1) | instskip(NEXT) | instid1(VALU_DEP_2)
	v_add_co_u32 v30, vcc_lo, s42, v30
	v_add_co_ci_u32_e32 v31, vcc_lo, s43, v31, vcc_lo
	global_load_u16 v30, v[30:31], off
	s_branch .LBB64_31
.LBB64_34:                              ;   in Loop: Header=BB64_8 Depth=1
	s_or_b32 exec_lo, exec_lo, s9
	s_waitcnt vmcnt(0) lgkmcnt(0)
	s_barrier
	buffer_gl0_inv
	s_and_saveexec_b32 s9, s2
	s_cbranch_execz .LBB64_36
; %bb.35:                               ;   in Loop: Header=BB64_8 Depth=1
	v_mov_b32_e32 v1, s36
	ds_store_b32 v7, v1 offset:4096
.LBB64_36:                              ;   in Loop: Header=BB64_8 Depth=1
	s_or_b32 exec_lo, exec_lo, s9
	s_mov_b32 s9, -1
	s_waitcnt lgkmcnt(0)
	s_barrier
                                        ; implicit-def: $sgpr74
.LBB64_37:                              ;   in Loop: Header=BB64_8 Depth=1
	s_and_b32 vcc_lo, exec_lo, s9
	s_cbranch_vccz .LBB64_39
; %bb.38:                               ;   in Loop: Header=BB64_8 Depth=1
	buffer_gl0_inv
	ds_load_b32 v1, v7 offset:4096
	s_waitcnt lgkmcnt(0)
	v_readfirstlane_b32 s74, v1
.LBB64_39:                              ;   in Loop: Header=BB64_8 Depth=1
	s_delay_alu instid0(VALU_DEP_1)
	s_cmp_lt_i32 s74, 1
	s_cbranch_scc0 .LBB64_43
; %bb.40:                               ;   in Loop: Header=BB64_8 Depth=1
	v_dual_mov_b32 v1, 0 :: v_dual_mov_b32 v2, 0
	v_dual_mov_b32 v3, 0 :: v_dual_mov_b32 v4, 0
	s_mov_b32 s76, 0
	s_and_saveexec_b32 s75, s5
	s_cbranch_execnz .LBB64_44
; %bb.41:                               ;   in Loop: Header=BB64_8 Depth=1
	s_or_b32 exec_lo, exec_lo, s75
	v_mov_b32_e32 v30, 0
	s_and_saveexec_b32 s9, s6
	s_cbranch_execnz .LBB64_47
.LBB64_42:                              ;   in Loop: Header=BB64_8 Depth=1
	s_or_b32 exec_lo, exec_lo, s9
	s_and_saveexec_b32 s13, s7
	s_cbranch_execnz .LBB64_48
	s_branch .LBB64_53
.LBB64_43:                              ;   in Loop: Header=BB64_8 Depth=1
                                        ; implicit-def: $vgpr4
	s_cbranch_execnz .LBB64_54
	s_branch .LBB64_63
.LBB64_44:                              ;   in Loop: Header=BB64_8 Depth=1
	v_mov_b32_e32 v6, v16
	s_and_b32 s77, s67, 0xfe
	s_mov_b32 s78, 0
	s_mov_b32 s79, 0
	;; [unrolled: 1-line block ×5, first 2 shown]
.LBB64_45:                              ;   Parent Loop BB64_8 Depth=1
                                        ; =>  This Inner Loop Header: Depth=2
	v_add_nc_u32_e32 v1, s78, v24
	v_add_nc_u32_e32 v3, s78, v12
	;; [unrolled: 1-line block ×4, first 2 shown]
	s_add_i32 s78, s78, s60
	v_ashrrev_i32_e32 v2, 31, v1
	v_ashrrev_i32_e32 v4, 31, v3
	;; [unrolled: 1-line block ×4, first 2 shown]
	s_delay_alu instid0(VALU_DEP_4) | instskip(NEXT) | instid1(VALU_DEP_4)
	v_lshlrev_b64 v[1:2], 1, v[1:2]
	v_lshlrev_b64 v[3:4], 1, v[3:4]
	s_delay_alu instid0(VALU_DEP_4) | instskip(NEXT) | instid1(VALU_DEP_4)
	v_lshlrev_b64 v[13:14], 1, v[13:14]
	v_lshlrev_b64 v[30:31], 1, v[30:31]
	s_delay_alu instid0(VALU_DEP_4)
	v_add_co_u32 v1, vcc_lo, s42, v1
	v_add_co_ci_u32_e32 v2, vcc_lo, s43, v2, vcc_lo
	v_add_co_u32 v3, vcc_lo, s42, v3
	v_add_co_ci_u32_e32 v4, vcc_lo, s43, v4, vcc_lo
	;; [unrolled: 2-line block ×4, first 2 shown]
	s_clause 0x3
	global_load_u16 v1, v[1:2], off
	global_load_u16 v2, v[3:4], off
	;; [unrolled: 1-line block ×4, first 2 shown]
	s_waitcnt vmcnt(3)
	v_cmp_lt_i16_e64 s9, -1, v1
	v_and_b32_e32 v13, 0xffff, v1
	v_lshlrev_b32_e32 v1, 16, v1
	s_waitcnt vmcnt(2)
	v_and_b32_e32 v30, 0xffff, v2
	s_waitcnt vmcnt(1)
	v_and_b32_e32 v32, 0xffff, v3
	v_cndmask_b32_e64 v14, 0xffff, v28, s9
	v_cmp_lt_i16_e64 s9, -1, v2
	v_lshlrev_b32_e32 v2, 16, v2
	v_cmp_o_f32_e64 s12, v1, v1
	s_waitcnt vmcnt(0)
	v_and_b32_e32 v34, 0xffff, v4
	v_xor_b32_e32 v13, v14, v13
	v_cndmask_b32_e64 v31, 0xffff, v28, s9
	v_cmp_lt_i16_e64 s9, -1, v3
	v_lshlrev_b32_e32 v3, 16, v3
	s_delay_alu instid0(VALU_DEP_4) | instskip(NEXT) | instid1(VALU_DEP_4)
	v_cndmask_b32_e64 v1, 0xffff, v13, s12
	v_xor_b32_e32 v14, v31, v30
	s_delay_alu instid0(VALU_DEP_4)
	v_cndmask_b32_e64 v33, 0xffff, v28, s9
	v_cmp_lt_i16_e64 s9, -1, v4
	v_lshlrev_b32_e32 v4, 16, v4
	v_cmp_o_f32_e64 s10, v3, v3
	v_and_b32_e32 v13, s73, v1
	v_bfe_u32 v1, v1, s77, 2
	v_cndmask_b32_e64 v35, 0xffff, v28, s9
	v_cmp_o_f32_e64 s9, v2, v2
	v_xor_b32_e32 v2, v33, v32
	v_cmp_o_f32_e64 s11, v4, v4
	v_cmp_eq_u32_e64 s13, 0, v1
	v_xor_b32_e32 v3, v35, v34
	v_cndmask_b32_e64 v4, 0xffff, v14, s9
	v_cndmask_b32_e64 v2, 0xffff, v2, s10
	v_cmp_eq_u32_e64 s9, s72, v13
	v_cmp_eq_u32_e64 s17, 1, v1
	v_cndmask_b32_e64 v3, 0xffff, v3, s11
	v_and_b32_e32 v14, s73, v4
	v_bfe_u32 v4, v4, s77, 2
	v_and_b32_e32 v30, s73, v2
	v_bfe_u32 v2, v2, s77, 2
	;; [unrolled: 2-line block ×3, first 2 shown]
	v_cmp_eq_u32_e64 s10, s72, v14
	v_cmp_eq_u32_e64 s14, 0, v4
	;; [unrolled: 1-line block ×4, first 2 shown]
	s_and_b32 s13, s9, s13
	v_cmp_eq_u32_e64 s12, s72, v31
	v_cmp_eq_u32_e64 s16, 0, v3
	;; [unrolled: 1-line block ×4, first 2 shown]
	v_cndmask_b32_e64 v1, 0, 1, s13
	s_and_b32 s13, s10, s14
	v_cmp_eq_u32_e64 s19, 1, v2
	v_cmp_eq_u32_e64 s23, 2, v2
	;; [unrolled: 1-line block ×3, first 2 shown]
	v_cndmask_b32_e64 v2, 0, 1, s13
	s_and_b32 s13, s11, s15
	v_cmp_eq_u32_e64 s18, 1, v4
	v_cmp_eq_u32_e64 s20, 1, v3
	;; [unrolled: 1-line block ×4, first 2 shown]
	v_cndmask_b32_e64 v3, 0, 1, s13
	s_and_b32 s13, s12, s16
	v_cmp_eq_u32_e64 s22, 2, v4
	v_cmp_eq_u32_e64 s26, 3, v4
	v_cndmask_b32_e64 v4, 0, 1, s13
	s_and_b32 s13, s9, s17
	s_delay_alu instid0(SALU_CYCLE_1) | instskip(SKIP_1) | instid1(SALU_CYCLE_1)
	v_cndmask_b32_e64 v13, 0, 1, s13
	s_and_b32 s13, s10, s18
	v_cndmask_b32_e64 v14, 0, 1, s13
	s_and_b32 s13, s11, s19
	s_delay_alu instid0(SALU_CYCLE_1) | instskip(SKIP_1) | instid1(VALU_DEP_2)
	v_cndmask_b32_e64 v30, 0, 1, s13
	s_and_b32 s13, s12, s20
	v_cmp_ne_u32_e64 s14, 0, v14
	v_cndmask_b32_e64 v31, 0, 1, s13
	s_and_b32 s13, s9, s21
	s_and_b32 s9, s9, s25
	v_cndmask_b32_e64 v32, 0, 1, s13
	s_and_b32 s13, s10, s22
	v_cndmask_b32_e64 v36, 0, 1, s9
	;; [unrolled: 2-line block ×7, first 2 shown]
	v_cndmask_b32_e64 v39, 0, 1, s9
	v_cmp_ne_u32_e64 s9, 0, v1
	v_cmp_ne_u32_e64 s13, 0, v13
	v_cmp_ne_u32_e64 s17, 0, v32
	v_cmp_ne_u32_e64 s10, 0, v2
	v_cmp_ne_u32_e64 s18, 0, v33
	v_cmp_ne_u32_e64 s11, 0, v3
	v_cmp_ne_u32_e64 s19, 0, v34
	v_cmp_ne_u32_e64 s21, 0, v36
	s_bcnt1_i32_b32 s9, s9
	s_bcnt1_i32_b32 s13, s13
	;; [unrolled: 1-line block ×3, first 2 shown]
	v_cmp_ne_u32_e64 s20, 0, v35
	v_cmp_ne_u32_e64 s22, 0, v37
	s_bcnt1_i32_b32 s10, s10
	s_bcnt1_i32_b32 s14, s14
	;; [unrolled: 1-line block ×3, first 2 shown]
	s_add_i32 s9, s9, s82
	s_add_i32 s13, s13, s81
	;; [unrolled: 1-line block ×3, first 2 shown]
	v_cmp_ne_u32_e64 s15, 0, v30
	v_cmp_ne_u32_e64 s23, 0, v38
	s_bcnt1_i32_b32 s11, s11
	s_bcnt1_i32_b32 s19, s19
	s_add_i32 s9, s9, s10
	s_add_i32 s10, s13, s14
	;; [unrolled: 1-line block ×3, first 2 shown]
	s_bcnt1_i32_b32 s21, s21
	v_cmp_ne_u32_e64 s12, 0, v4
	v_cmp_ne_u32_e64 s16, 0, v31
	;; [unrolled: 1-line block ×3, first 2 shown]
	s_bcnt1_i32_b32 s20, s20
	s_add_i32 s9, s9, s11
	s_add_i32 s11, s13, s19
	s_bcnt1_i32_b32 s22, s22
	s_add_i32 s21, s21, s79
	s_add_i32 s80, s11, s20
	s_delay_alu instid0(SALU_CYCLE_1)
	v_dual_mov_b32 v3, s80 :: v_dual_add_nc_u32 v6, s46, v6
	s_bcnt1_i32_b32 s15, s15
	s_bcnt1_i32_b32 s23, s23
	s_add_i32 s14, s21, s22
	s_bcnt1_i32_b32 s12, s12
	s_bcnt1_i32_b32 s16, s16
	;; [unrolled: 1-line block ×3, first 2 shown]
	s_add_i32 s10, s10, s15
	s_add_i32 s13, s14, s23
	v_cmp_le_i32_e32 vcc_lo, s57, v6
	s_add_i32 s82, s9, s12
	s_add_i32 s81, s10, s16
	;; [unrolled: 1-line block ×3, first 2 shown]
	v_dual_mov_b32 v1, s82 :: v_dual_mov_b32 v2, s81
	v_mov_b32_e32 v4, s79
	s_or_b32 s76, vcc_lo, s76
	s_delay_alu instid0(SALU_CYCLE_1)
	s_and_not1_b32 exec_lo, exec_lo, s76
	s_cbranch_execnz .LBB64_45
; %bb.46:                               ;   in Loop: Header=BB64_8 Depth=1
	s_or_b32 exec_lo, exec_lo, s76
	s_delay_alu instid0(SALU_CYCLE_1)
	s_or_b32 exec_lo, exec_lo, s75
	v_mov_b32_e32 v30, 0
	s_and_saveexec_b32 s9, s6
	s_cbranch_execz .LBB64_42
.LBB64_47:                              ;   in Loop: Header=BB64_8 Depth=1
	global_load_u16 v30, v[10:11], off
	s_or_b32 exec_lo, exec_lo, s9
	s_and_saveexec_b32 s13, s7
	s_cbranch_execz .LBB64_53
.LBB64_48:                              ;   in Loop: Header=BB64_8 Depth=1
	v_dual_mov_b32 v13, v25 :: v_dual_mov_b32 v6, v19
	s_and_b32 s15, s67, 0xfe
	s_mov_b32 s14, 0
	s_branch .LBB64_50
.LBB64_49:                              ;   in Loop: Header=BB64_50 Depth=2
	s_or_b32 exec_lo, exec_lo, s9
	s_waitcnt vmcnt(0)
	v_cmp_lt_i16_e32 vcc_lo, -1, v30
	v_and_b32_e32 v31, 0xffff, v30
	v_lshlrev_b32_e32 v30, 16, v30
	v_add_nc_u32_e32 v13, s48, v13
	v_cndmask_b32_e32 v32, 0xffff, v28, vcc_lo
	s_delay_alu instid0(VALU_DEP_3) | instskip(NEXT) | instid1(VALU_DEP_2)
	v_cmp_o_f32_e32 vcc_lo, v30, v30
	v_xor_b32_e32 v31, v32, v31
	s_delay_alu instid0(VALU_DEP_1) | instskip(NEXT) | instid1(VALU_DEP_1)
	v_cndmask_b32_e32 v30, 0xffff, v31, vcc_lo
	v_and_b32_e32 v31, s73, v30
	v_bfe_u32 v30, v30, s15, 2
	s_delay_alu instid0(VALU_DEP_2) | instskip(NEXT) | instid1(VALU_DEP_2)
	v_cmp_eq_u32_e32 vcc_lo, s72, v31
	v_cmp_eq_u32_e64 s9, 0, v30
	v_cmp_eq_u32_e64 s10, 1, v30
	;; [unrolled: 1-line block ×4, first 2 shown]
	s_delay_alu instid0(VALU_DEP_4) | instskip(NEXT) | instid1(SALU_CYCLE_1)
	s_and_b32 s9, vcc_lo, s9
	v_cndmask_b32_e64 v30, 0, 1, s9
	s_and_b32 s9, vcc_lo, s10
	s_delay_alu instid0(SALU_CYCLE_1) | instskip(SKIP_1) | instid1(SALU_CYCLE_1)
	v_cndmask_b32_e64 v31, 0, 1, s9
	s_and_b32 s9, vcc_lo, s11
	v_cndmask_b32_e64 v32, 0, 1, s9
	s_and_b32 s9, vcc_lo, s12
	v_cmp_ne_u32_e32 vcc_lo, 0, v30
	v_mov_b32_e32 v30, v14
	v_cndmask_b32_e64 v33, 0, 1, s9
	v_cmp_ne_u32_e64 s9, 0, v31
	v_cmp_ne_u32_e64 s10, 0, v32
	v_cmp_le_i32_e64 s12, s36, v6
	s_bcnt1_i32_b32 s16, vcc_lo
	v_cmp_ne_u32_e64 s11, 0, v33
	s_bcnt1_i32_b32 s9, s9
	s_bcnt1_i32_b32 s10, s10
	v_add_nc_u32_e32 v1, s16, v1
	v_add_nc_u32_e32 v2, s9, v2
	s_bcnt1_i32_b32 s11, s11
	v_add_nc_u32_e32 v3, s10, v3
	v_add_nc_u32_e32 v4, s11, v4
	s_or_b32 s14, s12, s14
	s_delay_alu instid0(SALU_CYCLE_1)
	s_and_not1_b32 exec_lo, exec_lo, s14
	s_cbranch_execz .LBB64_52
.LBB64_50:                              ;   Parent Loop BB64_8 Depth=1
                                        ; =>  This Inner Loop Header: Depth=2
	s_delay_alu instid0(VALU_DEP_1) | instskip(SKIP_2) | instid1(VALU_DEP_2)
	v_add_nc_u32_e32 v6, s44, v6
	v_mov_b32_e32 v14, 0
	s_mov_b32 s9, exec_lo
	v_cmpx_gt_u32_e64 s36, v6
	s_cbranch_execz .LBB64_49
; %bb.51:                               ;   in Loop: Header=BB64_50 Depth=2
	v_ashrrev_i32_e32 v14, 31, v13
	s_delay_alu instid0(VALU_DEP_1) | instskip(NEXT) | instid1(VALU_DEP_1)
	v_lshlrev_b64 v[31:32], 1, v[13:14]
	v_add_co_u32 v31, vcc_lo, s42, v31
	s_delay_alu instid0(VALU_DEP_2)
	v_add_co_ci_u32_e32 v32, vcc_lo, s43, v32, vcc_lo
	global_load_u16 v14, v[31:32], off
	s_branch .LBB64_49
.LBB64_52:                              ;   in Loop: Header=BB64_8 Depth=1
	s_or_b32 exec_lo, exec_lo, s14
.LBB64_53:                              ;   in Loop: Header=BB64_8 Depth=1
	s_delay_alu instid0(SALU_CYCLE_1)
	s_or_b32 exec_lo, exec_lo, s13
	s_branch .LBB64_63
.LBB64_54:                              ;   in Loop: Header=BB64_8 Depth=1
	s_mul_hi_u32 s9, s74, s56
	v_dual_mov_b32 v1, 0 :: v_dual_mov_b32 v2, 0
	s_mul_i32 s9, s9, s46
	v_dual_mov_b32 v3, 0 :: v_dual_mov_b32 v4, 0
	s_sub_i32 s9, s74, s9
	s_mov_b32 s25, 0
	s_sub_i32 s10, s9, s46
	s_cmp_ge_u32 s9, s46
	s_mov_b32 s24, exec_lo
	s_cselect_b32 s9, s10, s9
	s_delay_alu instid0(SALU_CYCLE_1) | instskip(SKIP_2) | instid1(SALU_CYCLE_1)
	s_sub_i32 s10, s9, s46
	s_cmp_ge_u32 s9, s46
	s_cselect_b32 s9, s10, s9
	s_sub_i32 s23, s74, s9
	s_delay_alu instid0(SALU_CYCLE_1)
	v_cmpx_gt_u32_e64 s23, v16
	s_cbranch_execz .LBB64_58
; %bb.55:                               ;   in Loop: Header=BB64_8 Depth=1
	v_dual_mov_b32 v6, v26 :: v_dual_mov_b32 v13, v16
	s_and_b32 s26, s67, 0xfe
	s_mov_b32 s27, 0
	s_mov_b32 s28, 0
	;; [unrolled: 1-line block ×4, first 2 shown]
.LBB64_56:                              ;   Parent Loop BB64_8 Depth=1
                                        ; =>  This Inner Loop Header: Depth=2
	ds_load_b64 v[1:2], v6
	s_waitcnt lgkmcnt(0)
	v_cmp_lt_i16_e64 s9, -1, v1
	v_lshrrev_b32_e32 v4, 16, v2
	v_lshrrev_b32_e32 v3, 16, v1
	v_and_b32_e32 v14, 0xffff, v1
	v_lshlrev_b32_e32 v31, 16, v1
	s_waitcnt vmcnt(0)
	v_cndmask_b32_e64 v30, 0xffff, v28, s9
	v_cmp_lt_i16_e64 s9, -1, v2
	v_and_b32_e32 v32, 0xffff, v2
	v_cmp_lt_i16_e64 s10, -1, v4
	v_lshlrev_b32_e32 v34, 16, v2
	v_xor_b32_e32 v14, v30, v14
	v_cndmask_b32_e64 v33, 0xffff, v28, s9
	v_cmp_lt_i16_e64 s9, -1, v3
	v_and_b32_e32 v1, 0xffff0000, v1
	v_and_b32_e32 v2, 0xffff0000, v2
	s_delay_alu instid0(VALU_DEP_4) | instskip(SKIP_4) | instid1(VALU_DEP_4)
	v_xor_b32_e32 v32, v33, v32
	v_cndmask_b32_e64 v33, 0xffff, v28, s10
	v_cmp_o_f32_e64 s10, v31, v31
	v_cndmask_b32_e64 v30, 0xffff, v28, s9
	v_cmp_o_f32_e64 s9, v34, v34
	v_xor_b32_e32 v4, v33, v4
	s_delay_alu instid0(VALU_DEP_4) | instskip(NEXT) | instid1(VALU_DEP_4)
	v_cndmask_b32_e64 v14, 0xffff, v14, s10
	v_xor_b32_e32 v3, v30, v3
	s_delay_alu instid0(VALU_DEP_4) | instskip(SKIP_4) | instid1(VALU_DEP_3)
	v_cndmask_b32_e64 v30, 0xffff, v32, s9
	v_cmp_o_f32_e64 s9, v2, v2
	v_cmp_o_f32_e64 s10, v1, v1
	v_and_b32_e32 v2, s73, v14
	v_bfe_u32 v14, v14, s26, 2
	v_cndmask_b32_e64 v1, 0xffff, v3, s10
	v_cndmask_b32_e64 v3, 0xffff, v4, s9
	v_and_b32_e32 v4, s73, v30
	v_bfe_u32 v30, v30, s26, 2
	v_cmp_eq_u32_e64 s9, s72, v2
	v_cmp_eq_u32_e64 s11, 0, v14
	v_and_b32_e32 v2, s73, v1
	v_cmp_eq_u32_e64 s10, s72, v4
	v_cmp_eq_u32_e64 s12, 0, v30
	v_and_b32_e32 v4, s73, v3
	v_bfe_u32 v1, v1, s26, 2
	v_bfe_u32 v3, v3, s26, 2
	v_cmp_eq_u32_e64 s13, 1, v14
	v_cmp_eq_u32_e64 s15, 2, v14
	s_and_b32 s11, s9, s11
	v_cmp_eq_u32_e64 s14, 1, v30
	v_cmp_eq_u32_e64 s16, 2, v30
	;; [unrolled: 1-line block ×4, first 2 shown]
	v_cndmask_b32_e64 v2, 0, 1, s11
	s_and_b32 s11, s10, s12
	v_cmp_eq_u32_e64 s18, 3, v30
	v_cmp_eq_u32_e64 s20, s72, v4
	;; [unrolled: 1-line block ×4, first 2 shown]
	v_cndmask_b32_e64 v4, 0, 1, s11
	v_cmp_eq_u32_e64 s11, 1, v1
	s_and_b32 s13, s9, s13
	s_and_b32 s15, s9, s15
	v_cndmask_b32_e64 v14, 0, 1, s13
	s_and_b32 s13, s10, s14
	v_cndmask_b32_e64 v31, 0, 1, s15
	s_and_b32 s15, s10, s16
	s_and_b32 s9, s9, s17
	v_cmp_eq_u32_e64 s12, 1, v3
	v_cndmask_b32_e64 v30, 0, 1, s13
	v_cmp_eq_u32_e64 s13, 2, v1
	v_cmp_eq_u32_e64 s14, 2, v3
	v_cndmask_b32_e64 v32, 0, 1, s15
	v_cmp_eq_u32_e64 s15, 3, v1
	v_cmp_eq_u32_e64 s16, 3, v3
	v_cndmask_b32_e64 v1, 0, 1, s9
	s_and_b32 s9, s10, s18
	s_and_b32 s10, s19, s21
	;; [unrolled: 1-line block ×4, first 2 shown]
	v_cndmask_b32_e64 v3, 0, 1, s9
	v_cmp_ne_u32_e64 s9, 0, v2
	v_cndmask_b32_e64 v2, 0, 1, s10
	v_cmp_ne_u32_e64 s10, 0, v4
	;; [unrolled: 2-line block ×3, first 2 shown]
	v_cndmask_b32_e64 v14, 0, 1, s11
	s_and_b32 s12, s20, s12
	s_and_b32 s13, s19, s13
	;; [unrolled: 1-line block ×5, first 2 shown]
	v_cmp_ne_u32_e64 s11, 0, v30
	v_cndmask_b32_e64 v30, 0, 1, s12
	v_cmp_ne_u32_e64 s12, 0, v31
	v_cndmask_b32_e64 v31, 0, 1, s13
	;; [unrolled: 2-line block ×5, first 2 shown]
	v_cmp_ne_u32_e64 s16, 0, v14
	s_bcnt1_i32_b32 s17, s17
	s_bcnt1_i32_b32 s20, s11
	v_cmp_ne_u32_e64 s11, 0, v30
	s_bcnt1_i32_b32 s18, s9
	v_cmp_ne_u32_e64 s9, 0, v2
	;; [unrolled: 2-line block ×4, first 2 shown]
	s_add_i32 s17, s17, s75
	s_bcnt1_i32_b32 s16, s16
	s_bcnt1_i32_b32 s19, s10
	s_add_i32 s16, s17, s16
	v_cmp_ne_u32_e64 s10, 0, v4
	s_bcnt1_i32_b32 s22, s13
	v_cmp_ne_u32_e64 s13, 0, v32
	s_bcnt1_i32_b32 s78, s15
	;; [unrolled: 2-line block ×3, first 2 shown]
	s_add_i32 s16, s16, s20
	s_add_i32 s18, s18, s76
	;; [unrolled: 1-line block ×4, first 2 shown]
	s_bcnt1_i32_b32 s9, s9
	s_bcnt1_i32_b32 s12, s12
	;; [unrolled: 1-line block ×3, first 2 shown]
	s_add_i32 s75, s16, s11
	s_delay_alu instid0(SALU_CYCLE_1)
	v_dual_mov_b32 v2, s75 :: v_dual_add_nc_u32 v13, s46, v13
	s_add_i32 s9, s18, s9
	s_add_i32 s12, s21, s12
	;; [unrolled: 1-line block ×3, first 2 shown]
	s_bcnt1_i32_b32 s10, s10
	s_bcnt1_i32_b32 s13, s13
	;; [unrolled: 1-line block ×3, first 2 shown]
	s_add_i32 s9, s9, s19
	s_add_i32 s12, s12, s22
	;; [unrolled: 1-line block ×3, first 2 shown]
	v_cmp_le_i32_e32 vcc_lo, s23, v13
	s_add_i32 s76, s9, s10
	s_add_i32 s28, s12, s13
	;; [unrolled: 1-line block ×3, first 2 shown]
	v_dual_mov_b32 v1, s76 :: v_dual_add_nc_u32 v6, s61, v6
	v_dual_mov_b32 v3, s28 :: v_dual_mov_b32 v4, s27
	s_or_b32 s25, vcc_lo, s25
	s_delay_alu instid0(SALU_CYCLE_1)
	s_and_not1_b32 exec_lo, exec_lo, s25
	s_cbranch_execnz .LBB64_56
; %bb.57:                               ;   in Loop: Header=BB64_8 Depth=1
	s_or_b32 exec_lo, exec_lo, s25
.LBB64_58:                              ;   in Loop: Header=BB64_8 Depth=1
	s_delay_alu instid0(SALU_CYCLE_1) | instskip(SKIP_2) | instid1(VALU_DEP_1)
	s_or_b32 exec_lo, exec_lo, s24
	v_add_nc_u32_e32 v6, s23, v0
	s_mov_b32 s14, exec_lo
	v_cmpx_gt_i32_e64 s74, v6
	s_cbranch_execz .LBB64_62
; %bb.59:                               ;   in Loop: Header=BB64_8 Depth=1
	v_lshlrev_b32_e32 v13, 1, v6
	s_and_b32 s16, s67, 0xfe
	s_mov_b32 s15, 0
.LBB64_60:                              ;   Parent Loop BB64_8 Depth=1
                                        ; =>  This Inner Loop Header: Depth=2
	ds_load_u16 v14, v13
	v_add_nc_u32_e32 v6, s44, v6
	v_add_nc_u32_e32 v13, s62, v13
	s_delay_alu instid0(VALU_DEP_2)
	v_cmp_le_i32_e32 vcc_lo, s74, v6
	s_waitcnt lgkmcnt(0)
	v_cmp_lt_i16_e64 s9, -1, v14
	s_waitcnt vmcnt(0)
	v_and_b32_e32 v30, 0xffff, v14
	v_lshlrev_b32_e32 v14, 16, v14
	s_delay_alu instid0(VALU_DEP_3) | instskip(NEXT) | instid1(VALU_DEP_2)
	v_cndmask_b32_e64 v31, 0xffff, v28, s9
	v_cmp_o_f32_e64 s9, v14, v14
	s_delay_alu instid0(VALU_DEP_2) | instskip(NEXT) | instid1(VALU_DEP_1)
	v_xor_b32_e32 v30, v31, v30
	v_cndmask_b32_e64 v14, 0xffff, v30, s9
	s_delay_alu instid0(VALU_DEP_1) | instskip(SKIP_1) | instid1(VALU_DEP_2)
	v_and_b32_e32 v30, s73, v14
	v_bfe_u32 v14, v14, s16, 2
	v_cmp_eq_u32_e64 s9, s72, v30
	s_delay_alu instid0(VALU_DEP_2) | instskip(SKIP_3) | instid1(VALU_DEP_4)
	v_cmp_eq_u32_e64 s10, 0, v14
	v_cmp_eq_u32_e64 s11, 1, v14
	;; [unrolled: 1-line block ×4, first 2 shown]
	s_and_b32 s10, s9, s10
	s_delay_alu instid0(SALU_CYCLE_1) | instskip(SKIP_1) | instid1(SALU_CYCLE_1)
	v_cndmask_b32_e64 v14, 0, 1, s10
	s_and_b32 s10, s9, s11
	v_cndmask_b32_e64 v30, 0, 1, s10
	s_and_b32 s10, s9, s12
	s_and_b32 s9, s9, s13
	v_cndmask_b32_e64 v31, 0, 1, s10
	v_cndmask_b32_e64 v32, 0, 1, s9
	v_cmp_ne_u32_e64 s9, 0, v14
	v_cmp_ne_u32_e64 s10, 0, v30
	s_delay_alu instid0(VALU_DEP_4) | instskip(NEXT) | instid1(VALU_DEP_4)
	v_cmp_ne_u32_e64 s11, 0, v31
	v_cmp_ne_u32_e64 s12, 0, v32
	s_delay_alu instid0(VALU_DEP_4) | instskip(NEXT) | instid1(VALU_DEP_3)
	s_bcnt1_i32_b32 s9, s9
	s_bcnt1_i32_b32 s10, s10
	v_add_nc_u32_e32 v1, s9, v1
	s_bcnt1_i32_b32 s11, s11
	s_bcnt1_i32_b32 s12, s12
	v_add_nc_u32_e32 v2, s10, v2
	v_add_nc_u32_e32 v3, s11, v3
	;; [unrolled: 1-line block ×3, first 2 shown]
	s_or_b32 s15, vcc_lo, s15
	s_delay_alu instid0(SALU_CYCLE_1)
	s_and_not1_b32 exec_lo, exec_lo, s15
	s_cbranch_execnz .LBB64_60
; %bb.61:                               ;   in Loop: Header=BB64_8 Depth=1
	s_or_b32 exec_lo, exec_lo, s15
.LBB64_62:                              ;   in Loop: Header=BB64_8 Depth=1
	s_delay_alu instid0(SALU_CYCLE_1)
	s_or_b32 exec_lo, exec_lo, s14
.LBB64_63:                              ;   in Loop: Header=BB64_8 Depth=1
	s_lshl_b32 s9, s70, 7
	s_and_saveexec_b32 s10, s4
	s_cbranch_execz .LBB64_65
; %bb.64:                               ;   in Loop: Header=BB64_8 Depth=1
	v_or_b32_e32 v6, s9, v20
	s_delay_alu instid0(VALU_DEP_1)
	v_lshlrev_b32_e32 v6, 2, v6
	ds_store_b128 v6, v[1:4] offset:3072
.LBB64_65:                              ;   in Loop: Header=BB64_8 Depth=1
	s_or_b32 exec_lo, exec_lo, s10
	s_waitcnt vmcnt(0) lgkmcnt(0)
	s_barrier
	buffer_gl0_inv
	s_and_saveexec_b32 s10, s47
	s_cbranch_execz .LBB64_75
; %bb.66:                               ;   in Loop: Header=BB64_8 Depth=1
	v_mov_b32_e32 v1, 0
	s_and_not1_b32 vcc_lo, exec_lo, s51
	s_cbranch_vccnz .LBB64_74
; %bb.67:                               ;   in Loop: Header=BB64_8 Depth=1
	v_mov_b32_e32 v1, 0
	s_and_not1_b32 vcc_lo, exec_lo, s53
	s_mov_b32 s11, 0
	s_cbranch_vccnz .LBB64_71
; %bb.68:                               ;   in Loop: Header=BB64_8 Depth=1
	v_lshl_add_u32 v2, s70, 9, v27
	v_mov_b32_e32 v1, 0
	.p2align	6
.LBB64_69:                              ;   Parent Loop BB64_8 Depth=1
                                        ; =>  This Inner Loop Header: Depth=2
	ds_load_2addr_b32 v[3:4], v2 offset1:4
	ds_load_2addr_b32 v[13:14], v2 offset0:8 offset1:12
	ds_load_2addr_b32 v[30:31], v2 offset0:16 offset1:20
	;; [unrolled: 1-line block ×3, first 2 shown]
	v_add_nc_u32_e32 v2, 0x80, v2
	s_add_i32 s11, s11, 8
	s_delay_alu instid0(SALU_CYCLE_1) | instskip(SKIP_3) | instid1(VALU_DEP_1)
	s_cmp_eq_u32 s54, s11
	s_waitcnt lgkmcnt(3)
	v_add3_u32 v1, v3, v1, v4
	s_waitcnt lgkmcnt(2)
	v_add3_u32 v1, v13, v1, v14
	s_waitcnt lgkmcnt(1)
	s_delay_alu instid0(VALU_DEP_1) | instskip(SKIP_1) | instid1(VALU_DEP_1)
	v_add3_u32 v1, v30, v1, v31
	s_waitcnt lgkmcnt(0)
	v_add3_u32 v1, v32, v1, v33
	s_cbranch_scc0 .LBB64_69
; %bb.70:                               ;   in Loop: Header=BB64_8 Depth=1
	s_mov_b32 s11, s54
.LBB64_71:                              ;   in Loop: Header=BB64_8 Depth=1
	s_and_not1_b32 vcc_lo, exec_lo, s55
	s_cbranch_vccnz .LBB64_74
; %bb.72:                               ;   in Loop: Header=BB64_8 Depth=1
	s_lshl_b32 s12, s70, 9
	s_lshl_b32 s11, s11, 4
	s_delay_alu instid0(SALU_CYCLE_1)
	v_add3_u32 v2, s12, s11, v27
	s_mov_b32 s11, s52
.LBB64_73:                              ;   Parent Loop BB64_8 Depth=1
                                        ; =>  This Inner Loop Header: Depth=2
	ds_load_b32 v3, v2
	v_add_nc_u32_e32 v2, 16, v2
	s_add_i32 s11, s11, -1
	s_delay_alu instid0(SALU_CYCLE_1)
	s_cmp_lg_u32 s11, 0
	s_waitcnt lgkmcnt(0)
	v_add_nc_u32_e32 v1, v3, v1
	s_cbranch_scc1 .LBB64_73
.LBB64_74:                              ;   in Loop: Header=BB64_8 Depth=1
	v_add_lshl_u32 v2, s9, v15, 2
	ds_store_b32 v2, v1 offset:3072
.LBB64_75:                              ;   in Loop: Header=BB64_8 Depth=1
	s_or_b32 exec_lo, exec_lo, s10
	s_lshl_b32 s9, s9, 2
	s_waitcnt lgkmcnt(0)
	v_mov_b32_e32 v1, s9
	s_barrier
	buffer_gl0_inv
	s_and_b32 s17, s67, 0xfe
	s_mov_b32 s14, -1
	ds_load_b128 v[1:4], v1 offset:3072
	s_lshl_b32 s11, 3, s17
	s_delay_alu instid0(SALU_CYCLE_1) | instskip(SKIP_4) | instid1(VALU_DEP_3)
	s_not_b32 s18, s11
	s_waitcnt lgkmcnt(0)
	v_readfirstlane_b32 s13, v1
	v_readfirstlane_b32 s21, v2
	;; [unrolled: 1-line block ×3, first 2 shown]
	s_cmp_eq_u32 s13, 1
	s_cselect_b32 s9, -1, 0
	s_cmp_eq_u32 s37, 1
	s_cselect_b32 s10, -1, 0
	s_delay_alu instid0(SALU_CYCLE_1)
	s_and_b32 s15, s9, s10
	v_readfirstlane_b32 s10, v4
	s_and_b32 vcc_lo, exec_lo, s15
	s_cbranch_vccz .LBB64_87
; %bb.76:                               ;   in Loop: Header=BB64_8 Depth=1
	ds_load_b32 v1, v7 offset:4096
	s_waitcnt lgkmcnt(0)
	s_barrier
	buffer_gl0_inv
	v_readfirstlane_b32 s12, v1
	s_and_saveexec_b32 s9, s0
	s_cbranch_execz .LBB64_78
; %bb.77:                               ;   in Loop: Header=BB64_8 Depth=1
	ds_store_b16 v18, v7
.LBB64_78:                              ;   in Loop: Header=BB64_8 Depth=1
	s_or_b32 exec_lo, exec_lo, s9
	s_and_b32 s72, s72, s18
	s_or_b32 s73, s73, s11
	s_cmp_lt_i32 s12, 1
	s_waitcnt lgkmcnt(0)
	s_barrier
	buffer_gl0_inv
	s_cbranch_scc0 .LBB64_88
; %bb.79:                               ;   in Loop: Header=BB64_8 Depth=1
	s_mov_b32 s9, 0
                                        ; implicit-def: $vgpr29
	s_and_saveexec_b32 s19, s8
	s_cbranch_execz .LBB64_90
; %bb.80:                               ;   in Loop: Header=BB64_8 Depth=1
	v_mov_b32_e32 v1, v5
	v_mov_b32_e32 v3, v0
	s_mov_b32 s20, 0
                                        ; implicit-def: $sgpr22
	s_branch .LBB64_82
.LBB64_81:                              ;   in Loop: Header=BB64_82 Depth=2
	s_or_b32 exec_lo, exec_lo, s9
	s_waitcnt vmcnt(0) lgkmcnt(0)
	s_barrier
	buffer_gl0_inv
	ds_load_b32 v2, v7 offset:3072
	v_add_nc_u32_e32 v3, s44, v3
	v_add_nc_u32_e32 v1, s48, v1
	s_waitcnt lgkmcnt(0)
	s_barrier
	buffer_gl0_inv
	v_cmp_le_i32_e32 vcc_lo, s59, v3
	v_and_b32_e32 v4, 0x7fff, v2
	s_delay_alu instid0(VALU_DEP_1) | instskip(NEXT) | instid1(VALU_DEP_1)
	v_cmp_ne_u16_e64 s9, 0, v4
	s_or_b32 s23, vcc_lo, s9
	s_delay_alu instid0(SALU_CYCLE_1) | instskip(NEXT) | instid1(SALU_CYCLE_1)
	s_and_b32 s23, exec_lo, s23
	s_or_b32 s20, s23, s20
	s_and_not1_b32 s22, s22, exec_lo
	s_and_b32 s9, s9, exec_lo
	s_delay_alu instid0(SALU_CYCLE_1)
	s_or_b32 s22, s22, s9
	s_and_not1_b32 exec_lo, exec_lo, s20
	s_cbranch_execz .LBB64_89
.LBB64_82:                              ;   Parent Loop BB64_8 Depth=1
                                        ; =>  This Inner Loop Header: Depth=2
	s_delay_alu instid0(VALU_DEP_1)
	v_cmp_gt_i32_e32 vcc_lo, s36, v3
	v_mov_b32_e32 v2, 0
	s_and_saveexec_b32 s23, vcc_lo
	s_cbranch_execz .LBB64_84
; %bb.83:                               ;   in Loop: Header=BB64_82 Depth=2
	v_ashrrev_i32_e32 v2, 31, v1
	s_delay_alu instid0(VALU_DEP_1) | instskip(NEXT) | instid1(VALU_DEP_1)
	v_lshlrev_b64 v[13:14], 1, v[1:2]
	v_add_co_u32 v13, s9, s42, v13
	s_delay_alu instid0(VALU_DEP_1)
	v_add_co_ci_u32_e64 v14, s9, s43, v14, s9
	global_load_u16 v2, v[13:14], off
.LBB64_84:                              ;   in Loop: Header=BB64_82 Depth=2
	s_or_b32 exec_lo, exec_lo, s23
	s_and_saveexec_b32 s9, vcc_lo
	s_cbranch_execz .LBB64_81
; %bb.85:                               ;   in Loop: Header=BB64_82 Depth=2
	s_waitcnt vmcnt(0)
	v_cmp_lt_i16_e32 vcc_lo, -1, v2
	v_and_b32_e32 v4, 0xffff, v2
	v_dual_cndmask_b32 v6, 0xffff, v28 :: v_dual_lshlrev_b32 v13, 16, v2
	s_delay_alu instid0(VALU_DEP_1) | instskip(NEXT) | instid1(VALU_DEP_2)
	v_cmp_o_f32_e32 vcc_lo, v13, v13
	v_xor_b32_e32 v4, v6, v4
	s_delay_alu instid0(VALU_DEP_1) | instskip(NEXT) | instid1(VALU_DEP_1)
	v_cndmask_b32_e32 v4, 0xffff, v4, vcc_lo
	v_and_b32_e32 v4, s73, v4
	s_delay_alu instid0(VALU_DEP_1)
	v_cmp_eq_u32_e32 vcc_lo, s72, v4
	s_and_b32 exec_lo, exec_lo, vcc_lo
	s_cbranch_execz .LBB64_81
; %bb.86:                               ;   in Loop: Header=BB64_82 Depth=2
	v_perm_b32 v2, v2, s63, 0x5040100
	ds_store_b32 v7, v2 offset:3072
	s_branch .LBB64_81
.LBB64_87:                              ;   in Loop: Header=BB64_8 Depth=1
	s_mov_b32 s9, -1
                                        ; implicit-def: $sgpr19
                                        ; implicit-def: $sgpr22
                                        ; implicit-def: $sgpr20
	s_branch .LBB64_101
.LBB64_88:                              ;   in Loop: Header=BB64_8 Depth=1
	s_mov_b32 s19, -1
	s_mov_b32 s9, 0
                                        ; implicit-def: $sgpr20
                                        ; implicit-def: $vgpr29
	s_mov_b32 s22, s19
	s_cbranch_execnz .LBB64_91
	s_branch .LBB64_101
.LBB64_89:                              ;   in Loop: Header=BB64_8 Depth=1
	s_or_b32 exec_lo, exec_lo, s20
	v_lshrrev_b32_e32 v29, 16, v2
	s_and_b32 s9, s22, exec_lo
.LBB64_90:                              ;   in Loop: Header=BB64_8 Depth=1
	s_or_b32 exec_lo, exec_lo, s19
	s_mov_b32 s20, -1
	s_mov_b32 s19, 0
	s_delay_alu instid0(SALU_CYCLE_1)
	s_mov_b32 s22, s19
	s_branch .LBB64_101
.LBB64_91:                              ;   in Loop: Header=BB64_8 Depth=1
	s_add_i32 s20, s12, s49
                                        ; implicit-def: $vgpr29
	s_delay_alu instid0(SALU_CYCLE_1) | instskip(NEXT) | instid1(SALU_CYCLE_1)
	s_abs_i32 s9, s20
	s_mul_hi_u32 s19, s9, s58
	s_delay_alu instid0(SALU_CYCLE_1) | instskip(NEXT) | instid1(SALU_CYCLE_1)
	s_mul_i32 s19, s19, s44
	s_sub_i32 s9, s9, s19
	s_ashr_i32 s19, s20, 31
	s_sub_i32 s22, s9, s44
	s_cmp_ge_u32 s9, s44
	s_cselect_b32 s9, s22, s9
	s_delay_alu instid0(SALU_CYCLE_1) | instskip(SKIP_2) | instid1(SALU_CYCLE_1)
	s_sub_i32 s22, s9, s44
	s_cmp_ge_u32 s9, s44
	s_cselect_b32 s9, s22, s9
	s_xor_b32 s9, s9, s19
	s_delay_alu instid0(SALU_CYCLE_1)
	s_sub_i32 s9, s19, s9
	s_mov_b32 s19, exec_lo
	s_add_i32 s20, s20, s9
	s_mov_b32 s9, 0
	v_cmpx_gt_i32_e64 s20, v0
	s_cbranch_execz .LBB64_100
; %bb.92:                               ;   in Loop: Header=BB64_8 Depth=1
	v_dual_mov_b32 v1, v17 :: v_dual_mov_b32 v2, v0
	s_mov_b32 s22, 0
                                        ; implicit-def: $sgpr23
	s_branch .LBB64_94
.LBB64_93:                              ;   in Loop: Header=BB64_94 Depth=2
	s_or_b32 exec_lo, exec_lo, s9
	s_waitcnt lgkmcnt(0)
	s_barrier
	buffer_gl0_inv
	ds_load_b32 v3, v7 offset:3072
	v_add_nc_u32_e32 v2, s44, v2
	v_add_nc_u32_e32 v1, s62, v1
	s_waitcnt lgkmcnt(0)
	s_barrier
	buffer_gl0_inv
	v_cmp_le_i32_e32 vcc_lo, s20, v2
	v_and_b32_e32 v4, 0x7fff, v3
	s_delay_alu instid0(VALU_DEP_1) | instskip(NEXT) | instid1(VALU_DEP_1)
	v_cmp_ne_u16_e64 s9, 0, v4
	s_or_b32 s24, vcc_lo, s9
	s_delay_alu instid0(SALU_CYCLE_1) | instskip(NEXT) | instid1(SALU_CYCLE_1)
	s_and_b32 s24, exec_lo, s24
	s_or_b32 s22, s24, s22
	s_and_not1_b32 s23, s23, exec_lo
	s_and_b32 s9, s9, exec_lo
	s_delay_alu instid0(SALU_CYCLE_1)
	s_or_b32 s23, s23, s9
	s_and_not1_b32 exec_lo, exec_lo, s22
	s_cbranch_execz .LBB64_99
.LBB64_94:                              ;   Parent Loop BB64_8 Depth=1
                                        ; =>  This Inner Loop Header: Depth=2
	s_delay_alu instid0(VALU_DEP_1)
	v_cmp_gt_i32_e32 vcc_lo, s12, v2
	v_mov_b32_e32 v3, 0
	s_and_saveexec_b32 s9, vcc_lo
	s_cbranch_execz .LBB64_96
; %bb.95:                               ;   in Loop: Header=BB64_94 Depth=2
	ds_load_u16 v3, v1
.LBB64_96:                              ;   in Loop: Header=BB64_94 Depth=2
	s_or_b32 exec_lo, exec_lo, s9
	s_and_saveexec_b32 s9, vcc_lo
	s_cbranch_execz .LBB64_93
; %bb.97:                               ;   in Loop: Header=BB64_94 Depth=2
	s_waitcnt lgkmcnt(0)
	v_cmp_lt_i16_e32 vcc_lo, -1, v3
	v_and_b32_e32 v4, 0xffff, v3
	v_dual_cndmask_b32 v6, 0xffff, v28 :: v_dual_lshlrev_b32 v13, 16, v3
	s_delay_alu instid0(VALU_DEP_1) | instskip(NEXT) | instid1(VALU_DEP_2)
	v_cmp_o_f32_e32 vcc_lo, v13, v13
	v_xor_b32_e32 v4, v6, v4
	s_delay_alu instid0(VALU_DEP_1) | instskip(NEXT) | instid1(VALU_DEP_1)
	v_cndmask_b32_e32 v4, 0xffff, v4, vcc_lo
	v_and_b32_e32 v4, s73, v4
	s_delay_alu instid0(VALU_DEP_1)
	v_cmp_eq_u32_e32 vcc_lo, s72, v4
	s_and_b32 exec_lo, exec_lo, vcc_lo
	s_cbranch_execz .LBB64_93
; %bb.98:                               ;   in Loop: Header=BB64_94 Depth=2
	v_perm_b32 v3, v3, s63, 0x5040100
	ds_store_b32 v7, v3 offset:3072
	s_branch .LBB64_93
.LBB64_99:                              ;   in Loop: Header=BB64_8 Depth=1
	s_or_b32 exec_lo, exec_lo, s22
	v_lshrrev_b32_e32 v29, 16, v3
	s_and_b32 s9, s23, exec_lo
.LBB64_100:                             ;   in Loop: Header=BB64_8 Depth=1
	s_or_b32 exec_lo, exec_lo, s19
	s_mov_b32 s22, -1
	s_mov_b32 s19, 0
	s_mov_b32 s20, 0
.LBB64_101:                             ;   in Loop: Header=BB64_8 Depth=1
	s_and_not1_b32 s12, s68, exec_lo
	s_and_b32 s19, s19, exec_lo
	s_and_b32 s20, s20, exec_lo
	s_or_b32 s68, s12, s19
	s_and_not1_b32 s12, s71, exec_lo
	s_and_b32 s19, s22, exec_lo
	s_and_not1_b32 s22, s69, exec_lo
	s_or_b32 s71, s12, s19
	s_or_b32 s69, s22, s20
	s_and_saveexec_b32 s12, s9
	s_cbranch_execz .LBB64_7
; %bb.102:                              ;   in Loop: Header=BB64_8 Depth=1
	s_xor_b32 s9, s15, -1
	s_mov_b32 s14, 0
	s_and_not1_b32 vcc_lo, exec_lo, s9
	s_mov_b32 s22, 1
	s_cbranch_vccnz .LBB64_113
; %bb.103:                              ;   in Loop: Header=BB64_8 Depth=1
	s_cmp_gt_i32 s37, s13
	s_mov_b32 s14, -1
                                        ; implicit-def: $sgpr9
                                        ; implicit-def: $sgpr15
                                        ; implicit-def: $sgpr19
	s_cbranch_scc1 .LBB64_109
; %bb.104:                              ;   in Loop: Header=BB64_8 Depth=1
	ds_load_b32 v1, v7 offset:4096
	s_waitcnt lgkmcnt(0)
	v_cmp_ne_u32_e32 vcc_lo, 0, v1
	s_cbranch_vccnz .LBB64_108
; %bb.105:                              ;   in Loop: Header=BB64_8 Depth=1
	s_and_saveexec_b32 s9, s2
	s_cbranch_execz .LBB64_107
; %bb.106:                              ;   in Loop: Header=BB64_8 Depth=1
	v_mov_b32_e32 v1, s13
	ds_store_b32 v7, v1 offset:4100
.LBB64_107:                             ;   in Loop: Header=BB64_8 Depth=1
	s_or_b32 exec_lo, exec_lo, s9
	s_waitcnt lgkmcnt(0)
	s_barrier
	buffer_gl0_inv
.LBB64_108:                             ;   in Loop: Header=BB64_8 Depth=1
	s_and_b32 s15, s72, s18
	s_or_b32 s19, s73, s11
	s_mov_b32 s14, 0
	s_mov_b32 s9, 8
.LBB64_109:                             ;   in Loop: Header=BB64_8 Depth=1
	s_and_not1_b32 vcc_lo, exec_lo, s14
	s_cbranch_vccnz .LBB64_111
; %bb.110:                              ;   in Loop: Header=BB64_8 Depth=1
	s_sub_i32 s37, s37, s13
	s_mov_b32 s14, -1
	s_mov_b32 s9, 0
	s_mov_b32 s15, s72
	;; [unrolled: 1-line block ×3, first 2 shown]
.LBB64_111:                             ;   in Loop: Header=BB64_8 Depth=1
	s_delay_alu instid0(SALU_CYCLE_1)
	s_mov_b32 s73, s19
	s_mov_b32 s72, s15
	;; [unrolled: 1-line block ×3, first 2 shown]
	s_and_b32 vcc_lo, exec_lo, s14
	s_mov_b32 s13, -1
	s_cbranch_vccnz .LBB64_114
.LBB64_112:                             ;   in Loop: Header=BB64_8 Depth=1
	s_mov_b32 s25, -1
                                        ; implicit-def: $sgpr14
                                        ; implicit-def: $sgpr19
                                        ; implicit-def: $sgpr15
	s_delay_alu instid0(SALU_CYCLE_1) | instskip(NEXT) | instid1(SALU_CYCLE_1)
	s_and_saveexec_b32 s10, s25
	s_xor_b32 s10, exec_lo, s10
	s_cbranch_execz .LBB64_6
	s_branch .LBB64_237
.LBB64_113:                             ;   in Loop: Header=BB64_8 Depth=1
	s_mov_b32 s9, 1
	s_and_b32 vcc_lo, exec_lo, s14
	s_mov_b32 s13, -1
	s_cbranch_vccz .LBB64_112
.LBB64_114:                             ;   in Loop: Header=BB64_8 Depth=1
	s_cmp_eq_u32 s21, 1
	s_mov_b32 s24, -1
	s_cselect_b32 s9, -1, 0
	s_cmp_eq_u32 s22, 1
	s_cselect_b32 s14, -1, 0
	s_delay_alu instid0(SALU_CYCLE_1) | instskip(NEXT) | instid1(SALU_CYCLE_1)
	s_and_b32 s23, s9, s14
	s_and_b32 vcc_lo, exec_lo, s23
	s_cbranch_vccz .LBB64_126
; %bb.115:                              ;   in Loop: Header=BB64_8 Depth=1
	ds_load_b32 v1, v7 offset:4096
	s_waitcnt lgkmcnt(0)
	s_barrier
	buffer_gl0_inv
	v_readfirstlane_b32 s20, v1
	s_and_saveexec_b32 s9, s0
	s_cbranch_execz .LBB64_117
; %bb.116:                              ;   in Loop: Header=BB64_8 Depth=1
	ds_store_b16 v18, v7
.LBB64_117:                             ;   in Loop: Header=BB64_8 Depth=1
	s_or_b32 exec_lo, exec_lo, s9
	s_lshl_b32 s9, 1, s17
	s_and_b32 s14, s72, s18
	s_or_b32 s73, s73, s11
	s_or_b32 s72, s14, s9
	s_cmp_gt_i32 s20, 0
	s_waitcnt lgkmcnt(0)
	s_barrier
	buffer_gl0_inv
	s_cbranch_scc1 .LBB64_127
; %bb.118:                              ;   in Loop: Header=BB64_8 Depth=1
	s_mov_b32 s24, 0
                                        ; implicit-def: $vgpr29
	s_and_saveexec_b32 s14, s8
	s_cbranch_execz .LBB64_129
; %bb.119:                              ;   in Loop: Header=BB64_8 Depth=1
	v_mov_b32_e32 v1, v5
	v_mov_b32_e32 v3, v0
	s_mov_b32 s15, 0
                                        ; implicit-def: $sgpr19
	s_branch .LBB64_121
.LBB64_120:                             ;   in Loop: Header=BB64_121 Depth=2
	s_or_b32 exec_lo, exec_lo, s9
	s_waitcnt vmcnt(0) lgkmcnt(0)
	s_barrier
	buffer_gl0_inv
	ds_load_b32 v2, v7 offset:3072
	v_add_nc_u32_e32 v3, s44, v3
	v_add_nc_u32_e32 v1, s48, v1
	s_waitcnt lgkmcnt(0)
	s_barrier
	buffer_gl0_inv
	v_cmp_le_i32_e32 vcc_lo, s59, v3
	v_and_b32_e32 v4, 0x7fff, v2
	s_delay_alu instid0(VALU_DEP_1) | instskip(NEXT) | instid1(VALU_DEP_1)
	v_cmp_ne_u16_e64 s9, 0, v4
	s_or_b32 s24, vcc_lo, s9
	s_delay_alu instid0(SALU_CYCLE_1) | instskip(NEXT) | instid1(SALU_CYCLE_1)
	s_and_b32 s24, exec_lo, s24
	s_or_b32 s15, s24, s15
	s_and_not1_b32 s19, s19, exec_lo
	s_and_b32 s9, s9, exec_lo
	s_delay_alu instid0(SALU_CYCLE_1)
	s_or_b32 s19, s19, s9
	s_and_not1_b32 exec_lo, exec_lo, s15
	s_cbranch_execz .LBB64_128
.LBB64_121:                             ;   Parent Loop BB64_8 Depth=1
                                        ; =>  This Inner Loop Header: Depth=2
	s_delay_alu instid0(VALU_DEP_1)
	v_cmp_gt_i32_e32 vcc_lo, s36, v3
	v_mov_b32_e32 v2, 0
	s_and_saveexec_b32 s24, vcc_lo
	s_cbranch_execz .LBB64_123
; %bb.122:                              ;   in Loop: Header=BB64_121 Depth=2
	v_ashrrev_i32_e32 v2, 31, v1
	s_delay_alu instid0(VALU_DEP_1) | instskip(NEXT) | instid1(VALU_DEP_1)
	v_lshlrev_b64 v[13:14], 1, v[1:2]
	v_add_co_u32 v13, s9, s42, v13
	s_delay_alu instid0(VALU_DEP_1)
	v_add_co_ci_u32_e64 v14, s9, s43, v14, s9
	global_load_u16 v2, v[13:14], off
.LBB64_123:                             ;   in Loop: Header=BB64_121 Depth=2
	s_or_b32 exec_lo, exec_lo, s24
	s_and_saveexec_b32 s9, vcc_lo
	s_cbranch_execz .LBB64_120
; %bb.124:                              ;   in Loop: Header=BB64_121 Depth=2
	s_waitcnt vmcnt(0)
	v_cmp_lt_i16_e32 vcc_lo, -1, v2
	v_and_b32_e32 v4, 0xffff, v2
	v_dual_cndmask_b32 v6, 0xffff, v28 :: v_dual_lshlrev_b32 v13, 16, v2
	s_delay_alu instid0(VALU_DEP_1) | instskip(NEXT) | instid1(VALU_DEP_2)
	v_cmp_o_f32_e32 vcc_lo, v13, v13
	v_xor_b32_e32 v4, v6, v4
	s_delay_alu instid0(VALU_DEP_1) | instskip(NEXT) | instid1(VALU_DEP_1)
	v_cndmask_b32_e32 v4, 0xffff, v4, vcc_lo
	v_and_b32_e32 v4, s73, v4
	s_delay_alu instid0(VALU_DEP_1)
	v_cmp_eq_u32_e32 vcc_lo, s72, v4
	s_and_b32 exec_lo, exec_lo, vcc_lo
	s_cbranch_execz .LBB64_120
; %bb.125:                              ;   in Loop: Header=BB64_121 Depth=2
	v_perm_b32 v2, v2, s63, 0x5040100
	ds_store_b32 v7, v2 offset:3072
	s_branch .LBB64_120
.LBB64_126:                             ;   in Loop: Header=BB64_8 Depth=1
                                        ; implicit-def: $sgpr15
                                        ; implicit-def: $sgpr19
                                        ; implicit-def: $sgpr14
	s_branch .LBB64_140
.LBB64_127:                             ;   in Loop: Header=BB64_8 Depth=1
	s_mov_b32 s15, -1
	s_mov_b32 s24, 0
                                        ; implicit-def: $sgpr14
                                        ; implicit-def: $vgpr29
	s_mov_b32 s19, s15
	s_cbranch_execnz .LBB64_130
	s_branch .LBB64_140
.LBB64_128:                             ;   in Loop: Header=BB64_8 Depth=1
	s_or_b32 exec_lo, exec_lo, s15
	v_lshrrev_b32_e32 v29, 16, v2
	s_and_b32 s24, s19, exec_lo
.LBB64_129:                             ;   in Loop: Header=BB64_8 Depth=1
	s_or_b32 exec_lo, exec_lo, s14
	s_mov_b32 s14, -1
	s_mov_b32 s15, 0
	s_delay_alu instid0(SALU_CYCLE_1)
	s_mov_b32 s19, s15
	s_branch .LBB64_140
.LBB64_130:                             ;   in Loop: Header=BB64_8 Depth=1
	s_add_i32 s15, s20, s49
	s_mov_b32 s24, 0
	s_abs_i32 s9, s15
                                        ; implicit-def: $vgpr29
	s_delay_alu instid0(SALU_CYCLE_1) | instskip(NEXT) | instid1(SALU_CYCLE_1)
	s_mul_hi_u32 s14, s9, s58
	s_mul_i32 s14, s14, s44
	s_delay_alu instid0(SALU_CYCLE_1) | instskip(SKIP_4) | instid1(SALU_CYCLE_1)
	s_sub_i32 s9, s9, s14
	s_ashr_i32 s14, s15, 31
	s_sub_i32 s19, s9, s44
	s_cmp_ge_u32 s9, s44
	s_cselect_b32 s9, s19, s9
	s_sub_i32 s19, s9, s44
	s_cmp_ge_u32 s9, s44
	s_cselect_b32 s9, s19, s9
	s_delay_alu instid0(SALU_CYCLE_1) | instskip(NEXT) | instid1(SALU_CYCLE_1)
	s_xor_b32 s9, s9, s14
	s_sub_i32 s9, s14, s9
	s_mov_b32 s14, exec_lo
	s_add_i32 s15, s15, s9
	s_delay_alu instid0(SALU_CYCLE_1)
	v_cmpx_gt_i32_e64 s15, v0
	s_cbranch_execz .LBB64_139
; %bb.131:                              ;   in Loop: Header=BB64_8 Depth=1
	v_dual_mov_b32 v1, v17 :: v_dual_mov_b32 v2, v0
	s_mov_b32 s19, 0
                                        ; implicit-def: $sgpr24
	s_branch .LBB64_133
.LBB64_132:                             ;   in Loop: Header=BB64_133 Depth=2
	s_or_b32 exec_lo, exec_lo, s9
	s_waitcnt lgkmcnt(0)
	s_barrier
	buffer_gl0_inv
	ds_load_b32 v3, v7 offset:3072
	v_add_nc_u32_e32 v2, s44, v2
	v_add_nc_u32_e32 v1, s62, v1
	s_waitcnt lgkmcnt(0)
	s_barrier
	buffer_gl0_inv
	v_cmp_le_i32_e32 vcc_lo, s15, v2
	v_and_b32_e32 v4, 0x7fff, v3
	s_delay_alu instid0(VALU_DEP_1) | instskip(NEXT) | instid1(VALU_DEP_1)
	v_cmp_ne_u16_e64 s9, 0, v4
	s_or_b32 s25, vcc_lo, s9
	s_delay_alu instid0(SALU_CYCLE_1) | instskip(NEXT) | instid1(SALU_CYCLE_1)
	s_and_b32 s25, exec_lo, s25
	s_or_b32 s19, s25, s19
	s_and_not1_b32 s24, s24, exec_lo
	s_and_b32 s9, s9, exec_lo
	s_delay_alu instid0(SALU_CYCLE_1)
	s_or_b32 s24, s24, s9
	s_and_not1_b32 exec_lo, exec_lo, s19
	s_cbranch_execz .LBB64_138
.LBB64_133:                             ;   Parent Loop BB64_8 Depth=1
                                        ; =>  This Inner Loop Header: Depth=2
	s_delay_alu instid0(VALU_DEP_1)
	v_cmp_gt_i32_e32 vcc_lo, s20, v2
	v_mov_b32_e32 v3, 0
	s_and_saveexec_b32 s9, vcc_lo
	s_cbranch_execz .LBB64_135
; %bb.134:                              ;   in Loop: Header=BB64_133 Depth=2
	ds_load_u16 v3, v1
.LBB64_135:                             ;   in Loop: Header=BB64_133 Depth=2
	s_or_b32 exec_lo, exec_lo, s9
	s_and_saveexec_b32 s9, vcc_lo
	s_cbranch_execz .LBB64_132
; %bb.136:                              ;   in Loop: Header=BB64_133 Depth=2
	s_waitcnt lgkmcnt(0)
	v_cmp_lt_i16_e32 vcc_lo, -1, v3
	v_and_b32_e32 v4, 0xffff, v3
	v_dual_cndmask_b32 v6, 0xffff, v28 :: v_dual_lshlrev_b32 v13, 16, v3
	s_delay_alu instid0(VALU_DEP_1) | instskip(NEXT) | instid1(VALU_DEP_2)
	v_cmp_o_f32_e32 vcc_lo, v13, v13
	v_xor_b32_e32 v4, v6, v4
	s_delay_alu instid0(VALU_DEP_1) | instskip(NEXT) | instid1(VALU_DEP_1)
	v_cndmask_b32_e32 v4, 0xffff, v4, vcc_lo
	v_and_b32_e32 v4, s73, v4
	s_delay_alu instid0(VALU_DEP_1)
	v_cmp_eq_u32_e32 vcc_lo, s72, v4
	s_and_b32 exec_lo, exec_lo, vcc_lo
	s_cbranch_execz .LBB64_132
; %bb.137:                              ;   in Loop: Header=BB64_133 Depth=2
	v_perm_b32 v3, v3, s63, 0x5040100
	ds_store_b32 v7, v3 offset:3072
	s_branch .LBB64_132
.LBB64_138:                             ;   in Loop: Header=BB64_8 Depth=1
	s_or_b32 exec_lo, exec_lo, s19
	v_lshrrev_b32_e32 v29, 16, v3
	s_and_b32 s24, s24, exec_lo
.LBB64_139:                             ;   in Loop: Header=BB64_8 Depth=1
	s_or_b32 exec_lo, exec_lo, s14
	s_mov_b32 s19, -1
	s_mov_b32 s15, 0
	s_mov_b32 s14, 0
.LBB64_140:                             ;   in Loop: Header=BB64_8 Depth=1
	s_mov_b32 s25, 0
                                        ; implicit-def: $sgpr9
	s_and_saveexec_b32 s20, s24
	s_cbranch_execz .LBB64_236
; %bb.141:                              ;   in Loop: Header=BB64_8 Depth=1
	s_xor_b32 s9, s23, -1
	s_mov_b32 s23, 0
	s_and_not1_b32 vcc_lo, exec_lo, s9
	s_mov_b32 s26, 1
	s_cbranch_vccnz .LBB64_152
; %bb.142:                              ;   in Loop: Header=BB64_8 Depth=1
	s_cmp_gt_i32 s22, s21
	s_mov_b32 s23, -1
                                        ; implicit-def: $sgpr9
                                        ; implicit-def: $sgpr24
                                        ; implicit-def: $sgpr25
	s_cbranch_scc1 .LBB64_148
; %bb.143:                              ;   in Loop: Header=BB64_8 Depth=1
	ds_load_b32 v1, v7 offset:4096
	s_waitcnt lgkmcnt(0)
	v_cmp_ne_u32_e32 vcc_lo, 0, v1
	s_cbranch_vccnz .LBB64_147
; %bb.144:                              ;   in Loop: Header=BB64_8 Depth=1
	s_and_saveexec_b32 s9, s2
	s_cbranch_execz .LBB64_146
; %bb.145:                              ;   in Loop: Header=BB64_8 Depth=1
	v_mov_b32_e32 v1, s21
	ds_store_b32 v7, v1 offset:4100
.LBB64_146:                             ;   in Loop: Header=BB64_8 Depth=1
	s_or_b32 exec_lo, exec_lo, s9
	s_waitcnt lgkmcnt(0)
	s_barrier
	buffer_gl0_inv
.LBB64_147:                             ;   in Loop: Header=BB64_8 Depth=1
	s_lshl_b32 s9, 1, s17
	s_and_b32 s23, s72, s18
	s_or_b32 s25, s73, s11
	s_or_b32 s24, s23, s9
	s_mov_b32 s23, 0
	s_mov_b32 s9, 8
.LBB64_148:                             ;   in Loop: Header=BB64_8 Depth=1
	s_and_not1_b32 vcc_lo, exec_lo, s23
	s_cbranch_vccnz .LBB64_150
; %bb.149:                              ;   in Loop: Header=BB64_8 Depth=1
	s_sub_i32 s22, s22, s21
	s_mov_b32 s23, -1
	s_mov_b32 s9, 0
	s_mov_b32 s24, s72
	;; [unrolled: 1-line block ×3, first 2 shown]
.LBB64_150:                             ;   in Loop: Header=BB64_8 Depth=1
	s_delay_alu instid0(SALU_CYCLE_1)
	s_mov_b32 s73, s25
	s_mov_b32 s72, s24
	;; [unrolled: 1-line block ×3, first 2 shown]
	s_and_not1_b32 vcc_lo, exec_lo, s23
	s_mov_b32 s28, -1
	s_cbranch_vccz .LBB64_153
.LBB64_151:                             ;   in Loop: Header=BB64_8 Depth=1
                                        ; implicit-def: $sgpr22
                                        ; implicit-def: $sgpr23
                                        ; implicit-def: $sgpr21
	s_branch .LBB64_235
.LBB64_152:                             ;   in Loop: Header=BB64_8 Depth=1
	s_mov_b32 s9, 1
	s_and_not1_b32 vcc_lo, exec_lo, s23
	s_mov_b32 s28, -1
	s_cbranch_vccnz .LBB64_151
.LBB64_153:                             ;   in Loop: Header=BB64_8 Depth=1
	s_cmp_eq_u32 s16, 1
	s_mov_b32 s27, -1
	s_cselect_b32 s9, -1, 0
	s_cmp_eq_u32 s26, 1
	s_cselect_b32 s21, -1, 0
	s_delay_alu instid0(SALU_CYCLE_1) | instskip(NEXT) | instid1(SALU_CYCLE_1)
	s_and_b32 s25, s9, s21
	s_and_b32 vcc_lo, exec_lo, s25
	s_cbranch_vccz .LBB64_165
; %bb.154:                              ;   in Loop: Header=BB64_8 Depth=1
	ds_load_b32 v1, v7 offset:4096
	s_waitcnt lgkmcnt(0)
	s_barrier
	buffer_gl0_inv
	v_readfirstlane_b32 s24, v1
	s_and_saveexec_b32 s9, s0
	s_cbranch_execz .LBB64_156
; %bb.155:                              ;   in Loop: Header=BB64_8 Depth=1
	ds_store_b16 v18, v7
.LBB64_156:                             ;   in Loop: Header=BB64_8 Depth=1
	s_or_b32 exec_lo, exec_lo, s9
	s_lshl_b32 s9, 2, s17
	s_and_b32 s21, s72, s18
	s_or_b32 s73, s73, s11
	s_or_b32 s72, s21, s9
	s_cmp_gt_i32 s24, 0
	s_waitcnt lgkmcnt(0)
	s_barrier
	buffer_gl0_inv
	s_cbranch_scc1 .LBB64_166
; %bb.157:                              ;   in Loop: Header=BB64_8 Depth=1
	s_mov_b32 s27, 0
                                        ; implicit-def: $vgpr29
	s_and_saveexec_b32 s21, s8
	s_cbranch_execz .LBB64_168
; %bb.158:                              ;   in Loop: Header=BB64_8 Depth=1
	v_mov_b32_e32 v1, v5
	v_mov_b32_e32 v3, v0
	s_mov_b32 s22, 0
                                        ; implicit-def: $sgpr23
	s_branch .LBB64_160
.LBB64_159:                             ;   in Loop: Header=BB64_160 Depth=2
	s_or_b32 exec_lo, exec_lo, s9
	s_waitcnt vmcnt(0) lgkmcnt(0)
	s_barrier
	buffer_gl0_inv
	ds_load_b32 v2, v7 offset:3072
	v_add_nc_u32_e32 v3, s44, v3
	v_add_nc_u32_e32 v1, s48, v1
	s_waitcnt lgkmcnt(0)
	s_barrier
	buffer_gl0_inv
	v_cmp_le_i32_e32 vcc_lo, s59, v3
	v_and_b32_e32 v4, 0x7fff, v2
	s_delay_alu instid0(VALU_DEP_1) | instskip(NEXT) | instid1(VALU_DEP_1)
	v_cmp_ne_u16_e64 s9, 0, v4
	s_or_b32 s27, vcc_lo, s9
	s_delay_alu instid0(SALU_CYCLE_1) | instskip(NEXT) | instid1(SALU_CYCLE_1)
	s_and_b32 s27, exec_lo, s27
	s_or_b32 s22, s27, s22
	s_and_not1_b32 s23, s23, exec_lo
	s_and_b32 s9, s9, exec_lo
	s_delay_alu instid0(SALU_CYCLE_1)
	s_or_b32 s23, s23, s9
	s_and_not1_b32 exec_lo, exec_lo, s22
	s_cbranch_execz .LBB64_167
.LBB64_160:                             ;   Parent Loop BB64_8 Depth=1
                                        ; =>  This Inner Loop Header: Depth=2
	s_delay_alu instid0(VALU_DEP_1)
	v_cmp_gt_i32_e32 vcc_lo, s36, v3
	v_mov_b32_e32 v2, 0
	s_and_saveexec_b32 s27, vcc_lo
	s_cbranch_execz .LBB64_162
; %bb.161:                              ;   in Loop: Header=BB64_160 Depth=2
	v_ashrrev_i32_e32 v2, 31, v1
	s_delay_alu instid0(VALU_DEP_1) | instskip(NEXT) | instid1(VALU_DEP_1)
	v_lshlrev_b64 v[13:14], 1, v[1:2]
	v_add_co_u32 v13, s9, s42, v13
	s_delay_alu instid0(VALU_DEP_1)
	v_add_co_ci_u32_e64 v14, s9, s43, v14, s9
	global_load_u16 v2, v[13:14], off
.LBB64_162:                             ;   in Loop: Header=BB64_160 Depth=2
	s_or_b32 exec_lo, exec_lo, s27
	s_and_saveexec_b32 s9, vcc_lo
	s_cbranch_execz .LBB64_159
; %bb.163:                              ;   in Loop: Header=BB64_160 Depth=2
	s_waitcnt vmcnt(0)
	v_cmp_lt_i16_e32 vcc_lo, -1, v2
	v_and_b32_e32 v4, 0xffff, v2
	v_dual_cndmask_b32 v6, 0xffff, v28 :: v_dual_lshlrev_b32 v13, 16, v2
	s_delay_alu instid0(VALU_DEP_1) | instskip(NEXT) | instid1(VALU_DEP_2)
	v_cmp_o_f32_e32 vcc_lo, v13, v13
	v_xor_b32_e32 v4, v6, v4
	s_delay_alu instid0(VALU_DEP_1) | instskip(NEXT) | instid1(VALU_DEP_1)
	v_cndmask_b32_e32 v4, 0xffff, v4, vcc_lo
	v_and_b32_e32 v4, s73, v4
	s_delay_alu instid0(VALU_DEP_1)
	v_cmp_eq_u32_e32 vcc_lo, s72, v4
	s_and_b32 exec_lo, exec_lo, vcc_lo
	s_cbranch_execz .LBB64_159
; %bb.164:                              ;   in Loop: Header=BB64_160 Depth=2
	v_perm_b32 v2, v2, s63, 0x5040100
	ds_store_b32 v7, v2 offset:3072
	s_branch .LBB64_159
.LBB64_165:                             ;   in Loop: Header=BB64_8 Depth=1
                                        ; implicit-def: $sgpr21
                                        ; implicit-def: $sgpr23
                                        ; implicit-def: $sgpr22
	s_branch .LBB64_179
.LBB64_166:                             ;   in Loop: Header=BB64_8 Depth=1
	s_mov_b32 s21, -1
	s_mov_b32 s27, 0
                                        ; implicit-def: $sgpr22
                                        ; implicit-def: $vgpr29
	s_mov_b32 s23, s21
	s_cbranch_execnz .LBB64_169
	s_branch .LBB64_179
.LBB64_167:                             ;   in Loop: Header=BB64_8 Depth=1
	s_or_b32 exec_lo, exec_lo, s22
	v_lshrrev_b32_e32 v29, 16, v2
	s_and_b32 s27, s23, exec_lo
.LBB64_168:                             ;   in Loop: Header=BB64_8 Depth=1
	s_or_b32 exec_lo, exec_lo, s21
	s_mov_b32 s22, -1
	s_mov_b32 s21, 0
	s_delay_alu instid0(SALU_CYCLE_1)
	s_mov_b32 s23, s21
	s_branch .LBB64_179
.LBB64_169:                             ;   in Loop: Header=BB64_8 Depth=1
	s_add_i32 s22, s24, s49
	s_mov_b32 s27, 0
	s_abs_i32 s9, s22
                                        ; implicit-def: $vgpr29
	s_delay_alu instid0(SALU_CYCLE_1) | instskip(NEXT) | instid1(SALU_CYCLE_1)
	s_mul_hi_u32 s21, s9, s58
	s_mul_i32 s21, s21, s44
	s_delay_alu instid0(SALU_CYCLE_1) | instskip(SKIP_4) | instid1(SALU_CYCLE_1)
	s_sub_i32 s9, s9, s21
	s_ashr_i32 s21, s22, 31
	s_sub_i32 s23, s9, s44
	s_cmp_ge_u32 s9, s44
	s_cselect_b32 s9, s23, s9
	s_sub_i32 s23, s9, s44
	s_cmp_ge_u32 s9, s44
	s_cselect_b32 s9, s23, s9
	s_delay_alu instid0(SALU_CYCLE_1) | instskip(NEXT) | instid1(SALU_CYCLE_1)
	s_xor_b32 s9, s9, s21
	s_sub_i32 s9, s21, s9
	s_mov_b32 s21, exec_lo
	s_add_i32 s22, s22, s9
	s_delay_alu instid0(SALU_CYCLE_1)
	v_cmpx_gt_i32_e64 s22, v0
	s_cbranch_execz .LBB64_178
; %bb.170:                              ;   in Loop: Header=BB64_8 Depth=1
	v_dual_mov_b32 v1, v17 :: v_dual_mov_b32 v2, v0
	s_mov_b32 s23, 0
                                        ; implicit-def: $sgpr27
	s_branch .LBB64_172
.LBB64_171:                             ;   in Loop: Header=BB64_172 Depth=2
	s_or_b32 exec_lo, exec_lo, s9
	s_waitcnt lgkmcnt(0)
	s_barrier
	buffer_gl0_inv
	ds_load_b32 v3, v7 offset:3072
	v_add_nc_u32_e32 v2, s44, v2
	v_add_nc_u32_e32 v1, s62, v1
	s_waitcnt lgkmcnt(0)
	s_barrier
	buffer_gl0_inv
	v_cmp_le_i32_e32 vcc_lo, s22, v2
	v_and_b32_e32 v4, 0x7fff, v3
	s_delay_alu instid0(VALU_DEP_1) | instskip(NEXT) | instid1(VALU_DEP_1)
	v_cmp_ne_u16_e64 s9, 0, v4
	s_or_b32 s28, vcc_lo, s9
	s_delay_alu instid0(SALU_CYCLE_1) | instskip(NEXT) | instid1(SALU_CYCLE_1)
	s_and_b32 s28, exec_lo, s28
	s_or_b32 s23, s28, s23
	s_and_not1_b32 s27, s27, exec_lo
	s_and_b32 s9, s9, exec_lo
	s_delay_alu instid0(SALU_CYCLE_1)
	s_or_b32 s27, s27, s9
	s_and_not1_b32 exec_lo, exec_lo, s23
	s_cbranch_execz .LBB64_177
.LBB64_172:                             ;   Parent Loop BB64_8 Depth=1
                                        ; =>  This Inner Loop Header: Depth=2
	s_delay_alu instid0(VALU_DEP_1)
	v_cmp_gt_i32_e32 vcc_lo, s24, v2
	v_mov_b32_e32 v3, 0
	s_and_saveexec_b32 s9, vcc_lo
	s_cbranch_execz .LBB64_174
; %bb.173:                              ;   in Loop: Header=BB64_172 Depth=2
	ds_load_u16 v3, v1
.LBB64_174:                             ;   in Loop: Header=BB64_172 Depth=2
	s_or_b32 exec_lo, exec_lo, s9
	s_and_saveexec_b32 s9, vcc_lo
	s_cbranch_execz .LBB64_171
; %bb.175:                              ;   in Loop: Header=BB64_172 Depth=2
	s_waitcnt lgkmcnt(0)
	v_cmp_lt_i16_e32 vcc_lo, -1, v3
	v_and_b32_e32 v4, 0xffff, v3
	v_dual_cndmask_b32 v6, 0xffff, v28 :: v_dual_lshlrev_b32 v13, 16, v3
	s_delay_alu instid0(VALU_DEP_1) | instskip(NEXT) | instid1(VALU_DEP_2)
	v_cmp_o_f32_e32 vcc_lo, v13, v13
	v_xor_b32_e32 v4, v6, v4
	s_delay_alu instid0(VALU_DEP_1) | instskip(NEXT) | instid1(VALU_DEP_1)
	v_cndmask_b32_e32 v4, 0xffff, v4, vcc_lo
	v_and_b32_e32 v4, s73, v4
	s_delay_alu instid0(VALU_DEP_1)
	v_cmp_eq_u32_e32 vcc_lo, s72, v4
	s_and_b32 exec_lo, exec_lo, vcc_lo
	s_cbranch_execz .LBB64_171
; %bb.176:                              ;   in Loop: Header=BB64_172 Depth=2
	v_perm_b32 v3, v3, s63, 0x5040100
	ds_store_b32 v7, v3 offset:3072
	s_branch .LBB64_171
.LBB64_177:                             ;   in Loop: Header=BB64_8 Depth=1
	s_or_b32 exec_lo, exec_lo, s23
	v_lshrrev_b32_e32 v29, 16, v3
	s_and_b32 s27, s27, exec_lo
.LBB64_178:                             ;   in Loop: Header=BB64_8 Depth=1
	s_or_b32 exec_lo, exec_lo, s21
	s_mov_b32 s23, -1
	s_mov_b32 s21, 0
	s_mov_b32 s22, 0
.LBB64_179:                             ;   in Loop: Header=BB64_8 Depth=1
	s_mov_b32 s28, 0
                                        ; implicit-def: $sgpr9
	s_and_saveexec_b32 s24, s27
	s_cbranch_execz .LBB64_234
; %bb.180:                              ;   in Loop: Header=BB64_8 Depth=1
	s_xor_b32 s9, s25, -1
	s_mov_b32 s27, 0
	s_and_not1_b32 vcc_lo, exec_lo, s9
	s_mov_b32 s25, 1
	s_cbranch_vccnz .LBB64_191
; %bb.181:                              ;   in Loop: Header=BB64_8 Depth=1
	s_cmp_gt_i32 s26, s16
	s_mov_b32 s27, -1
                                        ; implicit-def: $sgpr9
                                        ; implicit-def: $sgpr25
                                        ; implicit-def: $sgpr28
	s_cbranch_scc1 .LBB64_187
; %bb.182:                              ;   in Loop: Header=BB64_8 Depth=1
	ds_load_b32 v1, v7 offset:4096
	s_waitcnt lgkmcnt(0)
	v_cmp_ne_u32_e32 vcc_lo, 0, v1
	s_cbranch_vccnz .LBB64_186
; %bb.183:                              ;   in Loop: Header=BB64_8 Depth=1
	s_and_saveexec_b32 s9, s2
	s_cbranch_execz .LBB64_185
; %bb.184:                              ;   in Loop: Header=BB64_8 Depth=1
	v_mov_b32_e32 v1, s16
	ds_store_b32 v7, v1 offset:4100
.LBB64_185:                             ;   in Loop: Header=BB64_8 Depth=1
	s_or_b32 exec_lo, exec_lo, s9
	s_waitcnt lgkmcnt(0)
	s_barrier
	buffer_gl0_inv
.LBB64_186:                             ;   in Loop: Header=BB64_8 Depth=1
	s_lshl_b32 s9, 2, s17
	s_and_b32 s17, s72, s18
	s_or_b32 s28, s73, s11
	s_or_b32 s25, s17, s9
	s_mov_b32 s27, 0
	s_mov_b32 s9, 8
.LBB64_187:                             ;   in Loop: Header=BB64_8 Depth=1
	s_and_not1_b32 vcc_lo, exec_lo, s27
	s_cbranch_vccnz .LBB64_189
; %bb.188:                              ;   in Loop: Header=BB64_8 Depth=1
	s_sub_i32 s26, s26, s16
	s_mov_b32 s27, -1
	s_mov_b32 s9, 0
	s_mov_b32 s25, s72
	;; [unrolled: 1-line block ×3, first 2 shown]
.LBB64_189:                             ;   in Loop: Header=BB64_8 Depth=1
	s_delay_alu instid0(SALU_CYCLE_1)
	s_mov_b32 s73, s28
	s_mov_b32 s72, s25
	;; [unrolled: 1-line block ×3, first 2 shown]
	s_and_not1_b32 vcc_lo, exec_lo, s27
	s_mov_b32 s37, -1
	s_cbranch_vccz .LBB64_192
.LBB64_190:                             ;   in Loop: Header=BB64_8 Depth=1
                                        ; implicit-def: $sgpr18
                                        ; implicit-def: $sgpr27
                                        ; implicit-def: $sgpr26
	s_branch .LBB64_233
.LBB64_191:                             ;   in Loop: Header=BB64_8 Depth=1
	s_mov_b32 s9, 1
	s_and_not1_b32 vcc_lo, exec_lo, s27
	s_mov_b32 s37, -1
	s_cbranch_vccnz .LBB64_190
.LBB64_192:                             ;   in Loop: Header=BB64_8 Depth=1
	s_cmp_eq_u32 s10, 1
	s_mov_b32 s28, -1
	s_cselect_b32 s9, -1, 0
	s_cmp_eq_u32 s25, 1
	s_cselect_b32 s16, -1, 0
	s_delay_alu instid0(SALU_CYCLE_1) | instskip(NEXT) | instid1(SALU_CYCLE_1)
	s_and_b32 s16, s9, s16
	s_and_b32 vcc_lo, exec_lo, s16
	s_cbranch_vccz .LBB64_204
; %bb.193:                              ;   in Loop: Header=BB64_8 Depth=1
	ds_load_b32 v1, v7 offset:4096
	s_waitcnt lgkmcnt(0)
	s_barrier
	buffer_gl0_inv
	v_readfirstlane_b32 s17, v1
	s_and_saveexec_b32 s9, s0
	s_cbranch_execz .LBB64_195
; %bb.194:                              ;   in Loop: Header=BB64_8 Depth=1
	ds_store_b16 v18, v7
.LBB64_195:                             ;   in Loop: Header=BB64_8 Depth=1
	s_or_b32 exec_lo, exec_lo, s9
	s_or_b32 s72, s72, s11
	s_or_b32 s73, s73, s11
	s_cmp_gt_i32 s17, 0
	s_waitcnt lgkmcnt(0)
	s_barrier
	buffer_gl0_inv
	s_cbranch_scc1 .LBB64_205
; %bb.196:                              ;   in Loop: Header=BB64_8 Depth=1
	s_mov_b32 s28, 0
                                        ; implicit-def: $vgpr29
	s_and_saveexec_b32 s18, s8
	s_cbranch_execz .LBB64_207
; %bb.197:                              ;   in Loop: Header=BB64_8 Depth=1
	v_mov_b32_e32 v1, v5
	v_mov_b32_e32 v3, v0
	s_mov_b32 s26, 0
                                        ; implicit-def: $sgpr27
	s_branch .LBB64_199
.LBB64_198:                             ;   in Loop: Header=BB64_199 Depth=2
	s_or_b32 exec_lo, exec_lo, s9
	s_waitcnt vmcnt(0) lgkmcnt(0)
	s_barrier
	buffer_gl0_inv
	ds_load_b32 v2, v7 offset:3072
	v_add_nc_u32_e32 v3, s44, v3
	v_add_nc_u32_e32 v1, s48, v1
	s_waitcnt lgkmcnt(0)
	s_barrier
	buffer_gl0_inv
	v_cmp_le_i32_e32 vcc_lo, s59, v3
	v_and_b32_e32 v4, 0x7fff, v2
	s_delay_alu instid0(VALU_DEP_1) | instskip(NEXT) | instid1(VALU_DEP_1)
	v_cmp_ne_u16_e64 s9, 0, v4
	s_or_b32 s28, vcc_lo, s9
	s_delay_alu instid0(SALU_CYCLE_1) | instskip(NEXT) | instid1(SALU_CYCLE_1)
	s_and_b32 s28, exec_lo, s28
	s_or_b32 s26, s28, s26
	s_and_not1_b32 s27, s27, exec_lo
	s_and_b32 s9, s9, exec_lo
	s_delay_alu instid0(SALU_CYCLE_1)
	s_or_b32 s27, s27, s9
	s_and_not1_b32 exec_lo, exec_lo, s26
	s_cbranch_execz .LBB64_206
.LBB64_199:                             ;   Parent Loop BB64_8 Depth=1
                                        ; =>  This Inner Loop Header: Depth=2
	s_delay_alu instid0(VALU_DEP_1)
	v_cmp_gt_i32_e32 vcc_lo, s36, v3
	v_mov_b32_e32 v2, 0
	s_and_saveexec_b32 s28, vcc_lo
	s_cbranch_execz .LBB64_201
; %bb.200:                              ;   in Loop: Header=BB64_199 Depth=2
	v_ashrrev_i32_e32 v2, 31, v1
	s_delay_alu instid0(VALU_DEP_1) | instskip(NEXT) | instid1(VALU_DEP_1)
	v_lshlrev_b64 v[13:14], 1, v[1:2]
	v_add_co_u32 v13, s9, s42, v13
	s_delay_alu instid0(VALU_DEP_1)
	v_add_co_ci_u32_e64 v14, s9, s43, v14, s9
	global_load_u16 v2, v[13:14], off
.LBB64_201:                             ;   in Loop: Header=BB64_199 Depth=2
	s_or_b32 exec_lo, exec_lo, s28
	s_and_saveexec_b32 s9, vcc_lo
	s_cbranch_execz .LBB64_198
; %bb.202:                              ;   in Loop: Header=BB64_199 Depth=2
	s_waitcnt vmcnt(0)
	v_cmp_lt_i16_e32 vcc_lo, -1, v2
	v_and_b32_e32 v4, 0xffff, v2
	v_dual_cndmask_b32 v6, 0xffff, v28 :: v_dual_lshlrev_b32 v13, 16, v2
	s_delay_alu instid0(VALU_DEP_1) | instskip(NEXT) | instid1(VALU_DEP_2)
	v_cmp_o_f32_e32 vcc_lo, v13, v13
	v_xor_b32_e32 v4, v6, v4
	s_delay_alu instid0(VALU_DEP_1) | instskip(NEXT) | instid1(VALU_DEP_1)
	v_cndmask_b32_e32 v4, 0xffff, v4, vcc_lo
	v_and_b32_e32 v4, s73, v4
	s_delay_alu instid0(VALU_DEP_1)
	v_cmp_eq_u32_e32 vcc_lo, s72, v4
	s_and_b32 exec_lo, exec_lo, vcc_lo
	s_cbranch_execz .LBB64_198
; %bb.203:                              ;   in Loop: Header=BB64_199 Depth=2
	v_perm_b32 v2, v2, s63, 0x5040100
	ds_store_b32 v7, v2 offset:3072
	s_branch .LBB64_198
.LBB64_204:                             ;   in Loop: Header=BB64_8 Depth=1
                                        ; implicit-def: $sgpr18
                                        ; implicit-def: $sgpr27
                                        ; implicit-def: $sgpr26
	s_branch .LBB64_218
.LBB64_205:                             ;   in Loop: Header=BB64_8 Depth=1
	s_mov_b32 s18, -1
	s_mov_b32 s28, 0
                                        ; implicit-def: $sgpr26
                                        ; implicit-def: $vgpr29
	s_mov_b32 s27, s18
	s_cbranch_execnz .LBB64_208
	s_branch .LBB64_218
.LBB64_206:                             ;   in Loop: Header=BB64_8 Depth=1
	s_or_b32 exec_lo, exec_lo, s26
	v_lshrrev_b32_e32 v29, 16, v2
	s_and_b32 s28, s27, exec_lo
.LBB64_207:                             ;   in Loop: Header=BB64_8 Depth=1
	s_or_b32 exec_lo, exec_lo, s18
	s_mov_b32 s26, -1
	s_mov_b32 s18, 0
	s_delay_alu instid0(SALU_CYCLE_1)
	s_mov_b32 s27, s18
	s_branch .LBB64_218
.LBB64_208:                             ;   in Loop: Header=BB64_8 Depth=1
	s_add_i32 s26, s17, s49
	s_mov_b32 s28, 0
	s_abs_i32 s9, s26
                                        ; implicit-def: $vgpr29
	s_delay_alu instid0(SALU_CYCLE_1) | instskip(NEXT) | instid1(SALU_CYCLE_1)
	s_mul_hi_u32 s18, s9, s58
	s_mul_i32 s18, s18, s44
	s_delay_alu instid0(SALU_CYCLE_1) | instskip(SKIP_4) | instid1(SALU_CYCLE_1)
	s_sub_i32 s9, s9, s18
	s_ashr_i32 s18, s26, 31
	s_sub_i32 s27, s9, s44
	s_cmp_ge_u32 s9, s44
	s_cselect_b32 s9, s27, s9
	s_sub_i32 s27, s9, s44
	s_cmp_ge_u32 s9, s44
	s_cselect_b32 s9, s27, s9
	s_delay_alu instid0(SALU_CYCLE_1) | instskip(NEXT) | instid1(SALU_CYCLE_1)
	s_xor_b32 s9, s9, s18
	s_sub_i32 s9, s18, s9
	s_mov_b32 s18, exec_lo
	s_add_i32 s26, s26, s9
	s_delay_alu instid0(SALU_CYCLE_1)
	v_cmpx_gt_i32_e64 s26, v0
	s_cbranch_execz .LBB64_217
; %bb.209:                              ;   in Loop: Header=BB64_8 Depth=1
	v_dual_mov_b32 v1, v17 :: v_dual_mov_b32 v2, v0
	s_mov_b32 s27, 0
                                        ; implicit-def: $sgpr28
	s_branch .LBB64_211
.LBB64_210:                             ;   in Loop: Header=BB64_211 Depth=2
	s_or_b32 exec_lo, exec_lo, s9
	s_waitcnt lgkmcnt(0)
	s_barrier
	buffer_gl0_inv
	ds_load_b32 v3, v7 offset:3072
	v_add_nc_u32_e32 v2, s44, v2
	v_add_nc_u32_e32 v1, s62, v1
	s_waitcnt lgkmcnt(0)
	s_barrier
	buffer_gl0_inv
	v_cmp_le_i32_e32 vcc_lo, s26, v2
	v_and_b32_e32 v4, 0x7fff, v3
	s_delay_alu instid0(VALU_DEP_1) | instskip(NEXT) | instid1(VALU_DEP_1)
	v_cmp_ne_u16_e64 s9, 0, v4
	s_or_b32 s37, vcc_lo, s9
	s_delay_alu instid0(SALU_CYCLE_1) | instskip(NEXT) | instid1(SALU_CYCLE_1)
	s_and_b32 s37, exec_lo, s37
	s_or_b32 s27, s37, s27
	s_and_not1_b32 s28, s28, exec_lo
	s_and_b32 s9, s9, exec_lo
	s_delay_alu instid0(SALU_CYCLE_1)
	s_or_b32 s28, s28, s9
	s_and_not1_b32 exec_lo, exec_lo, s27
	s_cbranch_execz .LBB64_216
.LBB64_211:                             ;   Parent Loop BB64_8 Depth=1
                                        ; =>  This Inner Loop Header: Depth=2
	s_delay_alu instid0(VALU_DEP_1)
	v_cmp_gt_i32_e32 vcc_lo, s17, v2
	v_mov_b32_e32 v3, 0
	s_and_saveexec_b32 s9, vcc_lo
	s_cbranch_execz .LBB64_213
; %bb.212:                              ;   in Loop: Header=BB64_211 Depth=2
	ds_load_u16 v3, v1
.LBB64_213:                             ;   in Loop: Header=BB64_211 Depth=2
	s_or_b32 exec_lo, exec_lo, s9
	s_and_saveexec_b32 s9, vcc_lo
	s_cbranch_execz .LBB64_210
; %bb.214:                              ;   in Loop: Header=BB64_211 Depth=2
	s_waitcnt lgkmcnt(0)
	v_cmp_lt_i16_e32 vcc_lo, -1, v3
	v_and_b32_e32 v4, 0xffff, v3
	v_dual_cndmask_b32 v6, 0xffff, v28 :: v_dual_lshlrev_b32 v13, 16, v3
	s_delay_alu instid0(VALU_DEP_1) | instskip(NEXT) | instid1(VALU_DEP_2)
	v_cmp_o_f32_e32 vcc_lo, v13, v13
	v_xor_b32_e32 v4, v6, v4
	s_delay_alu instid0(VALU_DEP_1) | instskip(NEXT) | instid1(VALU_DEP_1)
	v_cndmask_b32_e32 v4, 0xffff, v4, vcc_lo
	v_and_b32_e32 v4, s73, v4
	s_delay_alu instid0(VALU_DEP_1)
	v_cmp_eq_u32_e32 vcc_lo, s72, v4
	s_and_b32 exec_lo, exec_lo, vcc_lo
	s_cbranch_execz .LBB64_210
; %bb.215:                              ;   in Loop: Header=BB64_211 Depth=2
	v_perm_b32 v3, v3, s63, 0x5040100
	ds_store_b32 v7, v3 offset:3072
	s_branch .LBB64_210
.LBB64_216:                             ;   in Loop: Header=BB64_8 Depth=1
	s_or_b32 exec_lo, exec_lo, s27
	v_lshrrev_b32_e32 v29, 16, v3
	s_and_b32 s28, s28, exec_lo
.LBB64_217:                             ;   in Loop: Header=BB64_8 Depth=1
	s_or_b32 exec_lo, exec_lo, s18
	s_mov_b32 s27, -1
	s_mov_b32 s18, 0
	s_mov_b32 s26, 0
.LBB64_218:                             ;   in Loop: Header=BB64_8 Depth=1
	s_mov_b32 s37, 0
                                        ; implicit-def: $sgpr9
	s_and_saveexec_b32 s17, s28
	s_cbranch_execz .LBB64_232
; %bb.219:                              ;   in Loop: Header=BB64_8 Depth=1
	s_xor_b32 s9, s16, -1
	s_delay_alu instid0(SALU_CYCLE_1)
	s_and_not1_b32 vcc_lo, exec_lo, s9
	s_mov_b32 s9, 1
	s_cbranch_vccnz .LBB64_226
; %bb.220:                              ;   in Loop: Header=BB64_8 Depth=1
	s_cmp_gt_i32 s25, s10
	s_cbranch_scc1 .LBB64_227
; %bb.221:                              ;   in Loop: Header=BB64_8 Depth=1
	ds_load_b32 v1, v7 offset:4096
	s_waitcnt lgkmcnt(0)
	v_cmp_ne_u32_e32 vcc_lo, 0, v1
	s_cbranch_vccnz .LBB64_225
; %bb.222:                              ;   in Loop: Header=BB64_8 Depth=1
	s_and_saveexec_b32 s9, s2
	s_cbranch_execz .LBB64_224
; %bb.223:                              ;   in Loop: Header=BB64_8 Depth=1
	v_mov_b32_e32 v1, s10
	ds_store_b32 v7, v1 offset:4100
.LBB64_224:                             ;   in Loop: Header=BB64_8 Depth=1
	s_or_b32 exec_lo, exec_lo, s9
	s_waitcnt lgkmcnt(0)
	s_barrier
	buffer_gl0_inv
.LBB64_225:                             ;   in Loop: Header=BB64_8 Depth=1
	s_or_b32 s16, s72, s11
	s_or_b32 s11, s73, s11
	s_mov_b32 s28, 0
	s_mov_b32 s9, 8
	s_branch .LBB64_228
.LBB64_226:                             ;   in Loop: Header=BB64_8 Depth=1
	s_mov_b32 s25, 1
	s_branch .LBB64_231
.LBB64_227:                             ;   in Loop: Header=BB64_8 Depth=1
	s_mov_b32 s28, -1
                                        ; implicit-def: $sgpr9
                                        ; implicit-def: $sgpr16
                                        ; implicit-def: $sgpr11
.LBB64_228:                             ;   in Loop: Header=BB64_8 Depth=1
	s_delay_alu instid0(SALU_CYCLE_1)
	s_and_not1_b32 vcc_lo, exec_lo, s28
	s_cbranch_vccnz .LBB64_230
; %bb.229:                              ;   in Loop: Header=BB64_8 Depth=1
	s_sub_i32 s25, s25, s10
	s_mov_b32 s9, 8
	s_mov_b32 s16, s72
	;; [unrolled: 1-line block ×3, first 2 shown]
.LBB64_230:                             ;   in Loop: Header=BB64_8 Depth=1
	s_mov_b32 s72, s16
	s_mov_b32 s73, s11
.LBB64_231:                             ;   in Loop: Header=BB64_8 Depth=1
	s_mov_b32 s37, exec_lo
.LBB64_232:                             ;   in Loop: Header=BB64_8 Depth=1
	s_or_b32 exec_lo, exec_lo, s17
.LBB64_233:                             ;   in Loop: Header=BB64_8 Depth=1
	s_delay_alu instid0(SALU_CYCLE_1)
	s_and_not1_b32 s10, s21, exec_lo
	s_and_b32 s11, s18, exec_lo
	s_and_not1_b32 s16, s22, exec_lo
	s_or_b32 s21, s10, s11
	s_and_not1_b32 s10, s23, exec_lo
	s_and_b32 s11, s27, exec_lo
	s_and_b32 s17, s26, exec_lo
	s_or_b32 s23, s10, s11
	s_or_b32 s22, s16, s17
	s_and_b32 s28, s37, exec_lo
	s_mov_b32 s26, s25
.LBB64_234:                             ;   in Loop: Header=BB64_8 Depth=1
	s_or_b32 exec_lo, exec_lo, s24
.LBB64_235:                             ;   in Loop: Header=BB64_8 Depth=1
	s_delay_alu instid0(SALU_CYCLE_1)
	s_and_not1_b32 s10, s15, exec_lo
	s_and_b32 s11, s21, exec_lo
	s_and_not1_b32 s14, s14, exec_lo
	s_or_b32 s15, s10, s11
	s_and_not1_b32 s10, s19, exec_lo
	s_and_b32 s11, s23, exec_lo
	s_and_b32 s16, s22, exec_lo
	s_or_b32 s19, s10, s11
	s_or_b32 s14, s14, s16
	s_and_b32 s25, s28, exec_lo
	s_mov_b32 s22, s26
.LBB64_236:                             ;   in Loop: Header=BB64_8 Depth=1
	s_or_b32 exec_lo, exec_lo, s20
	s_and_saveexec_b32 s10, s25
	s_delay_alu instid0(SALU_CYCLE_1)
	s_xor_b32 s10, exec_lo, s10
	s_cbranch_execz .LBB64_6
.LBB64_237:                             ;   in Loop: Header=BB64_8 Depth=1
	s_and_b32 s9, s9, -9
	s_delay_alu instid0(SALU_CYCLE_1)
	s_cmp_eq_u32 s9, 0
	s_cbranch_scc1 .LBB64_4
; %bb.238:                              ;   in Loop: Header=BB64_8 Depth=1
	s_mov_b32 s9, -1
	s_mov_b32 s11, -1
                                        ; implicit-def: $sgpr73
                                        ; implicit-def: $sgpr22
                                        ; implicit-def: $sgpr67
                                        ; implicit-def: $sgpr70
	s_branch .LBB64_5
.LBB64_239:
	s_or_b32 exec_lo, exec_lo, s45
	s_xor_b32 s3, s66, -1
	s_xor_b32 s1, s64, -1
	;; [unrolled: 1-line block ×3, first 2 shown]
	s_mov_b32 s0, 0
	s_and_saveexec_b32 s5, s1
	s_delay_alu instid0(SALU_CYCLE_1)
	s_xor_b32 s1, exec_lo, s5
	s_cbranch_execz .LBB64_260
; %bb.240:
	s_and_saveexec_b32 s0, s3
	s_delay_alu instid0(SALU_CYCLE_1)
	s_xor_b32 s3, exec_lo, s0
	s_cbranch_execz .LBB64_258
; %bb.241:
	s_and_saveexec_b32 s0, s4
	s_delay_alu instid0(SALU_CYCLE_1)
	s_xor_b32 s0, exec_lo, s0
; %bb.242:
	v_and_b32_e32 v2, 0x8000, v1
	v_mov_b32_e32 v3, 0xffff
	s_delay_alu instid0(VALU_DEP_2) | instskip(NEXT) | instid1(VALU_DEP_2)
	v_cmp_eq_u32_e32 vcc_lo, 0, v2
	v_cndmask_b32_e32 v2, 0x8000, v3, vcc_lo
	s_delay_alu instid0(VALU_DEP_1)
	v_xor_b32_e32 v29, v2, v1
; %bb.243:
	s_or_b32 exec_lo, exec_lo, s0
	s_and_saveexec_b32 s0, s2
	s_cbranch_execz .LBB64_245
; %bb.244:
	v_dual_mov_b32 v1, 0 :: v_dual_mov_b32 v2, s36
	ds_store_b32 v1, v2 offset:4108
.LBB64_245:
	s_or_b32 exec_lo, exec_lo, s0
	v_mov_b32_e32 v1, 0
	s_waitcnt lgkmcnt(0)
	s_barrier
	buffer_gl0_inv
	s_mov_b32 s4, exec_lo
	ds_load_b32 v1, v1 offset:4108
	s_waitcnt lgkmcnt(0)
	v_min_i32_e32 v1, s36, v1
	s_delay_alu instid0(VALU_DEP_1)
	v_cmpx_lt_i32_e64 v0, v1
	s_cbranch_execz .LBB64_255
; %bb.246:
	v_lshlrev_b32_e32 v2, 16, v29
	s_mov_b32 s5, 0
                                        ; implicit-def: $sgpr6
                                        ; implicit-def: $sgpr9
                                        ; implicit-def: $sgpr8
	s_delay_alu instid0(VALU_DEP_1)
	v_cmp_u_f32_e32 vcc_lo, v2, v2
	s_xor_b32 s7, vcc_lo, -1
	s_set_inst_prefetch_distance 0x1
	s_branch .LBB64_248
	.p2align	6
.LBB64_247:                             ;   in Loop: Header=BB64_248 Depth=1
	s_or_b32 exec_lo, exec_lo, s0
	s_delay_alu instid0(SALU_CYCLE_1) | instskip(NEXT) | instid1(SALU_CYCLE_1)
	s_and_b32 s0, exec_lo, s9
	s_or_b32 s5, s0, s5
	s_and_not1_b32 s0, s6, exec_lo
	s_and_b32 s6, s8, exec_lo
	s_delay_alu instid0(SALU_CYCLE_1)
	s_or_b32 s6, s0, s6
	s_and_not1_b32 exec_lo, exec_lo, s5
	s_cbranch_execz .LBB64_250
.LBB64_248:                             ; =>This Inner Loop Header: Depth=1
	v_ashrrev_i32_e32 v6, 31, v5
	s_or_b32 s8, s8, exec_lo
	s_or_b32 s9, s9, exec_lo
	s_delay_alu instid0(VALU_DEP_1) | instskip(NEXT) | instid1(VALU_DEP_1)
	v_lshlrev_b64 v[3:4], 1, v[5:6]
	v_add_co_u32 v3, vcc_lo, s42, v3
	s_delay_alu instid0(VALU_DEP_2) | instskip(SKIP_3) | instid1(VALU_DEP_1)
	v_add_co_ci_u32_e32 v4, vcc_lo, s43, v4, vcc_lo
	global_load_u16 v3, v[3:4], off
	s_waitcnt vmcnt(0)
	v_lshlrev_b32_e32 v3, 16, v3
	v_cmp_o_f32_e32 vcc_lo, v3, v3
	v_cmp_neq_f32_e64 s0, v3, v2
	v_mov_b32_e32 v3, v0
                                        ; implicit-def: $vgpr0
	s_or_b32 s10, s7, vcc_lo
	s_delay_alu instid0(VALU_DEP_2) | instid1(SALU_CYCLE_1)
	s_and_b32 s10, s0, s10
	s_delay_alu instid0(SALU_CYCLE_1)
	s_and_saveexec_b32 s0, s10
	s_cbranch_execz .LBB64_247
; %bb.249:                              ;   in Loop: Header=BB64_248 Depth=1
	v_add_nc_u32_e32 v0, s44, v3
	s_and_not1_b32 s9, s9, exec_lo
	v_add_nc_u32_e32 v5, s48, v5
	s_and_not1_b32 s8, s8, exec_lo
	s_delay_alu instid0(VALU_DEP_2) | instskip(SKIP_1) | instid1(SALU_CYCLE_1)
	v_cmp_ge_i32_e32 vcc_lo, v0, v1
	s_and_b32 s10, vcc_lo, exec_lo
	s_or_b32 s9, s9, s10
	s_branch .LBB64_247
.LBB64_250:
	s_set_inst_prefetch_distance 0x2
	s_or_b32 exec_lo, exec_lo, s5
	s_and_saveexec_b32 s0, s6
	s_delay_alu instid0(SALU_CYCLE_1)
	s_xor_b32 s0, exec_lo, s0
	s_cbranch_execz .LBB64_255
; %bb.251:
	s_mov_b32 s5, exec_lo
	s_brev_b32 s0, -2
.LBB64_252:                             ; =>This Inner Loop Header: Depth=1
	s_ctz_i32_b32 s6, s5
	s_delay_alu instid0(SALU_CYCLE_1) | instskip(SKIP_1) | instid1(SALU_CYCLE_1)
	v_readlane_b32 s7, v3, s6
	s_lshl_b32 s6, 1, s6
	s_and_not1_b32 s5, s5, s6
	s_delay_alu instid0(VALU_DEP_1)
	s_min_i32 s0, s0, s7
	s_cmp_lg_u32 s5, 0
	s_cbranch_scc1 .LBB64_252
; %bb.253:
	v_mbcnt_lo_u32_b32 v0, exec_lo, 0
	s_mov_b32 s5, exec_lo
	s_delay_alu instid0(VALU_DEP_1)
	v_cmpx_eq_u32_e32 0, v0
	s_xor_b32 s5, exec_lo, s5
	s_cbranch_execz .LBB64_255
; %bb.254:
	v_dual_mov_b32 v0, 0 :: v_dual_mov_b32 v1, s0
	ds_min_i32 v0, v1 offset:4108
.LBB64_255:
	s_or_b32 exec_lo, exec_lo, s4
	s_waitcnt lgkmcnt(0)
	s_barrier
	buffer_gl0_inv
	s_and_saveexec_b32 s0, s2
	s_cbranch_execz .LBB64_257
; %bb.256:
	v_mov_b32_e32 v2, 0
	s_mul_i32 s4, s38, s29
	s_mul_i32 s6, s33, s29
	s_ashr_i32 s5, s4, 31
	s_delay_alu instid0(SALU_CYCLE_1) | instskip(SKIP_4) | instid1(SALU_CYCLE_1)
	s_lshl_b64 s[4:5], s[4:5], 1
	ds_load_b32 v0, v2 offset:4108
	s_add_u32 s4, s34, s4
	s_addc_u32 s5, s35, s5
	s_ashr_i32 s7, s6, 31
	s_lshl_b64 s[6:7], s[6:7], 3
	s_delay_alu instid0(SALU_CYCLE_1)
	s_add_u32 s6, s30, s6
	s_addc_u32 s7, s31, s7
	s_waitcnt lgkmcnt(0)
	v_ashrrev_i32_e32 v1, 31, v0
	s_clause 0x1
	global_store_b64 v2, v[0:1], s[6:7]
	global_store_b16 v2, v29, s[4:5]
.LBB64_257:
	s_or_b32 exec_lo, exec_lo, s0
.LBB64_258:
	s_or_saveexec_b32 s0, s3
	s_mov_b32 s2, 0
	s_xor_b32 exec_lo, exec_lo, s0
	s_cbranch_execnz .LBB64_266
.LBB64_259:
	s_or_b32 exec_lo, exec_lo, s0
	s_delay_alu instid0(SALU_CYCLE_1)
	s_and_b32 s0, s2, exec_lo
.LBB64_260:
	s_and_not1_saveexec_b32 s1, s1
	s_cbranch_execnz .LBB64_264
; %bb.261:
	s_or_b32 exec_lo, exec_lo, s1
	s_and_saveexec_b32 s1, s0
.LBB64_262:
	; divergent unreachable
.LBB64_263:
	s_nop 0
	s_sendmsg sendmsg(MSG_DEALLOC_VGPRS)
	s_endpgm
.LBB64_264:
	s_cbranch_execnz .LBB64_268
; %bb.265:
	s_or_b32 s0, s0, exec_lo
	s_or_b32 exec_lo, exec_lo, s1
	s_and_saveexec_b32 s1, s0
	s_cbranch_execnz .LBB64_262
	s_branch .LBB64_263
.LBB64_266:
	s_cbranch_execnz .LBB64_270
; %bb.267:
	s_mov_b32 s2, exec_lo
	s_branch .LBB64_259
.LBB64_268:
	s_trap 2
	s_sendmsg_rtn_b32 s0, sendmsg(MSG_RTN_GET_DOORBELL)
	s_mov_b32 ttmp2, m0
	s_waitcnt lgkmcnt(0)
	s_and_b32 s0, s0, 0x3ff
	s_delay_alu instid0(SALU_CYCLE_1) | instskip(NEXT) | instid1(SALU_CYCLE_1)
	s_bitset1_b32 s0, 10
	s_mov_b32 m0, s0
	s_sendmsg sendmsg(MSG_INTERRUPT)
	s_mov_b32 m0, ttmp2
.LBB64_269:                             ; =>This Inner Loop Header: Depth=1
	s_sethalt 5
	s_branch .LBB64_269
.LBB64_270:
	s_trap 2
	s_sendmsg_rtn_b32 s0, sendmsg(MSG_RTN_GET_DOORBELL)
	s_mov_b32 ttmp2, m0
	s_waitcnt lgkmcnt(0)
	s_and_b32 s0, s0, 0x3ff
	s_delay_alu instid0(SALU_CYCLE_1) | instskip(NEXT) | instid1(SALU_CYCLE_1)
	s_bitset1_b32 s0, 10
	s_mov_b32 m0, s0
	s_sendmsg sendmsg(MSG_INTERRUPT)
	s_mov_b32 m0, ttmp2
.LBB64_271:                             ; =>This Inner Loop Header: Depth=1
	s_sethalt 5
	s_branch .LBB64_271
	.section	.rodata,"a",@progbits
	.p2align	6, 0x0
	.amdhsa_kernel _ZN2at6native12_GLOBAL__N_114gatherKthValueIN3c108BFloat16EiLi1EEEvNS_4cuda6detail10TensorInfoIKT_T0_EESA_SA_SA_SA_NS7_IS8_SA_EENS7_IlSA_EE
		.amdhsa_group_segment_fixed_size 4112
		.amdhsa_private_segment_fixed_size 0
		.amdhsa_kernarg_size 920
		.amdhsa_user_sgpr_count 13
		.amdhsa_user_sgpr_dispatch_ptr 0
		.amdhsa_user_sgpr_queue_ptr 0
		.amdhsa_user_sgpr_kernarg_segment_ptr 1
		.amdhsa_user_sgpr_dispatch_id 0
		.amdhsa_user_sgpr_private_segment_size 0
		.amdhsa_wavefront_size32 1
		.amdhsa_uses_dynamic_stack 0
		.amdhsa_enable_private_segment 0
		.amdhsa_system_sgpr_workgroup_id_x 1
		.amdhsa_system_sgpr_workgroup_id_y 1
		.amdhsa_system_sgpr_workgroup_id_z 1
		.amdhsa_system_sgpr_workgroup_info 0
		.amdhsa_system_vgpr_workitem_id 0
		.amdhsa_next_free_vgpr 40
		.amdhsa_next_free_sgpr 83
		.amdhsa_reserve_vcc 1
		.amdhsa_float_round_mode_32 0
		.amdhsa_float_round_mode_16_64 0
		.amdhsa_float_denorm_mode_32 3
		.amdhsa_float_denorm_mode_16_64 3
		.amdhsa_dx10_clamp 1
		.amdhsa_ieee_mode 1
		.amdhsa_fp16_overflow 0
		.amdhsa_workgroup_processor_mode 1
		.amdhsa_memory_ordered 1
		.amdhsa_forward_progress 0
		.amdhsa_shared_vgpr_count 0
		.amdhsa_exception_fp_ieee_invalid_op 0
		.amdhsa_exception_fp_denorm_src 0
		.amdhsa_exception_fp_ieee_div_zero 0
		.amdhsa_exception_fp_ieee_overflow 0
		.amdhsa_exception_fp_ieee_underflow 0
		.amdhsa_exception_fp_ieee_inexact 0
		.amdhsa_exception_int_div_zero 0
	.end_amdhsa_kernel
	.section	.text._ZN2at6native12_GLOBAL__N_114gatherKthValueIN3c108BFloat16EiLi1EEEvNS_4cuda6detail10TensorInfoIKT_T0_EESA_SA_SA_SA_NS7_IS8_SA_EENS7_IlSA_EE,"axG",@progbits,_ZN2at6native12_GLOBAL__N_114gatherKthValueIN3c108BFloat16EiLi1EEEvNS_4cuda6detail10TensorInfoIKT_T0_EESA_SA_SA_SA_NS7_IS8_SA_EENS7_IlSA_EE,comdat
.Lfunc_end64:
	.size	_ZN2at6native12_GLOBAL__N_114gatherKthValueIN3c108BFloat16EiLi1EEEvNS_4cuda6detail10TensorInfoIKT_T0_EESA_SA_SA_SA_NS7_IS8_SA_EENS7_IlSA_EE, .Lfunc_end64-_ZN2at6native12_GLOBAL__N_114gatherKthValueIN3c108BFloat16EiLi1EEEvNS_4cuda6detail10TensorInfoIKT_T0_EESA_SA_SA_SA_NS7_IS8_SA_EENS7_IlSA_EE
                                        ; -- End function
	.section	.AMDGPU.csdata,"",@progbits
; Kernel info:
; codeLenInByte = 10624
; NumSgprs: 85
; NumVgprs: 40
; ScratchSize: 0
; MemoryBound: 0
; FloatMode: 240
; IeeeMode: 1
; LDSByteSize: 4112 bytes/workgroup (compile time only)
; SGPRBlocks: 10
; VGPRBlocks: 4
; NumSGPRsForWavesPerEU: 85
; NumVGPRsForWavesPerEU: 40
; Occupancy: 16
; WaveLimiterHint : 1
; COMPUTE_PGM_RSRC2:SCRATCH_EN: 0
; COMPUTE_PGM_RSRC2:USER_SGPR: 13
; COMPUTE_PGM_RSRC2:TRAP_HANDLER: 0
; COMPUTE_PGM_RSRC2:TGID_X_EN: 1
; COMPUTE_PGM_RSRC2:TGID_Y_EN: 1
; COMPUTE_PGM_RSRC2:TGID_Z_EN: 1
; COMPUTE_PGM_RSRC2:TIDIG_COMP_CNT: 0
	.section	.text._ZN2at6native12_GLOBAL__N_114gatherKthValueIN3c108BFloat16EiLi2EEEvNS_4cuda6detail10TensorInfoIKT_T0_EESA_SA_SA_SA_NS7_IS8_SA_EENS7_IlSA_EE,"axG",@progbits,_ZN2at6native12_GLOBAL__N_114gatherKthValueIN3c108BFloat16EiLi2EEEvNS_4cuda6detail10TensorInfoIKT_T0_EESA_SA_SA_SA_NS7_IS8_SA_EENS7_IlSA_EE,comdat
	.globl	_ZN2at6native12_GLOBAL__N_114gatherKthValueIN3c108BFloat16EiLi2EEEvNS_4cuda6detail10TensorInfoIKT_T0_EESA_SA_SA_SA_NS7_IS8_SA_EENS7_IlSA_EE ; -- Begin function _ZN2at6native12_GLOBAL__N_114gatherKthValueIN3c108BFloat16EiLi2EEEvNS_4cuda6detail10TensorInfoIKT_T0_EESA_SA_SA_SA_NS7_IS8_SA_EENS7_IlSA_EE
	.p2align	8
	.type	_ZN2at6native12_GLOBAL__N_114gatherKthValueIN3c108BFloat16EiLi2EEEvNS_4cuda6detail10TensorInfoIKT_T0_EESA_SA_SA_SA_NS7_IS8_SA_EENS7_IlSA_EE,@function
_ZN2at6native12_GLOBAL__N_114gatherKthValueIN3c108BFloat16EiLi2EEEvNS_4cuda6detail10TensorInfoIKT_T0_EESA_SA_SA_SA_NS7_IS8_SA_EENS7_IlSA_EE: ; @_ZN2at6native12_GLOBAL__N_114gatherKthValueIN3c108BFloat16EiLi2EEEvNS_4cuda6detail10TensorInfoIKT_T0_EESA_SA_SA_SA_NS7_IS8_SA_EENS7_IlSA_EE
; %bb.0:
	s_clause 0x1
	s_load_b64 s[4:5], s[0:1], 0x298
	s_load_b128 s[36:39], s[0:1], 0xd8
	s_add_u32 s2, s0, 0x298
	s_addc_u32 s3, s1, 0
	s_waitcnt lgkmcnt(0)
	s_mul_i32 s5, s5, s15
	s_delay_alu instid0(SALU_CYCLE_1) | instskip(NEXT) | instid1(SALU_CYCLE_1)
	s_add_i32 s5, s5, s14
	s_mul_i32 s29, s5, s4
	s_delay_alu instid0(SALU_CYCLE_1) | instskip(NEXT) | instid1(SALU_CYCLE_1)
	s_add_i32 s29, s29, s13
	s_cmp_ge_i32 s29, s38
	s_cbranch_scc1 .LBB65_263
; %bb.1:
	s_clause 0x8
	s_load_b32 s5, s[0:1], 0xc
	s_load_b32 s38, s[0:1], 0xf4
	;; [unrolled: 1-line block ×3, first 2 shown]
	s_load_b64 s[42:43], s[0:1], 0x154
	s_load_b64 s[34:35], s[0:1], 0xe8
	;; [unrolled: 1-line block ×6, first 2 shown]
	v_cmp_eq_u32_e64 s0, 0, v0
	s_abs_i32 s47, s29
	s_ashr_i32 s48, s29, 31
	s_mov_b32 s57, 0
	s_waitcnt lgkmcnt(0)
	s_abs_i32 s10, s5
	s_abs_i32 s49, s38
	;; [unrolled: 1-line block ×3, first 2 shown]
	v_cvt_f32_u32_e32 v1, s10
	v_cvt_f32_u32_e32 v2, s49
	;; [unrolled: 1-line block ×3, first 2 shown]
	s_sub_i32 s11, 0, s10
	s_sub_i32 s16, 0, s49
	v_rcp_iflag_f32_e32 v1, v1
	v_rcp_iflag_f32_e32 v2, v2
	;; [unrolled: 1-line block ×3, first 2 shown]
	s_sub_i32 s17, 0, s46
	s_ashr_i32 s1, s5, 31
	s_waitcnt_depctr 0xfff
	v_dual_mul_f32 v1, 0x4f7ffffe, v1 :: v_dual_mul_f32 v2, 0x4f7ffffe, v2
	v_mul_f32_e32 v3, 0x4f7ffffe, v3
	s_delay_alu instid0(VALU_DEP_2) | instskip(NEXT) | instid1(VALU_DEP_3)
	v_cvt_u32_f32_e32 v1, v1
	v_cvt_u32_f32_e32 v2, v2
	s_delay_alu instid0(VALU_DEP_3) | instskip(NEXT) | instid1(VALU_DEP_3)
	v_cvt_u32_f32_e32 v3, v3
	v_readfirstlane_b32 s12, v1
	s_delay_alu instid0(VALU_DEP_3) | instskip(NEXT) | instid1(VALU_DEP_3)
	v_readfirstlane_b32 s14, v2
	v_readfirstlane_b32 s15, v3
	s_delay_alu instid0(VALU_DEP_3) | instskip(NEXT) | instid1(VALU_DEP_2)
	s_mul_i32 s11, s11, s12
	s_mul_i32 s16, s16, s14
	s_delay_alu instid0(VALU_DEP_1)
	s_mul_i32 s17, s17, s15
	s_mul_hi_u32 s11, s12, s11
	s_mul_hi_u32 s16, s14, s16
	;; [unrolled: 1-line block ×3, first 2 shown]
	s_add_i32 s12, s12, s11
	s_add_i32 s14, s14, s16
	;; [unrolled: 1-line block ×3, first 2 shown]
	s_mul_hi_u32 s11, s47, s12
	s_mul_hi_u32 s52, s47, s14
	;; [unrolled: 1-line block ×3, first 2 shown]
	s_and_saveexec_b32 s12, s0
	s_cbranch_execz .LBB65_3
; %bb.2:
	v_dual_mov_b32 v1, 0 :: v_dual_mov_b32 v2, s36
	s_delay_alu instid0(VALU_DEP_1)
	v_mov_b32_e32 v3, v1
	ds_store_b96 v1, v[1:3] offset:4096
.LBB65_3:
	s_or_b32 exec_lo, exec_lo, s12
	s_mul_i32 s12, s11, s10
	s_ashr_i32 s53, s38, 31
	s_sub_i32 s12, s47, s12
	s_ashr_i32 s51, s33, 31
	s_xor_b32 s1, s48, s1
	s_add_i32 s14, s11, 1
	s_sub_i32 s15, s12, s10
	s_cmp_ge_u32 s12, s10
	s_waitcnt lgkmcnt(0)
	s_cselect_b32 s11, s14, s11
	s_cselect_b32 s12, s15, s12
	s_add_i32 s14, s11, 1
	s_cmp_ge_u32 s12, s10
	s_barrier
	s_cselect_b32 s10, s14, s11
	buffer_gl0_inv
	s_load_b32 s11, s[2:3], 0xc
	s_xor_b32 s10, s10, s1
	v_mbcnt_lo_u32_b32 v15, -1, 0
	s_sub_i32 s1, s10, s1
	v_cmp_gt_u32_e32 vcc_lo, 32, v0
	s_mul_i32 s5, s1, s5
	s_mul_i32 s1, s1, s8
	s_sub_i32 s5, s29, s5
	v_mov_b32_e32 v7, 0
	s_mul_i32 s5, s5, s9
	v_mul_lo_u32 v5, v0, s39
	s_add_i32 s8, s1, s5
	v_cmp_gt_i32_e64 s1, 4, v15
	s_ashr_i32 s9, s8, 31
	v_dual_mov_b32 v6, v7 :: v_dual_lshlrev_b32 v17, 1, v0
	s_lshl_b64 s[8:9], s[8:9], 1
	s_mov_b32 s10, s39
	s_add_u32 s54, s6, s8
	s_addc_u32 s55, s7, s9
	s_waitcnt lgkmcnt(0)
	s_and_b32 s56, s11, 0xffff
	s_bfe_u32 s5, s11, 0xb0005
	s_lshl_b32 s58, s56, 2
	s_add_i32 s60, s56, -1
	v_cvt_f32_u32_e32 v1, s58
	s_and_b32 s61, vcc_lo, s1
	s_add_i32 s71, s60, s36
	s_cmpk_gt_i32 s36, 0x600
	v_cmp_gt_u32_e64 s1, 2, v0
	v_rcp_iflag_f32_e32 v1, v1
	s_cselect_b32 s62, -1, 0
	s_cmp_gt_u32 s56, 31
	v_lshlrev_b32_e32 v16, 2, v0
	s_cselect_b32 s63, -1, 0
	s_cmp_lt_u32 s13, s4
	v_add_nc_u32_e32 v18, 0xc00, v17
	s_cselect_b32 s4, 12, 18
	v_lshlrev_b32_e32 v26, 3, v0
	s_add_u32 s44, s2, s4
	s_waitcnt_depctr 0xfff
	v_mul_f32_e32 v1, 0x4f7ffffe, v1
	s_addc_u32 s45, s3, 0
	s_add_i32 s2, s5, -1
	s_bfe_u32 s64, s56, 0x30005
	s_cmp_gt_u32 s2, 6
	v_cvt_u32_f32_e32 v1, v1
	s_cselect_b32 s65, -1, 0
	s_and_b32 s66, s5, 0x7f8
	s_cmp_lg_u32 s64, 0
	v_mad_u64_u32 v[12:13], null, s39, v16, s[10:11]
	v_readfirstlane_b32 s2, v1
	s_cselect_b32 s67, -1, 0
	s_sub_i32 s3, 0, s58
	v_cvt_f32_u32_e32 v1, s56
	v_lshl_or_b32 v27, v15, 2, 0xc00
	s_mul_i32 s3, s3, s2
	s_mul_i32 s59, s39, s56
	s_mul_hi_u32 s3, s2, s3
	v_rcp_iflag_f32_e32 v3, v1
	s_add_i32 s68, s2, s3
	v_lshlrev_b64 v[1:2], 1, v[5:6]
	s_mul_hi_u32 s3, s36, s68
	v_lshlrev_b32_e32 v24, 2, v5
	s_mul_i32 s3, s3, s58
	v_cmp_eq_u32_e64 s2, 0, v15
	s_sub_i32 s3, s36, s3
	v_add_co_u32 v8, vcc_lo, s54, v1
	s_sub_i32 s4, s3, s58
	s_cmp_ge_u32 s3, s58
	s_waitcnt_depctr 0xfff
	v_mul_f32_e32 v3, 0x4f7ffffe, v3
	s_cselect_b32 s4, s4, s3
	v_add_co_ci_u32_e32 v9, vcc_lo, s55, v2, vcc_lo
	s_sub_i32 s5, s4, s58
	s_cmp_ge_u32 s4, s58
	v_cvt_u32_f32_e32 v1, v3
	s_cselect_b32 s9, s5, s4
	v_mov_b32_e32 v28, 0x8000
	s_sub_i32 s69, s36, s9
	s_sub_i32 s6, 0, s56
	v_add_nc_u32_e32 v19, s69, v0
	v_readfirstlane_b32 s5, v1
	v_lshrrev_b32_e32 v2, 3, v0
	s_abs_i32 s7, s71
	v_lshlrev_b64 v[3:4], v15, -1
	v_mul_lo_u32 v1, v19, s39
	s_mul_i32 s6, s6, s5
	v_dual_mov_b32 v29, 0 :: v_dual_and_b32 v20, 0x7c, v2
	s_mul_hi_u32 s6, s5, s6
	s_delay_alu instid0(VALU_DEP_3) | instskip(SKIP_2) | instid1(VALU_DEP_4)
	v_not_b32_e32 v21, v3
	s_add_i32 s70, s5, s6
	v_or_b32_e32 v3, 3, v16
	v_ashrrev_i32_e32 v2, 31, v1
	s_mul_hi_u32 s5, s7, s70
	v_cmp_gt_u32_e64 s3, s36, v0
	s_mul_i32 s5, s5, s56
	v_mul_lo_u32 v23, s39, v3
	v_lshlrev_b64 v[1:2], 1, v[1:2]
	s_sub_i32 s5, s7, s5
	s_ashr_i32 s7, s71, 31
	s_sub_i32 s6, s5, s56
	s_cmp_ge_u32 s5, s56
	v_cmp_gt_i32_e64 s4, s36, v0
	s_cselect_b32 s5, s6, s5
	v_add_co_u32 v10, vcc_lo, s54, v1
	v_add3_u32 v1, s56, s36, v0
	s_sub_i32 s6, s5, s56
	s_cmp_ge_u32 s5, s56
	v_add_co_ci_u32_e32 v11, vcc_lo, s55, v2, vcc_lo
	s_cselect_b32 s6, s6, s5
	v_or_b32_e32 v2, 2, v16
	v_subrev_nc_u32_e32 v1, s9, v1
	s_xor_b32 s8, s6, s7
	v_cmp_gt_i32_e64 s5, s69, v16
	s_sub_i32 s7, s7, s8
	v_mul_lo_u32 v22, s39, v2
	v_mul_lo_u32 v25, s39, v1
	s_add_i32 s71, s71, s7
	v_cmp_gt_u32_e64 s6, s36, v19
	v_cmp_gt_i32_e64 s7, s36, v19
	v_cmp_gt_i32_e64 s8, s71, v0
	s_lshl_b32 s72, s59, 2
	s_lshl_b32 s73, s56, 3
	;; [unrolled: 1-line block ×3, first 2 shown]
	s_mov_b32 s79, 14
	s_movk_i32 s75, 0x3f80
	s_mov_b32 s82, 0
	s_mov_b32 s84, 0
	;; [unrolled: 1-line block ×3, first 2 shown]
                                        ; implicit-def: $sgpr76
                                        ; implicit-def: $sgpr78
                                        ; implicit-def: $sgpr77
                                        ; implicit-def: $sgpr81
                                        ; implicit-def: $sgpr83
                                        ; implicit-def: $sgpr80
	s_branch .LBB65_8
.LBB65_4:                               ;   in Loop: Header=BB65_8 Depth=1
	s_xor_b32 s82, s82, 1
	s_add_i32 s13, s79, -2
	s_cmp_eq_u32 s79, 0
	s_mov_b32 s9, 0
	s_cselect_b32 s11, -1, 0
	s_mov_b32 s79, s13
.LBB65_5:                               ;   in Loop: Header=BB65_8 Depth=1
	s_and_not1_b32 s13, s15, exec_lo
	s_and_b32 s9, s9, exec_lo
	s_and_not1_b32 s19, s19, exec_lo
	s_or_b32 s15, s13, s9
	s_and_not1_b32 s14, s14, exec_lo
	s_or_not1_b32 s13, s11, exec_lo
	s_mov_b32 s37, s22
.LBB65_6:                               ;   in Loop: Header=BB65_8 Depth=1
	s_or_b32 exec_lo, exec_lo, s10
	s_delay_alu instid0(SALU_CYCLE_1)
	s_and_not1_b32 s9, s80, exec_lo
	s_and_b32 s10, s15, exec_lo
	s_and_not1_b32 s11, s81, exec_lo
	s_or_b32 s80, s9, s10
	s_and_not1_b32 s9, s83, exec_lo
	s_and_b32 s10, s19, exec_lo
	s_and_b32 s14, s14, exec_lo
	s_or_b32 s83, s9, s10
	s_or_b32 s81, s11, s14
	s_or_not1_b32 s14, s13, exec_lo
.LBB65_7:                               ;   in Loop: Header=BB65_8 Depth=1
	s_or_b32 exec_lo, exec_lo, s12
	s_delay_alu instid0(SALU_CYCLE_1)
	s_and_b32 s9, exec_lo, s14
	v_mov_b32_e32 v1, s84
	s_or_b32 s57, s9, s57
	s_and_not1_b32 s9, s77, exec_lo
	s_and_b32 s10, s80, exec_lo
	s_and_not1_b32 s11, s76, exec_lo
	s_or_b32 s77, s9, s10
	s_and_not1_b32 s9, s78, exec_lo
	s_and_b32 s10, s83, exec_lo
	s_and_b32 s12, s81, exec_lo
	s_or_b32 s78, s9, s10
	s_or_b32 s76, s11, s12
	s_and_not1_b32 exec_lo, exec_lo, s57
	s_cbranch_execz .LBB65_239
.LBB65_8:                               ; =>This Loop Header: Depth=1
                                        ;     Child Loop BB65_13 Depth 2
                                        ;     Child Loop BB65_32 Depth 2
	;; [unrolled: 1-line block ×16, first 2 shown]
	ds_load_b64 v[1:2], v7 offset:4096
	s_waitcnt lgkmcnt(0)
	v_readfirstlane_b32 s86, v1
	s_delay_alu instid0(VALU_DEP_1)
	s_cmp_gt_i32 s86, 0
	s_cbranch_scc1 .LBB65_39
; %bb.9:                                ;   in Loop: Header=BB65_8 Depth=1
	s_and_b32 vcc_lo, exec_lo, s62
	s_cbranch_vccz .LBB65_21
; %bb.10:                               ;   in Loop: Header=BB65_8 Depth=1
	v_cmp_gt_i32_e32 vcc_lo, 0x601, v2
	s_mov_b32 s10, 0
	s_mov_b32 s9, 0
	s_cbranch_vccz .LBB65_26
; %bb.11:                               ;   in Loop: Header=BB65_8 Depth=1
	global_load_u16 v1, v7, s[44:45]
	global_load_u16 v4, v[8:9], off
	v_mov_b32_e32 v3, v0
	s_mov_b32 s11, 0
	s_waitcnt vmcnt(1)
	v_add_nc_u32_e32 v2, v0, v1
	s_delay_alu instid0(VALU_DEP_1)
	v_mul_lo_u32 v6, s39, v2
	v_mul_lo_u32 v2, s39, v1
	s_branch .LBB65_13
.LBB65_12:                              ;   in Loop: Header=BB65_13 Depth=2
	s_or_b32 exec_lo, exec_lo, s9
	v_cmp_le_i32_e32 vcc_lo, s36, v3
	v_add_nc_u32_e32 v6, v6, v2
	v_mov_b32_e32 v4, v13
	s_or_b32 s11, vcc_lo, s11
	s_delay_alu instid0(SALU_CYCLE_1)
	s_and_not1_b32 exec_lo, exec_lo, s11
	s_cbranch_execz .LBB65_22
.LBB65_13:                              ;   Parent Loop BB65_8 Depth=1
                                        ; =>  This Inner Loop Header: Depth=2
	s_waitcnt lgkmcnt(0)
	v_dual_mov_b32 v14, 0 :: v_dual_add_nc_u32 v3, v3, v1
	v_mov_b32_e32 v13, 0
	s_mov_b32 s9, exec_lo
	s_delay_alu instid0(VALU_DEP_2)
	v_cmpx_gt_u32_e64 s36, v3
	s_cbranch_execz .LBB65_15
; %bb.14:                               ;   in Loop: Header=BB65_13 Depth=2
	v_lshlrev_b64 v[30:31], 1, v[6:7]
	s_delay_alu instid0(VALU_DEP_1) | instskip(NEXT) | instid1(VALU_DEP_2)
	v_add_co_u32 v30, vcc_lo, s54, v30
	v_add_co_ci_u32_e32 v31, vcc_lo, s55, v31, vcc_lo
	global_load_u16 v13, v[30:31], off
.LBB65_15:                              ;   in Loop: Header=BB65_13 Depth=2
	s_or_b32 exec_lo, exec_lo, s9
	s_waitcnt vmcnt(0)
	v_cmp_lt_i16_e32 vcc_lo, -1, v4
	v_and_b32_e32 v30, 0xffff, v4
	v_lshlrev_b32_e32 v32, 16, v4
	v_cndmask_b32_e32 v31, 0xffff, v28, vcc_lo
	s_delay_alu instid0(VALU_DEP_2) | instskip(NEXT) | instid1(VALU_DEP_2)
	v_cmp_o_f32_e32 vcc_lo, v32, v32
	v_xor_b32_e32 v30, v31, v30
	s_delay_alu instid0(VALU_DEP_1) | instskip(NEXT) | instid1(VALU_DEP_1)
	v_cndmask_b32_e32 v30, 0xffff, v30, vcc_lo
	v_and_b32_e32 v30, s85, v30
	s_delay_alu instid0(VALU_DEP_1) | instskip(SKIP_2) | instid1(SALU_CYCLE_1)
	v_cmp_eq_u32_e32 vcc_lo, s84, v30
	s_cmp_lg_u32 vcc_lo, 0
	s_cselect_b32 s9, -1, 0
	s_and_b32 s9, s2, s9
	s_delay_alu instid0(SALU_CYCLE_1)
	s_and_saveexec_b32 s12, s9
	s_cbranch_execz .LBB65_19
; %bb.16:                               ;   in Loop: Header=BB65_13 Depth=2
	s_mov_b32 s15, exec_lo
	s_bcnt1_i32_b32 s13, vcc_lo
	v_mbcnt_lo_u32_b32 v14, s15, 0
	s_mov_b32 s14, exec_lo
                                        ; implicit-def: $vgpr30
	s_delay_alu instid0(VALU_DEP_1)
	v_cmpx_eq_u32_e32 0, v14
	s_cbranch_execz .LBB65_18
; %bb.17:                               ;   in Loop: Header=BB65_13 Depth=2
	s_bcnt1_i32_b32 s9, s15
	s_delay_alu instid0(SALU_CYCLE_1) | instskip(NEXT) | instid1(SALU_CYCLE_1)
	s_mul_i32 s9, s13, s9
	v_mov_b32_e32 v30, s9
	ds_add_rtn_u32 v30, v7, v30 offset:4104
.LBB65_18:                              ;   in Loop: Header=BB65_13 Depth=2
	s_or_b32 exec_lo, exec_lo, s14
	s_waitcnt lgkmcnt(0)
	v_readfirstlane_b32 s9, v30
	s_delay_alu instid0(VALU_DEP_1)
	v_mad_u32_u24 v14, s13, v14, s9
.LBB65_19:                              ;   in Loop: Header=BB65_13 Depth=2
	s_or_b32 exec_lo, exec_lo, s12
	ds_bpermute_b32 v14, v7, v14
	s_and_saveexec_b32 s9, vcc_lo
	s_cbranch_execz .LBB65_12
; %bb.20:                               ;   in Loop: Header=BB65_13 Depth=2
	v_and_b32_e32 v30, vcc_lo, v21
	s_delay_alu instid0(VALU_DEP_1) | instskip(NEXT) | instid1(VALU_DEP_1)
	v_bcnt_u32_b32 v30, v30, 0
	v_lshlrev_b32_e32 v30, 1, v30
	s_waitcnt lgkmcnt(0)
	s_delay_alu instid0(VALU_DEP_1)
	v_lshl_add_u32 v14, v14, 1, v30
	ds_store_b16 v14, v4
	s_branch .LBB65_12
.LBB65_21:                              ;   in Loop: Header=BB65_8 Depth=1
	s_mov_b32 s10, -1
	s_mov_b32 s9, 0
	s_branch .LBB65_25
.LBB65_22:                              ;   in Loop: Header=BB65_8 Depth=1
	s_or_b32 exec_lo, exec_lo, s11
	s_waitcnt lgkmcnt(0)
	s_barrier
	buffer_gl0_inv
	s_and_saveexec_b32 s9, s0
	s_cbranch_execz .LBB65_24
; %bb.23:                               ;   in Loop: Header=BB65_8 Depth=1
	ds_load_b32 v1, v7 offset:4104
	s_waitcnt lgkmcnt(0)
	ds_store_b32 v7, v1 offset:4096
.LBB65_24:                              ;   in Loop: Header=BB65_8 Depth=1
	s_or_b32 exec_lo, exec_lo, s9
	s_waitcnt lgkmcnt(0)
	s_mov_b32 s9, -1
	s_barrier
.LBB65_25:                              ;   in Loop: Header=BB65_8 Depth=1
                                        ; implicit-def: $sgpr86
.LBB65_26:                              ;   in Loop: Header=BB65_8 Depth=1
	s_and_b32 vcc_lo, exec_lo, s10
	s_cbranch_vccz .LBB65_37
; %bb.27:                               ;   in Loop: Header=BB65_8 Depth=1
	v_mov_b32_e32 v1, 0
	s_and_saveexec_b32 s9, s3
	s_cbranch_execz .LBB65_29
; %bb.28:                               ;   in Loop: Header=BB65_8 Depth=1
	global_load_u16 v1, v[8:9], off
.LBB65_29:                              ;   in Loop: Header=BB65_8 Depth=1
	s_or_b32 exec_lo, exec_lo, s9
	s_and_saveexec_b32 s9, s4
	s_cbranch_execz .LBB65_34
; %bb.30:                               ;   in Loop: Header=BB65_8 Depth=1
	global_load_u16 v2, v7, s[44:45]
	v_mov_b32_e32 v14, v0
	s_mov_b32 s10, 0
	v_mov_b32_e32 v13, v17
	s_waitcnt vmcnt(0)
	v_add_nc_u32_e32 v3, v0, v2
	v_lshlrev_b32_e32 v4, 1, v2
	s_delay_alu instid0(VALU_DEP_2)
	v_mul_lo_u32 v6, s39, v3
	v_mul_lo_u32 v3, s39, v2
	s_branch .LBB65_32
	.p2align	6
.LBB65_31:                              ;   in Loop: Header=BB65_32 Depth=2
	s_or_b32 exec_lo, exec_lo, s11
	v_cmp_le_i32_e32 vcc_lo, s36, v14
	ds_store_b16 v13, v1
	v_add_nc_u32_e32 v13, v13, v4
	v_add_nc_u32_e32 v6, v6, v3
	s_waitcnt vmcnt(0)
	v_mov_b32_e32 v1, v30
	s_or_b32 s10, vcc_lo, s10
	s_delay_alu instid0(SALU_CYCLE_1)
	s_and_not1_b32 exec_lo, exec_lo, s10
	s_cbranch_execz .LBB65_34
.LBB65_32:                              ;   Parent Loop BB65_8 Depth=1
                                        ; =>  This Inner Loop Header: Depth=2
	v_add_nc_u32_e32 v14, v14, v2
	v_mov_b32_e32 v30, 0
	s_mov_b32 s11, exec_lo
	s_delay_alu instid0(VALU_DEP_2)
	v_cmpx_gt_u32_e64 s36, v14
	s_cbranch_execz .LBB65_31
; %bb.33:                               ;   in Loop: Header=BB65_32 Depth=2
	v_lshlrev_b64 v[30:31], 1, v[6:7]
	s_delay_alu instid0(VALU_DEP_1) | instskip(NEXT) | instid1(VALU_DEP_2)
	v_add_co_u32 v30, vcc_lo, s54, v30
	v_add_co_ci_u32_e32 v31, vcc_lo, s55, v31, vcc_lo
	global_load_u16 v30, v[30:31], off
	s_branch .LBB65_31
.LBB65_34:                              ;   in Loop: Header=BB65_8 Depth=1
	s_or_b32 exec_lo, exec_lo, s9
	s_waitcnt vmcnt(0) lgkmcnt(0)
	s_barrier
	buffer_gl0_inv
	s_and_saveexec_b32 s9, s0
	s_cbranch_execz .LBB65_36
; %bb.35:                               ;   in Loop: Header=BB65_8 Depth=1
	v_mov_b32_e32 v1, s36
	ds_store_b32 v7, v1 offset:4096
.LBB65_36:                              ;   in Loop: Header=BB65_8 Depth=1
	s_or_b32 exec_lo, exec_lo, s9
	s_mov_b32 s9, -1
	s_waitcnt lgkmcnt(0)
	s_barrier
                                        ; implicit-def: $sgpr86
.LBB65_37:                              ;   in Loop: Header=BB65_8 Depth=1
	s_and_b32 vcc_lo, exec_lo, s9
	s_cbranch_vccz .LBB65_39
; %bb.38:                               ;   in Loop: Header=BB65_8 Depth=1
	buffer_gl0_inv
	ds_load_b32 v1, v7 offset:4096
	s_waitcnt lgkmcnt(0)
	v_readfirstlane_b32 s86, v1
.LBB65_39:                              ;   in Loop: Header=BB65_8 Depth=1
	s_delay_alu instid0(VALU_DEP_1)
	s_cmp_lt_i32 s86, 1
	s_cbranch_scc0 .LBB65_43
; %bb.40:                               ;   in Loop: Header=BB65_8 Depth=1
	v_dual_mov_b32 v1, 0 :: v_dual_mov_b32 v2, 0
	v_dual_mov_b32 v3, 0 :: v_dual_mov_b32 v4, 0
	s_mov_b32 s88, 0
	s_and_saveexec_b32 s87, s5
	s_cbranch_execnz .LBB65_44
; %bb.41:                               ;   in Loop: Header=BB65_8 Depth=1
	s_or_b32 exec_lo, exec_lo, s87
	v_mov_b32_e32 v30, 0
	s_and_saveexec_b32 s9, s6
	s_cbranch_execnz .LBB65_47
.LBB65_42:                              ;   in Loop: Header=BB65_8 Depth=1
	s_or_b32 exec_lo, exec_lo, s9
	s_and_saveexec_b32 s13, s7
	s_cbranch_execnz .LBB65_48
	s_branch .LBB65_53
.LBB65_43:                              ;   in Loop: Header=BB65_8 Depth=1
                                        ; implicit-def: $vgpr4
	s_cbranch_execnz .LBB65_54
	s_branch .LBB65_63
.LBB65_44:                              ;   in Loop: Header=BB65_8 Depth=1
	v_mov_b32_e32 v6, v16
	s_and_b32 s89, s79, 0xfe
	s_mov_b32 s90, 0
	s_mov_b32 s91, 0
	;; [unrolled: 1-line block ×5, first 2 shown]
.LBB65_45:                              ;   Parent Loop BB65_8 Depth=1
                                        ; =>  This Inner Loop Header: Depth=2
	v_add_nc_u32_e32 v1, s90, v24
	v_add_nc_u32_e32 v3, s90, v12
	;; [unrolled: 1-line block ×4, first 2 shown]
	s_add_i32 s90, s90, s72
	v_ashrrev_i32_e32 v2, 31, v1
	v_ashrrev_i32_e32 v4, 31, v3
	;; [unrolled: 1-line block ×4, first 2 shown]
	s_delay_alu instid0(VALU_DEP_4) | instskip(NEXT) | instid1(VALU_DEP_4)
	v_lshlrev_b64 v[1:2], 1, v[1:2]
	v_lshlrev_b64 v[3:4], 1, v[3:4]
	s_delay_alu instid0(VALU_DEP_4) | instskip(NEXT) | instid1(VALU_DEP_4)
	v_lshlrev_b64 v[13:14], 1, v[13:14]
	v_lshlrev_b64 v[30:31], 1, v[30:31]
	s_delay_alu instid0(VALU_DEP_4)
	v_add_co_u32 v1, vcc_lo, s54, v1
	v_add_co_ci_u32_e32 v2, vcc_lo, s55, v2, vcc_lo
	v_add_co_u32 v3, vcc_lo, s54, v3
	v_add_co_ci_u32_e32 v4, vcc_lo, s55, v4, vcc_lo
	;; [unrolled: 2-line block ×4, first 2 shown]
	s_clause 0x3
	global_load_u16 v1, v[1:2], off
	global_load_u16 v2, v[3:4], off
	;; [unrolled: 1-line block ×4, first 2 shown]
	s_waitcnt vmcnt(3)
	v_cmp_lt_i16_e64 s9, -1, v1
	v_and_b32_e32 v13, 0xffff, v1
	v_lshlrev_b32_e32 v1, 16, v1
	s_waitcnt vmcnt(2)
	v_and_b32_e32 v30, 0xffff, v2
	s_waitcnt vmcnt(1)
	v_and_b32_e32 v32, 0xffff, v3
	v_cndmask_b32_e64 v14, 0xffff, v28, s9
	v_cmp_lt_i16_e64 s9, -1, v2
	v_lshlrev_b32_e32 v2, 16, v2
	v_cmp_o_f32_e64 s12, v1, v1
	s_waitcnt vmcnt(0)
	v_and_b32_e32 v34, 0xffff, v4
	v_xor_b32_e32 v13, v14, v13
	v_cndmask_b32_e64 v31, 0xffff, v28, s9
	v_cmp_lt_i16_e64 s9, -1, v3
	v_lshlrev_b32_e32 v3, 16, v3
	s_delay_alu instid0(VALU_DEP_4) | instskip(NEXT) | instid1(VALU_DEP_4)
	v_cndmask_b32_e64 v1, 0xffff, v13, s12
	v_xor_b32_e32 v14, v31, v30
	s_delay_alu instid0(VALU_DEP_4)
	v_cndmask_b32_e64 v33, 0xffff, v28, s9
	v_cmp_lt_i16_e64 s9, -1, v4
	v_lshlrev_b32_e32 v4, 16, v4
	v_cmp_o_f32_e64 s10, v3, v3
	v_and_b32_e32 v13, s85, v1
	v_bfe_u32 v1, v1, s89, 2
	v_cndmask_b32_e64 v35, 0xffff, v28, s9
	v_cmp_o_f32_e64 s9, v2, v2
	v_xor_b32_e32 v2, v33, v32
	v_cmp_o_f32_e64 s11, v4, v4
	v_cmp_eq_u32_e64 s13, 0, v1
	v_xor_b32_e32 v3, v35, v34
	v_cndmask_b32_e64 v4, 0xffff, v14, s9
	v_cndmask_b32_e64 v2, 0xffff, v2, s10
	v_cmp_eq_u32_e64 s9, s84, v13
	v_cmp_eq_u32_e64 s17, 1, v1
	v_cndmask_b32_e64 v3, 0xffff, v3, s11
	v_and_b32_e32 v14, s85, v4
	v_bfe_u32 v4, v4, s89, 2
	v_and_b32_e32 v30, s85, v2
	v_bfe_u32 v2, v2, s89, 2
	;; [unrolled: 2-line block ×3, first 2 shown]
	v_cmp_eq_u32_e64 s10, s84, v14
	v_cmp_eq_u32_e64 s14, 0, v4
	;; [unrolled: 1-line block ×4, first 2 shown]
	s_and_b32 s13, s9, s13
	v_cmp_eq_u32_e64 s12, s84, v31
	v_cmp_eq_u32_e64 s16, 0, v3
	;; [unrolled: 1-line block ×4, first 2 shown]
	v_cndmask_b32_e64 v1, 0, 1, s13
	s_and_b32 s13, s10, s14
	v_cmp_eq_u32_e64 s19, 1, v2
	v_cmp_eq_u32_e64 s23, 2, v2
	;; [unrolled: 1-line block ×3, first 2 shown]
	v_cndmask_b32_e64 v2, 0, 1, s13
	s_and_b32 s13, s11, s15
	v_cmp_eq_u32_e64 s18, 1, v4
	v_cmp_eq_u32_e64 s20, 1, v3
	;; [unrolled: 1-line block ×4, first 2 shown]
	v_cndmask_b32_e64 v3, 0, 1, s13
	s_and_b32 s13, s12, s16
	v_cmp_eq_u32_e64 s22, 2, v4
	v_cmp_eq_u32_e64 s26, 3, v4
	v_cndmask_b32_e64 v4, 0, 1, s13
	s_and_b32 s13, s9, s17
	s_delay_alu instid0(SALU_CYCLE_1) | instskip(SKIP_1) | instid1(SALU_CYCLE_1)
	v_cndmask_b32_e64 v13, 0, 1, s13
	s_and_b32 s13, s10, s18
	v_cndmask_b32_e64 v14, 0, 1, s13
	s_and_b32 s13, s11, s19
	s_delay_alu instid0(SALU_CYCLE_1) | instskip(SKIP_1) | instid1(VALU_DEP_2)
	v_cndmask_b32_e64 v30, 0, 1, s13
	s_and_b32 s13, s12, s20
	v_cmp_ne_u32_e64 s14, 0, v14
	v_cndmask_b32_e64 v31, 0, 1, s13
	s_and_b32 s13, s9, s21
	s_and_b32 s9, s9, s25
	v_cndmask_b32_e64 v32, 0, 1, s13
	s_and_b32 s13, s10, s22
	v_cndmask_b32_e64 v36, 0, 1, s9
	;; [unrolled: 2-line block ×7, first 2 shown]
	v_cndmask_b32_e64 v39, 0, 1, s9
	v_cmp_ne_u32_e64 s9, 0, v1
	v_cmp_ne_u32_e64 s13, 0, v13
	;; [unrolled: 1-line block ×8, first 2 shown]
	s_bcnt1_i32_b32 s9, s9
	s_bcnt1_i32_b32 s13, s13
	s_bcnt1_i32_b32 s17, s17
	v_cmp_ne_u32_e64 s20, 0, v35
	v_cmp_ne_u32_e64 s22, 0, v37
	s_bcnt1_i32_b32 s10, s10
	s_bcnt1_i32_b32 s14, s14
	s_bcnt1_i32_b32 s18, s18
	s_add_i32 s9, s9, s94
	s_add_i32 s13, s13, s93
	;; [unrolled: 1-line block ×3, first 2 shown]
	v_cmp_ne_u32_e64 s15, 0, v30
	v_cmp_ne_u32_e64 s23, 0, v38
	s_bcnt1_i32_b32 s11, s11
	s_bcnt1_i32_b32 s19, s19
	s_add_i32 s9, s9, s10
	s_add_i32 s10, s13, s14
	;; [unrolled: 1-line block ×3, first 2 shown]
	s_bcnt1_i32_b32 s21, s21
	v_cmp_ne_u32_e64 s12, 0, v4
	v_cmp_ne_u32_e64 s16, 0, v31
	;; [unrolled: 1-line block ×3, first 2 shown]
	s_bcnt1_i32_b32 s20, s20
	s_add_i32 s9, s9, s11
	s_add_i32 s11, s13, s19
	s_bcnt1_i32_b32 s22, s22
	s_add_i32 s21, s21, s91
	s_add_i32 s92, s11, s20
	s_delay_alu instid0(SALU_CYCLE_1)
	v_dual_mov_b32 v3, s92 :: v_dual_add_nc_u32 v6, s58, v6
	s_bcnt1_i32_b32 s15, s15
	s_bcnt1_i32_b32 s23, s23
	s_add_i32 s14, s21, s22
	s_bcnt1_i32_b32 s12, s12
	s_bcnt1_i32_b32 s16, s16
	;; [unrolled: 1-line block ×3, first 2 shown]
	s_add_i32 s10, s10, s15
	s_add_i32 s13, s14, s23
	v_cmp_le_i32_e32 vcc_lo, s69, v6
	s_add_i32 s94, s9, s12
	s_add_i32 s93, s10, s16
	;; [unrolled: 1-line block ×3, first 2 shown]
	v_dual_mov_b32 v1, s94 :: v_dual_mov_b32 v2, s93
	v_mov_b32_e32 v4, s91
	s_or_b32 s88, vcc_lo, s88
	s_delay_alu instid0(SALU_CYCLE_1)
	s_and_not1_b32 exec_lo, exec_lo, s88
	s_cbranch_execnz .LBB65_45
; %bb.46:                               ;   in Loop: Header=BB65_8 Depth=1
	s_or_b32 exec_lo, exec_lo, s88
	s_delay_alu instid0(SALU_CYCLE_1)
	s_or_b32 exec_lo, exec_lo, s87
	v_mov_b32_e32 v30, 0
	s_and_saveexec_b32 s9, s6
	s_cbranch_execz .LBB65_42
.LBB65_47:                              ;   in Loop: Header=BB65_8 Depth=1
	global_load_u16 v30, v[10:11], off
	s_or_b32 exec_lo, exec_lo, s9
	s_and_saveexec_b32 s13, s7
	s_cbranch_execz .LBB65_53
.LBB65_48:                              ;   in Loop: Header=BB65_8 Depth=1
	v_dual_mov_b32 v13, v25 :: v_dual_mov_b32 v6, v19
	s_and_b32 s15, s79, 0xfe
	s_mov_b32 s14, 0
	s_branch .LBB65_50
.LBB65_49:                              ;   in Loop: Header=BB65_50 Depth=2
	s_or_b32 exec_lo, exec_lo, s9
	s_waitcnt vmcnt(0)
	v_cmp_lt_i16_e32 vcc_lo, -1, v30
	v_and_b32_e32 v31, 0xffff, v30
	v_lshlrev_b32_e32 v30, 16, v30
	v_add_nc_u32_e32 v13, s59, v13
	v_cndmask_b32_e32 v32, 0xffff, v28, vcc_lo
	s_delay_alu instid0(VALU_DEP_3) | instskip(NEXT) | instid1(VALU_DEP_2)
	v_cmp_o_f32_e32 vcc_lo, v30, v30
	v_xor_b32_e32 v31, v32, v31
	s_delay_alu instid0(VALU_DEP_1) | instskip(NEXT) | instid1(VALU_DEP_1)
	v_cndmask_b32_e32 v30, 0xffff, v31, vcc_lo
	v_and_b32_e32 v31, s85, v30
	v_bfe_u32 v30, v30, s15, 2
	s_delay_alu instid0(VALU_DEP_2) | instskip(NEXT) | instid1(VALU_DEP_2)
	v_cmp_eq_u32_e32 vcc_lo, s84, v31
	v_cmp_eq_u32_e64 s9, 0, v30
	v_cmp_eq_u32_e64 s10, 1, v30
	;; [unrolled: 1-line block ×4, first 2 shown]
	s_delay_alu instid0(VALU_DEP_4) | instskip(NEXT) | instid1(SALU_CYCLE_1)
	s_and_b32 s9, vcc_lo, s9
	v_cndmask_b32_e64 v30, 0, 1, s9
	s_and_b32 s9, vcc_lo, s10
	s_delay_alu instid0(SALU_CYCLE_1) | instskip(SKIP_1) | instid1(SALU_CYCLE_1)
	v_cndmask_b32_e64 v31, 0, 1, s9
	s_and_b32 s9, vcc_lo, s11
	v_cndmask_b32_e64 v32, 0, 1, s9
	s_and_b32 s9, vcc_lo, s12
	v_cmp_ne_u32_e32 vcc_lo, 0, v30
	v_mov_b32_e32 v30, v14
	v_cndmask_b32_e64 v33, 0, 1, s9
	v_cmp_ne_u32_e64 s9, 0, v31
	v_cmp_ne_u32_e64 s10, 0, v32
	v_cmp_le_i32_e64 s12, s36, v6
	s_bcnt1_i32_b32 s16, vcc_lo
	v_cmp_ne_u32_e64 s11, 0, v33
	s_bcnt1_i32_b32 s9, s9
	s_bcnt1_i32_b32 s10, s10
	v_add_nc_u32_e32 v1, s16, v1
	v_add_nc_u32_e32 v2, s9, v2
	s_bcnt1_i32_b32 s11, s11
	v_add_nc_u32_e32 v3, s10, v3
	v_add_nc_u32_e32 v4, s11, v4
	s_or_b32 s14, s12, s14
	s_delay_alu instid0(SALU_CYCLE_1)
	s_and_not1_b32 exec_lo, exec_lo, s14
	s_cbranch_execz .LBB65_52
.LBB65_50:                              ;   Parent Loop BB65_8 Depth=1
                                        ; =>  This Inner Loop Header: Depth=2
	s_delay_alu instid0(VALU_DEP_1) | instskip(SKIP_2) | instid1(VALU_DEP_2)
	v_add_nc_u32_e32 v6, s56, v6
	v_mov_b32_e32 v14, 0
	s_mov_b32 s9, exec_lo
	v_cmpx_gt_u32_e64 s36, v6
	s_cbranch_execz .LBB65_49
; %bb.51:                               ;   in Loop: Header=BB65_50 Depth=2
	v_ashrrev_i32_e32 v14, 31, v13
	s_delay_alu instid0(VALU_DEP_1) | instskip(NEXT) | instid1(VALU_DEP_1)
	v_lshlrev_b64 v[31:32], 1, v[13:14]
	v_add_co_u32 v31, vcc_lo, s54, v31
	s_delay_alu instid0(VALU_DEP_2)
	v_add_co_ci_u32_e32 v32, vcc_lo, s55, v32, vcc_lo
	global_load_u16 v14, v[31:32], off
	s_branch .LBB65_49
.LBB65_52:                              ;   in Loop: Header=BB65_8 Depth=1
	s_or_b32 exec_lo, exec_lo, s14
.LBB65_53:                              ;   in Loop: Header=BB65_8 Depth=1
	s_delay_alu instid0(SALU_CYCLE_1)
	s_or_b32 exec_lo, exec_lo, s13
	s_branch .LBB65_63
.LBB65_54:                              ;   in Loop: Header=BB65_8 Depth=1
	s_mul_hi_u32 s9, s86, s68
	v_dual_mov_b32 v1, 0 :: v_dual_mov_b32 v2, 0
	s_mul_i32 s9, s9, s58
	v_dual_mov_b32 v3, 0 :: v_dual_mov_b32 v4, 0
	s_sub_i32 s9, s86, s9
	s_mov_b32 s25, 0
	s_sub_i32 s10, s9, s58
	s_cmp_ge_u32 s9, s58
	s_mov_b32 s24, exec_lo
	s_cselect_b32 s9, s10, s9
	s_delay_alu instid0(SALU_CYCLE_1) | instskip(SKIP_2) | instid1(SALU_CYCLE_1)
	s_sub_i32 s10, s9, s58
	s_cmp_ge_u32 s9, s58
	s_cselect_b32 s9, s10, s9
	s_sub_i32 s23, s86, s9
	s_delay_alu instid0(SALU_CYCLE_1)
	v_cmpx_gt_u32_e64 s23, v16
	s_cbranch_execz .LBB65_58
; %bb.55:                               ;   in Loop: Header=BB65_8 Depth=1
	v_dual_mov_b32 v6, v26 :: v_dual_mov_b32 v13, v16
	s_and_b32 s26, s79, 0xfe
	s_mov_b32 s27, 0
	s_mov_b32 s28, 0
	;; [unrolled: 1-line block ×4, first 2 shown]
.LBB65_56:                              ;   Parent Loop BB65_8 Depth=1
                                        ; =>  This Inner Loop Header: Depth=2
	ds_load_b64 v[1:2], v6
	s_waitcnt lgkmcnt(0)
	v_cmp_lt_i16_e64 s9, -1, v1
	v_lshrrev_b32_e32 v4, 16, v2
	v_lshrrev_b32_e32 v3, 16, v1
	v_and_b32_e32 v14, 0xffff, v1
	v_lshlrev_b32_e32 v31, 16, v1
	s_waitcnt vmcnt(0)
	v_cndmask_b32_e64 v30, 0xffff, v28, s9
	v_cmp_lt_i16_e64 s9, -1, v2
	v_and_b32_e32 v32, 0xffff, v2
	v_cmp_lt_i16_e64 s10, -1, v4
	v_lshlrev_b32_e32 v34, 16, v2
	v_xor_b32_e32 v14, v30, v14
	v_cndmask_b32_e64 v33, 0xffff, v28, s9
	v_cmp_lt_i16_e64 s9, -1, v3
	v_and_b32_e32 v1, 0xffff0000, v1
	v_and_b32_e32 v2, 0xffff0000, v2
	s_delay_alu instid0(VALU_DEP_4) | instskip(SKIP_4) | instid1(VALU_DEP_4)
	v_xor_b32_e32 v32, v33, v32
	v_cndmask_b32_e64 v33, 0xffff, v28, s10
	v_cmp_o_f32_e64 s10, v31, v31
	v_cndmask_b32_e64 v30, 0xffff, v28, s9
	v_cmp_o_f32_e64 s9, v34, v34
	v_xor_b32_e32 v4, v33, v4
	s_delay_alu instid0(VALU_DEP_4) | instskip(NEXT) | instid1(VALU_DEP_4)
	v_cndmask_b32_e64 v14, 0xffff, v14, s10
	v_xor_b32_e32 v3, v30, v3
	s_delay_alu instid0(VALU_DEP_4) | instskip(SKIP_4) | instid1(VALU_DEP_3)
	v_cndmask_b32_e64 v30, 0xffff, v32, s9
	v_cmp_o_f32_e64 s9, v2, v2
	v_cmp_o_f32_e64 s10, v1, v1
	v_and_b32_e32 v2, s85, v14
	v_bfe_u32 v14, v14, s26, 2
	v_cndmask_b32_e64 v1, 0xffff, v3, s10
	v_cndmask_b32_e64 v3, 0xffff, v4, s9
	v_and_b32_e32 v4, s85, v30
	v_bfe_u32 v30, v30, s26, 2
	v_cmp_eq_u32_e64 s9, s84, v2
	v_cmp_eq_u32_e64 s11, 0, v14
	v_and_b32_e32 v2, s85, v1
	v_cmp_eq_u32_e64 s10, s84, v4
	v_cmp_eq_u32_e64 s12, 0, v30
	v_and_b32_e32 v4, s85, v3
	v_bfe_u32 v1, v1, s26, 2
	v_bfe_u32 v3, v3, s26, 2
	v_cmp_eq_u32_e64 s13, 1, v14
	v_cmp_eq_u32_e64 s15, 2, v14
	s_and_b32 s11, s9, s11
	v_cmp_eq_u32_e64 s14, 1, v30
	v_cmp_eq_u32_e64 s16, 2, v30
	;; [unrolled: 1-line block ×4, first 2 shown]
	v_cndmask_b32_e64 v2, 0, 1, s11
	s_and_b32 s11, s10, s12
	v_cmp_eq_u32_e64 s18, 3, v30
	v_cmp_eq_u32_e64 s20, s84, v4
	;; [unrolled: 1-line block ×4, first 2 shown]
	v_cndmask_b32_e64 v4, 0, 1, s11
	v_cmp_eq_u32_e64 s11, 1, v1
	s_and_b32 s13, s9, s13
	s_and_b32 s15, s9, s15
	v_cndmask_b32_e64 v14, 0, 1, s13
	s_and_b32 s13, s10, s14
	v_cndmask_b32_e64 v31, 0, 1, s15
	s_and_b32 s15, s10, s16
	s_and_b32 s9, s9, s17
	v_cmp_eq_u32_e64 s12, 1, v3
	v_cndmask_b32_e64 v30, 0, 1, s13
	v_cmp_eq_u32_e64 s13, 2, v1
	v_cmp_eq_u32_e64 s14, 2, v3
	v_cndmask_b32_e64 v32, 0, 1, s15
	v_cmp_eq_u32_e64 s15, 3, v1
	v_cmp_eq_u32_e64 s16, 3, v3
	v_cndmask_b32_e64 v1, 0, 1, s9
	s_and_b32 s9, s10, s18
	s_and_b32 s10, s19, s21
	;; [unrolled: 1-line block ×4, first 2 shown]
	v_cndmask_b32_e64 v3, 0, 1, s9
	v_cmp_ne_u32_e64 s9, 0, v2
	v_cndmask_b32_e64 v2, 0, 1, s10
	v_cmp_ne_u32_e64 s10, 0, v4
	;; [unrolled: 2-line block ×3, first 2 shown]
	v_cndmask_b32_e64 v14, 0, 1, s11
	s_and_b32 s12, s20, s12
	s_and_b32 s13, s19, s13
	;; [unrolled: 1-line block ×5, first 2 shown]
	v_cmp_ne_u32_e64 s11, 0, v30
	v_cndmask_b32_e64 v30, 0, 1, s12
	v_cmp_ne_u32_e64 s12, 0, v31
	v_cndmask_b32_e64 v31, 0, 1, s13
	v_cmp_ne_u32_e64 s13, 0, v32
	v_cndmask_b32_e64 v32, 0, 1, s14
	v_cmp_ne_u32_e64 s14, 0, v1
	v_cndmask_b32_e64 v1, 0, 1, s15
	v_cmp_ne_u32_e64 s15, 0, v3
	v_cndmask_b32_e64 v3, 0, 1, s16
	v_cmp_ne_u32_e64 s16, 0, v14
	s_bcnt1_i32_b32 s17, s17
	s_bcnt1_i32_b32 s20, s11
	v_cmp_ne_u32_e64 s11, 0, v30
	s_bcnt1_i32_b32 s18, s9
	v_cmp_ne_u32_e64 s9, 0, v2
	;; [unrolled: 2-line block ×4, first 2 shown]
	s_add_i32 s17, s17, s87
	s_bcnt1_i32_b32 s16, s16
	s_bcnt1_i32_b32 s19, s10
	s_add_i32 s16, s17, s16
	v_cmp_ne_u32_e64 s10, 0, v4
	s_bcnt1_i32_b32 s22, s13
	v_cmp_ne_u32_e64 s13, 0, v32
	s_bcnt1_i32_b32 s90, s15
	;; [unrolled: 2-line block ×3, first 2 shown]
	s_add_i32 s16, s16, s20
	s_add_i32 s18, s18, s88
	;; [unrolled: 1-line block ×4, first 2 shown]
	s_bcnt1_i32_b32 s9, s9
	s_bcnt1_i32_b32 s12, s12
	;; [unrolled: 1-line block ×3, first 2 shown]
	s_add_i32 s87, s16, s11
	s_delay_alu instid0(SALU_CYCLE_1)
	v_dual_mov_b32 v2, s87 :: v_dual_add_nc_u32 v13, s58, v13
	s_add_i32 s9, s18, s9
	s_add_i32 s12, s21, s12
	;; [unrolled: 1-line block ×3, first 2 shown]
	s_bcnt1_i32_b32 s10, s10
	s_bcnt1_i32_b32 s13, s13
	;; [unrolled: 1-line block ×3, first 2 shown]
	s_add_i32 s9, s9, s19
	s_add_i32 s12, s12, s22
	;; [unrolled: 1-line block ×3, first 2 shown]
	v_cmp_le_i32_e32 vcc_lo, s23, v13
	s_add_i32 s88, s9, s10
	s_add_i32 s28, s12, s13
	;; [unrolled: 1-line block ×3, first 2 shown]
	v_dual_mov_b32 v1, s88 :: v_dual_add_nc_u32 v6, s73, v6
	v_dual_mov_b32 v3, s28 :: v_dual_mov_b32 v4, s27
	s_or_b32 s25, vcc_lo, s25
	s_delay_alu instid0(SALU_CYCLE_1)
	s_and_not1_b32 exec_lo, exec_lo, s25
	s_cbranch_execnz .LBB65_56
; %bb.57:                               ;   in Loop: Header=BB65_8 Depth=1
	s_or_b32 exec_lo, exec_lo, s25
.LBB65_58:                              ;   in Loop: Header=BB65_8 Depth=1
	s_delay_alu instid0(SALU_CYCLE_1) | instskip(SKIP_2) | instid1(VALU_DEP_1)
	s_or_b32 exec_lo, exec_lo, s24
	v_add_nc_u32_e32 v6, s23, v0
	s_mov_b32 s14, exec_lo
	v_cmpx_gt_i32_e64 s86, v6
	s_cbranch_execz .LBB65_62
; %bb.59:                               ;   in Loop: Header=BB65_8 Depth=1
	v_lshlrev_b32_e32 v13, 1, v6
	s_and_b32 s16, s79, 0xfe
	s_mov_b32 s15, 0
.LBB65_60:                              ;   Parent Loop BB65_8 Depth=1
                                        ; =>  This Inner Loop Header: Depth=2
	ds_load_u16 v14, v13
	v_add_nc_u32_e32 v6, s56, v6
	v_add_nc_u32_e32 v13, s74, v13
	s_delay_alu instid0(VALU_DEP_2)
	v_cmp_le_i32_e32 vcc_lo, s86, v6
	s_waitcnt lgkmcnt(0)
	v_cmp_lt_i16_e64 s9, -1, v14
	s_waitcnt vmcnt(0)
	v_and_b32_e32 v30, 0xffff, v14
	v_lshlrev_b32_e32 v14, 16, v14
	s_delay_alu instid0(VALU_DEP_3) | instskip(NEXT) | instid1(VALU_DEP_2)
	v_cndmask_b32_e64 v31, 0xffff, v28, s9
	v_cmp_o_f32_e64 s9, v14, v14
	s_delay_alu instid0(VALU_DEP_2) | instskip(NEXT) | instid1(VALU_DEP_1)
	v_xor_b32_e32 v30, v31, v30
	v_cndmask_b32_e64 v14, 0xffff, v30, s9
	s_delay_alu instid0(VALU_DEP_1) | instskip(SKIP_1) | instid1(VALU_DEP_2)
	v_and_b32_e32 v30, s85, v14
	v_bfe_u32 v14, v14, s16, 2
	v_cmp_eq_u32_e64 s9, s84, v30
	s_delay_alu instid0(VALU_DEP_2) | instskip(SKIP_3) | instid1(VALU_DEP_4)
	v_cmp_eq_u32_e64 s10, 0, v14
	v_cmp_eq_u32_e64 s11, 1, v14
	;; [unrolled: 1-line block ×4, first 2 shown]
	s_and_b32 s10, s9, s10
	s_delay_alu instid0(SALU_CYCLE_1) | instskip(SKIP_1) | instid1(SALU_CYCLE_1)
	v_cndmask_b32_e64 v14, 0, 1, s10
	s_and_b32 s10, s9, s11
	v_cndmask_b32_e64 v30, 0, 1, s10
	s_and_b32 s10, s9, s12
	s_and_b32 s9, s9, s13
	v_cndmask_b32_e64 v31, 0, 1, s10
	v_cndmask_b32_e64 v32, 0, 1, s9
	v_cmp_ne_u32_e64 s9, 0, v14
	v_cmp_ne_u32_e64 s10, 0, v30
	s_delay_alu instid0(VALU_DEP_4) | instskip(NEXT) | instid1(VALU_DEP_4)
	v_cmp_ne_u32_e64 s11, 0, v31
	v_cmp_ne_u32_e64 s12, 0, v32
	s_delay_alu instid0(VALU_DEP_4) | instskip(NEXT) | instid1(VALU_DEP_3)
	s_bcnt1_i32_b32 s9, s9
	s_bcnt1_i32_b32 s10, s10
	v_add_nc_u32_e32 v1, s9, v1
	s_bcnt1_i32_b32 s11, s11
	s_bcnt1_i32_b32 s12, s12
	v_add_nc_u32_e32 v2, s10, v2
	v_add_nc_u32_e32 v3, s11, v3
	;; [unrolled: 1-line block ×3, first 2 shown]
	s_or_b32 s15, vcc_lo, s15
	s_delay_alu instid0(SALU_CYCLE_1)
	s_and_not1_b32 exec_lo, exec_lo, s15
	s_cbranch_execnz .LBB65_60
; %bb.61:                               ;   in Loop: Header=BB65_8 Depth=1
	s_or_b32 exec_lo, exec_lo, s15
.LBB65_62:                              ;   in Loop: Header=BB65_8 Depth=1
	s_delay_alu instid0(SALU_CYCLE_1)
	s_or_b32 exec_lo, exec_lo, s14
.LBB65_63:                              ;   in Loop: Header=BB65_8 Depth=1
	s_lshl_b32 s9, s82, 7
	s_and_saveexec_b32 s10, s2
	s_cbranch_execz .LBB65_65
; %bb.64:                               ;   in Loop: Header=BB65_8 Depth=1
	v_or_b32_e32 v6, s9, v20
	s_delay_alu instid0(VALU_DEP_1)
	v_lshlrev_b32_e32 v6, 2, v6
	ds_store_b128 v6, v[1:4] offset:3072
.LBB65_65:                              ;   in Loop: Header=BB65_8 Depth=1
	s_or_b32 exec_lo, exec_lo, s10
	s_waitcnt vmcnt(0) lgkmcnt(0)
	s_barrier
	buffer_gl0_inv
	s_and_saveexec_b32 s10, s61
	s_cbranch_execz .LBB65_75
; %bb.66:                               ;   in Loop: Header=BB65_8 Depth=1
	v_mov_b32_e32 v1, 0
	s_and_not1_b32 vcc_lo, exec_lo, s63
	s_cbranch_vccnz .LBB65_74
; %bb.67:                               ;   in Loop: Header=BB65_8 Depth=1
	v_mov_b32_e32 v1, 0
	s_and_not1_b32 vcc_lo, exec_lo, s65
	s_mov_b32 s11, 0
	s_cbranch_vccnz .LBB65_71
; %bb.68:                               ;   in Loop: Header=BB65_8 Depth=1
	v_lshl_add_u32 v2, s82, 9, v27
	v_mov_b32_e32 v1, 0
	.p2align	6
.LBB65_69:                              ;   Parent Loop BB65_8 Depth=1
                                        ; =>  This Inner Loop Header: Depth=2
	ds_load_2addr_b32 v[3:4], v2 offset1:4
	ds_load_2addr_b32 v[13:14], v2 offset0:8 offset1:12
	ds_load_2addr_b32 v[30:31], v2 offset0:16 offset1:20
	ds_load_2addr_b32 v[32:33], v2 offset0:24 offset1:28
	v_add_nc_u32_e32 v2, 0x80, v2
	s_add_i32 s11, s11, 8
	s_delay_alu instid0(SALU_CYCLE_1) | instskip(SKIP_3) | instid1(VALU_DEP_1)
	s_cmp_eq_u32 s66, s11
	s_waitcnt lgkmcnt(3)
	v_add3_u32 v1, v3, v1, v4
	s_waitcnt lgkmcnt(2)
	v_add3_u32 v1, v13, v1, v14
	s_waitcnt lgkmcnt(1)
	s_delay_alu instid0(VALU_DEP_1) | instskip(SKIP_1) | instid1(VALU_DEP_1)
	v_add3_u32 v1, v30, v1, v31
	s_waitcnt lgkmcnt(0)
	v_add3_u32 v1, v32, v1, v33
	s_cbranch_scc0 .LBB65_69
; %bb.70:                               ;   in Loop: Header=BB65_8 Depth=1
	s_mov_b32 s11, s66
.LBB65_71:                              ;   in Loop: Header=BB65_8 Depth=1
	s_and_not1_b32 vcc_lo, exec_lo, s67
	s_cbranch_vccnz .LBB65_74
; %bb.72:                               ;   in Loop: Header=BB65_8 Depth=1
	s_lshl_b32 s12, s82, 9
	s_lshl_b32 s11, s11, 4
	s_delay_alu instid0(SALU_CYCLE_1)
	v_add3_u32 v2, s12, s11, v27
	s_mov_b32 s11, s64
.LBB65_73:                              ;   Parent Loop BB65_8 Depth=1
                                        ; =>  This Inner Loop Header: Depth=2
	ds_load_b32 v3, v2
	v_add_nc_u32_e32 v2, 16, v2
	s_add_i32 s11, s11, -1
	s_delay_alu instid0(SALU_CYCLE_1)
	s_cmp_lg_u32 s11, 0
	s_waitcnt lgkmcnt(0)
	v_add_nc_u32_e32 v1, v3, v1
	s_cbranch_scc1 .LBB65_73
.LBB65_74:                              ;   in Loop: Header=BB65_8 Depth=1
	v_add_lshl_u32 v2, s9, v15, 2
	ds_store_b32 v2, v1 offset:3072
.LBB65_75:                              ;   in Loop: Header=BB65_8 Depth=1
	s_or_b32 exec_lo, exec_lo, s10
	s_lshl_b32 s9, s9, 2
	s_waitcnt lgkmcnt(0)
	v_mov_b32_e32 v1, s9
	s_barrier
	buffer_gl0_inv
	s_and_b32 s17, s79, 0xfe
	s_mov_b32 s14, -1
	ds_load_b128 v[1:4], v1 offset:3072
	s_lshl_b32 s11, 3, s17
	s_delay_alu instid0(SALU_CYCLE_1) | instskip(SKIP_4) | instid1(VALU_DEP_3)
	s_not_b32 s18, s11
	s_waitcnt lgkmcnt(0)
	v_readfirstlane_b32 s13, v1
	v_readfirstlane_b32 s21, v2
	v_readfirstlane_b32 s16, v3
	s_cmp_eq_u32 s13, 1
	s_cselect_b32 s9, -1, 0
	s_cmp_eq_u32 s37, 1
	s_cselect_b32 s10, -1, 0
	s_delay_alu instid0(SALU_CYCLE_1)
	s_and_b32 s15, s9, s10
	v_readfirstlane_b32 s10, v4
	s_and_b32 vcc_lo, exec_lo, s15
	s_cbranch_vccz .LBB65_87
; %bb.76:                               ;   in Loop: Header=BB65_8 Depth=1
	ds_load_b32 v1, v7 offset:4096
	s_waitcnt lgkmcnt(0)
	s_barrier
	buffer_gl0_inv
	v_readfirstlane_b32 s12, v1
	s_and_saveexec_b32 s9, s1
	s_cbranch_execz .LBB65_78
; %bb.77:                               ;   in Loop: Header=BB65_8 Depth=1
	ds_store_b16 v18, v7
.LBB65_78:                              ;   in Loop: Header=BB65_8 Depth=1
	s_or_b32 exec_lo, exec_lo, s9
	s_and_b32 s84, s84, s18
	s_or_b32 s85, s85, s11
	s_cmp_lt_i32 s12, 1
	s_waitcnt lgkmcnt(0)
	s_barrier
	buffer_gl0_inv
	s_cbranch_scc0 .LBB65_88
; %bb.79:                               ;   in Loop: Header=BB65_8 Depth=1
	s_mov_b32 s9, 0
                                        ; implicit-def: $vgpr29
	s_and_saveexec_b32 s19, s8
	s_cbranch_execz .LBB65_90
; %bb.80:                               ;   in Loop: Header=BB65_8 Depth=1
	v_mov_b32_e32 v1, v5
	v_mov_b32_e32 v3, v0
	s_mov_b32 s20, 0
                                        ; implicit-def: $sgpr22
	s_branch .LBB65_82
.LBB65_81:                              ;   in Loop: Header=BB65_82 Depth=2
	s_or_b32 exec_lo, exec_lo, s9
	s_waitcnt vmcnt(0) lgkmcnt(0)
	s_barrier
	buffer_gl0_inv
	ds_load_b32 v2, v7 offset:3072
	v_add_nc_u32_e32 v3, s56, v3
	v_add_nc_u32_e32 v1, s59, v1
	s_waitcnt lgkmcnt(0)
	s_barrier
	buffer_gl0_inv
	v_cmp_le_i32_e32 vcc_lo, s71, v3
	v_and_b32_e32 v4, 0x7fff, v2
	s_delay_alu instid0(VALU_DEP_1) | instskip(NEXT) | instid1(VALU_DEP_1)
	v_cmp_ne_u16_e64 s9, 0, v4
	s_or_b32 s23, vcc_lo, s9
	s_delay_alu instid0(SALU_CYCLE_1) | instskip(NEXT) | instid1(SALU_CYCLE_1)
	s_and_b32 s23, exec_lo, s23
	s_or_b32 s20, s23, s20
	s_and_not1_b32 s22, s22, exec_lo
	s_and_b32 s9, s9, exec_lo
	s_delay_alu instid0(SALU_CYCLE_1)
	s_or_b32 s22, s22, s9
	s_and_not1_b32 exec_lo, exec_lo, s20
	s_cbranch_execz .LBB65_89
.LBB65_82:                              ;   Parent Loop BB65_8 Depth=1
                                        ; =>  This Inner Loop Header: Depth=2
	s_delay_alu instid0(VALU_DEP_1)
	v_cmp_gt_i32_e32 vcc_lo, s36, v3
	v_mov_b32_e32 v2, 0
	s_and_saveexec_b32 s23, vcc_lo
	s_cbranch_execz .LBB65_84
; %bb.83:                               ;   in Loop: Header=BB65_82 Depth=2
	v_ashrrev_i32_e32 v2, 31, v1
	s_delay_alu instid0(VALU_DEP_1) | instskip(NEXT) | instid1(VALU_DEP_1)
	v_lshlrev_b64 v[13:14], 1, v[1:2]
	v_add_co_u32 v13, s9, s54, v13
	s_delay_alu instid0(VALU_DEP_1)
	v_add_co_ci_u32_e64 v14, s9, s55, v14, s9
	global_load_u16 v2, v[13:14], off
.LBB65_84:                              ;   in Loop: Header=BB65_82 Depth=2
	s_or_b32 exec_lo, exec_lo, s23
	s_and_saveexec_b32 s9, vcc_lo
	s_cbranch_execz .LBB65_81
; %bb.85:                               ;   in Loop: Header=BB65_82 Depth=2
	s_waitcnt vmcnt(0)
	v_cmp_lt_i16_e32 vcc_lo, -1, v2
	v_and_b32_e32 v4, 0xffff, v2
	v_dual_cndmask_b32 v6, 0xffff, v28 :: v_dual_lshlrev_b32 v13, 16, v2
	s_delay_alu instid0(VALU_DEP_1) | instskip(NEXT) | instid1(VALU_DEP_2)
	v_cmp_o_f32_e32 vcc_lo, v13, v13
	v_xor_b32_e32 v4, v6, v4
	s_delay_alu instid0(VALU_DEP_1) | instskip(NEXT) | instid1(VALU_DEP_1)
	v_cndmask_b32_e32 v4, 0xffff, v4, vcc_lo
	v_and_b32_e32 v4, s85, v4
	s_delay_alu instid0(VALU_DEP_1)
	v_cmp_eq_u32_e32 vcc_lo, s84, v4
	s_and_b32 exec_lo, exec_lo, vcc_lo
	s_cbranch_execz .LBB65_81
; %bb.86:                               ;   in Loop: Header=BB65_82 Depth=2
	v_perm_b32 v2, v2, s75, 0x5040100
	ds_store_b32 v7, v2 offset:3072
	s_branch .LBB65_81
.LBB65_87:                              ;   in Loop: Header=BB65_8 Depth=1
	s_mov_b32 s9, -1
                                        ; implicit-def: $sgpr19
                                        ; implicit-def: $sgpr22
                                        ; implicit-def: $sgpr20
	s_branch .LBB65_101
.LBB65_88:                              ;   in Loop: Header=BB65_8 Depth=1
	s_mov_b32 s19, -1
	s_mov_b32 s9, 0
                                        ; implicit-def: $sgpr20
                                        ; implicit-def: $vgpr29
	s_mov_b32 s22, s19
	s_cbranch_execnz .LBB65_91
	s_branch .LBB65_101
.LBB65_89:                              ;   in Loop: Header=BB65_8 Depth=1
	s_or_b32 exec_lo, exec_lo, s20
	v_lshrrev_b32_e32 v29, 16, v2
	s_and_b32 s9, s22, exec_lo
.LBB65_90:                              ;   in Loop: Header=BB65_8 Depth=1
	s_or_b32 exec_lo, exec_lo, s19
	s_mov_b32 s20, -1
	s_mov_b32 s19, 0
	s_delay_alu instid0(SALU_CYCLE_1)
	s_mov_b32 s22, s19
	s_branch .LBB65_101
.LBB65_91:                              ;   in Loop: Header=BB65_8 Depth=1
	s_add_i32 s20, s12, s60
                                        ; implicit-def: $vgpr29
	s_delay_alu instid0(SALU_CYCLE_1) | instskip(NEXT) | instid1(SALU_CYCLE_1)
	s_abs_i32 s9, s20
	s_mul_hi_u32 s19, s9, s70
	s_delay_alu instid0(SALU_CYCLE_1) | instskip(NEXT) | instid1(SALU_CYCLE_1)
	s_mul_i32 s19, s19, s56
	s_sub_i32 s9, s9, s19
	s_ashr_i32 s19, s20, 31
	s_sub_i32 s22, s9, s56
	s_cmp_ge_u32 s9, s56
	s_cselect_b32 s9, s22, s9
	s_delay_alu instid0(SALU_CYCLE_1) | instskip(SKIP_2) | instid1(SALU_CYCLE_1)
	s_sub_i32 s22, s9, s56
	s_cmp_ge_u32 s9, s56
	s_cselect_b32 s9, s22, s9
	s_xor_b32 s9, s9, s19
	s_delay_alu instid0(SALU_CYCLE_1)
	s_sub_i32 s9, s19, s9
	s_mov_b32 s19, exec_lo
	s_add_i32 s20, s20, s9
	s_mov_b32 s9, 0
	v_cmpx_gt_i32_e64 s20, v0
	s_cbranch_execz .LBB65_100
; %bb.92:                               ;   in Loop: Header=BB65_8 Depth=1
	v_dual_mov_b32 v1, v17 :: v_dual_mov_b32 v2, v0
	s_mov_b32 s22, 0
                                        ; implicit-def: $sgpr23
	s_branch .LBB65_94
.LBB65_93:                              ;   in Loop: Header=BB65_94 Depth=2
	s_or_b32 exec_lo, exec_lo, s9
	s_waitcnt lgkmcnt(0)
	s_barrier
	buffer_gl0_inv
	ds_load_b32 v3, v7 offset:3072
	v_add_nc_u32_e32 v2, s56, v2
	v_add_nc_u32_e32 v1, s74, v1
	s_waitcnt lgkmcnt(0)
	s_barrier
	buffer_gl0_inv
	v_cmp_le_i32_e32 vcc_lo, s20, v2
	v_and_b32_e32 v4, 0x7fff, v3
	s_delay_alu instid0(VALU_DEP_1) | instskip(NEXT) | instid1(VALU_DEP_1)
	v_cmp_ne_u16_e64 s9, 0, v4
	s_or_b32 s24, vcc_lo, s9
	s_delay_alu instid0(SALU_CYCLE_1) | instskip(NEXT) | instid1(SALU_CYCLE_1)
	s_and_b32 s24, exec_lo, s24
	s_or_b32 s22, s24, s22
	s_and_not1_b32 s23, s23, exec_lo
	s_and_b32 s9, s9, exec_lo
	s_delay_alu instid0(SALU_CYCLE_1)
	s_or_b32 s23, s23, s9
	s_and_not1_b32 exec_lo, exec_lo, s22
	s_cbranch_execz .LBB65_99
.LBB65_94:                              ;   Parent Loop BB65_8 Depth=1
                                        ; =>  This Inner Loop Header: Depth=2
	s_delay_alu instid0(VALU_DEP_1)
	v_cmp_gt_i32_e32 vcc_lo, s12, v2
	v_mov_b32_e32 v3, 0
	s_and_saveexec_b32 s9, vcc_lo
	s_cbranch_execz .LBB65_96
; %bb.95:                               ;   in Loop: Header=BB65_94 Depth=2
	ds_load_u16 v3, v1
.LBB65_96:                              ;   in Loop: Header=BB65_94 Depth=2
	s_or_b32 exec_lo, exec_lo, s9
	s_and_saveexec_b32 s9, vcc_lo
	s_cbranch_execz .LBB65_93
; %bb.97:                               ;   in Loop: Header=BB65_94 Depth=2
	s_waitcnt lgkmcnt(0)
	v_cmp_lt_i16_e32 vcc_lo, -1, v3
	v_and_b32_e32 v4, 0xffff, v3
	v_dual_cndmask_b32 v6, 0xffff, v28 :: v_dual_lshlrev_b32 v13, 16, v3
	s_delay_alu instid0(VALU_DEP_1) | instskip(NEXT) | instid1(VALU_DEP_2)
	v_cmp_o_f32_e32 vcc_lo, v13, v13
	v_xor_b32_e32 v4, v6, v4
	s_delay_alu instid0(VALU_DEP_1) | instskip(NEXT) | instid1(VALU_DEP_1)
	v_cndmask_b32_e32 v4, 0xffff, v4, vcc_lo
	v_and_b32_e32 v4, s85, v4
	s_delay_alu instid0(VALU_DEP_1)
	v_cmp_eq_u32_e32 vcc_lo, s84, v4
	s_and_b32 exec_lo, exec_lo, vcc_lo
	s_cbranch_execz .LBB65_93
; %bb.98:                               ;   in Loop: Header=BB65_94 Depth=2
	v_perm_b32 v3, v3, s75, 0x5040100
	ds_store_b32 v7, v3 offset:3072
	s_branch .LBB65_93
.LBB65_99:                              ;   in Loop: Header=BB65_8 Depth=1
	s_or_b32 exec_lo, exec_lo, s22
	v_lshrrev_b32_e32 v29, 16, v3
	s_and_b32 s9, s23, exec_lo
.LBB65_100:                             ;   in Loop: Header=BB65_8 Depth=1
	s_or_b32 exec_lo, exec_lo, s19
	s_mov_b32 s22, -1
	s_mov_b32 s19, 0
	s_mov_b32 s20, 0
.LBB65_101:                             ;   in Loop: Header=BB65_8 Depth=1
	s_and_not1_b32 s12, s80, exec_lo
	s_and_b32 s19, s19, exec_lo
	s_and_b32 s20, s20, exec_lo
	s_or_b32 s80, s12, s19
	s_and_not1_b32 s12, s83, exec_lo
	s_and_b32 s19, s22, exec_lo
	s_and_not1_b32 s22, s81, exec_lo
	s_or_b32 s83, s12, s19
	s_or_b32 s81, s22, s20
	s_and_saveexec_b32 s12, s9
	s_cbranch_execz .LBB65_7
; %bb.102:                              ;   in Loop: Header=BB65_8 Depth=1
	s_xor_b32 s9, s15, -1
	s_mov_b32 s14, 0
	s_and_not1_b32 vcc_lo, exec_lo, s9
	s_mov_b32 s22, 1
	s_cbranch_vccnz .LBB65_113
; %bb.103:                              ;   in Loop: Header=BB65_8 Depth=1
	s_cmp_gt_i32 s37, s13
	s_mov_b32 s14, -1
                                        ; implicit-def: $sgpr9
                                        ; implicit-def: $sgpr15
                                        ; implicit-def: $sgpr19
	s_cbranch_scc1 .LBB65_109
; %bb.104:                              ;   in Loop: Header=BB65_8 Depth=1
	ds_load_b32 v1, v7 offset:4096
	s_waitcnt lgkmcnt(0)
	v_cmp_ne_u32_e32 vcc_lo, 0, v1
	s_cbranch_vccnz .LBB65_108
; %bb.105:                              ;   in Loop: Header=BB65_8 Depth=1
	s_and_saveexec_b32 s9, s0
	s_cbranch_execz .LBB65_107
; %bb.106:                              ;   in Loop: Header=BB65_8 Depth=1
	v_mov_b32_e32 v1, s13
	ds_store_b32 v7, v1 offset:4100
.LBB65_107:                             ;   in Loop: Header=BB65_8 Depth=1
	s_or_b32 exec_lo, exec_lo, s9
	s_waitcnt lgkmcnt(0)
	s_barrier
	buffer_gl0_inv
.LBB65_108:                             ;   in Loop: Header=BB65_8 Depth=1
	s_and_b32 s15, s84, s18
	s_or_b32 s19, s85, s11
	s_mov_b32 s14, 0
	s_mov_b32 s9, 8
.LBB65_109:                             ;   in Loop: Header=BB65_8 Depth=1
	s_and_not1_b32 vcc_lo, exec_lo, s14
	s_cbranch_vccnz .LBB65_111
; %bb.110:                              ;   in Loop: Header=BB65_8 Depth=1
	s_sub_i32 s37, s37, s13
	s_mov_b32 s14, -1
	s_mov_b32 s9, 0
	s_mov_b32 s15, s84
	;; [unrolled: 1-line block ×3, first 2 shown]
.LBB65_111:                             ;   in Loop: Header=BB65_8 Depth=1
	s_delay_alu instid0(SALU_CYCLE_1)
	s_mov_b32 s85, s19
	s_mov_b32 s84, s15
	;; [unrolled: 1-line block ×3, first 2 shown]
	s_and_b32 vcc_lo, exec_lo, s14
	s_mov_b32 s13, -1
	s_cbranch_vccnz .LBB65_114
.LBB65_112:                             ;   in Loop: Header=BB65_8 Depth=1
	s_mov_b32 s25, -1
                                        ; implicit-def: $sgpr14
                                        ; implicit-def: $sgpr19
                                        ; implicit-def: $sgpr15
	s_delay_alu instid0(SALU_CYCLE_1) | instskip(NEXT) | instid1(SALU_CYCLE_1)
	s_and_saveexec_b32 s10, s25
	s_xor_b32 s10, exec_lo, s10
	s_cbranch_execz .LBB65_6
	s_branch .LBB65_237
.LBB65_113:                             ;   in Loop: Header=BB65_8 Depth=1
	s_mov_b32 s9, 1
	s_and_b32 vcc_lo, exec_lo, s14
	s_mov_b32 s13, -1
	s_cbranch_vccz .LBB65_112
.LBB65_114:                             ;   in Loop: Header=BB65_8 Depth=1
	s_cmp_eq_u32 s21, 1
	s_mov_b32 s24, -1
	s_cselect_b32 s9, -1, 0
	s_cmp_eq_u32 s22, 1
	s_cselect_b32 s14, -1, 0
	s_delay_alu instid0(SALU_CYCLE_1) | instskip(NEXT) | instid1(SALU_CYCLE_1)
	s_and_b32 s23, s9, s14
	s_and_b32 vcc_lo, exec_lo, s23
	s_cbranch_vccz .LBB65_126
; %bb.115:                              ;   in Loop: Header=BB65_8 Depth=1
	ds_load_b32 v1, v7 offset:4096
	s_waitcnt lgkmcnt(0)
	s_barrier
	buffer_gl0_inv
	v_readfirstlane_b32 s20, v1
	s_and_saveexec_b32 s9, s1
	s_cbranch_execz .LBB65_117
; %bb.116:                              ;   in Loop: Header=BB65_8 Depth=1
	ds_store_b16 v18, v7
.LBB65_117:                             ;   in Loop: Header=BB65_8 Depth=1
	s_or_b32 exec_lo, exec_lo, s9
	s_lshl_b32 s9, 1, s17
	s_and_b32 s14, s84, s18
	s_or_b32 s85, s85, s11
	s_or_b32 s84, s14, s9
	s_cmp_gt_i32 s20, 0
	s_waitcnt lgkmcnt(0)
	s_barrier
	buffer_gl0_inv
	s_cbranch_scc1 .LBB65_127
; %bb.118:                              ;   in Loop: Header=BB65_8 Depth=1
	s_mov_b32 s24, 0
                                        ; implicit-def: $vgpr29
	s_and_saveexec_b32 s14, s8
	s_cbranch_execz .LBB65_129
; %bb.119:                              ;   in Loop: Header=BB65_8 Depth=1
	v_mov_b32_e32 v1, v5
	v_mov_b32_e32 v3, v0
	s_mov_b32 s15, 0
                                        ; implicit-def: $sgpr19
	s_branch .LBB65_121
.LBB65_120:                             ;   in Loop: Header=BB65_121 Depth=2
	s_or_b32 exec_lo, exec_lo, s9
	s_waitcnt vmcnt(0) lgkmcnt(0)
	s_barrier
	buffer_gl0_inv
	ds_load_b32 v2, v7 offset:3072
	v_add_nc_u32_e32 v3, s56, v3
	v_add_nc_u32_e32 v1, s59, v1
	s_waitcnt lgkmcnt(0)
	s_barrier
	buffer_gl0_inv
	v_cmp_le_i32_e32 vcc_lo, s71, v3
	v_and_b32_e32 v4, 0x7fff, v2
	s_delay_alu instid0(VALU_DEP_1) | instskip(NEXT) | instid1(VALU_DEP_1)
	v_cmp_ne_u16_e64 s9, 0, v4
	s_or_b32 s24, vcc_lo, s9
	s_delay_alu instid0(SALU_CYCLE_1) | instskip(NEXT) | instid1(SALU_CYCLE_1)
	s_and_b32 s24, exec_lo, s24
	s_or_b32 s15, s24, s15
	s_and_not1_b32 s19, s19, exec_lo
	s_and_b32 s9, s9, exec_lo
	s_delay_alu instid0(SALU_CYCLE_1)
	s_or_b32 s19, s19, s9
	s_and_not1_b32 exec_lo, exec_lo, s15
	s_cbranch_execz .LBB65_128
.LBB65_121:                             ;   Parent Loop BB65_8 Depth=1
                                        ; =>  This Inner Loop Header: Depth=2
	s_delay_alu instid0(VALU_DEP_1)
	v_cmp_gt_i32_e32 vcc_lo, s36, v3
	v_mov_b32_e32 v2, 0
	s_and_saveexec_b32 s24, vcc_lo
	s_cbranch_execz .LBB65_123
; %bb.122:                              ;   in Loop: Header=BB65_121 Depth=2
	v_ashrrev_i32_e32 v2, 31, v1
	s_delay_alu instid0(VALU_DEP_1) | instskip(NEXT) | instid1(VALU_DEP_1)
	v_lshlrev_b64 v[13:14], 1, v[1:2]
	v_add_co_u32 v13, s9, s54, v13
	s_delay_alu instid0(VALU_DEP_1)
	v_add_co_ci_u32_e64 v14, s9, s55, v14, s9
	global_load_u16 v2, v[13:14], off
.LBB65_123:                             ;   in Loop: Header=BB65_121 Depth=2
	s_or_b32 exec_lo, exec_lo, s24
	s_and_saveexec_b32 s9, vcc_lo
	s_cbranch_execz .LBB65_120
; %bb.124:                              ;   in Loop: Header=BB65_121 Depth=2
	s_waitcnt vmcnt(0)
	v_cmp_lt_i16_e32 vcc_lo, -1, v2
	v_and_b32_e32 v4, 0xffff, v2
	v_dual_cndmask_b32 v6, 0xffff, v28 :: v_dual_lshlrev_b32 v13, 16, v2
	s_delay_alu instid0(VALU_DEP_1) | instskip(NEXT) | instid1(VALU_DEP_2)
	v_cmp_o_f32_e32 vcc_lo, v13, v13
	v_xor_b32_e32 v4, v6, v4
	s_delay_alu instid0(VALU_DEP_1) | instskip(NEXT) | instid1(VALU_DEP_1)
	v_cndmask_b32_e32 v4, 0xffff, v4, vcc_lo
	v_and_b32_e32 v4, s85, v4
	s_delay_alu instid0(VALU_DEP_1)
	v_cmp_eq_u32_e32 vcc_lo, s84, v4
	s_and_b32 exec_lo, exec_lo, vcc_lo
	s_cbranch_execz .LBB65_120
; %bb.125:                              ;   in Loop: Header=BB65_121 Depth=2
	v_perm_b32 v2, v2, s75, 0x5040100
	ds_store_b32 v7, v2 offset:3072
	s_branch .LBB65_120
.LBB65_126:                             ;   in Loop: Header=BB65_8 Depth=1
                                        ; implicit-def: $sgpr15
                                        ; implicit-def: $sgpr19
                                        ; implicit-def: $sgpr14
	s_branch .LBB65_140
.LBB65_127:                             ;   in Loop: Header=BB65_8 Depth=1
	s_mov_b32 s15, -1
	s_mov_b32 s24, 0
                                        ; implicit-def: $sgpr14
                                        ; implicit-def: $vgpr29
	s_mov_b32 s19, s15
	s_cbranch_execnz .LBB65_130
	s_branch .LBB65_140
.LBB65_128:                             ;   in Loop: Header=BB65_8 Depth=1
	s_or_b32 exec_lo, exec_lo, s15
	v_lshrrev_b32_e32 v29, 16, v2
	s_and_b32 s24, s19, exec_lo
.LBB65_129:                             ;   in Loop: Header=BB65_8 Depth=1
	s_or_b32 exec_lo, exec_lo, s14
	s_mov_b32 s14, -1
	s_mov_b32 s15, 0
	s_delay_alu instid0(SALU_CYCLE_1)
	s_mov_b32 s19, s15
	s_branch .LBB65_140
.LBB65_130:                             ;   in Loop: Header=BB65_8 Depth=1
	s_add_i32 s15, s20, s60
	s_mov_b32 s24, 0
	s_abs_i32 s9, s15
                                        ; implicit-def: $vgpr29
	s_delay_alu instid0(SALU_CYCLE_1) | instskip(NEXT) | instid1(SALU_CYCLE_1)
	s_mul_hi_u32 s14, s9, s70
	s_mul_i32 s14, s14, s56
	s_delay_alu instid0(SALU_CYCLE_1) | instskip(SKIP_4) | instid1(SALU_CYCLE_1)
	s_sub_i32 s9, s9, s14
	s_ashr_i32 s14, s15, 31
	s_sub_i32 s19, s9, s56
	s_cmp_ge_u32 s9, s56
	s_cselect_b32 s9, s19, s9
	s_sub_i32 s19, s9, s56
	s_cmp_ge_u32 s9, s56
	s_cselect_b32 s9, s19, s9
	s_delay_alu instid0(SALU_CYCLE_1) | instskip(NEXT) | instid1(SALU_CYCLE_1)
	s_xor_b32 s9, s9, s14
	s_sub_i32 s9, s14, s9
	s_mov_b32 s14, exec_lo
	s_add_i32 s15, s15, s9
	s_delay_alu instid0(SALU_CYCLE_1)
	v_cmpx_gt_i32_e64 s15, v0
	s_cbranch_execz .LBB65_139
; %bb.131:                              ;   in Loop: Header=BB65_8 Depth=1
	v_dual_mov_b32 v1, v17 :: v_dual_mov_b32 v2, v0
	s_mov_b32 s19, 0
                                        ; implicit-def: $sgpr24
	s_branch .LBB65_133
.LBB65_132:                             ;   in Loop: Header=BB65_133 Depth=2
	s_or_b32 exec_lo, exec_lo, s9
	s_waitcnt lgkmcnt(0)
	s_barrier
	buffer_gl0_inv
	ds_load_b32 v3, v7 offset:3072
	v_add_nc_u32_e32 v2, s56, v2
	v_add_nc_u32_e32 v1, s74, v1
	s_waitcnt lgkmcnt(0)
	s_barrier
	buffer_gl0_inv
	v_cmp_le_i32_e32 vcc_lo, s15, v2
	v_and_b32_e32 v4, 0x7fff, v3
	s_delay_alu instid0(VALU_DEP_1) | instskip(NEXT) | instid1(VALU_DEP_1)
	v_cmp_ne_u16_e64 s9, 0, v4
	s_or_b32 s25, vcc_lo, s9
	s_delay_alu instid0(SALU_CYCLE_1) | instskip(NEXT) | instid1(SALU_CYCLE_1)
	s_and_b32 s25, exec_lo, s25
	s_or_b32 s19, s25, s19
	s_and_not1_b32 s24, s24, exec_lo
	s_and_b32 s9, s9, exec_lo
	s_delay_alu instid0(SALU_CYCLE_1)
	s_or_b32 s24, s24, s9
	s_and_not1_b32 exec_lo, exec_lo, s19
	s_cbranch_execz .LBB65_138
.LBB65_133:                             ;   Parent Loop BB65_8 Depth=1
                                        ; =>  This Inner Loop Header: Depth=2
	s_delay_alu instid0(VALU_DEP_1)
	v_cmp_gt_i32_e32 vcc_lo, s20, v2
	v_mov_b32_e32 v3, 0
	s_and_saveexec_b32 s9, vcc_lo
	s_cbranch_execz .LBB65_135
; %bb.134:                              ;   in Loop: Header=BB65_133 Depth=2
	ds_load_u16 v3, v1
.LBB65_135:                             ;   in Loop: Header=BB65_133 Depth=2
	s_or_b32 exec_lo, exec_lo, s9
	s_and_saveexec_b32 s9, vcc_lo
	s_cbranch_execz .LBB65_132
; %bb.136:                              ;   in Loop: Header=BB65_133 Depth=2
	s_waitcnt lgkmcnt(0)
	v_cmp_lt_i16_e32 vcc_lo, -1, v3
	v_and_b32_e32 v4, 0xffff, v3
	v_dual_cndmask_b32 v6, 0xffff, v28 :: v_dual_lshlrev_b32 v13, 16, v3
	s_delay_alu instid0(VALU_DEP_1) | instskip(NEXT) | instid1(VALU_DEP_2)
	v_cmp_o_f32_e32 vcc_lo, v13, v13
	v_xor_b32_e32 v4, v6, v4
	s_delay_alu instid0(VALU_DEP_1) | instskip(NEXT) | instid1(VALU_DEP_1)
	v_cndmask_b32_e32 v4, 0xffff, v4, vcc_lo
	v_and_b32_e32 v4, s85, v4
	s_delay_alu instid0(VALU_DEP_1)
	v_cmp_eq_u32_e32 vcc_lo, s84, v4
	s_and_b32 exec_lo, exec_lo, vcc_lo
	s_cbranch_execz .LBB65_132
; %bb.137:                              ;   in Loop: Header=BB65_133 Depth=2
	v_perm_b32 v3, v3, s75, 0x5040100
	ds_store_b32 v7, v3 offset:3072
	s_branch .LBB65_132
.LBB65_138:                             ;   in Loop: Header=BB65_8 Depth=1
	s_or_b32 exec_lo, exec_lo, s19
	v_lshrrev_b32_e32 v29, 16, v3
	s_and_b32 s24, s24, exec_lo
.LBB65_139:                             ;   in Loop: Header=BB65_8 Depth=1
	s_or_b32 exec_lo, exec_lo, s14
	s_mov_b32 s19, -1
	s_mov_b32 s15, 0
	s_mov_b32 s14, 0
.LBB65_140:                             ;   in Loop: Header=BB65_8 Depth=1
	s_mov_b32 s25, 0
                                        ; implicit-def: $sgpr9
	s_and_saveexec_b32 s20, s24
	s_cbranch_execz .LBB65_236
; %bb.141:                              ;   in Loop: Header=BB65_8 Depth=1
	s_xor_b32 s9, s23, -1
	s_mov_b32 s23, 0
	s_and_not1_b32 vcc_lo, exec_lo, s9
	s_mov_b32 s26, 1
	s_cbranch_vccnz .LBB65_152
; %bb.142:                              ;   in Loop: Header=BB65_8 Depth=1
	s_cmp_gt_i32 s22, s21
	s_mov_b32 s23, -1
                                        ; implicit-def: $sgpr9
                                        ; implicit-def: $sgpr24
                                        ; implicit-def: $sgpr25
	s_cbranch_scc1 .LBB65_148
; %bb.143:                              ;   in Loop: Header=BB65_8 Depth=1
	ds_load_b32 v1, v7 offset:4096
	s_waitcnt lgkmcnt(0)
	v_cmp_ne_u32_e32 vcc_lo, 0, v1
	s_cbranch_vccnz .LBB65_147
; %bb.144:                              ;   in Loop: Header=BB65_8 Depth=1
	s_and_saveexec_b32 s9, s0
	s_cbranch_execz .LBB65_146
; %bb.145:                              ;   in Loop: Header=BB65_8 Depth=1
	v_mov_b32_e32 v1, s21
	ds_store_b32 v7, v1 offset:4100
.LBB65_146:                             ;   in Loop: Header=BB65_8 Depth=1
	s_or_b32 exec_lo, exec_lo, s9
	s_waitcnt lgkmcnt(0)
	s_barrier
	buffer_gl0_inv
.LBB65_147:                             ;   in Loop: Header=BB65_8 Depth=1
	s_lshl_b32 s9, 1, s17
	s_and_b32 s23, s84, s18
	s_or_b32 s25, s85, s11
	s_or_b32 s24, s23, s9
	s_mov_b32 s23, 0
	s_mov_b32 s9, 8
.LBB65_148:                             ;   in Loop: Header=BB65_8 Depth=1
	s_and_not1_b32 vcc_lo, exec_lo, s23
	s_cbranch_vccnz .LBB65_150
; %bb.149:                              ;   in Loop: Header=BB65_8 Depth=1
	s_sub_i32 s22, s22, s21
	s_mov_b32 s23, -1
	s_mov_b32 s9, 0
	s_mov_b32 s24, s84
	;; [unrolled: 1-line block ×3, first 2 shown]
.LBB65_150:                             ;   in Loop: Header=BB65_8 Depth=1
	s_delay_alu instid0(SALU_CYCLE_1)
	s_mov_b32 s85, s25
	s_mov_b32 s84, s24
	;; [unrolled: 1-line block ×3, first 2 shown]
	s_and_not1_b32 vcc_lo, exec_lo, s23
	s_mov_b32 s28, -1
	s_cbranch_vccz .LBB65_153
.LBB65_151:                             ;   in Loop: Header=BB65_8 Depth=1
                                        ; implicit-def: $sgpr22
                                        ; implicit-def: $sgpr23
                                        ; implicit-def: $sgpr21
	s_branch .LBB65_235
.LBB65_152:                             ;   in Loop: Header=BB65_8 Depth=1
	s_mov_b32 s9, 1
	s_and_not1_b32 vcc_lo, exec_lo, s23
	s_mov_b32 s28, -1
	s_cbranch_vccnz .LBB65_151
.LBB65_153:                             ;   in Loop: Header=BB65_8 Depth=1
	s_cmp_eq_u32 s16, 1
	s_mov_b32 s27, -1
	s_cselect_b32 s9, -1, 0
	s_cmp_eq_u32 s26, 1
	s_cselect_b32 s21, -1, 0
	s_delay_alu instid0(SALU_CYCLE_1) | instskip(NEXT) | instid1(SALU_CYCLE_1)
	s_and_b32 s25, s9, s21
	s_and_b32 vcc_lo, exec_lo, s25
	s_cbranch_vccz .LBB65_165
; %bb.154:                              ;   in Loop: Header=BB65_8 Depth=1
	ds_load_b32 v1, v7 offset:4096
	s_waitcnt lgkmcnt(0)
	s_barrier
	buffer_gl0_inv
	v_readfirstlane_b32 s24, v1
	s_and_saveexec_b32 s9, s1
	s_cbranch_execz .LBB65_156
; %bb.155:                              ;   in Loop: Header=BB65_8 Depth=1
	ds_store_b16 v18, v7
.LBB65_156:                             ;   in Loop: Header=BB65_8 Depth=1
	s_or_b32 exec_lo, exec_lo, s9
	s_lshl_b32 s9, 2, s17
	s_and_b32 s21, s84, s18
	s_or_b32 s85, s85, s11
	s_or_b32 s84, s21, s9
	s_cmp_gt_i32 s24, 0
	s_waitcnt lgkmcnt(0)
	s_barrier
	buffer_gl0_inv
	s_cbranch_scc1 .LBB65_166
; %bb.157:                              ;   in Loop: Header=BB65_8 Depth=1
	s_mov_b32 s27, 0
                                        ; implicit-def: $vgpr29
	s_and_saveexec_b32 s21, s8
	s_cbranch_execz .LBB65_168
; %bb.158:                              ;   in Loop: Header=BB65_8 Depth=1
	v_mov_b32_e32 v1, v5
	v_mov_b32_e32 v3, v0
	s_mov_b32 s22, 0
                                        ; implicit-def: $sgpr23
	s_branch .LBB65_160
.LBB65_159:                             ;   in Loop: Header=BB65_160 Depth=2
	s_or_b32 exec_lo, exec_lo, s9
	s_waitcnt vmcnt(0) lgkmcnt(0)
	s_barrier
	buffer_gl0_inv
	ds_load_b32 v2, v7 offset:3072
	v_add_nc_u32_e32 v3, s56, v3
	v_add_nc_u32_e32 v1, s59, v1
	s_waitcnt lgkmcnt(0)
	s_barrier
	buffer_gl0_inv
	v_cmp_le_i32_e32 vcc_lo, s71, v3
	v_and_b32_e32 v4, 0x7fff, v2
	s_delay_alu instid0(VALU_DEP_1) | instskip(NEXT) | instid1(VALU_DEP_1)
	v_cmp_ne_u16_e64 s9, 0, v4
	s_or_b32 s27, vcc_lo, s9
	s_delay_alu instid0(SALU_CYCLE_1) | instskip(NEXT) | instid1(SALU_CYCLE_1)
	s_and_b32 s27, exec_lo, s27
	s_or_b32 s22, s27, s22
	s_and_not1_b32 s23, s23, exec_lo
	s_and_b32 s9, s9, exec_lo
	s_delay_alu instid0(SALU_CYCLE_1)
	s_or_b32 s23, s23, s9
	s_and_not1_b32 exec_lo, exec_lo, s22
	s_cbranch_execz .LBB65_167
.LBB65_160:                             ;   Parent Loop BB65_8 Depth=1
                                        ; =>  This Inner Loop Header: Depth=2
	s_delay_alu instid0(VALU_DEP_1)
	v_cmp_gt_i32_e32 vcc_lo, s36, v3
	v_mov_b32_e32 v2, 0
	s_and_saveexec_b32 s27, vcc_lo
	s_cbranch_execz .LBB65_162
; %bb.161:                              ;   in Loop: Header=BB65_160 Depth=2
	v_ashrrev_i32_e32 v2, 31, v1
	s_delay_alu instid0(VALU_DEP_1) | instskip(NEXT) | instid1(VALU_DEP_1)
	v_lshlrev_b64 v[13:14], 1, v[1:2]
	v_add_co_u32 v13, s9, s54, v13
	s_delay_alu instid0(VALU_DEP_1)
	v_add_co_ci_u32_e64 v14, s9, s55, v14, s9
	global_load_u16 v2, v[13:14], off
.LBB65_162:                             ;   in Loop: Header=BB65_160 Depth=2
	s_or_b32 exec_lo, exec_lo, s27
	s_and_saveexec_b32 s9, vcc_lo
	s_cbranch_execz .LBB65_159
; %bb.163:                              ;   in Loop: Header=BB65_160 Depth=2
	s_waitcnt vmcnt(0)
	v_cmp_lt_i16_e32 vcc_lo, -1, v2
	v_and_b32_e32 v4, 0xffff, v2
	v_dual_cndmask_b32 v6, 0xffff, v28 :: v_dual_lshlrev_b32 v13, 16, v2
	s_delay_alu instid0(VALU_DEP_1) | instskip(NEXT) | instid1(VALU_DEP_2)
	v_cmp_o_f32_e32 vcc_lo, v13, v13
	v_xor_b32_e32 v4, v6, v4
	s_delay_alu instid0(VALU_DEP_1) | instskip(NEXT) | instid1(VALU_DEP_1)
	v_cndmask_b32_e32 v4, 0xffff, v4, vcc_lo
	v_and_b32_e32 v4, s85, v4
	s_delay_alu instid0(VALU_DEP_1)
	v_cmp_eq_u32_e32 vcc_lo, s84, v4
	s_and_b32 exec_lo, exec_lo, vcc_lo
	s_cbranch_execz .LBB65_159
; %bb.164:                              ;   in Loop: Header=BB65_160 Depth=2
	v_perm_b32 v2, v2, s75, 0x5040100
	ds_store_b32 v7, v2 offset:3072
	s_branch .LBB65_159
.LBB65_165:                             ;   in Loop: Header=BB65_8 Depth=1
                                        ; implicit-def: $sgpr21
                                        ; implicit-def: $sgpr23
                                        ; implicit-def: $sgpr22
	s_branch .LBB65_179
.LBB65_166:                             ;   in Loop: Header=BB65_8 Depth=1
	s_mov_b32 s21, -1
	s_mov_b32 s27, 0
                                        ; implicit-def: $sgpr22
                                        ; implicit-def: $vgpr29
	s_mov_b32 s23, s21
	s_cbranch_execnz .LBB65_169
	s_branch .LBB65_179
.LBB65_167:                             ;   in Loop: Header=BB65_8 Depth=1
	s_or_b32 exec_lo, exec_lo, s22
	v_lshrrev_b32_e32 v29, 16, v2
	s_and_b32 s27, s23, exec_lo
.LBB65_168:                             ;   in Loop: Header=BB65_8 Depth=1
	s_or_b32 exec_lo, exec_lo, s21
	s_mov_b32 s22, -1
	s_mov_b32 s21, 0
	s_delay_alu instid0(SALU_CYCLE_1)
	s_mov_b32 s23, s21
	s_branch .LBB65_179
.LBB65_169:                             ;   in Loop: Header=BB65_8 Depth=1
	s_add_i32 s22, s24, s60
	s_mov_b32 s27, 0
	s_abs_i32 s9, s22
                                        ; implicit-def: $vgpr29
	s_delay_alu instid0(SALU_CYCLE_1) | instskip(NEXT) | instid1(SALU_CYCLE_1)
	s_mul_hi_u32 s21, s9, s70
	s_mul_i32 s21, s21, s56
	s_delay_alu instid0(SALU_CYCLE_1) | instskip(SKIP_4) | instid1(SALU_CYCLE_1)
	s_sub_i32 s9, s9, s21
	s_ashr_i32 s21, s22, 31
	s_sub_i32 s23, s9, s56
	s_cmp_ge_u32 s9, s56
	s_cselect_b32 s9, s23, s9
	s_sub_i32 s23, s9, s56
	s_cmp_ge_u32 s9, s56
	s_cselect_b32 s9, s23, s9
	s_delay_alu instid0(SALU_CYCLE_1) | instskip(NEXT) | instid1(SALU_CYCLE_1)
	s_xor_b32 s9, s9, s21
	s_sub_i32 s9, s21, s9
	s_mov_b32 s21, exec_lo
	s_add_i32 s22, s22, s9
	s_delay_alu instid0(SALU_CYCLE_1)
	v_cmpx_gt_i32_e64 s22, v0
	s_cbranch_execz .LBB65_178
; %bb.170:                              ;   in Loop: Header=BB65_8 Depth=1
	v_dual_mov_b32 v1, v17 :: v_dual_mov_b32 v2, v0
	s_mov_b32 s23, 0
                                        ; implicit-def: $sgpr27
	s_branch .LBB65_172
.LBB65_171:                             ;   in Loop: Header=BB65_172 Depth=2
	s_or_b32 exec_lo, exec_lo, s9
	s_waitcnt lgkmcnt(0)
	s_barrier
	buffer_gl0_inv
	ds_load_b32 v3, v7 offset:3072
	v_add_nc_u32_e32 v2, s56, v2
	v_add_nc_u32_e32 v1, s74, v1
	s_waitcnt lgkmcnt(0)
	s_barrier
	buffer_gl0_inv
	v_cmp_le_i32_e32 vcc_lo, s22, v2
	v_and_b32_e32 v4, 0x7fff, v3
	s_delay_alu instid0(VALU_DEP_1) | instskip(NEXT) | instid1(VALU_DEP_1)
	v_cmp_ne_u16_e64 s9, 0, v4
	s_or_b32 s28, vcc_lo, s9
	s_delay_alu instid0(SALU_CYCLE_1) | instskip(NEXT) | instid1(SALU_CYCLE_1)
	s_and_b32 s28, exec_lo, s28
	s_or_b32 s23, s28, s23
	s_and_not1_b32 s27, s27, exec_lo
	s_and_b32 s9, s9, exec_lo
	s_delay_alu instid0(SALU_CYCLE_1)
	s_or_b32 s27, s27, s9
	s_and_not1_b32 exec_lo, exec_lo, s23
	s_cbranch_execz .LBB65_177
.LBB65_172:                             ;   Parent Loop BB65_8 Depth=1
                                        ; =>  This Inner Loop Header: Depth=2
	s_delay_alu instid0(VALU_DEP_1)
	v_cmp_gt_i32_e32 vcc_lo, s24, v2
	v_mov_b32_e32 v3, 0
	s_and_saveexec_b32 s9, vcc_lo
	s_cbranch_execz .LBB65_174
; %bb.173:                              ;   in Loop: Header=BB65_172 Depth=2
	ds_load_u16 v3, v1
.LBB65_174:                             ;   in Loop: Header=BB65_172 Depth=2
	s_or_b32 exec_lo, exec_lo, s9
	s_and_saveexec_b32 s9, vcc_lo
	s_cbranch_execz .LBB65_171
; %bb.175:                              ;   in Loop: Header=BB65_172 Depth=2
	s_waitcnt lgkmcnt(0)
	v_cmp_lt_i16_e32 vcc_lo, -1, v3
	v_and_b32_e32 v4, 0xffff, v3
	v_dual_cndmask_b32 v6, 0xffff, v28 :: v_dual_lshlrev_b32 v13, 16, v3
	s_delay_alu instid0(VALU_DEP_1) | instskip(NEXT) | instid1(VALU_DEP_2)
	v_cmp_o_f32_e32 vcc_lo, v13, v13
	v_xor_b32_e32 v4, v6, v4
	s_delay_alu instid0(VALU_DEP_1) | instskip(NEXT) | instid1(VALU_DEP_1)
	v_cndmask_b32_e32 v4, 0xffff, v4, vcc_lo
	v_and_b32_e32 v4, s85, v4
	s_delay_alu instid0(VALU_DEP_1)
	v_cmp_eq_u32_e32 vcc_lo, s84, v4
	s_and_b32 exec_lo, exec_lo, vcc_lo
	s_cbranch_execz .LBB65_171
; %bb.176:                              ;   in Loop: Header=BB65_172 Depth=2
	v_perm_b32 v3, v3, s75, 0x5040100
	ds_store_b32 v7, v3 offset:3072
	s_branch .LBB65_171
.LBB65_177:                             ;   in Loop: Header=BB65_8 Depth=1
	s_or_b32 exec_lo, exec_lo, s23
	v_lshrrev_b32_e32 v29, 16, v3
	s_and_b32 s27, s27, exec_lo
.LBB65_178:                             ;   in Loop: Header=BB65_8 Depth=1
	s_or_b32 exec_lo, exec_lo, s21
	s_mov_b32 s23, -1
	s_mov_b32 s21, 0
	s_mov_b32 s22, 0
.LBB65_179:                             ;   in Loop: Header=BB65_8 Depth=1
	s_mov_b32 s28, 0
                                        ; implicit-def: $sgpr9
	s_and_saveexec_b32 s24, s27
	s_cbranch_execz .LBB65_234
; %bb.180:                              ;   in Loop: Header=BB65_8 Depth=1
	s_xor_b32 s9, s25, -1
	s_mov_b32 s27, 0
	s_and_not1_b32 vcc_lo, exec_lo, s9
	s_mov_b32 s25, 1
	s_cbranch_vccnz .LBB65_191
; %bb.181:                              ;   in Loop: Header=BB65_8 Depth=1
	s_cmp_gt_i32 s26, s16
	s_mov_b32 s27, -1
                                        ; implicit-def: $sgpr9
                                        ; implicit-def: $sgpr25
                                        ; implicit-def: $sgpr28
	s_cbranch_scc1 .LBB65_187
; %bb.182:                              ;   in Loop: Header=BB65_8 Depth=1
	ds_load_b32 v1, v7 offset:4096
	s_waitcnt lgkmcnt(0)
	v_cmp_ne_u32_e32 vcc_lo, 0, v1
	s_cbranch_vccnz .LBB65_186
; %bb.183:                              ;   in Loop: Header=BB65_8 Depth=1
	s_and_saveexec_b32 s9, s0
	s_cbranch_execz .LBB65_185
; %bb.184:                              ;   in Loop: Header=BB65_8 Depth=1
	v_mov_b32_e32 v1, s16
	ds_store_b32 v7, v1 offset:4100
.LBB65_185:                             ;   in Loop: Header=BB65_8 Depth=1
	s_or_b32 exec_lo, exec_lo, s9
	s_waitcnt lgkmcnt(0)
	s_barrier
	buffer_gl0_inv
.LBB65_186:                             ;   in Loop: Header=BB65_8 Depth=1
	s_lshl_b32 s9, 2, s17
	s_and_b32 s17, s84, s18
	s_or_b32 s28, s85, s11
	s_or_b32 s25, s17, s9
	s_mov_b32 s27, 0
	s_mov_b32 s9, 8
.LBB65_187:                             ;   in Loop: Header=BB65_8 Depth=1
	s_and_not1_b32 vcc_lo, exec_lo, s27
	s_cbranch_vccnz .LBB65_189
; %bb.188:                              ;   in Loop: Header=BB65_8 Depth=1
	s_sub_i32 s26, s26, s16
	s_mov_b32 s27, -1
	s_mov_b32 s9, 0
	s_mov_b32 s25, s84
	s_mov_b32 s28, s85
.LBB65_189:                             ;   in Loop: Header=BB65_8 Depth=1
	s_delay_alu instid0(SALU_CYCLE_1)
	s_mov_b32 s85, s28
	s_mov_b32 s84, s25
	;; [unrolled: 1-line block ×3, first 2 shown]
	s_and_not1_b32 vcc_lo, exec_lo, s27
	s_mov_b32 s37, -1
	s_cbranch_vccz .LBB65_192
.LBB65_190:                             ;   in Loop: Header=BB65_8 Depth=1
                                        ; implicit-def: $sgpr18
                                        ; implicit-def: $sgpr27
                                        ; implicit-def: $sgpr26
	s_branch .LBB65_233
.LBB65_191:                             ;   in Loop: Header=BB65_8 Depth=1
	s_mov_b32 s9, 1
	s_and_not1_b32 vcc_lo, exec_lo, s27
	s_mov_b32 s37, -1
	s_cbranch_vccnz .LBB65_190
.LBB65_192:                             ;   in Loop: Header=BB65_8 Depth=1
	s_cmp_eq_u32 s10, 1
	s_mov_b32 s28, -1
	s_cselect_b32 s9, -1, 0
	s_cmp_eq_u32 s25, 1
	s_cselect_b32 s16, -1, 0
	s_delay_alu instid0(SALU_CYCLE_1) | instskip(NEXT) | instid1(SALU_CYCLE_1)
	s_and_b32 s16, s9, s16
	s_and_b32 vcc_lo, exec_lo, s16
	s_cbranch_vccz .LBB65_204
; %bb.193:                              ;   in Loop: Header=BB65_8 Depth=1
	ds_load_b32 v1, v7 offset:4096
	s_waitcnt lgkmcnt(0)
	s_barrier
	buffer_gl0_inv
	v_readfirstlane_b32 s17, v1
	s_and_saveexec_b32 s9, s1
	s_cbranch_execz .LBB65_195
; %bb.194:                              ;   in Loop: Header=BB65_8 Depth=1
	ds_store_b16 v18, v7
.LBB65_195:                             ;   in Loop: Header=BB65_8 Depth=1
	s_or_b32 exec_lo, exec_lo, s9
	s_or_b32 s84, s84, s11
	s_or_b32 s85, s85, s11
	s_cmp_gt_i32 s17, 0
	s_waitcnt lgkmcnt(0)
	s_barrier
	buffer_gl0_inv
	s_cbranch_scc1 .LBB65_205
; %bb.196:                              ;   in Loop: Header=BB65_8 Depth=1
	s_mov_b32 s28, 0
                                        ; implicit-def: $vgpr29
	s_and_saveexec_b32 s18, s8
	s_cbranch_execz .LBB65_207
; %bb.197:                              ;   in Loop: Header=BB65_8 Depth=1
	v_mov_b32_e32 v1, v5
	v_mov_b32_e32 v3, v0
	s_mov_b32 s26, 0
                                        ; implicit-def: $sgpr27
	s_branch .LBB65_199
.LBB65_198:                             ;   in Loop: Header=BB65_199 Depth=2
	s_or_b32 exec_lo, exec_lo, s9
	s_waitcnt vmcnt(0) lgkmcnt(0)
	s_barrier
	buffer_gl0_inv
	ds_load_b32 v2, v7 offset:3072
	v_add_nc_u32_e32 v3, s56, v3
	v_add_nc_u32_e32 v1, s59, v1
	s_waitcnt lgkmcnt(0)
	s_barrier
	buffer_gl0_inv
	v_cmp_le_i32_e32 vcc_lo, s71, v3
	v_and_b32_e32 v4, 0x7fff, v2
	s_delay_alu instid0(VALU_DEP_1) | instskip(NEXT) | instid1(VALU_DEP_1)
	v_cmp_ne_u16_e64 s9, 0, v4
	s_or_b32 s28, vcc_lo, s9
	s_delay_alu instid0(SALU_CYCLE_1) | instskip(NEXT) | instid1(SALU_CYCLE_1)
	s_and_b32 s28, exec_lo, s28
	s_or_b32 s26, s28, s26
	s_and_not1_b32 s27, s27, exec_lo
	s_and_b32 s9, s9, exec_lo
	s_delay_alu instid0(SALU_CYCLE_1)
	s_or_b32 s27, s27, s9
	s_and_not1_b32 exec_lo, exec_lo, s26
	s_cbranch_execz .LBB65_206
.LBB65_199:                             ;   Parent Loop BB65_8 Depth=1
                                        ; =>  This Inner Loop Header: Depth=2
	s_delay_alu instid0(VALU_DEP_1)
	v_cmp_gt_i32_e32 vcc_lo, s36, v3
	v_mov_b32_e32 v2, 0
	s_and_saveexec_b32 s28, vcc_lo
	s_cbranch_execz .LBB65_201
; %bb.200:                              ;   in Loop: Header=BB65_199 Depth=2
	v_ashrrev_i32_e32 v2, 31, v1
	s_delay_alu instid0(VALU_DEP_1) | instskip(NEXT) | instid1(VALU_DEP_1)
	v_lshlrev_b64 v[13:14], 1, v[1:2]
	v_add_co_u32 v13, s9, s54, v13
	s_delay_alu instid0(VALU_DEP_1)
	v_add_co_ci_u32_e64 v14, s9, s55, v14, s9
	global_load_u16 v2, v[13:14], off
.LBB65_201:                             ;   in Loop: Header=BB65_199 Depth=2
	s_or_b32 exec_lo, exec_lo, s28
	s_and_saveexec_b32 s9, vcc_lo
	s_cbranch_execz .LBB65_198
; %bb.202:                              ;   in Loop: Header=BB65_199 Depth=2
	s_waitcnt vmcnt(0)
	v_cmp_lt_i16_e32 vcc_lo, -1, v2
	v_and_b32_e32 v4, 0xffff, v2
	v_dual_cndmask_b32 v6, 0xffff, v28 :: v_dual_lshlrev_b32 v13, 16, v2
	s_delay_alu instid0(VALU_DEP_1) | instskip(NEXT) | instid1(VALU_DEP_2)
	v_cmp_o_f32_e32 vcc_lo, v13, v13
	v_xor_b32_e32 v4, v6, v4
	s_delay_alu instid0(VALU_DEP_1) | instskip(NEXT) | instid1(VALU_DEP_1)
	v_cndmask_b32_e32 v4, 0xffff, v4, vcc_lo
	v_and_b32_e32 v4, s85, v4
	s_delay_alu instid0(VALU_DEP_1)
	v_cmp_eq_u32_e32 vcc_lo, s84, v4
	s_and_b32 exec_lo, exec_lo, vcc_lo
	s_cbranch_execz .LBB65_198
; %bb.203:                              ;   in Loop: Header=BB65_199 Depth=2
	v_perm_b32 v2, v2, s75, 0x5040100
	ds_store_b32 v7, v2 offset:3072
	s_branch .LBB65_198
.LBB65_204:                             ;   in Loop: Header=BB65_8 Depth=1
                                        ; implicit-def: $sgpr18
                                        ; implicit-def: $sgpr27
                                        ; implicit-def: $sgpr26
	s_branch .LBB65_218
.LBB65_205:                             ;   in Loop: Header=BB65_8 Depth=1
	s_mov_b32 s18, -1
	s_mov_b32 s28, 0
                                        ; implicit-def: $sgpr26
                                        ; implicit-def: $vgpr29
	s_mov_b32 s27, s18
	s_cbranch_execnz .LBB65_208
	s_branch .LBB65_218
.LBB65_206:                             ;   in Loop: Header=BB65_8 Depth=1
	s_or_b32 exec_lo, exec_lo, s26
	v_lshrrev_b32_e32 v29, 16, v2
	s_and_b32 s28, s27, exec_lo
.LBB65_207:                             ;   in Loop: Header=BB65_8 Depth=1
	s_or_b32 exec_lo, exec_lo, s18
	s_mov_b32 s26, -1
	s_mov_b32 s18, 0
	s_delay_alu instid0(SALU_CYCLE_1)
	s_mov_b32 s27, s18
	s_branch .LBB65_218
.LBB65_208:                             ;   in Loop: Header=BB65_8 Depth=1
	s_add_i32 s26, s17, s60
	s_mov_b32 s28, 0
	s_abs_i32 s9, s26
                                        ; implicit-def: $vgpr29
	s_delay_alu instid0(SALU_CYCLE_1) | instskip(NEXT) | instid1(SALU_CYCLE_1)
	s_mul_hi_u32 s18, s9, s70
	s_mul_i32 s18, s18, s56
	s_delay_alu instid0(SALU_CYCLE_1) | instskip(SKIP_4) | instid1(SALU_CYCLE_1)
	s_sub_i32 s9, s9, s18
	s_ashr_i32 s18, s26, 31
	s_sub_i32 s27, s9, s56
	s_cmp_ge_u32 s9, s56
	s_cselect_b32 s9, s27, s9
	s_sub_i32 s27, s9, s56
	s_cmp_ge_u32 s9, s56
	s_cselect_b32 s9, s27, s9
	s_delay_alu instid0(SALU_CYCLE_1) | instskip(NEXT) | instid1(SALU_CYCLE_1)
	s_xor_b32 s9, s9, s18
	s_sub_i32 s9, s18, s9
	s_mov_b32 s18, exec_lo
	s_add_i32 s26, s26, s9
	s_delay_alu instid0(SALU_CYCLE_1)
	v_cmpx_gt_i32_e64 s26, v0
	s_cbranch_execz .LBB65_217
; %bb.209:                              ;   in Loop: Header=BB65_8 Depth=1
	v_dual_mov_b32 v1, v17 :: v_dual_mov_b32 v2, v0
	s_mov_b32 s27, 0
                                        ; implicit-def: $sgpr28
	s_branch .LBB65_211
.LBB65_210:                             ;   in Loop: Header=BB65_211 Depth=2
	s_or_b32 exec_lo, exec_lo, s9
	s_waitcnt lgkmcnt(0)
	s_barrier
	buffer_gl0_inv
	ds_load_b32 v3, v7 offset:3072
	v_add_nc_u32_e32 v2, s56, v2
	v_add_nc_u32_e32 v1, s74, v1
	s_waitcnt lgkmcnt(0)
	s_barrier
	buffer_gl0_inv
	v_cmp_le_i32_e32 vcc_lo, s26, v2
	v_and_b32_e32 v4, 0x7fff, v3
	s_delay_alu instid0(VALU_DEP_1) | instskip(NEXT) | instid1(VALU_DEP_1)
	v_cmp_ne_u16_e64 s9, 0, v4
	s_or_b32 s37, vcc_lo, s9
	s_delay_alu instid0(SALU_CYCLE_1) | instskip(NEXT) | instid1(SALU_CYCLE_1)
	s_and_b32 s37, exec_lo, s37
	s_or_b32 s27, s37, s27
	s_and_not1_b32 s28, s28, exec_lo
	s_and_b32 s9, s9, exec_lo
	s_delay_alu instid0(SALU_CYCLE_1)
	s_or_b32 s28, s28, s9
	s_and_not1_b32 exec_lo, exec_lo, s27
	s_cbranch_execz .LBB65_216
.LBB65_211:                             ;   Parent Loop BB65_8 Depth=1
                                        ; =>  This Inner Loop Header: Depth=2
	s_delay_alu instid0(VALU_DEP_1)
	v_cmp_gt_i32_e32 vcc_lo, s17, v2
	v_mov_b32_e32 v3, 0
	s_and_saveexec_b32 s9, vcc_lo
	s_cbranch_execz .LBB65_213
; %bb.212:                              ;   in Loop: Header=BB65_211 Depth=2
	ds_load_u16 v3, v1
.LBB65_213:                             ;   in Loop: Header=BB65_211 Depth=2
	s_or_b32 exec_lo, exec_lo, s9
	s_and_saveexec_b32 s9, vcc_lo
	s_cbranch_execz .LBB65_210
; %bb.214:                              ;   in Loop: Header=BB65_211 Depth=2
	s_waitcnt lgkmcnt(0)
	v_cmp_lt_i16_e32 vcc_lo, -1, v3
	v_and_b32_e32 v4, 0xffff, v3
	v_dual_cndmask_b32 v6, 0xffff, v28 :: v_dual_lshlrev_b32 v13, 16, v3
	s_delay_alu instid0(VALU_DEP_1) | instskip(NEXT) | instid1(VALU_DEP_2)
	v_cmp_o_f32_e32 vcc_lo, v13, v13
	v_xor_b32_e32 v4, v6, v4
	s_delay_alu instid0(VALU_DEP_1) | instskip(NEXT) | instid1(VALU_DEP_1)
	v_cndmask_b32_e32 v4, 0xffff, v4, vcc_lo
	v_and_b32_e32 v4, s85, v4
	s_delay_alu instid0(VALU_DEP_1)
	v_cmp_eq_u32_e32 vcc_lo, s84, v4
	s_and_b32 exec_lo, exec_lo, vcc_lo
	s_cbranch_execz .LBB65_210
; %bb.215:                              ;   in Loop: Header=BB65_211 Depth=2
	v_perm_b32 v3, v3, s75, 0x5040100
	ds_store_b32 v7, v3 offset:3072
	s_branch .LBB65_210
.LBB65_216:                             ;   in Loop: Header=BB65_8 Depth=1
	s_or_b32 exec_lo, exec_lo, s27
	v_lshrrev_b32_e32 v29, 16, v3
	s_and_b32 s28, s28, exec_lo
.LBB65_217:                             ;   in Loop: Header=BB65_8 Depth=1
	s_or_b32 exec_lo, exec_lo, s18
	s_mov_b32 s27, -1
	s_mov_b32 s18, 0
	s_mov_b32 s26, 0
.LBB65_218:                             ;   in Loop: Header=BB65_8 Depth=1
	s_mov_b32 s37, 0
                                        ; implicit-def: $sgpr9
	s_and_saveexec_b32 s17, s28
	s_cbranch_execz .LBB65_232
; %bb.219:                              ;   in Loop: Header=BB65_8 Depth=1
	s_xor_b32 s9, s16, -1
	s_delay_alu instid0(SALU_CYCLE_1)
	s_and_not1_b32 vcc_lo, exec_lo, s9
	s_mov_b32 s9, 1
	s_cbranch_vccnz .LBB65_226
; %bb.220:                              ;   in Loop: Header=BB65_8 Depth=1
	s_cmp_gt_i32 s25, s10
	s_cbranch_scc1 .LBB65_227
; %bb.221:                              ;   in Loop: Header=BB65_8 Depth=1
	ds_load_b32 v1, v7 offset:4096
	s_waitcnt lgkmcnt(0)
	v_cmp_ne_u32_e32 vcc_lo, 0, v1
	s_cbranch_vccnz .LBB65_225
; %bb.222:                              ;   in Loop: Header=BB65_8 Depth=1
	s_and_saveexec_b32 s9, s0
	s_cbranch_execz .LBB65_224
; %bb.223:                              ;   in Loop: Header=BB65_8 Depth=1
	v_mov_b32_e32 v1, s10
	ds_store_b32 v7, v1 offset:4100
.LBB65_224:                             ;   in Loop: Header=BB65_8 Depth=1
	s_or_b32 exec_lo, exec_lo, s9
	s_waitcnt lgkmcnt(0)
	s_barrier
	buffer_gl0_inv
.LBB65_225:                             ;   in Loop: Header=BB65_8 Depth=1
	s_or_b32 s16, s84, s11
	s_or_b32 s11, s85, s11
	s_mov_b32 s28, 0
	s_mov_b32 s9, 8
	s_branch .LBB65_228
.LBB65_226:                             ;   in Loop: Header=BB65_8 Depth=1
	s_mov_b32 s25, 1
	s_branch .LBB65_231
.LBB65_227:                             ;   in Loop: Header=BB65_8 Depth=1
	s_mov_b32 s28, -1
                                        ; implicit-def: $sgpr9
                                        ; implicit-def: $sgpr16
                                        ; implicit-def: $sgpr11
.LBB65_228:                             ;   in Loop: Header=BB65_8 Depth=1
	s_delay_alu instid0(SALU_CYCLE_1)
	s_and_not1_b32 vcc_lo, exec_lo, s28
	s_cbranch_vccnz .LBB65_230
; %bb.229:                              ;   in Loop: Header=BB65_8 Depth=1
	s_sub_i32 s25, s25, s10
	s_mov_b32 s9, 8
	s_mov_b32 s16, s84
	;; [unrolled: 1-line block ×3, first 2 shown]
.LBB65_230:                             ;   in Loop: Header=BB65_8 Depth=1
	s_mov_b32 s84, s16
	s_mov_b32 s85, s11
.LBB65_231:                             ;   in Loop: Header=BB65_8 Depth=1
	s_mov_b32 s37, exec_lo
.LBB65_232:                             ;   in Loop: Header=BB65_8 Depth=1
	s_or_b32 exec_lo, exec_lo, s17
.LBB65_233:                             ;   in Loop: Header=BB65_8 Depth=1
	s_delay_alu instid0(SALU_CYCLE_1)
	s_and_not1_b32 s10, s21, exec_lo
	s_and_b32 s11, s18, exec_lo
	s_and_not1_b32 s16, s22, exec_lo
	s_or_b32 s21, s10, s11
	s_and_not1_b32 s10, s23, exec_lo
	s_and_b32 s11, s27, exec_lo
	s_and_b32 s17, s26, exec_lo
	s_or_b32 s23, s10, s11
	s_or_b32 s22, s16, s17
	s_and_b32 s28, s37, exec_lo
	s_mov_b32 s26, s25
.LBB65_234:                             ;   in Loop: Header=BB65_8 Depth=1
	s_or_b32 exec_lo, exec_lo, s24
.LBB65_235:                             ;   in Loop: Header=BB65_8 Depth=1
	s_delay_alu instid0(SALU_CYCLE_1)
	s_and_not1_b32 s10, s15, exec_lo
	s_and_b32 s11, s21, exec_lo
	s_and_not1_b32 s14, s14, exec_lo
	s_or_b32 s15, s10, s11
	s_and_not1_b32 s10, s19, exec_lo
	s_and_b32 s11, s23, exec_lo
	s_and_b32 s16, s22, exec_lo
	s_or_b32 s19, s10, s11
	s_or_b32 s14, s14, s16
	s_and_b32 s25, s28, exec_lo
	s_mov_b32 s22, s26
.LBB65_236:                             ;   in Loop: Header=BB65_8 Depth=1
	s_or_b32 exec_lo, exec_lo, s20
	s_and_saveexec_b32 s10, s25
	s_delay_alu instid0(SALU_CYCLE_1)
	s_xor_b32 s10, exec_lo, s10
	s_cbranch_execz .LBB65_6
.LBB65_237:                             ;   in Loop: Header=BB65_8 Depth=1
	s_and_b32 s9, s9, -9
	s_delay_alu instid0(SALU_CYCLE_1)
	s_cmp_eq_u32 s9, 0
	s_cbranch_scc1 .LBB65_4
; %bb.238:                              ;   in Loop: Header=BB65_8 Depth=1
	s_mov_b32 s9, -1
	s_mov_b32 s11, -1
                                        ; implicit-def: $sgpr85
                                        ; implicit-def: $sgpr22
                                        ; implicit-def: $sgpr79
                                        ; implicit-def: $sgpr82
	s_branch .LBB65_5
.LBB65_239:
	s_or_b32 exec_lo, exec_lo, s57
	s_xor_b32 s3, s78, -1
	s_xor_b32 s2, s76, -1
	;; [unrolled: 1-line block ×3, first 2 shown]
	s_mov_b32 s1, 0
	s_and_saveexec_b32 s5, s2
	s_delay_alu instid0(SALU_CYCLE_1)
	s_xor_b32 s2, exec_lo, s5
	s_cbranch_execz .LBB65_260
; %bb.240:
	s_and_saveexec_b32 s1, s3
	s_delay_alu instid0(SALU_CYCLE_1)
	s_xor_b32 s3, exec_lo, s1
	s_cbranch_execz .LBB65_258
; %bb.241:
	s_and_saveexec_b32 s1, s4
	s_delay_alu instid0(SALU_CYCLE_1)
	s_xor_b32 s1, exec_lo, s1
; %bb.242:
	v_and_b32_e32 v2, 0x8000, v1
	v_mov_b32_e32 v3, 0xffff
	s_delay_alu instid0(VALU_DEP_2) | instskip(NEXT) | instid1(VALU_DEP_2)
	v_cmp_eq_u32_e32 vcc_lo, 0, v2
	v_cndmask_b32_e32 v2, 0x8000, v3, vcc_lo
	s_delay_alu instid0(VALU_DEP_1)
	v_xor_b32_e32 v29, v2, v1
; %bb.243:
	s_or_b32 exec_lo, exec_lo, s1
	s_and_saveexec_b32 s1, s0
	s_cbranch_execz .LBB65_245
; %bb.244:
	v_dual_mov_b32 v1, 0 :: v_dual_mov_b32 v2, s36
	ds_store_b32 v1, v2 offset:4108
.LBB65_245:
	s_or_b32 exec_lo, exec_lo, s1
	v_mov_b32_e32 v1, 0
	s_waitcnt lgkmcnt(0)
	s_barrier
	buffer_gl0_inv
	s_mov_b32 s4, exec_lo
	ds_load_b32 v1, v1 offset:4108
	s_waitcnt lgkmcnt(0)
	v_min_i32_e32 v1, s36, v1
	s_delay_alu instid0(VALU_DEP_1)
	v_cmpx_lt_i32_e64 v0, v1
	s_cbranch_execz .LBB65_255
; %bb.246:
	v_lshlrev_b32_e32 v2, 16, v29
	s_mov_b32 s5, 0
                                        ; implicit-def: $sgpr6
                                        ; implicit-def: $sgpr9
                                        ; implicit-def: $sgpr8
	s_delay_alu instid0(VALU_DEP_1)
	v_cmp_u_f32_e32 vcc_lo, v2, v2
	s_xor_b32 s7, vcc_lo, -1
	s_set_inst_prefetch_distance 0x1
	s_branch .LBB65_248
	.p2align	6
.LBB65_247:                             ;   in Loop: Header=BB65_248 Depth=1
	s_or_b32 exec_lo, exec_lo, s1
	s_delay_alu instid0(SALU_CYCLE_1) | instskip(NEXT) | instid1(SALU_CYCLE_1)
	s_and_b32 s1, exec_lo, s9
	s_or_b32 s5, s1, s5
	s_and_not1_b32 s1, s6, exec_lo
	s_and_b32 s6, s8, exec_lo
	s_delay_alu instid0(SALU_CYCLE_1)
	s_or_b32 s6, s1, s6
	s_and_not1_b32 exec_lo, exec_lo, s5
	s_cbranch_execz .LBB65_250
.LBB65_248:                             ; =>This Inner Loop Header: Depth=1
	v_ashrrev_i32_e32 v6, 31, v5
	s_or_b32 s8, s8, exec_lo
	s_or_b32 s9, s9, exec_lo
	s_delay_alu instid0(VALU_DEP_1) | instskip(NEXT) | instid1(VALU_DEP_1)
	v_lshlrev_b64 v[3:4], 1, v[5:6]
	v_add_co_u32 v3, vcc_lo, s54, v3
	s_delay_alu instid0(VALU_DEP_2) | instskip(SKIP_3) | instid1(VALU_DEP_1)
	v_add_co_ci_u32_e32 v4, vcc_lo, s55, v4, vcc_lo
	global_load_u16 v3, v[3:4], off
	s_waitcnt vmcnt(0)
	v_lshlrev_b32_e32 v3, 16, v3
	v_cmp_o_f32_e32 vcc_lo, v3, v3
	v_cmp_neq_f32_e64 s1, v3, v2
	v_mov_b32_e32 v3, v0
                                        ; implicit-def: $vgpr0
	s_or_b32 s10, s7, vcc_lo
	s_delay_alu instid0(VALU_DEP_2) | instid1(SALU_CYCLE_1)
	s_and_b32 s10, s1, s10
	s_delay_alu instid0(SALU_CYCLE_1)
	s_and_saveexec_b32 s1, s10
	s_cbranch_execz .LBB65_247
; %bb.249:                              ;   in Loop: Header=BB65_248 Depth=1
	v_add_nc_u32_e32 v0, s56, v3
	s_and_not1_b32 s9, s9, exec_lo
	v_add_nc_u32_e32 v5, s59, v5
	s_and_not1_b32 s8, s8, exec_lo
	s_delay_alu instid0(VALU_DEP_2) | instskip(SKIP_1) | instid1(SALU_CYCLE_1)
	v_cmp_ge_i32_e32 vcc_lo, v0, v1
	s_and_b32 s10, vcc_lo, exec_lo
	s_or_b32 s9, s9, s10
	s_branch .LBB65_247
.LBB65_250:
	s_set_inst_prefetch_distance 0x2
	s_or_b32 exec_lo, exec_lo, s5
	s_and_saveexec_b32 s1, s6
	s_delay_alu instid0(SALU_CYCLE_1)
	s_xor_b32 s1, exec_lo, s1
	s_cbranch_execz .LBB65_255
; %bb.251:
	s_mov_b32 s5, exec_lo
	s_brev_b32 s1, -2
.LBB65_252:                             ; =>This Inner Loop Header: Depth=1
	s_ctz_i32_b32 s6, s5
	s_delay_alu instid0(SALU_CYCLE_1) | instskip(SKIP_1) | instid1(SALU_CYCLE_1)
	v_readlane_b32 s7, v3, s6
	s_lshl_b32 s6, 1, s6
	s_and_not1_b32 s5, s5, s6
	s_delay_alu instid0(VALU_DEP_1)
	s_min_i32 s1, s1, s7
	s_cmp_lg_u32 s5, 0
	s_cbranch_scc1 .LBB65_252
; %bb.253:
	v_mbcnt_lo_u32_b32 v0, exec_lo, 0
	s_mov_b32 s5, exec_lo
	s_delay_alu instid0(VALU_DEP_1)
	v_cmpx_eq_u32_e32 0, v0
	s_xor_b32 s5, exec_lo, s5
	s_cbranch_execz .LBB65_255
; %bb.254:
	v_dual_mov_b32 v0, 0 :: v_dual_mov_b32 v1, s1
	ds_min_i32 v0, v1 offset:4108
.LBB65_255:
	s_or_b32 exec_lo, exec_lo, s4
	s_waitcnt lgkmcnt(0)
	s_barrier
	buffer_gl0_inv
	s_and_saveexec_b32 s1, s0
	s_cbranch_execz .LBB65_257
; %bb.256:
	s_mul_i32 s0, s52, s49
	s_xor_b32 s4, s48, s53
	s_sub_i32 s0, s47, s0
	s_add_i32 s5, s52, 1
	s_sub_i32 s6, s0, s49
	s_cmp_ge_u32 s0, s49
	v_mov_b32_e32 v2, 0
	s_cselect_b32 s5, s5, s52
	s_cselect_b32 s0, s6, s0
	s_add_i32 s6, s5, 1
	s_cmp_ge_u32 s0, s49
	s_mul_i32 s0, s50, s46
	s_cselect_b32 s5, s6, s5
	s_sub_i32 s0, s47, s0
	s_xor_b32 s5, s5, s4
	s_xor_b32 s6, s48, s51
	s_sub_i32 s4, s5, s4
	s_add_i32 s7, s50, 1
	s_mul_i32 s5, s4, s38
	s_mul_i32 s4, s4, s42
	s_sub_i32 s5, s29, s5
	s_sub_i32 s8, s0, s46
	s_mul_i32 s5, s5, s43
	ds_load_b32 v0, v2 offset:4108
	s_add_i32 s4, s4, s5
	s_cmp_ge_u32 s0, s46
	s_cselect_b32 s5, s7, s50
	s_cselect_b32 s0, s8, s0
	s_add_i32 s7, s5, 1
	s_cmp_ge_u32 s0, s46
	s_cselect_b32 s0, s7, s5
	s_ashr_i32 s5, s4, 31
	s_xor_b32 s0, s0, s6
	s_lshl_b64 s[4:5], s[4:5], 1
	s_sub_i32 s0, s0, s6
	s_delay_alu instid0(SALU_CYCLE_1) | instskip(SKIP_2) | instid1(SALU_CYCLE_1)
	s_mul_i32 s6, s0, s33
	s_mul_i32 s0, s0, s40
	s_sub_i32 s6, s29, s6
	s_mul_i32 s6, s6, s41
	s_waitcnt lgkmcnt(0)
	v_ashrrev_i32_e32 v1, 31, v0
	s_add_i32 s6, s0, s6
	s_add_u32 s4, s34, s4
	s_addc_u32 s5, s35, s5
	s_ashr_i32 s7, s6, 31
	s_delay_alu instid0(SALU_CYCLE_1) | instskip(NEXT) | instid1(SALU_CYCLE_1)
	s_lshl_b64 s[6:7], s[6:7], 3
	s_add_u32 s6, s30, s6
	s_addc_u32 s7, s31, s7
	s_clause 0x1
	global_store_b64 v2, v[0:1], s[6:7]
	global_store_b16 v2, v29, s[4:5]
.LBB65_257:
	s_or_b32 exec_lo, exec_lo, s1
.LBB65_258:
	s_or_saveexec_b32 s0, s3
	s_mov_b32 s1, 0
	s_xor_b32 exec_lo, exec_lo, s0
	s_cbranch_execnz .LBB65_266
.LBB65_259:
	s_or_b32 exec_lo, exec_lo, s0
	s_delay_alu instid0(SALU_CYCLE_1)
	s_and_b32 s1, s1, exec_lo
.LBB65_260:
	s_and_not1_saveexec_b32 s0, s2
	s_cbranch_execnz .LBB65_264
; %bb.261:
	s_or_b32 exec_lo, exec_lo, s0
	s_and_saveexec_b32 s0, s1
.LBB65_262:
	; divergent unreachable
.LBB65_263:
	s_nop 0
	s_sendmsg sendmsg(MSG_DEALLOC_VGPRS)
	s_endpgm
.LBB65_264:
	s_cbranch_execnz .LBB65_268
; %bb.265:
	s_or_b32 s1, s1, exec_lo
	s_or_b32 exec_lo, exec_lo, s0
	s_and_saveexec_b32 s0, s1
	s_cbranch_execnz .LBB65_262
	s_branch .LBB65_263
.LBB65_266:
	s_cbranch_execnz .LBB65_270
; %bb.267:
	s_mov_b32 s1, exec_lo
	s_branch .LBB65_259
.LBB65_268:
	s_trap 2
	s_sendmsg_rtn_b32 s0, sendmsg(MSG_RTN_GET_DOORBELL)
	s_mov_b32 ttmp2, m0
	s_waitcnt lgkmcnt(0)
	s_and_b32 s0, s0, 0x3ff
	s_delay_alu instid0(SALU_CYCLE_1) | instskip(NEXT) | instid1(SALU_CYCLE_1)
	s_bitset1_b32 s0, 10
	s_mov_b32 m0, s0
	s_sendmsg sendmsg(MSG_INTERRUPT)
	s_mov_b32 m0, ttmp2
.LBB65_269:                             ; =>This Inner Loop Header: Depth=1
	s_sethalt 5
	s_branch .LBB65_269
.LBB65_270:
	s_trap 2
	s_sendmsg_rtn_b32 s0, sendmsg(MSG_RTN_GET_DOORBELL)
	s_mov_b32 ttmp2, m0
	s_waitcnt lgkmcnt(0)
	s_and_b32 s0, s0, 0x3ff
	s_delay_alu instid0(SALU_CYCLE_1) | instskip(NEXT) | instid1(SALU_CYCLE_1)
	s_bitset1_b32 s0, 10
	s_mov_b32 m0, s0
	s_sendmsg sendmsg(MSG_INTERRUPT)
	s_mov_b32 m0, ttmp2
.LBB65_271:                             ; =>This Inner Loop Header: Depth=1
	s_sethalt 5
	s_branch .LBB65_271
	.section	.rodata,"a",@progbits
	.p2align	6, 0x0
	.amdhsa_kernel _ZN2at6native12_GLOBAL__N_114gatherKthValueIN3c108BFloat16EiLi2EEEvNS_4cuda6detail10TensorInfoIKT_T0_EESA_SA_SA_SA_NS7_IS8_SA_EENS7_IlSA_EE
		.amdhsa_group_segment_fixed_size 4112
		.amdhsa_private_segment_fixed_size 0
		.amdhsa_kernarg_size 920
		.amdhsa_user_sgpr_count 13
		.amdhsa_user_sgpr_dispatch_ptr 0
		.amdhsa_user_sgpr_queue_ptr 0
		.amdhsa_user_sgpr_kernarg_segment_ptr 1
		.amdhsa_user_sgpr_dispatch_id 0
		.amdhsa_user_sgpr_private_segment_size 0
		.amdhsa_wavefront_size32 1
		.amdhsa_uses_dynamic_stack 0
		.amdhsa_enable_private_segment 0
		.amdhsa_system_sgpr_workgroup_id_x 1
		.amdhsa_system_sgpr_workgroup_id_y 1
		.amdhsa_system_sgpr_workgroup_id_z 1
		.amdhsa_system_sgpr_workgroup_info 0
		.amdhsa_system_vgpr_workitem_id 0
		.amdhsa_next_free_vgpr 40
		.amdhsa_next_free_sgpr 95
		.amdhsa_reserve_vcc 1
		.amdhsa_float_round_mode_32 0
		.amdhsa_float_round_mode_16_64 0
		.amdhsa_float_denorm_mode_32 3
		.amdhsa_float_denorm_mode_16_64 3
		.amdhsa_dx10_clamp 1
		.amdhsa_ieee_mode 1
		.amdhsa_fp16_overflow 0
		.amdhsa_workgroup_processor_mode 1
		.amdhsa_memory_ordered 1
		.amdhsa_forward_progress 0
		.amdhsa_shared_vgpr_count 0
		.amdhsa_exception_fp_ieee_invalid_op 0
		.amdhsa_exception_fp_denorm_src 0
		.amdhsa_exception_fp_ieee_div_zero 0
		.amdhsa_exception_fp_ieee_overflow 0
		.amdhsa_exception_fp_ieee_underflow 0
		.amdhsa_exception_fp_ieee_inexact 0
		.amdhsa_exception_int_div_zero 0
	.end_amdhsa_kernel
	.section	.text._ZN2at6native12_GLOBAL__N_114gatherKthValueIN3c108BFloat16EiLi2EEEvNS_4cuda6detail10TensorInfoIKT_T0_EESA_SA_SA_SA_NS7_IS8_SA_EENS7_IlSA_EE,"axG",@progbits,_ZN2at6native12_GLOBAL__N_114gatherKthValueIN3c108BFloat16EiLi2EEEvNS_4cuda6detail10TensorInfoIKT_T0_EESA_SA_SA_SA_NS7_IS8_SA_EENS7_IlSA_EE,comdat
.Lfunc_end65:
	.size	_ZN2at6native12_GLOBAL__N_114gatherKthValueIN3c108BFloat16EiLi2EEEvNS_4cuda6detail10TensorInfoIKT_T0_EESA_SA_SA_SA_NS7_IS8_SA_EENS7_IlSA_EE, .Lfunc_end65-_ZN2at6native12_GLOBAL__N_114gatherKthValueIN3c108BFloat16EiLi2EEEvNS_4cuda6detail10TensorInfoIKT_T0_EESA_SA_SA_SA_NS7_IS8_SA_EENS7_IlSA_EE
                                        ; -- End function
	.section	.AMDGPU.csdata,"",@progbits
; Kernel info:
; codeLenInByte = 11036
; NumSgprs: 97
; NumVgprs: 40
; ScratchSize: 0
; MemoryBound: 0
; FloatMode: 240
; IeeeMode: 1
; LDSByteSize: 4112 bytes/workgroup (compile time only)
; SGPRBlocks: 12
; VGPRBlocks: 4
; NumSGPRsForWavesPerEU: 97
; NumVGPRsForWavesPerEU: 40
; Occupancy: 16
; WaveLimiterHint : 1
; COMPUTE_PGM_RSRC2:SCRATCH_EN: 0
; COMPUTE_PGM_RSRC2:USER_SGPR: 13
; COMPUTE_PGM_RSRC2:TRAP_HANDLER: 0
; COMPUTE_PGM_RSRC2:TGID_X_EN: 1
; COMPUTE_PGM_RSRC2:TGID_Y_EN: 1
; COMPUTE_PGM_RSRC2:TGID_Z_EN: 1
; COMPUTE_PGM_RSRC2:TIDIG_COMP_CNT: 0
	.section	.text._ZN2at6native12_GLOBAL__N_114gatherKthValueIN3c108BFloat16EiLi3EEEvNS_4cuda6detail10TensorInfoIKT_T0_EESA_SA_SA_SA_NS7_IS8_SA_EENS7_IlSA_EE,"axG",@progbits,_ZN2at6native12_GLOBAL__N_114gatherKthValueIN3c108BFloat16EiLi3EEEvNS_4cuda6detail10TensorInfoIKT_T0_EESA_SA_SA_SA_NS7_IS8_SA_EENS7_IlSA_EE,comdat
	.globl	_ZN2at6native12_GLOBAL__N_114gatherKthValueIN3c108BFloat16EiLi3EEEvNS_4cuda6detail10TensorInfoIKT_T0_EESA_SA_SA_SA_NS7_IS8_SA_EENS7_IlSA_EE ; -- Begin function _ZN2at6native12_GLOBAL__N_114gatherKthValueIN3c108BFloat16EiLi3EEEvNS_4cuda6detail10TensorInfoIKT_T0_EESA_SA_SA_SA_NS7_IS8_SA_EENS7_IlSA_EE
	.p2align	8
	.type	_ZN2at6native12_GLOBAL__N_114gatherKthValueIN3c108BFloat16EiLi3EEEvNS_4cuda6detail10TensorInfoIKT_T0_EESA_SA_SA_SA_NS7_IS8_SA_EENS7_IlSA_EE,@function
_ZN2at6native12_GLOBAL__N_114gatherKthValueIN3c108BFloat16EiLi3EEEvNS_4cuda6detail10TensorInfoIKT_T0_EESA_SA_SA_SA_NS7_IS8_SA_EENS7_IlSA_EE: ; @_ZN2at6native12_GLOBAL__N_114gatherKthValueIN3c108BFloat16EiLi3EEEvNS_4cuda6detail10TensorInfoIKT_T0_EESA_SA_SA_SA_NS7_IS8_SA_EENS7_IlSA_EE
; %bb.0:
	s_clause 0x1
	s_load_b64 s[8:9], s[0:1], 0x298
	s_load_b128 s[44:47], s[0:1], 0xd8
	s_add_u32 s2, s0, 0x298
	s_addc_u32 s3, s1, 0
	s_waitcnt lgkmcnt(0)
	s_mul_i32 s4, s9, s15
	s_delay_alu instid0(SALU_CYCLE_1) | instskip(NEXT) | instid1(SALU_CYCLE_1)
	s_add_i32 s4, s4, s14
	s_mul_i32 s29, s4, s8
	s_delay_alu instid0(SALU_CYCLE_1) | instskip(NEXT) | instid1(SALU_CYCLE_1)
	s_add_i32 s29, s29, s13
	s_cmp_ge_i32 s29, s46
	s_cbranch_scc1 .LBB66_263
; %bb.1:
	s_clause 0x3
	s_load_b64 s[10:11], s[0:1], 0xc
	s_load_b64 s[30:31], s[0:1], 0xf4
	;; [unrolled: 1-line block ×4, first 2 shown]
	s_abs_i32 s14, s29
	s_mov_b32 s65, 0
	s_waitcnt lgkmcnt(0)
	s_ashr_i32 s4, s11, 31
	s_delay_alu instid0(SALU_CYCLE_1) | instskip(NEXT) | instid1(SALU_CYCLE_1)
	s_add_i32 s5, s11, s4
	s_xor_b32 s5, s5, s4
	s_delay_alu instid0(SALU_CYCLE_1) | instskip(SKIP_1) | instid1(VALU_DEP_1)
	v_cvt_f32_u32_e32 v1, s5
	s_sub_i32 s7, 0, s5
	v_rcp_iflag_f32_e32 v1, v1
	s_waitcnt_depctr 0xfff
	v_mul_f32_e32 v1, 0x4f7ffffe, v1
	s_delay_alu instid0(VALU_DEP_1) | instskip(NEXT) | instid1(VALU_DEP_1)
	v_cvt_u32_f32_e32 v1, v1
	v_readfirstlane_b32 s6, v1
	s_delay_alu instid0(VALU_DEP_1) | instskip(NEXT) | instid1(SALU_CYCLE_1)
	s_mul_i32 s7, s7, s6
	s_mul_hi_u32 s7, s6, s7
	s_delay_alu instid0(SALU_CYCLE_1)
	s_add_i32 s6, s6, s7
	s_ashr_i32 s7, s29, 31
	s_mul_hi_u32 s6, s14, s6
	s_xor_b32 s4, s7, s4
	s_mul_i32 s9, s6, s5
	s_add_i32 s12, s6, 1
	s_sub_i32 s9, s14, s9
	s_delay_alu instid0(SALU_CYCLE_1)
	s_sub_i32 s15, s9, s5
	s_cmp_ge_u32 s9, s5
	s_cselect_b32 s6, s12, s6
	s_cselect_b32 s9, s15, s9
	s_add_i32 s12, s6, 1
	s_cmp_ge_u32 s9, s5
	s_cselect_b32 s5, s12, s6
	s_ashr_i32 s6, s31, 31
	s_abs_i32 s12, s10
	s_add_i32 s9, s31, s6
	v_cvt_f32_u32_e32 v2, s12
	s_xor_b32 s15, s9, s6
	s_xor_b32 s5, s5, s4
	v_cvt_f32_u32_e32 v1, s15
	s_sub_i32 s9, s5, s4
	v_rcp_iflag_f32_e32 v2, v2
	s_xor_b32 s5, s7, s6
	s_sub_i32 s6, 0, s15
	v_rcp_iflag_f32_e32 v1, v1
	s_sub_i32 s19, 0, s12
	s_ashr_i32 s16, s10, 31
	s_ashr_i32 s17, s9, 31
	s_abs_i32 s18, s9
	s_waitcnt_depctr 0xfff
	v_dual_mul_f32 v2, 0x4f7ffffe, v2 :: v_dual_mul_f32 v1, 0x4f7ffffe, v1
	s_delay_alu instid0(VALU_DEP_1) | instskip(NEXT) | instid1(VALU_DEP_2)
	v_cvt_u32_f32_e32 v2, v2
	v_cvt_u32_f32_e32 v1, v1
	s_delay_alu instid0(VALU_DEP_2) | instskip(NEXT) | instid1(VALU_DEP_2)
	v_readfirstlane_b32 s20, v2
	v_readfirstlane_b32 s4, v1
	s_delay_alu instid0(VALU_DEP_2) | instskip(NEXT) | instid1(VALU_DEP_1)
	s_mul_i32 s19, s19, s20
	s_mul_i32 s6, s6, s4
	s_delay_alu instid0(SALU_CYCLE_1) | instskip(NEXT) | instid1(SALU_CYCLE_1)
	s_mul_hi_u32 s6, s4, s6
	s_add_i32 s4, s4, s6
	s_mul_hi_u32 s6, s20, s19
	s_mul_hi_u32 s4, s14, s4
	s_add_i32 s20, s20, s6
	s_mul_i32 s19, s4, s15
	s_delay_alu instid0(SALU_CYCLE_1)
	s_sub_i32 s6, s14, s19
	s_add_i32 s19, s4, 1
	s_sub_i32 s21, s6, s15
	s_cmp_ge_u32 s6, s15
	s_cselect_b32 s4, s19, s4
	s_cselect_b32 s6, s21, s6
	s_add_i32 s19, s4, 1
	s_cmp_ge_u32 s6, s15
	s_cselect_b32 s4, s19, s4
	s_ashr_i32 s6, s35, 31
	s_abs_i32 s54, s30
	s_add_i32 s15, s35, s6
	v_cvt_f32_u32_e32 v2, s54
	s_xor_b32 s15, s15, s6
	s_xor_b32 s22, s7, s6
	v_cvt_f32_u32_e32 v1, s15
	s_sub_i32 s6, 0, s15
	v_rcp_iflag_f32_e32 v2, v2
	s_xor_b32 s4, s4, s5
	s_sub_i32 s21, 0, s54
	v_rcp_iflag_f32_e32 v1, v1
	s_sub_i32 s46, s4, s5
	s_delay_alu instid0(SALU_CYCLE_1) | instskip(SKIP_2) | instid1(VALU_DEP_1)
	s_abs_i32 s55, s46
	s_waitcnt_depctr 0xfff
	v_dual_mul_f32 v2, 0x4f7ffffe, v2 :: v_dual_mul_f32 v1, 0x4f7ffffe, v1
	v_cvt_u32_f32_e32 v2, v2
	s_delay_alu instid0(VALU_DEP_2) | instskip(NEXT) | instid1(VALU_DEP_2)
	v_cvt_u32_f32_e32 v1, v1
	v_readfirstlane_b32 s7, v2
	s_delay_alu instid0(VALU_DEP_2) | instskip(NEXT) | instid1(VALU_DEP_2)
	v_readfirstlane_b32 s19, v1
	s_mul_i32 s21, s21, s7
	s_delay_alu instid0(SALU_CYCLE_1) | instskip(NEXT) | instid1(VALU_DEP_1)
	s_mul_hi_u32 s5, s7, s21
	s_mul_i32 s6, s6, s19
	s_delay_alu instid0(SALU_CYCLE_1) | instskip(NEXT) | instid1(SALU_CYCLE_1)
	s_mul_hi_u32 s4, s19, s6
	s_add_i32 s19, s19, s4
	s_delay_alu instid0(SALU_CYCLE_1)
	s_mul_hi_u32 s4, s14, s19
	s_add_i32 s19, s7, s5
	s_mul_i32 s6, s4, s15
	s_mul_hi_u32 s59, s55, s19
	s_sub_i32 s5, s14, s6
	s_add_i32 s6, s4, 1
	s_sub_i32 s7, s5, s15
	s_cmp_ge_u32 s5, s15
	s_cselect_b32 s4, s6, s4
	s_cselect_b32 s5, s7, s5
	s_add_i32 s6, s4, 1
	s_cmp_ge_u32 s5, s15
	s_clause 0x1
	s_load_b128 s[40:43], s[0:1], 0x154
	s_load_b64 s[14:15], s[0:1], 0x0
	s_cselect_b32 s21, s6, s4
	s_abs_i32 s33, s34
	s_clause 0x2
	s_load_b128 s[36:39], s[0:1], 0x22c
	s_load_b64 s[50:51], s[0:1], 0xe8
	s_load_b128 s[4:7], s[0:1], 0x6c
	v_cvt_f32_u32_e32 v1, s33
	s_mul_hi_u32 s1, s18, s20
	s_sub_i32 s20, 0, s33
	s_xor_b32 s0, s21, s22
	s_delay_alu instid0(VALU_DEP_1)
	v_rcp_iflag_f32_e32 v1, v1
	s_waitcnt lgkmcnt(0)
	s_sub_i32 s39, s0, s22
	v_cmp_eq_u32_e64 s0, 0, v0
	s_abs_i32 s56, s39
	s_waitcnt_depctr 0xfff
	v_mul_f32_e32 v1, 0x4f7ffffe, v1
	s_delay_alu instid0(VALU_DEP_1) | instskip(NEXT) | instid1(VALU_DEP_1)
	v_cvt_u32_f32_e32 v1, v1
	v_readfirstlane_b32 s7, v1
	s_delay_alu instid0(VALU_DEP_1) | instskip(NEXT) | instid1(SALU_CYCLE_1)
	s_mul_i32 s20, s20, s7
	s_mul_hi_u32 s20, s7, s20
	s_delay_alu instid0(SALU_CYCLE_1) | instskip(NEXT) | instid1(SALU_CYCLE_1)
	s_add_i32 s7, s7, s20
	s_mul_hi_u32 s43, s56, s7
	s_and_saveexec_b32 s7, s0
	s_cbranch_execz .LBB66_3
; %bb.2:
	v_dual_mov_b32 v1, 0 :: v_dual_mov_b32 v2, s44
	s_delay_alu instid0(VALU_DEP_1)
	v_mov_b32_e32 v3, v1
	ds_store_b96 v1, v[1:3] offset:4096
.LBB66_3:
	s_or_b32 exec_lo, exec_lo, s7
	s_mul_i32 s7, s9, s11
	s_mul_i32 s11, s1, s12
	s_ashr_i32 s60, s46, 31
	s_sub_i32 s11, s18, s11
	s_ashr_i32 s61, s30, 31
	s_ashr_i32 s57, s39, 31
	;; [unrolled: 1-line block ×3, first 2 shown]
	s_sub_i32 s7, s29, s7
	s_xor_b32 s16, s17, s16
	s_add_i32 s17, s1, 1
	s_sub_i32 s18, s11, s12
	s_cmp_ge_u32 s11, s12
	s_waitcnt lgkmcnt(0)
	s_cselect_b32 s1, s17, s1
	s_cselect_b32 s11, s18, s11
	s_add_i32 s17, s1, 1
	s_cmp_ge_u32 s11, s12
	s_barrier
	s_cselect_b32 s1, s17, s1
	buffer_gl0_inv
	s_load_b32 s11, s[2:3], 0xc
	s_xor_b32 s1, s1, s16
	s_mul_i32 s7, s7, s6
	s_sub_i32 s1, s1, s16
	v_mbcnt_lo_u32_b32 v15, -1, 0
	s_mul_i32 s10, s1, s10
	s_mul_i32 s1, s1, s4
	s_sub_i32 s9, s9, s10
	v_cmp_gt_u32_e32 vcc_lo, 32, v0
	s_mul_i32 s5, s9, s5
	v_dual_mov_b32 v28, 0x8000 :: v_dual_lshlrev_b32 v17, 1, v0
	s_add_i32 s5, s5, s7
	v_mov_b32_e32 v7, 0
	s_add_i32 s4, s5, s1
	s_delay_alu instid0(VALU_DEP_2)
	v_add_nc_u32_e32 v18, 0xc00, v17
	s_ashr_i32 s5, s4, 31
	v_cmp_gt_i32_e64 s1, 4, v15
	s_lshl_b64 s[4:5], s[4:5], 1
	v_mul_lo_u32 v5, v0, s47
	s_add_u32 s62, s14, s4
	s_addc_u32 s63, s15, s5
	s_waitcnt lgkmcnt(0)
	s_and_b32 s64, s11, 0xffff
	s_bfe_u32 s4, s11, 0xb0005
	s_lshl_b32 s66, s64, 2
	s_add_i32 s68, s64, -1
	v_cvt_f32_u32_e32 v1, s66
	s_and_b32 s69, vcc_lo, s1
	s_add_i32 s79, s68, s44
	s_cmpk_gt_i32 s44, 0x600
	s_mov_b32 s10, s47
	v_rcp_iflag_f32_e32 v1, v1
	s_cselect_b32 s70, -1, 0
	s_cmp_gt_u32 s64, 31
	v_lshlrev_b32_e32 v16, 2, v0
	s_cselect_b32 s71, -1, 0
	s_cmp_lt_u32 s13, s8
	v_lshlrev_b32_e32 v24, 2, v5
	s_cselect_b32 s1, 12, 18
	v_mad_u64_u32 v[12:13], null, s47, v16, s[10:11]
	s_waitcnt_depctr 0xfff
	v_mul_f32_e32 v1, 0x4f7ffffe, v1
	s_add_u32 s52, s2, s1
	s_addc_u32 s53, s3, 0
	s_add_i32 s1, s4, -1
	s_bfe_u32 s72, s64, 0x30005
	v_cvt_u32_f32_e32 v1, v1
	s_cmp_gt_u32 s1, 6
	v_cmp_eq_u32_e64 s1, 0, v15
	s_cselect_b32 s73, -1, 0
	s_and_b32 s74, s4, 0x7f8
	v_readfirstlane_b32 s2, v1
	s_cmp_lg_u32 s72, 0
	v_cvt_f32_u32_e32 v1, s64
	s_cselect_b32 s75, -1, 0
	s_sub_i32 s3, 0, s66
	v_lshlrev_b32_e32 v26, 3, v0
	s_mul_i32 s3, s3, s2
	v_rcp_iflag_f32_e32 v3, v1
	s_mul_hi_u32 s3, s2, s3
	v_mov_b32_e32 v6, v7
	s_add_i32 s76, s2, s3
	v_cmp_gt_u32_e64 s2, 2, v0
	s_mul_hi_u32 s3, s44, s76
	v_lshl_or_b32 v27, v15, 2, 0xc00
	s_mul_i32 s3, s3, s66
	s_mul_i32 s67, s47, s64
	s_sub_i32 s3, s44, s3
	s_waitcnt_depctr 0xfff
	v_mul_f32_e32 v3, 0x4f7ffffe, v3
	s_sub_i32 s4, s3, s66
	s_cmp_ge_u32 s3, s66
	v_lshlrev_b64 v[1:2], 1, v[5:6]
	s_cselect_b32 s4, s4, s3
	v_cmp_gt_u32_e64 s3, s44, v0
	s_sub_i32 s5, s4, s66
	s_cmp_ge_u32 s4, s66
	v_mov_b32_e32 v29, 0
	s_cselect_b32 s9, s5, s4
	v_add_co_u32 v8, vcc_lo, s62, v1
	s_sub_i32 s77, s44, s9
	v_cvt_u32_f32_e32 v1, v3
	v_add_nc_u32_e32 v19, s77, v0
	s_sub_i32 s6, 0, s64
	v_add_co_ci_u32_e32 v9, vcc_lo, s63, v2, vcc_lo
	s_delay_alu instid0(VALU_DEP_3) | instskip(NEXT) | instid1(VALU_DEP_3)
	v_readfirstlane_b32 s5, v1
	v_mul_lo_u32 v1, v19, s47
	v_lshrrev_b32_e32 v2, 3, v0
	s_abs_i32 s7, s79
	v_lshlrev_b64 v[3:4], v15, -1
	s_mul_i32 s6, s6, s5
	v_cmp_gt_i32_e64 s4, s44, v0
	s_mul_hi_u32 s6, s5, s6
	v_and_b32_e32 v20, 0x7c, v2
	s_add_i32 s78, s5, s6
	v_ashrrev_i32_e32 v2, 31, v1
	s_mul_hi_u32 s5, s7, s78
	v_not_b32_e32 v21, v3
	s_mul_i32 s5, s5, s64
	v_or_b32_e32 v3, 3, v16
	v_lshlrev_b64 v[1:2], 1, v[1:2]
	s_sub_i32 s5, s7, s5
	s_ashr_i32 s7, s79, 31
	s_sub_i32 s6, s5, s64
	s_cmp_ge_u32 s5, s64
	v_mul_lo_u32 v23, s47, v3
	s_cselect_b32 s5, s6, s5
	v_add_co_u32 v10, vcc_lo, s62, v1
	v_add3_u32 v1, s64, s44, v0
	s_sub_i32 s6, s5, s64
	s_cmp_ge_u32 s5, s64
	v_add_co_ci_u32_e32 v11, vcc_lo, s63, v2, vcc_lo
	s_cselect_b32 s6, s6, s5
	v_or_b32_e32 v2, 2, v16
	v_subrev_nc_u32_e32 v1, s9, v1
	s_xor_b32 s8, s6, s7
	v_cmp_gt_i32_e64 s5, s77, v16
	s_sub_i32 s7, s7, s8
	v_mul_lo_u32 v22, s47, v2
	v_mul_lo_u32 v25, s47, v1
	s_add_i32 s79, s79, s7
	v_cmp_gt_u32_e64 s6, s44, v19
	v_cmp_gt_i32_e64 s7, s44, v19
	v_cmp_gt_i32_e64 s8, s79, v0
	s_lshl_b32 s80, s67, 2
	s_lshl_b32 s81, s64, 3
	;; [unrolled: 1-line block ×3, first 2 shown]
	s_mov_b32 s87, 14
	s_movk_i32 s83, 0x3f80
	s_mov_b32 s90, 0
	s_mov_b32 s92, 0
	;; [unrolled: 1-line block ×3, first 2 shown]
                                        ; implicit-def: $sgpr84
                                        ; implicit-def: $sgpr86
                                        ; implicit-def: $sgpr85
                                        ; implicit-def: $sgpr89
                                        ; implicit-def: $sgpr91
                                        ; implicit-def: $sgpr88
	s_branch .LBB66_8
.LBB66_4:                               ;   in Loop: Header=BB66_8 Depth=1
	s_xor_b32 s90, s90, 1
	s_add_i32 s13, s87, -2
	s_cmp_eq_u32 s87, 0
	s_mov_b32 s9, 0
	s_cselect_b32 s11, -1, 0
	s_mov_b32 s87, s13
.LBB66_5:                               ;   in Loop: Header=BB66_8 Depth=1
	s_and_not1_b32 s13, s15, exec_lo
	s_and_b32 s9, s9, exec_lo
	s_and_not1_b32 s19, s19, exec_lo
	s_or_b32 s15, s13, s9
	s_and_not1_b32 s14, s14, exec_lo
	s_or_not1_b32 s13, s11, exec_lo
	s_mov_b32 s45, s22
.LBB66_6:                               ;   in Loop: Header=BB66_8 Depth=1
	s_or_b32 exec_lo, exec_lo, s10
	s_delay_alu instid0(SALU_CYCLE_1)
	s_and_not1_b32 s9, s88, exec_lo
	s_and_b32 s10, s15, exec_lo
	s_and_not1_b32 s11, s89, exec_lo
	s_or_b32 s88, s9, s10
	s_and_not1_b32 s9, s91, exec_lo
	s_and_b32 s10, s19, exec_lo
	s_and_b32 s14, s14, exec_lo
	s_or_b32 s91, s9, s10
	s_or_b32 s89, s11, s14
	s_or_not1_b32 s14, s13, exec_lo
.LBB66_7:                               ;   in Loop: Header=BB66_8 Depth=1
	s_or_b32 exec_lo, exec_lo, s12
	s_delay_alu instid0(SALU_CYCLE_1)
	s_and_b32 s9, exec_lo, s14
	v_mov_b32_e32 v1, s92
	s_or_b32 s65, s9, s65
	s_and_not1_b32 s9, s85, exec_lo
	s_and_b32 s10, s88, exec_lo
	s_and_not1_b32 s11, s84, exec_lo
	s_or_b32 s85, s9, s10
	s_and_not1_b32 s9, s86, exec_lo
	s_and_b32 s10, s91, exec_lo
	s_and_b32 s12, s89, exec_lo
	s_or_b32 s86, s9, s10
	s_or_b32 s84, s11, s12
	s_and_not1_b32 exec_lo, exec_lo, s65
	s_cbranch_execz .LBB66_239
.LBB66_8:                               ; =>This Loop Header: Depth=1
                                        ;     Child Loop BB66_13 Depth 2
                                        ;     Child Loop BB66_32 Depth 2
	;; [unrolled: 1-line block ×16, first 2 shown]
	ds_load_b64 v[1:2], v7 offset:4096
	s_waitcnt lgkmcnt(0)
	v_readfirstlane_b32 s94, v1
	s_delay_alu instid0(VALU_DEP_1)
	s_cmp_gt_i32 s94, 0
	s_cbranch_scc1 .LBB66_39
; %bb.9:                                ;   in Loop: Header=BB66_8 Depth=1
	s_and_b32 vcc_lo, exec_lo, s70
	s_cbranch_vccz .LBB66_21
; %bb.10:                               ;   in Loop: Header=BB66_8 Depth=1
	v_cmp_gt_i32_e32 vcc_lo, 0x601, v2
	s_mov_b32 s10, 0
	s_mov_b32 s9, 0
	s_cbranch_vccz .LBB66_26
; %bb.11:                               ;   in Loop: Header=BB66_8 Depth=1
	global_load_u16 v1, v7, s[52:53]
	global_load_u16 v4, v[8:9], off
	v_mov_b32_e32 v3, v0
	s_mov_b32 s11, 0
	s_waitcnt vmcnt(1)
	v_add_nc_u32_e32 v2, v0, v1
	s_delay_alu instid0(VALU_DEP_1)
	v_mul_lo_u32 v6, s47, v2
	v_mul_lo_u32 v2, s47, v1
	s_branch .LBB66_13
.LBB66_12:                              ;   in Loop: Header=BB66_13 Depth=2
	s_or_b32 exec_lo, exec_lo, s9
	v_cmp_le_i32_e32 vcc_lo, s44, v3
	v_add_nc_u32_e32 v6, v6, v2
	v_mov_b32_e32 v4, v13
	s_or_b32 s11, vcc_lo, s11
	s_delay_alu instid0(SALU_CYCLE_1)
	s_and_not1_b32 exec_lo, exec_lo, s11
	s_cbranch_execz .LBB66_22
.LBB66_13:                              ;   Parent Loop BB66_8 Depth=1
                                        ; =>  This Inner Loop Header: Depth=2
	s_waitcnt lgkmcnt(0)
	v_dual_mov_b32 v14, 0 :: v_dual_add_nc_u32 v3, v3, v1
	v_mov_b32_e32 v13, 0
	s_mov_b32 s9, exec_lo
	s_delay_alu instid0(VALU_DEP_2)
	v_cmpx_gt_u32_e64 s44, v3
	s_cbranch_execz .LBB66_15
; %bb.14:                               ;   in Loop: Header=BB66_13 Depth=2
	v_lshlrev_b64 v[30:31], 1, v[6:7]
	s_delay_alu instid0(VALU_DEP_1) | instskip(NEXT) | instid1(VALU_DEP_2)
	v_add_co_u32 v30, vcc_lo, s62, v30
	v_add_co_ci_u32_e32 v31, vcc_lo, s63, v31, vcc_lo
	global_load_u16 v13, v[30:31], off
.LBB66_15:                              ;   in Loop: Header=BB66_13 Depth=2
	s_or_b32 exec_lo, exec_lo, s9
	s_waitcnt vmcnt(0)
	v_cmp_lt_i16_e32 vcc_lo, -1, v4
	v_and_b32_e32 v30, 0xffff, v4
	v_lshlrev_b32_e32 v32, 16, v4
	v_cndmask_b32_e32 v31, 0xffff, v28, vcc_lo
	s_delay_alu instid0(VALU_DEP_2) | instskip(NEXT) | instid1(VALU_DEP_2)
	v_cmp_o_f32_e32 vcc_lo, v32, v32
	v_xor_b32_e32 v30, v31, v30
	s_delay_alu instid0(VALU_DEP_1) | instskip(NEXT) | instid1(VALU_DEP_1)
	v_cndmask_b32_e32 v30, 0xffff, v30, vcc_lo
	v_and_b32_e32 v30, s93, v30
	s_delay_alu instid0(VALU_DEP_1) | instskip(SKIP_2) | instid1(SALU_CYCLE_1)
	v_cmp_eq_u32_e32 vcc_lo, s92, v30
	s_cmp_lg_u32 vcc_lo, 0
	s_cselect_b32 s9, -1, 0
	s_and_b32 s9, s1, s9
	s_delay_alu instid0(SALU_CYCLE_1)
	s_and_saveexec_b32 s12, s9
	s_cbranch_execz .LBB66_19
; %bb.16:                               ;   in Loop: Header=BB66_13 Depth=2
	s_mov_b32 s15, exec_lo
	s_bcnt1_i32_b32 s13, vcc_lo
	v_mbcnt_lo_u32_b32 v14, s15, 0
	s_mov_b32 s14, exec_lo
                                        ; implicit-def: $vgpr30
	s_delay_alu instid0(VALU_DEP_1)
	v_cmpx_eq_u32_e32 0, v14
	s_cbranch_execz .LBB66_18
; %bb.17:                               ;   in Loop: Header=BB66_13 Depth=2
	s_bcnt1_i32_b32 s9, s15
	s_delay_alu instid0(SALU_CYCLE_1) | instskip(NEXT) | instid1(SALU_CYCLE_1)
	s_mul_i32 s9, s13, s9
	v_mov_b32_e32 v30, s9
	ds_add_rtn_u32 v30, v7, v30 offset:4104
.LBB66_18:                              ;   in Loop: Header=BB66_13 Depth=2
	s_or_b32 exec_lo, exec_lo, s14
	s_waitcnt lgkmcnt(0)
	v_readfirstlane_b32 s9, v30
	s_delay_alu instid0(VALU_DEP_1)
	v_mad_u32_u24 v14, s13, v14, s9
.LBB66_19:                              ;   in Loop: Header=BB66_13 Depth=2
	s_or_b32 exec_lo, exec_lo, s12
	ds_bpermute_b32 v14, v7, v14
	s_and_saveexec_b32 s9, vcc_lo
	s_cbranch_execz .LBB66_12
; %bb.20:                               ;   in Loop: Header=BB66_13 Depth=2
	v_and_b32_e32 v30, vcc_lo, v21
	s_delay_alu instid0(VALU_DEP_1) | instskip(NEXT) | instid1(VALU_DEP_1)
	v_bcnt_u32_b32 v30, v30, 0
	v_lshlrev_b32_e32 v30, 1, v30
	s_waitcnt lgkmcnt(0)
	s_delay_alu instid0(VALU_DEP_1)
	v_lshl_add_u32 v14, v14, 1, v30
	ds_store_b16 v14, v4
	s_branch .LBB66_12
.LBB66_21:                              ;   in Loop: Header=BB66_8 Depth=1
	s_mov_b32 s10, -1
	s_mov_b32 s9, 0
	s_branch .LBB66_25
.LBB66_22:                              ;   in Loop: Header=BB66_8 Depth=1
	s_or_b32 exec_lo, exec_lo, s11
	s_waitcnt lgkmcnt(0)
	s_barrier
	buffer_gl0_inv
	s_and_saveexec_b32 s9, s0
	s_cbranch_execz .LBB66_24
; %bb.23:                               ;   in Loop: Header=BB66_8 Depth=1
	ds_load_b32 v1, v7 offset:4104
	s_waitcnt lgkmcnt(0)
	ds_store_b32 v7, v1 offset:4096
.LBB66_24:                              ;   in Loop: Header=BB66_8 Depth=1
	s_or_b32 exec_lo, exec_lo, s9
	s_waitcnt lgkmcnt(0)
	s_mov_b32 s9, -1
	s_barrier
.LBB66_25:                              ;   in Loop: Header=BB66_8 Depth=1
                                        ; implicit-def: $sgpr94
.LBB66_26:                              ;   in Loop: Header=BB66_8 Depth=1
	s_and_b32 vcc_lo, exec_lo, s10
	s_cbranch_vccz .LBB66_37
; %bb.27:                               ;   in Loop: Header=BB66_8 Depth=1
	v_mov_b32_e32 v1, 0
	s_and_saveexec_b32 s9, s3
	s_cbranch_execz .LBB66_29
; %bb.28:                               ;   in Loop: Header=BB66_8 Depth=1
	global_load_u16 v1, v[8:9], off
.LBB66_29:                              ;   in Loop: Header=BB66_8 Depth=1
	s_or_b32 exec_lo, exec_lo, s9
	s_and_saveexec_b32 s9, s4
	s_cbranch_execz .LBB66_34
; %bb.30:                               ;   in Loop: Header=BB66_8 Depth=1
	global_load_u16 v2, v7, s[52:53]
	v_mov_b32_e32 v14, v0
	s_mov_b32 s10, 0
	v_mov_b32_e32 v13, v17
	s_waitcnt vmcnt(0)
	v_add_nc_u32_e32 v3, v0, v2
	v_lshlrev_b32_e32 v4, 1, v2
	s_delay_alu instid0(VALU_DEP_2)
	v_mul_lo_u32 v6, s47, v3
	v_mul_lo_u32 v3, s47, v2
	s_branch .LBB66_32
	.p2align	6
.LBB66_31:                              ;   in Loop: Header=BB66_32 Depth=2
	s_or_b32 exec_lo, exec_lo, s11
	v_cmp_le_i32_e32 vcc_lo, s44, v14
	ds_store_b16 v13, v1
	v_add_nc_u32_e32 v13, v13, v4
	v_add_nc_u32_e32 v6, v6, v3
	s_waitcnt vmcnt(0)
	v_mov_b32_e32 v1, v30
	s_or_b32 s10, vcc_lo, s10
	s_delay_alu instid0(SALU_CYCLE_1)
	s_and_not1_b32 exec_lo, exec_lo, s10
	s_cbranch_execz .LBB66_34
.LBB66_32:                              ;   Parent Loop BB66_8 Depth=1
                                        ; =>  This Inner Loop Header: Depth=2
	v_add_nc_u32_e32 v14, v14, v2
	v_mov_b32_e32 v30, 0
	s_mov_b32 s11, exec_lo
	s_delay_alu instid0(VALU_DEP_2)
	v_cmpx_gt_u32_e64 s44, v14
	s_cbranch_execz .LBB66_31
; %bb.33:                               ;   in Loop: Header=BB66_32 Depth=2
	v_lshlrev_b64 v[30:31], 1, v[6:7]
	s_delay_alu instid0(VALU_DEP_1) | instskip(NEXT) | instid1(VALU_DEP_2)
	v_add_co_u32 v30, vcc_lo, s62, v30
	v_add_co_ci_u32_e32 v31, vcc_lo, s63, v31, vcc_lo
	global_load_u16 v30, v[30:31], off
	s_branch .LBB66_31
.LBB66_34:                              ;   in Loop: Header=BB66_8 Depth=1
	s_or_b32 exec_lo, exec_lo, s9
	s_waitcnt vmcnt(0) lgkmcnt(0)
	s_barrier
	buffer_gl0_inv
	s_and_saveexec_b32 s9, s0
	s_cbranch_execz .LBB66_36
; %bb.35:                               ;   in Loop: Header=BB66_8 Depth=1
	v_mov_b32_e32 v1, s44
	ds_store_b32 v7, v1 offset:4096
.LBB66_36:                              ;   in Loop: Header=BB66_8 Depth=1
	s_or_b32 exec_lo, exec_lo, s9
	s_mov_b32 s9, -1
	s_waitcnt lgkmcnt(0)
	s_barrier
                                        ; implicit-def: $sgpr94
.LBB66_37:                              ;   in Loop: Header=BB66_8 Depth=1
	s_and_b32 vcc_lo, exec_lo, s9
	s_cbranch_vccz .LBB66_39
; %bb.38:                               ;   in Loop: Header=BB66_8 Depth=1
	buffer_gl0_inv
	ds_load_b32 v1, v7 offset:4096
	s_waitcnt lgkmcnt(0)
	v_readfirstlane_b32 s94, v1
.LBB66_39:                              ;   in Loop: Header=BB66_8 Depth=1
	s_delay_alu instid0(VALU_DEP_1)
	s_cmp_lt_i32 s94, 1
	s_cbranch_scc0 .LBB66_43
; %bb.40:                               ;   in Loop: Header=BB66_8 Depth=1
	v_dual_mov_b32 v1, 0 :: v_dual_mov_b32 v2, 0
	v_dual_mov_b32 v3, 0 :: v_dual_mov_b32 v4, 0
	s_mov_b32 s96, 0
	s_and_saveexec_b32 s95, s5
	s_cbranch_execnz .LBB66_44
; %bb.41:                               ;   in Loop: Header=BB66_8 Depth=1
	s_or_b32 exec_lo, exec_lo, s95
	v_mov_b32_e32 v30, 0
	s_and_saveexec_b32 s9, s6
	s_cbranch_execnz .LBB66_47
.LBB66_42:                              ;   in Loop: Header=BB66_8 Depth=1
	s_or_b32 exec_lo, exec_lo, s9
	s_and_saveexec_b32 s13, s7
	s_cbranch_execnz .LBB66_48
	s_branch .LBB66_53
.LBB66_43:                              ;   in Loop: Header=BB66_8 Depth=1
                                        ; implicit-def: $vgpr4
	s_cbranch_execnz .LBB66_54
	s_branch .LBB66_63
.LBB66_44:                              ;   in Loop: Header=BB66_8 Depth=1
	v_mov_b32_e32 v6, v16
	s_and_b32 s97, s87, 0xfe
	s_mov_b32 s98, 0
	s_mov_b32 s99, 0
	;; [unrolled: 1-line block ×5, first 2 shown]
.LBB66_45:                              ;   Parent Loop BB66_8 Depth=1
                                        ; =>  This Inner Loop Header: Depth=2
	v_add_nc_u32_e32 v1, s98, v24
	v_add_nc_u32_e32 v3, s98, v12
	;; [unrolled: 1-line block ×4, first 2 shown]
	s_add_i32 s98, s98, s80
	v_ashrrev_i32_e32 v2, 31, v1
	v_ashrrev_i32_e32 v4, 31, v3
	;; [unrolled: 1-line block ×4, first 2 shown]
	s_delay_alu instid0(VALU_DEP_4) | instskip(NEXT) | instid1(VALU_DEP_4)
	v_lshlrev_b64 v[1:2], 1, v[1:2]
	v_lshlrev_b64 v[3:4], 1, v[3:4]
	s_delay_alu instid0(VALU_DEP_4) | instskip(NEXT) | instid1(VALU_DEP_4)
	v_lshlrev_b64 v[13:14], 1, v[13:14]
	v_lshlrev_b64 v[30:31], 1, v[30:31]
	s_delay_alu instid0(VALU_DEP_4)
	v_add_co_u32 v1, vcc_lo, s62, v1
	v_add_co_ci_u32_e32 v2, vcc_lo, s63, v2, vcc_lo
	v_add_co_u32 v3, vcc_lo, s62, v3
	v_add_co_ci_u32_e32 v4, vcc_lo, s63, v4, vcc_lo
	;; [unrolled: 2-line block ×4, first 2 shown]
	s_clause 0x3
	global_load_u16 v1, v[1:2], off
	global_load_u16 v2, v[3:4], off
	;; [unrolled: 1-line block ×4, first 2 shown]
	s_waitcnt vmcnt(3)
	v_cmp_lt_i16_e64 s9, -1, v1
	v_and_b32_e32 v13, 0xffff, v1
	v_lshlrev_b32_e32 v1, 16, v1
	s_waitcnt vmcnt(2)
	v_and_b32_e32 v30, 0xffff, v2
	s_waitcnt vmcnt(1)
	v_and_b32_e32 v32, 0xffff, v3
	v_cndmask_b32_e64 v14, 0xffff, v28, s9
	v_cmp_lt_i16_e64 s9, -1, v2
	v_lshlrev_b32_e32 v2, 16, v2
	v_cmp_o_f32_e64 s12, v1, v1
	s_waitcnt vmcnt(0)
	v_and_b32_e32 v34, 0xffff, v4
	v_xor_b32_e32 v13, v14, v13
	v_cndmask_b32_e64 v31, 0xffff, v28, s9
	v_cmp_lt_i16_e64 s9, -1, v3
	v_lshlrev_b32_e32 v3, 16, v3
	s_delay_alu instid0(VALU_DEP_4) | instskip(NEXT) | instid1(VALU_DEP_4)
	v_cndmask_b32_e64 v1, 0xffff, v13, s12
	v_xor_b32_e32 v14, v31, v30
	s_delay_alu instid0(VALU_DEP_4)
	v_cndmask_b32_e64 v33, 0xffff, v28, s9
	v_cmp_lt_i16_e64 s9, -1, v4
	v_lshlrev_b32_e32 v4, 16, v4
	v_cmp_o_f32_e64 s10, v3, v3
	v_and_b32_e32 v13, s93, v1
	v_bfe_u32 v1, v1, s97, 2
	v_cndmask_b32_e64 v35, 0xffff, v28, s9
	v_cmp_o_f32_e64 s9, v2, v2
	v_xor_b32_e32 v2, v33, v32
	v_cmp_o_f32_e64 s11, v4, v4
	v_cmp_eq_u32_e64 s13, 0, v1
	v_xor_b32_e32 v3, v35, v34
	v_cndmask_b32_e64 v4, 0xffff, v14, s9
	v_cndmask_b32_e64 v2, 0xffff, v2, s10
	v_cmp_eq_u32_e64 s9, s92, v13
	v_cmp_eq_u32_e64 s17, 1, v1
	v_cndmask_b32_e64 v3, 0xffff, v3, s11
	v_and_b32_e32 v14, s93, v4
	v_bfe_u32 v4, v4, s97, 2
	v_and_b32_e32 v30, s93, v2
	v_bfe_u32 v2, v2, s97, 2
	;; [unrolled: 2-line block ×3, first 2 shown]
	v_cmp_eq_u32_e64 s10, s92, v14
	v_cmp_eq_u32_e64 s14, 0, v4
	;; [unrolled: 1-line block ×4, first 2 shown]
	s_and_b32 s13, s9, s13
	v_cmp_eq_u32_e64 s12, s92, v31
	v_cmp_eq_u32_e64 s16, 0, v3
	v_cmp_eq_u32_e64 s21, 2, v1
	v_cmp_eq_u32_e64 s25, 3, v1
	v_cndmask_b32_e64 v1, 0, 1, s13
	s_and_b32 s13, s10, s14
	v_cmp_eq_u32_e64 s19, 1, v2
	v_cmp_eq_u32_e64 s23, 2, v2
	;; [unrolled: 1-line block ×3, first 2 shown]
	v_cndmask_b32_e64 v2, 0, 1, s13
	s_and_b32 s13, s11, s15
	v_cmp_eq_u32_e64 s18, 1, v4
	v_cmp_eq_u32_e64 s20, 1, v3
	v_cmp_eq_u32_e64 s24, 2, v3
	v_cmp_eq_u32_e64 s28, 3, v3
	v_cndmask_b32_e64 v3, 0, 1, s13
	s_and_b32 s13, s12, s16
	v_cmp_eq_u32_e64 s22, 2, v4
	v_cmp_eq_u32_e64 s26, 3, v4
	v_cndmask_b32_e64 v4, 0, 1, s13
	s_and_b32 s13, s9, s17
	s_delay_alu instid0(SALU_CYCLE_1) | instskip(SKIP_1) | instid1(SALU_CYCLE_1)
	v_cndmask_b32_e64 v13, 0, 1, s13
	s_and_b32 s13, s10, s18
	v_cndmask_b32_e64 v14, 0, 1, s13
	s_and_b32 s13, s11, s19
	s_delay_alu instid0(SALU_CYCLE_1) | instskip(SKIP_1) | instid1(VALU_DEP_2)
	v_cndmask_b32_e64 v30, 0, 1, s13
	s_and_b32 s13, s12, s20
	v_cmp_ne_u32_e64 s14, 0, v14
	v_cndmask_b32_e64 v31, 0, 1, s13
	s_and_b32 s13, s9, s21
	s_and_b32 s9, s9, s25
	v_cndmask_b32_e64 v32, 0, 1, s13
	s_and_b32 s13, s10, s22
	v_cndmask_b32_e64 v36, 0, 1, s9
	;; [unrolled: 2-line block ×7, first 2 shown]
	v_cndmask_b32_e64 v39, 0, 1, s9
	v_cmp_ne_u32_e64 s9, 0, v1
	v_cmp_ne_u32_e64 s13, 0, v13
	;; [unrolled: 1-line block ×8, first 2 shown]
	s_bcnt1_i32_b32 s9, s9
	s_bcnt1_i32_b32 s13, s13
	;; [unrolled: 1-line block ×3, first 2 shown]
	v_cmp_ne_u32_e64 s20, 0, v35
	v_cmp_ne_u32_e64 s22, 0, v37
	s_bcnt1_i32_b32 s10, s10
	s_bcnt1_i32_b32 s14, s14
	;; [unrolled: 1-line block ×3, first 2 shown]
	s_add_i32 s9, s9, s102
	s_add_i32 s13, s13, s101
	;; [unrolled: 1-line block ×3, first 2 shown]
	v_cmp_ne_u32_e64 s15, 0, v30
	v_cmp_ne_u32_e64 s23, 0, v38
	s_bcnt1_i32_b32 s11, s11
	s_bcnt1_i32_b32 s19, s19
	s_add_i32 s9, s9, s10
	s_add_i32 s10, s13, s14
	;; [unrolled: 1-line block ×3, first 2 shown]
	s_bcnt1_i32_b32 s21, s21
	v_cmp_ne_u32_e64 s12, 0, v4
	v_cmp_ne_u32_e64 s16, 0, v31
	;; [unrolled: 1-line block ×3, first 2 shown]
	s_bcnt1_i32_b32 s20, s20
	s_add_i32 s9, s9, s11
	s_add_i32 s11, s13, s19
	s_bcnt1_i32_b32 s22, s22
	s_add_i32 s21, s21, s99
	s_add_i32 s100, s11, s20
	s_delay_alu instid0(SALU_CYCLE_1)
	v_dual_mov_b32 v3, s100 :: v_dual_add_nc_u32 v6, s66, v6
	s_bcnt1_i32_b32 s15, s15
	s_bcnt1_i32_b32 s23, s23
	s_add_i32 s14, s21, s22
	s_bcnt1_i32_b32 s12, s12
	s_bcnt1_i32_b32 s16, s16
	;; [unrolled: 1-line block ×3, first 2 shown]
	s_add_i32 s10, s10, s15
	s_add_i32 s13, s14, s23
	v_cmp_le_i32_e32 vcc_lo, s77, v6
	s_add_i32 s102, s9, s12
	s_add_i32 s101, s10, s16
	;; [unrolled: 1-line block ×3, first 2 shown]
	v_dual_mov_b32 v1, s102 :: v_dual_mov_b32 v2, s101
	v_mov_b32_e32 v4, s99
	s_or_b32 s96, vcc_lo, s96
	s_delay_alu instid0(SALU_CYCLE_1)
	s_and_not1_b32 exec_lo, exec_lo, s96
	s_cbranch_execnz .LBB66_45
; %bb.46:                               ;   in Loop: Header=BB66_8 Depth=1
	s_or_b32 exec_lo, exec_lo, s96
	s_delay_alu instid0(SALU_CYCLE_1)
	s_or_b32 exec_lo, exec_lo, s95
	v_mov_b32_e32 v30, 0
	s_and_saveexec_b32 s9, s6
	s_cbranch_execz .LBB66_42
.LBB66_47:                              ;   in Loop: Header=BB66_8 Depth=1
	global_load_u16 v30, v[10:11], off
	s_or_b32 exec_lo, exec_lo, s9
	s_and_saveexec_b32 s13, s7
	s_cbranch_execz .LBB66_53
.LBB66_48:                              ;   in Loop: Header=BB66_8 Depth=1
	v_dual_mov_b32 v13, v25 :: v_dual_mov_b32 v6, v19
	s_and_b32 s15, s87, 0xfe
	s_mov_b32 s14, 0
	s_branch .LBB66_50
.LBB66_49:                              ;   in Loop: Header=BB66_50 Depth=2
	s_or_b32 exec_lo, exec_lo, s9
	s_waitcnt vmcnt(0)
	v_cmp_lt_i16_e32 vcc_lo, -1, v30
	v_and_b32_e32 v31, 0xffff, v30
	v_lshlrev_b32_e32 v30, 16, v30
	v_add_nc_u32_e32 v13, s67, v13
	v_cndmask_b32_e32 v32, 0xffff, v28, vcc_lo
	s_delay_alu instid0(VALU_DEP_3) | instskip(NEXT) | instid1(VALU_DEP_2)
	v_cmp_o_f32_e32 vcc_lo, v30, v30
	v_xor_b32_e32 v31, v32, v31
	s_delay_alu instid0(VALU_DEP_1) | instskip(NEXT) | instid1(VALU_DEP_1)
	v_cndmask_b32_e32 v30, 0xffff, v31, vcc_lo
	v_and_b32_e32 v31, s93, v30
	v_bfe_u32 v30, v30, s15, 2
	s_delay_alu instid0(VALU_DEP_2) | instskip(NEXT) | instid1(VALU_DEP_2)
	v_cmp_eq_u32_e32 vcc_lo, s92, v31
	v_cmp_eq_u32_e64 s9, 0, v30
	v_cmp_eq_u32_e64 s10, 1, v30
	;; [unrolled: 1-line block ×4, first 2 shown]
	s_delay_alu instid0(VALU_DEP_4) | instskip(NEXT) | instid1(SALU_CYCLE_1)
	s_and_b32 s9, vcc_lo, s9
	v_cndmask_b32_e64 v30, 0, 1, s9
	s_and_b32 s9, vcc_lo, s10
	s_delay_alu instid0(SALU_CYCLE_1) | instskip(SKIP_1) | instid1(SALU_CYCLE_1)
	v_cndmask_b32_e64 v31, 0, 1, s9
	s_and_b32 s9, vcc_lo, s11
	v_cndmask_b32_e64 v32, 0, 1, s9
	s_and_b32 s9, vcc_lo, s12
	v_cmp_ne_u32_e32 vcc_lo, 0, v30
	v_mov_b32_e32 v30, v14
	v_cndmask_b32_e64 v33, 0, 1, s9
	v_cmp_ne_u32_e64 s9, 0, v31
	v_cmp_ne_u32_e64 s10, 0, v32
	v_cmp_le_i32_e64 s12, s44, v6
	s_bcnt1_i32_b32 s16, vcc_lo
	v_cmp_ne_u32_e64 s11, 0, v33
	s_bcnt1_i32_b32 s9, s9
	s_bcnt1_i32_b32 s10, s10
	v_add_nc_u32_e32 v1, s16, v1
	v_add_nc_u32_e32 v2, s9, v2
	s_bcnt1_i32_b32 s11, s11
	v_add_nc_u32_e32 v3, s10, v3
	v_add_nc_u32_e32 v4, s11, v4
	s_or_b32 s14, s12, s14
	s_delay_alu instid0(SALU_CYCLE_1)
	s_and_not1_b32 exec_lo, exec_lo, s14
	s_cbranch_execz .LBB66_52
.LBB66_50:                              ;   Parent Loop BB66_8 Depth=1
                                        ; =>  This Inner Loop Header: Depth=2
	s_delay_alu instid0(VALU_DEP_1) | instskip(SKIP_2) | instid1(VALU_DEP_2)
	v_add_nc_u32_e32 v6, s64, v6
	v_mov_b32_e32 v14, 0
	s_mov_b32 s9, exec_lo
	v_cmpx_gt_u32_e64 s44, v6
	s_cbranch_execz .LBB66_49
; %bb.51:                               ;   in Loop: Header=BB66_50 Depth=2
	v_ashrrev_i32_e32 v14, 31, v13
	s_delay_alu instid0(VALU_DEP_1) | instskip(NEXT) | instid1(VALU_DEP_1)
	v_lshlrev_b64 v[31:32], 1, v[13:14]
	v_add_co_u32 v31, vcc_lo, s62, v31
	s_delay_alu instid0(VALU_DEP_2)
	v_add_co_ci_u32_e32 v32, vcc_lo, s63, v32, vcc_lo
	global_load_u16 v14, v[31:32], off
	s_branch .LBB66_49
.LBB66_52:                              ;   in Loop: Header=BB66_8 Depth=1
	s_or_b32 exec_lo, exec_lo, s14
.LBB66_53:                              ;   in Loop: Header=BB66_8 Depth=1
	s_delay_alu instid0(SALU_CYCLE_1)
	s_or_b32 exec_lo, exec_lo, s13
	s_branch .LBB66_63
.LBB66_54:                              ;   in Loop: Header=BB66_8 Depth=1
	s_mul_hi_u32 s9, s94, s76
	v_dual_mov_b32 v1, 0 :: v_dual_mov_b32 v2, 0
	s_mul_i32 s9, s9, s66
	v_dual_mov_b32 v3, 0 :: v_dual_mov_b32 v4, 0
	s_sub_i32 s9, s94, s9
	s_mov_b32 s25, 0
	s_sub_i32 s10, s9, s66
	s_cmp_ge_u32 s9, s66
	s_mov_b32 s24, exec_lo
	s_cselect_b32 s9, s10, s9
	s_delay_alu instid0(SALU_CYCLE_1) | instskip(SKIP_2) | instid1(SALU_CYCLE_1)
	s_sub_i32 s10, s9, s66
	s_cmp_ge_u32 s9, s66
	s_cselect_b32 s9, s10, s9
	s_sub_i32 s23, s94, s9
	s_delay_alu instid0(SALU_CYCLE_1)
	v_cmpx_gt_u32_e64 s23, v16
	s_cbranch_execz .LBB66_58
; %bb.55:                               ;   in Loop: Header=BB66_8 Depth=1
	v_dual_mov_b32 v6, v26 :: v_dual_mov_b32 v13, v16
	s_and_b32 s26, s87, 0xfe
	s_mov_b32 s27, 0
	s_mov_b32 s28, 0
	;; [unrolled: 1-line block ×4, first 2 shown]
.LBB66_56:                              ;   Parent Loop BB66_8 Depth=1
                                        ; =>  This Inner Loop Header: Depth=2
	ds_load_b64 v[1:2], v6
	s_waitcnt lgkmcnt(0)
	v_cmp_lt_i16_e64 s9, -1, v1
	v_lshrrev_b32_e32 v4, 16, v2
	v_lshrrev_b32_e32 v3, 16, v1
	v_and_b32_e32 v14, 0xffff, v1
	v_lshlrev_b32_e32 v31, 16, v1
	s_waitcnt vmcnt(0)
	v_cndmask_b32_e64 v30, 0xffff, v28, s9
	v_cmp_lt_i16_e64 s9, -1, v2
	v_and_b32_e32 v32, 0xffff, v2
	v_cmp_lt_i16_e64 s10, -1, v4
	v_lshlrev_b32_e32 v34, 16, v2
	v_xor_b32_e32 v14, v30, v14
	v_cndmask_b32_e64 v33, 0xffff, v28, s9
	v_cmp_lt_i16_e64 s9, -1, v3
	v_and_b32_e32 v1, 0xffff0000, v1
	v_and_b32_e32 v2, 0xffff0000, v2
	s_delay_alu instid0(VALU_DEP_4) | instskip(SKIP_4) | instid1(VALU_DEP_4)
	v_xor_b32_e32 v32, v33, v32
	v_cndmask_b32_e64 v33, 0xffff, v28, s10
	v_cmp_o_f32_e64 s10, v31, v31
	v_cndmask_b32_e64 v30, 0xffff, v28, s9
	v_cmp_o_f32_e64 s9, v34, v34
	v_xor_b32_e32 v4, v33, v4
	s_delay_alu instid0(VALU_DEP_4) | instskip(NEXT) | instid1(VALU_DEP_4)
	v_cndmask_b32_e64 v14, 0xffff, v14, s10
	v_xor_b32_e32 v3, v30, v3
	s_delay_alu instid0(VALU_DEP_4) | instskip(SKIP_4) | instid1(VALU_DEP_3)
	v_cndmask_b32_e64 v30, 0xffff, v32, s9
	v_cmp_o_f32_e64 s9, v2, v2
	v_cmp_o_f32_e64 s10, v1, v1
	v_and_b32_e32 v2, s93, v14
	v_bfe_u32 v14, v14, s26, 2
	v_cndmask_b32_e64 v1, 0xffff, v3, s10
	v_cndmask_b32_e64 v3, 0xffff, v4, s9
	v_and_b32_e32 v4, s93, v30
	v_bfe_u32 v30, v30, s26, 2
	v_cmp_eq_u32_e64 s9, s92, v2
	v_cmp_eq_u32_e64 s11, 0, v14
	v_and_b32_e32 v2, s93, v1
	v_cmp_eq_u32_e64 s10, s92, v4
	v_cmp_eq_u32_e64 s12, 0, v30
	v_and_b32_e32 v4, s93, v3
	v_bfe_u32 v1, v1, s26, 2
	v_bfe_u32 v3, v3, s26, 2
	v_cmp_eq_u32_e64 s13, 1, v14
	v_cmp_eq_u32_e64 s15, 2, v14
	s_and_b32 s11, s9, s11
	v_cmp_eq_u32_e64 s14, 1, v30
	v_cmp_eq_u32_e64 s16, 2, v30
	;; [unrolled: 1-line block ×4, first 2 shown]
	v_cndmask_b32_e64 v2, 0, 1, s11
	s_and_b32 s11, s10, s12
	v_cmp_eq_u32_e64 s18, 3, v30
	v_cmp_eq_u32_e64 s20, s92, v4
	;; [unrolled: 1-line block ×4, first 2 shown]
	v_cndmask_b32_e64 v4, 0, 1, s11
	v_cmp_eq_u32_e64 s11, 1, v1
	s_and_b32 s13, s9, s13
	s_and_b32 s15, s9, s15
	v_cndmask_b32_e64 v14, 0, 1, s13
	s_and_b32 s13, s10, s14
	v_cndmask_b32_e64 v31, 0, 1, s15
	s_and_b32 s15, s10, s16
	s_and_b32 s9, s9, s17
	v_cmp_eq_u32_e64 s12, 1, v3
	v_cndmask_b32_e64 v30, 0, 1, s13
	v_cmp_eq_u32_e64 s13, 2, v1
	v_cmp_eq_u32_e64 s14, 2, v3
	v_cndmask_b32_e64 v32, 0, 1, s15
	v_cmp_eq_u32_e64 s15, 3, v1
	v_cmp_eq_u32_e64 s16, 3, v3
	v_cndmask_b32_e64 v1, 0, 1, s9
	s_and_b32 s9, s10, s18
	s_and_b32 s10, s19, s21
	;; [unrolled: 1-line block ×4, first 2 shown]
	v_cndmask_b32_e64 v3, 0, 1, s9
	v_cmp_ne_u32_e64 s9, 0, v2
	v_cndmask_b32_e64 v2, 0, 1, s10
	v_cmp_ne_u32_e64 s10, 0, v4
	;; [unrolled: 2-line block ×3, first 2 shown]
	v_cndmask_b32_e64 v14, 0, 1, s11
	s_and_b32 s12, s20, s12
	s_and_b32 s13, s19, s13
	;; [unrolled: 1-line block ×5, first 2 shown]
	v_cmp_ne_u32_e64 s11, 0, v30
	v_cndmask_b32_e64 v30, 0, 1, s12
	v_cmp_ne_u32_e64 s12, 0, v31
	v_cndmask_b32_e64 v31, 0, 1, s13
	;; [unrolled: 2-line block ×5, first 2 shown]
	v_cmp_ne_u32_e64 s16, 0, v14
	s_bcnt1_i32_b32 s17, s17
	s_bcnt1_i32_b32 s20, s11
	v_cmp_ne_u32_e64 s11, 0, v30
	s_bcnt1_i32_b32 s18, s9
	v_cmp_ne_u32_e64 s9, 0, v2
	;; [unrolled: 2-line block ×4, first 2 shown]
	s_add_i32 s17, s17, s95
	s_bcnt1_i32_b32 s16, s16
	s_bcnt1_i32_b32 s19, s10
	s_add_i32 s16, s17, s16
	v_cmp_ne_u32_e64 s10, 0, v4
	s_bcnt1_i32_b32 s22, s13
	v_cmp_ne_u32_e64 s13, 0, v32
	s_bcnt1_i32_b32 s98, s15
	;; [unrolled: 2-line block ×3, first 2 shown]
	s_add_i32 s16, s16, s20
	s_add_i32 s18, s18, s96
	;; [unrolled: 1-line block ×4, first 2 shown]
	s_bcnt1_i32_b32 s9, s9
	s_bcnt1_i32_b32 s12, s12
	;; [unrolled: 1-line block ×3, first 2 shown]
	s_add_i32 s95, s16, s11
	s_delay_alu instid0(SALU_CYCLE_1)
	v_dual_mov_b32 v2, s95 :: v_dual_add_nc_u32 v13, s66, v13
	s_add_i32 s9, s18, s9
	s_add_i32 s12, s21, s12
	;; [unrolled: 1-line block ×3, first 2 shown]
	s_bcnt1_i32_b32 s10, s10
	s_bcnt1_i32_b32 s13, s13
	;; [unrolled: 1-line block ×3, first 2 shown]
	s_add_i32 s9, s9, s19
	s_add_i32 s12, s12, s22
	;; [unrolled: 1-line block ×3, first 2 shown]
	v_cmp_le_i32_e32 vcc_lo, s23, v13
	s_add_i32 s96, s9, s10
	s_add_i32 s28, s12, s13
	;; [unrolled: 1-line block ×3, first 2 shown]
	v_dual_mov_b32 v1, s96 :: v_dual_add_nc_u32 v6, s81, v6
	v_dual_mov_b32 v3, s28 :: v_dual_mov_b32 v4, s27
	s_or_b32 s25, vcc_lo, s25
	s_delay_alu instid0(SALU_CYCLE_1)
	s_and_not1_b32 exec_lo, exec_lo, s25
	s_cbranch_execnz .LBB66_56
; %bb.57:                               ;   in Loop: Header=BB66_8 Depth=1
	s_or_b32 exec_lo, exec_lo, s25
.LBB66_58:                              ;   in Loop: Header=BB66_8 Depth=1
	s_delay_alu instid0(SALU_CYCLE_1) | instskip(SKIP_2) | instid1(VALU_DEP_1)
	s_or_b32 exec_lo, exec_lo, s24
	v_add_nc_u32_e32 v6, s23, v0
	s_mov_b32 s14, exec_lo
	v_cmpx_gt_i32_e64 s94, v6
	s_cbranch_execz .LBB66_62
; %bb.59:                               ;   in Loop: Header=BB66_8 Depth=1
	v_lshlrev_b32_e32 v13, 1, v6
	s_and_b32 s16, s87, 0xfe
	s_mov_b32 s15, 0
.LBB66_60:                              ;   Parent Loop BB66_8 Depth=1
                                        ; =>  This Inner Loop Header: Depth=2
	ds_load_u16 v14, v13
	v_add_nc_u32_e32 v6, s64, v6
	v_add_nc_u32_e32 v13, s82, v13
	s_delay_alu instid0(VALU_DEP_2)
	v_cmp_le_i32_e32 vcc_lo, s94, v6
	s_waitcnt lgkmcnt(0)
	v_cmp_lt_i16_e64 s9, -1, v14
	s_waitcnt vmcnt(0)
	v_and_b32_e32 v30, 0xffff, v14
	v_lshlrev_b32_e32 v14, 16, v14
	s_delay_alu instid0(VALU_DEP_3) | instskip(NEXT) | instid1(VALU_DEP_2)
	v_cndmask_b32_e64 v31, 0xffff, v28, s9
	v_cmp_o_f32_e64 s9, v14, v14
	s_delay_alu instid0(VALU_DEP_2) | instskip(NEXT) | instid1(VALU_DEP_1)
	v_xor_b32_e32 v30, v31, v30
	v_cndmask_b32_e64 v14, 0xffff, v30, s9
	s_delay_alu instid0(VALU_DEP_1) | instskip(SKIP_1) | instid1(VALU_DEP_2)
	v_and_b32_e32 v30, s93, v14
	v_bfe_u32 v14, v14, s16, 2
	v_cmp_eq_u32_e64 s9, s92, v30
	s_delay_alu instid0(VALU_DEP_2) | instskip(SKIP_3) | instid1(VALU_DEP_4)
	v_cmp_eq_u32_e64 s10, 0, v14
	v_cmp_eq_u32_e64 s11, 1, v14
	;; [unrolled: 1-line block ×4, first 2 shown]
	s_and_b32 s10, s9, s10
	s_delay_alu instid0(SALU_CYCLE_1) | instskip(SKIP_1) | instid1(SALU_CYCLE_1)
	v_cndmask_b32_e64 v14, 0, 1, s10
	s_and_b32 s10, s9, s11
	v_cndmask_b32_e64 v30, 0, 1, s10
	s_and_b32 s10, s9, s12
	s_and_b32 s9, s9, s13
	v_cndmask_b32_e64 v31, 0, 1, s10
	v_cndmask_b32_e64 v32, 0, 1, s9
	v_cmp_ne_u32_e64 s9, 0, v14
	v_cmp_ne_u32_e64 s10, 0, v30
	s_delay_alu instid0(VALU_DEP_4) | instskip(NEXT) | instid1(VALU_DEP_4)
	v_cmp_ne_u32_e64 s11, 0, v31
	v_cmp_ne_u32_e64 s12, 0, v32
	s_delay_alu instid0(VALU_DEP_4) | instskip(NEXT) | instid1(VALU_DEP_3)
	s_bcnt1_i32_b32 s9, s9
	s_bcnt1_i32_b32 s10, s10
	v_add_nc_u32_e32 v1, s9, v1
	s_bcnt1_i32_b32 s11, s11
	s_bcnt1_i32_b32 s12, s12
	v_add_nc_u32_e32 v2, s10, v2
	v_add_nc_u32_e32 v3, s11, v3
	v_add_nc_u32_e32 v4, s12, v4
	s_or_b32 s15, vcc_lo, s15
	s_delay_alu instid0(SALU_CYCLE_1)
	s_and_not1_b32 exec_lo, exec_lo, s15
	s_cbranch_execnz .LBB66_60
; %bb.61:                               ;   in Loop: Header=BB66_8 Depth=1
	s_or_b32 exec_lo, exec_lo, s15
.LBB66_62:                              ;   in Loop: Header=BB66_8 Depth=1
	s_delay_alu instid0(SALU_CYCLE_1)
	s_or_b32 exec_lo, exec_lo, s14
.LBB66_63:                              ;   in Loop: Header=BB66_8 Depth=1
	s_lshl_b32 s9, s90, 7
	s_and_saveexec_b32 s10, s1
	s_cbranch_execz .LBB66_65
; %bb.64:                               ;   in Loop: Header=BB66_8 Depth=1
	v_or_b32_e32 v6, s9, v20
	s_delay_alu instid0(VALU_DEP_1)
	v_lshlrev_b32_e32 v6, 2, v6
	ds_store_b128 v6, v[1:4] offset:3072
.LBB66_65:                              ;   in Loop: Header=BB66_8 Depth=1
	s_or_b32 exec_lo, exec_lo, s10
	s_waitcnt vmcnt(0) lgkmcnt(0)
	s_barrier
	buffer_gl0_inv
	s_and_saveexec_b32 s10, s69
	s_cbranch_execz .LBB66_75
; %bb.66:                               ;   in Loop: Header=BB66_8 Depth=1
	v_mov_b32_e32 v1, 0
	s_and_not1_b32 vcc_lo, exec_lo, s71
	s_cbranch_vccnz .LBB66_74
; %bb.67:                               ;   in Loop: Header=BB66_8 Depth=1
	v_mov_b32_e32 v1, 0
	s_and_not1_b32 vcc_lo, exec_lo, s73
	s_mov_b32 s11, 0
	s_cbranch_vccnz .LBB66_71
; %bb.68:                               ;   in Loop: Header=BB66_8 Depth=1
	v_lshl_add_u32 v2, s90, 9, v27
	v_mov_b32_e32 v1, 0
	.p2align	6
.LBB66_69:                              ;   Parent Loop BB66_8 Depth=1
                                        ; =>  This Inner Loop Header: Depth=2
	ds_load_2addr_b32 v[3:4], v2 offset1:4
	ds_load_2addr_b32 v[13:14], v2 offset0:8 offset1:12
	ds_load_2addr_b32 v[30:31], v2 offset0:16 offset1:20
	;; [unrolled: 1-line block ×3, first 2 shown]
	v_add_nc_u32_e32 v2, 0x80, v2
	s_add_i32 s11, s11, 8
	s_delay_alu instid0(SALU_CYCLE_1) | instskip(SKIP_3) | instid1(VALU_DEP_1)
	s_cmp_eq_u32 s74, s11
	s_waitcnt lgkmcnt(3)
	v_add3_u32 v1, v3, v1, v4
	s_waitcnt lgkmcnt(2)
	v_add3_u32 v1, v13, v1, v14
	s_waitcnt lgkmcnt(1)
	s_delay_alu instid0(VALU_DEP_1) | instskip(SKIP_1) | instid1(VALU_DEP_1)
	v_add3_u32 v1, v30, v1, v31
	s_waitcnt lgkmcnt(0)
	v_add3_u32 v1, v32, v1, v33
	s_cbranch_scc0 .LBB66_69
; %bb.70:                               ;   in Loop: Header=BB66_8 Depth=1
	s_mov_b32 s11, s74
.LBB66_71:                              ;   in Loop: Header=BB66_8 Depth=1
	s_and_not1_b32 vcc_lo, exec_lo, s75
	s_cbranch_vccnz .LBB66_74
; %bb.72:                               ;   in Loop: Header=BB66_8 Depth=1
	s_lshl_b32 s12, s90, 9
	s_lshl_b32 s11, s11, 4
	s_delay_alu instid0(SALU_CYCLE_1)
	v_add3_u32 v2, s12, s11, v27
	s_mov_b32 s11, s72
.LBB66_73:                              ;   Parent Loop BB66_8 Depth=1
                                        ; =>  This Inner Loop Header: Depth=2
	ds_load_b32 v3, v2
	v_add_nc_u32_e32 v2, 16, v2
	s_add_i32 s11, s11, -1
	s_delay_alu instid0(SALU_CYCLE_1)
	s_cmp_lg_u32 s11, 0
	s_waitcnt lgkmcnt(0)
	v_add_nc_u32_e32 v1, v3, v1
	s_cbranch_scc1 .LBB66_73
.LBB66_74:                              ;   in Loop: Header=BB66_8 Depth=1
	v_add_lshl_u32 v2, s9, v15, 2
	ds_store_b32 v2, v1 offset:3072
.LBB66_75:                              ;   in Loop: Header=BB66_8 Depth=1
	s_or_b32 exec_lo, exec_lo, s10
	s_lshl_b32 s9, s9, 2
	s_waitcnt lgkmcnt(0)
	v_mov_b32_e32 v1, s9
	s_barrier
	buffer_gl0_inv
	s_and_b32 s17, s87, 0xfe
	s_mov_b32 s14, -1
	ds_load_b128 v[1:4], v1 offset:3072
	s_lshl_b32 s11, 3, s17
	s_delay_alu instid0(SALU_CYCLE_1) | instskip(SKIP_4) | instid1(VALU_DEP_3)
	s_not_b32 s18, s11
	s_waitcnt lgkmcnt(0)
	v_readfirstlane_b32 s13, v1
	v_readfirstlane_b32 s21, v2
	;; [unrolled: 1-line block ×3, first 2 shown]
	s_cmp_eq_u32 s13, 1
	s_cselect_b32 s9, -1, 0
	s_cmp_eq_u32 s45, 1
	s_cselect_b32 s10, -1, 0
	s_delay_alu instid0(SALU_CYCLE_1)
	s_and_b32 s15, s9, s10
	v_readfirstlane_b32 s10, v4
	s_and_b32 vcc_lo, exec_lo, s15
	s_cbranch_vccz .LBB66_87
; %bb.76:                               ;   in Loop: Header=BB66_8 Depth=1
	ds_load_b32 v1, v7 offset:4096
	s_waitcnt lgkmcnt(0)
	s_barrier
	buffer_gl0_inv
	v_readfirstlane_b32 s12, v1
	s_and_saveexec_b32 s9, s2
	s_cbranch_execz .LBB66_78
; %bb.77:                               ;   in Loop: Header=BB66_8 Depth=1
	ds_store_b16 v18, v7
.LBB66_78:                              ;   in Loop: Header=BB66_8 Depth=1
	s_or_b32 exec_lo, exec_lo, s9
	s_and_b32 s92, s92, s18
	s_or_b32 s93, s93, s11
	s_cmp_lt_i32 s12, 1
	s_waitcnt lgkmcnt(0)
	s_barrier
	buffer_gl0_inv
	s_cbranch_scc0 .LBB66_88
; %bb.79:                               ;   in Loop: Header=BB66_8 Depth=1
	s_mov_b32 s9, 0
                                        ; implicit-def: $vgpr29
	s_and_saveexec_b32 s19, s8
	s_cbranch_execz .LBB66_90
; %bb.80:                               ;   in Loop: Header=BB66_8 Depth=1
	v_mov_b32_e32 v1, v5
	v_mov_b32_e32 v3, v0
	s_mov_b32 s20, 0
                                        ; implicit-def: $sgpr22
	s_branch .LBB66_82
.LBB66_81:                              ;   in Loop: Header=BB66_82 Depth=2
	s_or_b32 exec_lo, exec_lo, s9
	s_waitcnt vmcnt(0) lgkmcnt(0)
	s_barrier
	buffer_gl0_inv
	ds_load_b32 v2, v7 offset:3072
	v_add_nc_u32_e32 v3, s64, v3
	v_add_nc_u32_e32 v1, s67, v1
	s_waitcnt lgkmcnt(0)
	s_barrier
	buffer_gl0_inv
	v_cmp_le_i32_e32 vcc_lo, s79, v3
	v_and_b32_e32 v4, 0x7fff, v2
	s_delay_alu instid0(VALU_DEP_1) | instskip(NEXT) | instid1(VALU_DEP_1)
	v_cmp_ne_u16_e64 s9, 0, v4
	s_or_b32 s23, vcc_lo, s9
	s_delay_alu instid0(SALU_CYCLE_1) | instskip(NEXT) | instid1(SALU_CYCLE_1)
	s_and_b32 s23, exec_lo, s23
	s_or_b32 s20, s23, s20
	s_and_not1_b32 s22, s22, exec_lo
	s_and_b32 s9, s9, exec_lo
	s_delay_alu instid0(SALU_CYCLE_1)
	s_or_b32 s22, s22, s9
	s_and_not1_b32 exec_lo, exec_lo, s20
	s_cbranch_execz .LBB66_89
.LBB66_82:                              ;   Parent Loop BB66_8 Depth=1
                                        ; =>  This Inner Loop Header: Depth=2
	s_delay_alu instid0(VALU_DEP_1)
	v_cmp_gt_i32_e32 vcc_lo, s44, v3
	v_mov_b32_e32 v2, 0
	s_and_saveexec_b32 s23, vcc_lo
	s_cbranch_execz .LBB66_84
; %bb.83:                               ;   in Loop: Header=BB66_82 Depth=2
	v_ashrrev_i32_e32 v2, 31, v1
	s_delay_alu instid0(VALU_DEP_1) | instskip(NEXT) | instid1(VALU_DEP_1)
	v_lshlrev_b64 v[13:14], 1, v[1:2]
	v_add_co_u32 v13, s9, s62, v13
	s_delay_alu instid0(VALU_DEP_1)
	v_add_co_ci_u32_e64 v14, s9, s63, v14, s9
	global_load_u16 v2, v[13:14], off
.LBB66_84:                              ;   in Loop: Header=BB66_82 Depth=2
	s_or_b32 exec_lo, exec_lo, s23
	s_and_saveexec_b32 s9, vcc_lo
	s_cbranch_execz .LBB66_81
; %bb.85:                               ;   in Loop: Header=BB66_82 Depth=2
	s_waitcnt vmcnt(0)
	v_cmp_lt_i16_e32 vcc_lo, -1, v2
	v_and_b32_e32 v4, 0xffff, v2
	v_dual_cndmask_b32 v6, 0xffff, v28 :: v_dual_lshlrev_b32 v13, 16, v2
	s_delay_alu instid0(VALU_DEP_1) | instskip(NEXT) | instid1(VALU_DEP_2)
	v_cmp_o_f32_e32 vcc_lo, v13, v13
	v_xor_b32_e32 v4, v6, v4
	s_delay_alu instid0(VALU_DEP_1) | instskip(NEXT) | instid1(VALU_DEP_1)
	v_cndmask_b32_e32 v4, 0xffff, v4, vcc_lo
	v_and_b32_e32 v4, s93, v4
	s_delay_alu instid0(VALU_DEP_1)
	v_cmp_eq_u32_e32 vcc_lo, s92, v4
	s_and_b32 exec_lo, exec_lo, vcc_lo
	s_cbranch_execz .LBB66_81
; %bb.86:                               ;   in Loop: Header=BB66_82 Depth=2
	v_perm_b32 v2, v2, s83, 0x5040100
	ds_store_b32 v7, v2 offset:3072
	s_branch .LBB66_81
.LBB66_87:                              ;   in Loop: Header=BB66_8 Depth=1
	s_mov_b32 s9, -1
                                        ; implicit-def: $sgpr19
                                        ; implicit-def: $sgpr22
                                        ; implicit-def: $sgpr20
	s_branch .LBB66_101
.LBB66_88:                              ;   in Loop: Header=BB66_8 Depth=1
	s_mov_b32 s19, -1
	s_mov_b32 s9, 0
                                        ; implicit-def: $sgpr20
                                        ; implicit-def: $vgpr29
	s_mov_b32 s22, s19
	s_cbranch_execnz .LBB66_91
	s_branch .LBB66_101
.LBB66_89:                              ;   in Loop: Header=BB66_8 Depth=1
	s_or_b32 exec_lo, exec_lo, s20
	v_lshrrev_b32_e32 v29, 16, v2
	s_and_b32 s9, s22, exec_lo
.LBB66_90:                              ;   in Loop: Header=BB66_8 Depth=1
	s_or_b32 exec_lo, exec_lo, s19
	s_mov_b32 s20, -1
	s_mov_b32 s19, 0
	s_delay_alu instid0(SALU_CYCLE_1)
	s_mov_b32 s22, s19
	s_branch .LBB66_101
.LBB66_91:                              ;   in Loop: Header=BB66_8 Depth=1
	s_add_i32 s20, s12, s68
                                        ; implicit-def: $vgpr29
	s_delay_alu instid0(SALU_CYCLE_1) | instskip(NEXT) | instid1(SALU_CYCLE_1)
	s_abs_i32 s9, s20
	s_mul_hi_u32 s19, s9, s78
	s_delay_alu instid0(SALU_CYCLE_1) | instskip(NEXT) | instid1(SALU_CYCLE_1)
	s_mul_i32 s19, s19, s64
	s_sub_i32 s9, s9, s19
	s_ashr_i32 s19, s20, 31
	s_sub_i32 s22, s9, s64
	s_cmp_ge_u32 s9, s64
	s_cselect_b32 s9, s22, s9
	s_delay_alu instid0(SALU_CYCLE_1) | instskip(SKIP_2) | instid1(SALU_CYCLE_1)
	s_sub_i32 s22, s9, s64
	s_cmp_ge_u32 s9, s64
	s_cselect_b32 s9, s22, s9
	s_xor_b32 s9, s9, s19
	s_delay_alu instid0(SALU_CYCLE_1)
	s_sub_i32 s9, s19, s9
	s_mov_b32 s19, exec_lo
	s_add_i32 s20, s20, s9
	s_mov_b32 s9, 0
	v_cmpx_gt_i32_e64 s20, v0
	s_cbranch_execz .LBB66_100
; %bb.92:                               ;   in Loop: Header=BB66_8 Depth=1
	v_dual_mov_b32 v1, v17 :: v_dual_mov_b32 v2, v0
	s_mov_b32 s22, 0
                                        ; implicit-def: $sgpr23
	s_branch .LBB66_94
.LBB66_93:                              ;   in Loop: Header=BB66_94 Depth=2
	s_or_b32 exec_lo, exec_lo, s9
	s_waitcnt lgkmcnt(0)
	s_barrier
	buffer_gl0_inv
	ds_load_b32 v3, v7 offset:3072
	v_add_nc_u32_e32 v2, s64, v2
	v_add_nc_u32_e32 v1, s82, v1
	s_waitcnt lgkmcnt(0)
	s_barrier
	buffer_gl0_inv
	v_cmp_le_i32_e32 vcc_lo, s20, v2
	v_and_b32_e32 v4, 0x7fff, v3
	s_delay_alu instid0(VALU_DEP_1) | instskip(NEXT) | instid1(VALU_DEP_1)
	v_cmp_ne_u16_e64 s9, 0, v4
	s_or_b32 s24, vcc_lo, s9
	s_delay_alu instid0(SALU_CYCLE_1) | instskip(NEXT) | instid1(SALU_CYCLE_1)
	s_and_b32 s24, exec_lo, s24
	s_or_b32 s22, s24, s22
	s_and_not1_b32 s23, s23, exec_lo
	s_and_b32 s9, s9, exec_lo
	s_delay_alu instid0(SALU_CYCLE_1)
	s_or_b32 s23, s23, s9
	s_and_not1_b32 exec_lo, exec_lo, s22
	s_cbranch_execz .LBB66_99
.LBB66_94:                              ;   Parent Loop BB66_8 Depth=1
                                        ; =>  This Inner Loop Header: Depth=2
	s_delay_alu instid0(VALU_DEP_1)
	v_cmp_gt_i32_e32 vcc_lo, s12, v2
	v_mov_b32_e32 v3, 0
	s_and_saveexec_b32 s9, vcc_lo
	s_cbranch_execz .LBB66_96
; %bb.95:                               ;   in Loop: Header=BB66_94 Depth=2
	ds_load_u16 v3, v1
.LBB66_96:                              ;   in Loop: Header=BB66_94 Depth=2
	s_or_b32 exec_lo, exec_lo, s9
	s_and_saveexec_b32 s9, vcc_lo
	s_cbranch_execz .LBB66_93
; %bb.97:                               ;   in Loop: Header=BB66_94 Depth=2
	s_waitcnt lgkmcnt(0)
	v_cmp_lt_i16_e32 vcc_lo, -1, v3
	v_and_b32_e32 v4, 0xffff, v3
	v_dual_cndmask_b32 v6, 0xffff, v28 :: v_dual_lshlrev_b32 v13, 16, v3
	s_delay_alu instid0(VALU_DEP_1) | instskip(NEXT) | instid1(VALU_DEP_2)
	v_cmp_o_f32_e32 vcc_lo, v13, v13
	v_xor_b32_e32 v4, v6, v4
	s_delay_alu instid0(VALU_DEP_1) | instskip(NEXT) | instid1(VALU_DEP_1)
	v_cndmask_b32_e32 v4, 0xffff, v4, vcc_lo
	v_and_b32_e32 v4, s93, v4
	s_delay_alu instid0(VALU_DEP_1)
	v_cmp_eq_u32_e32 vcc_lo, s92, v4
	s_and_b32 exec_lo, exec_lo, vcc_lo
	s_cbranch_execz .LBB66_93
; %bb.98:                               ;   in Loop: Header=BB66_94 Depth=2
	v_perm_b32 v3, v3, s83, 0x5040100
	ds_store_b32 v7, v3 offset:3072
	s_branch .LBB66_93
.LBB66_99:                              ;   in Loop: Header=BB66_8 Depth=1
	s_or_b32 exec_lo, exec_lo, s22
	v_lshrrev_b32_e32 v29, 16, v3
	s_and_b32 s9, s23, exec_lo
.LBB66_100:                             ;   in Loop: Header=BB66_8 Depth=1
	s_or_b32 exec_lo, exec_lo, s19
	s_mov_b32 s22, -1
	s_mov_b32 s19, 0
	s_mov_b32 s20, 0
.LBB66_101:                             ;   in Loop: Header=BB66_8 Depth=1
	s_and_not1_b32 s12, s88, exec_lo
	s_and_b32 s19, s19, exec_lo
	s_and_b32 s20, s20, exec_lo
	s_or_b32 s88, s12, s19
	s_and_not1_b32 s12, s91, exec_lo
	s_and_b32 s19, s22, exec_lo
	s_and_not1_b32 s22, s89, exec_lo
	s_or_b32 s91, s12, s19
	s_or_b32 s89, s22, s20
	s_and_saveexec_b32 s12, s9
	s_cbranch_execz .LBB66_7
; %bb.102:                              ;   in Loop: Header=BB66_8 Depth=1
	s_xor_b32 s9, s15, -1
	s_mov_b32 s14, 0
	s_and_not1_b32 vcc_lo, exec_lo, s9
	s_mov_b32 s22, 1
	s_cbranch_vccnz .LBB66_113
; %bb.103:                              ;   in Loop: Header=BB66_8 Depth=1
	s_cmp_gt_i32 s45, s13
	s_mov_b32 s14, -1
                                        ; implicit-def: $sgpr9
                                        ; implicit-def: $sgpr15
                                        ; implicit-def: $sgpr19
	s_cbranch_scc1 .LBB66_109
; %bb.104:                              ;   in Loop: Header=BB66_8 Depth=1
	ds_load_b32 v1, v7 offset:4096
	s_waitcnt lgkmcnt(0)
	v_cmp_ne_u32_e32 vcc_lo, 0, v1
	s_cbranch_vccnz .LBB66_108
; %bb.105:                              ;   in Loop: Header=BB66_8 Depth=1
	s_and_saveexec_b32 s9, s0
	s_cbranch_execz .LBB66_107
; %bb.106:                              ;   in Loop: Header=BB66_8 Depth=1
	v_mov_b32_e32 v1, s13
	ds_store_b32 v7, v1 offset:4100
.LBB66_107:                             ;   in Loop: Header=BB66_8 Depth=1
	s_or_b32 exec_lo, exec_lo, s9
	s_waitcnt lgkmcnt(0)
	s_barrier
	buffer_gl0_inv
.LBB66_108:                             ;   in Loop: Header=BB66_8 Depth=1
	s_and_b32 s15, s92, s18
	s_or_b32 s19, s93, s11
	s_mov_b32 s14, 0
	s_mov_b32 s9, 8
.LBB66_109:                             ;   in Loop: Header=BB66_8 Depth=1
	s_and_not1_b32 vcc_lo, exec_lo, s14
	s_cbranch_vccnz .LBB66_111
; %bb.110:                              ;   in Loop: Header=BB66_8 Depth=1
	s_sub_i32 s45, s45, s13
	s_mov_b32 s14, -1
	s_mov_b32 s9, 0
	s_mov_b32 s15, s92
	;; [unrolled: 1-line block ×3, first 2 shown]
.LBB66_111:                             ;   in Loop: Header=BB66_8 Depth=1
	s_delay_alu instid0(SALU_CYCLE_1)
	s_mov_b32 s93, s19
	s_mov_b32 s92, s15
	;; [unrolled: 1-line block ×3, first 2 shown]
	s_and_b32 vcc_lo, exec_lo, s14
	s_mov_b32 s13, -1
	s_cbranch_vccnz .LBB66_114
.LBB66_112:                             ;   in Loop: Header=BB66_8 Depth=1
	s_mov_b32 s25, -1
                                        ; implicit-def: $sgpr14
                                        ; implicit-def: $sgpr19
                                        ; implicit-def: $sgpr15
	s_delay_alu instid0(SALU_CYCLE_1) | instskip(NEXT) | instid1(SALU_CYCLE_1)
	s_and_saveexec_b32 s10, s25
	s_xor_b32 s10, exec_lo, s10
	s_cbranch_execz .LBB66_6
	s_branch .LBB66_237
.LBB66_113:                             ;   in Loop: Header=BB66_8 Depth=1
	s_mov_b32 s9, 1
	s_and_b32 vcc_lo, exec_lo, s14
	s_mov_b32 s13, -1
	s_cbranch_vccz .LBB66_112
.LBB66_114:                             ;   in Loop: Header=BB66_8 Depth=1
	s_cmp_eq_u32 s21, 1
	s_mov_b32 s24, -1
	s_cselect_b32 s9, -1, 0
	s_cmp_eq_u32 s22, 1
	s_cselect_b32 s14, -1, 0
	s_delay_alu instid0(SALU_CYCLE_1) | instskip(NEXT) | instid1(SALU_CYCLE_1)
	s_and_b32 s23, s9, s14
	s_and_b32 vcc_lo, exec_lo, s23
	s_cbranch_vccz .LBB66_126
; %bb.115:                              ;   in Loop: Header=BB66_8 Depth=1
	ds_load_b32 v1, v7 offset:4096
	s_waitcnt lgkmcnt(0)
	s_barrier
	buffer_gl0_inv
	v_readfirstlane_b32 s20, v1
	s_and_saveexec_b32 s9, s2
	s_cbranch_execz .LBB66_117
; %bb.116:                              ;   in Loop: Header=BB66_8 Depth=1
	ds_store_b16 v18, v7
.LBB66_117:                             ;   in Loop: Header=BB66_8 Depth=1
	s_or_b32 exec_lo, exec_lo, s9
	s_lshl_b32 s9, 1, s17
	s_and_b32 s14, s92, s18
	s_or_b32 s93, s93, s11
	s_or_b32 s92, s14, s9
	s_cmp_gt_i32 s20, 0
	s_waitcnt lgkmcnt(0)
	s_barrier
	buffer_gl0_inv
	s_cbranch_scc1 .LBB66_127
; %bb.118:                              ;   in Loop: Header=BB66_8 Depth=1
	s_mov_b32 s24, 0
                                        ; implicit-def: $vgpr29
	s_and_saveexec_b32 s14, s8
	s_cbranch_execz .LBB66_129
; %bb.119:                              ;   in Loop: Header=BB66_8 Depth=1
	v_mov_b32_e32 v1, v5
	v_mov_b32_e32 v3, v0
	s_mov_b32 s15, 0
                                        ; implicit-def: $sgpr19
	s_branch .LBB66_121
.LBB66_120:                             ;   in Loop: Header=BB66_121 Depth=2
	s_or_b32 exec_lo, exec_lo, s9
	s_waitcnt vmcnt(0) lgkmcnt(0)
	s_barrier
	buffer_gl0_inv
	ds_load_b32 v2, v7 offset:3072
	v_add_nc_u32_e32 v3, s64, v3
	v_add_nc_u32_e32 v1, s67, v1
	s_waitcnt lgkmcnt(0)
	s_barrier
	buffer_gl0_inv
	v_cmp_le_i32_e32 vcc_lo, s79, v3
	v_and_b32_e32 v4, 0x7fff, v2
	s_delay_alu instid0(VALU_DEP_1) | instskip(NEXT) | instid1(VALU_DEP_1)
	v_cmp_ne_u16_e64 s9, 0, v4
	s_or_b32 s24, vcc_lo, s9
	s_delay_alu instid0(SALU_CYCLE_1) | instskip(NEXT) | instid1(SALU_CYCLE_1)
	s_and_b32 s24, exec_lo, s24
	s_or_b32 s15, s24, s15
	s_and_not1_b32 s19, s19, exec_lo
	s_and_b32 s9, s9, exec_lo
	s_delay_alu instid0(SALU_CYCLE_1)
	s_or_b32 s19, s19, s9
	s_and_not1_b32 exec_lo, exec_lo, s15
	s_cbranch_execz .LBB66_128
.LBB66_121:                             ;   Parent Loop BB66_8 Depth=1
                                        ; =>  This Inner Loop Header: Depth=2
	s_delay_alu instid0(VALU_DEP_1)
	v_cmp_gt_i32_e32 vcc_lo, s44, v3
	v_mov_b32_e32 v2, 0
	s_and_saveexec_b32 s24, vcc_lo
	s_cbranch_execz .LBB66_123
; %bb.122:                              ;   in Loop: Header=BB66_121 Depth=2
	v_ashrrev_i32_e32 v2, 31, v1
	s_delay_alu instid0(VALU_DEP_1) | instskip(NEXT) | instid1(VALU_DEP_1)
	v_lshlrev_b64 v[13:14], 1, v[1:2]
	v_add_co_u32 v13, s9, s62, v13
	s_delay_alu instid0(VALU_DEP_1)
	v_add_co_ci_u32_e64 v14, s9, s63, v14, s9
	global_load_u16 v2, v[13:14], off
.LBB66_123:                             ;   in Loop: Header=BB66_121 Depth=2
	s_or_b32 exec_lo, exec_lo, s24
	s_and_saveexec_b32 s9, vcc_lo
	s_cbranch_execz .LBB66_120
; %bb.124:                              ;   in Loop: Header=BB66_121 Depth=2
	s_waitcnt vmcnt(0)
	v_cmp_lt_i16_e32 vcc_lo, -1, v2
	v_and_b32_e32 v4, 0xffff, v2
	v_dual_cndmask_b32 v6, 0xffff, v28 :: v_dual_lshlrev_b32 v13, 16, v2
	s_delay_alu instid0(VALU_DEP_1) | instskip(NEXT) | instid1(VALU_DEP_2)
	v_cmp_o_f32_e32 vcc_lo, v13, v13
	v_xor_b32_e32 v4, v6, v4
	s_delay_alu instid0(VALU_DEP_1) | instskip(NEXT) | instid1(VALU_DEP_1)
	v_cndmask_b32_e32 v4, 0xffff, v4, vcc_lo
	v_and_b32_e32 v4, s93, v4
	s_delay_alu instid0(VALU_DEP_1)
	v_cmp_eq_u32_e32 vcc_lo, s92, v4
	s_and_b32 exec_lo, exec_lo, vcc_lo
	s_cbranch_execz .LBB66_120
; %bb.125:                              ;   in Loop: Header=BB66_121 Depth=2
	v_perm_b32 v2, v2, s83, 0x5040100
	ds_store_b32 v7, v2 offset:3072
	s_branch .LBB66_120
.LBB66_126:                             ;   in Loop: Header=BB66_8 Depth=1
                                        ; implicit-def: $sgpr15
                                        ; implicit-def: $sgpr19
                                        ; implicit-def: $sgpr14
	s_branch .LBB66_140
.LBB66_127:                             ;   in Loop: Header=BB66_8 Depth=1
	s_mov_b32 s15, -1
	s_mov_b32 s24, 0
                                        ; implicit-def: $sgpr14
                                        ; implicit-def: $vgpr29
	s_mov_b32 s19, s15
	s_cbranch_execnz .LBB66_130
	s_branch .LBB66_140
.LBB66_128:                             ;   in Loop: Header=BB66_8 Depth=1
	s_or_b32 exec_lo, exec_lo, s15
	v_lshrrev_b32_e32 v29, 16, v2
	s_and_b32 s24, s19, exec_lo
.LBB66_129:                             ;   in Loop: Header=BB66_8 Depth=1
	s_or_b32 exec_lo, exec_lo, s14
	s_mov_b32 s14, -1
	s_mov_b32 s15, 0
	s_delay_alu instid0(SALU_CYCLE_1)
	s_mov_b32 s19, s15
	s_branch .LBB66_140
.LBB66_130:                             ;   in Loop: Header=BB66_8 Depth=1
	s_add_i32 s15, s20, s68
	s_mov_b32 s24, 0
	s_abs_i32 s9, s15
                                        ; implicit-def: $vgpr29
	s_delay_alu instid0(SALU_CYCLE_1) | instskip(NEXT) | instid1(SALU_CYCLE_1)
	s_mul_hi_u32 s14, s9, s78
	s_mul_i32 s14, s14, s64
	s_delay_alu instid0(SALU_CYCLE_1) | instskip(SKIP_4) | instid1(SALU_CYCLE_1)
	s_sub_i32 s9, s9, s14
	s_ashr_i32 s14, s15, 31
	s_sub_i32 s19, s9, s64
	s_cmp_ge_u32 s9, s64
	s_cselect_b32 s9, s19, s9
	s_sub_i32 s19, s9, s64
	s_cmp_ge_u32 s9, s64
	s_cselect_b32 s9, s19, s9
	s_delay_alu instid0(SALU_CYCLE_1) | instskip(NEXT) | instid1(SALU_CYCLE_1)
	s_xor_b32 s9, s9, s14
	s_sub_i32 s9, s14, s9
	s_mov_b32 s14, exec_lo
	s_add_i32 s15, s15, s9
	s_delay_alu instid0(SALU_CYCLE_1)
	v_cmpx_gt_i32_e64 s15, v0
	s_cbranch_execz .LBB66_139
; %bb.131:                              ;   in Loop: Header=BB66_8 Depth=1
	v_dual_mov_b32 v1, v17 :: v_dual_mov_b32 v2, v0
	s_mov_b32 s19, 0
                                        ; implicit-def: $sgpr24
	s_branch .LBB66_133
.LBB66_132:                             ;   in Loop: Header=BB66_133 Depth=2
	s_or_b32 exec_lo, exec_lo, s9
	s_waitcnt lgkmcnt(0)
	s_barrier
	buffer_gl0_inv
	ds_load_b32 v3, v7 offset:3072
	v_add_nc_u32_e32 v2, s64, v2
	v_add_nc_u32_e32 v1, s82, v1
	s_waitcnt lgkmcnt(0)
	s_barrier
	buffer_gl0_inv
	v_cmp_le_i32_e32 vcc_lo, s15, v2
	v_and_b32_e32 v4, 0x7fff, v3
	s_delay_alu instid0(VALU_DEP_1) | instskip(NEXT) | instid1(VALU_DEP_1)
	v_cmp_ne_u16_e64 s9, 0, v4
	s_or_b32 s25, vcc_lo, s9
	s_delay_alu instid0(SALU_CYCLE_1) | instskip(NEXT) | instid1(SALU_CYCLE_1)
	s_and_b32 s25, exec_lo, s25
	s_or_b32 s19, s25, s19
	s_and_not1_b32 s24, s24, exec_lo
	s_and_b32 s9, s9, exec_lo
	s_delay_alu instid0(SALU_CYCLE_1)
	s_or_b32 s24, s24, s9
	s_and_not1_b32 exec_lo, exec_lo, s19
	s_cbranch_execz .LBB66_138
.LBB66_133:                             ;   Parent Loop BB66_8 Depth=1
                                        ; =>  This Inner Loop Header: Depth=2
	s_delay_alu instid0(VALU_DEP_1)
	v_cmp_gt_i32_e32 vcc_lo, s20, v2
	v_mov_b32_e32 v3, 0
	s_and_saveexec_b32 s9, vcc_lo
	s_cbranch_execz .LBB66_135
; %bb.134:                              ;   in Loop: Header=BB66_133 Depth=2
	ds_load_u16 v3, v1
.LBB66_135:                             ;   in Loop: Header=BB66_133 Depth=2
	s_or_b32 exec_lo, exec_lo, s9
	s_and_saveexec_b32 s9, vcc_lo
	s_cbranch_execz .LBB66_132
; %bb.136:                              ;   in Loop: Header=BB66_133 Depth=2
	s_waitcnt lgkmcnt(0)
	v_cmp_lt_i16_e32 vcc_lo, -1, v3
	v_and_b32_e32 v4, 0xffff, v3
	v_dual_cndmask_b32 v6, 0xffff, v28 :: v_dual_lshlrev_b32 v13, 16, v3
	s_delay_alu instid0(VALU_DEP_1) | instskip(NEXT) | instid1(VALU_DEP_2)
	v_cmp_o_f32_e32 vcc_lo, v13, v13
	v_xor_b32_e32 v4, v6, v4
	s_delay_alu instid0(VALU_DEP_1) | instskip(NEXT) | instid1(VALU_DEP_1)
	v_cndmask_b32_e32 v4, 0xffff, v4, vcc_lo
	v_and_b32_e32 v4, s93, v4
	s_delay_alu instid0(VALU_DEP_1)
	v_cmp_eq_u32_e32 vcc_lo, s92, v4
	s_and_b32 exec_lo, exec_lo, vcc_lo
	s_cbranch_execz .LBB66_132
; %bb.137:                              ;   in Loop: Header=BB66_133 Depth=2
	v_perm_b32 v3, v3, s83, 0x5040100
	ds_store_b32 v7, v3 offset:3072
	s_branch .LBB66_132
.LBB66_138:                             ;   in Loop: Header=BB66_8 Depth=1
	s_or_b32 exec_lo, exec_lo, s19
	v_lshrrev_b32_e32 v29, 16, v3
	s_and_b32 s24, s24, exec_lo
.LBB66_139:                             ;   in Loop: Header=BB66_8 Depth=1
	s_or_b32 exec_lo, exec_lo, s14
	s_mov_b32 s19, -1
	s_mov_b32 s15, 0
	s_mov_b32 s14, 0
.LBB66_140:                             ;   in Loop: Header=BB66_8 Depth=1
	s_mov_b32 s25, 0
                                        ; implicit-def: $sgpr9
	s_and_saveexec_b32 s20, s24
	s_cbranch_execz .LBB66_236
; %bb.141:                              ;   in Loop: Header=BB66_8 Depth=1
	s_xor_b32 s9, s23, -1
	s_mov_b32 s23, 0
	s_and_not1_b32 vcc_lo, exec_lo, s9
	s_mov_b32 s26, 1
	s_cbranch_vccnz .LBB66_152
; %bb.142:                              ;   in Loop: Header=BB66_8 Depth=1
	s_cmp_gt_i32 s22, s21
	s_mov_b32 s23, -1
                                        ; implicit-def: $sgpr9
                                        ; implicit-def: $sgpr24
                                        ; implicit-def: $sgpr25
	s_cbranch_scc1 .LBB66_148
; %bb.143:                              ;   in Loop: Header=BB66_8 Depth=1
	ds_load_b32 v1, v7 offset:4096
	s_waitcnt lgkmcnt(0)
	v_cmp_ne_u32_e32 vcc_lo, 0, v1
	s_cbranch_vccnz .LBB66_147
; %bb.144:                              ;   in Loop: Header=BB66_8 Depth=1
	s_and_saveexec_b32 s9, s0
	s_cbranch_execz .LBB66_146
; %bb.145:                              ;   in Loop: Header=BB66_8 Depth=1
	v_mov_b32_e32 v1, s21
	ds_store_b32 v7, v1 offset:4100
.LBB66_146:                             ;   in Loop: Header=BB66_8 Depth=1
	s_or_b32 exec_lo, exec_lo, s9
	s_waitcnt lgkmcnt(0)
	s_barrier
	buffer_gl0_inv
.LBB66_147:                             ;   in Loop: Header=BB66_8 Depth=1
	s_lshl_b32 s9, 1, s17
	s_and_b32 s23, s92, s18
	s_or_b32 s25, s93, s11
	s_or_b32 s24, s23, s9
	s_mov_b32 s23, 0
	s_mov_b32 s9, 8
.LBB66_148:                             ;   in Loop: Header=BB66_8 Depth=1
	s_and_not1_b32 vcc_lo, exec_lo, s23
	s_cbranch_vccnz .LBB66_150
; %bb.149:                              ;   in Loop: Header=BB66_8 Depth=1
	s_sub_i32 s22, s22, s21
	s_mov_b32 s23, -1
	s_mov_b32 s9, 0
	s_mov_b32 s24, s92
	;; [unrolled: 1-line block ×3, first 2 shown]
.LBB66_150:                             ;   in Loop: Header=BB66_8 Depth=1
	s_delay_alu instid0(SALU_CYCLE_1)
	s_mov_b32 s93, s25
	s_mov_b32 s92, s24
	;; [unrolled: 1-line block ×3, first 2 shown]
	s_and_not1_b32 vcc_lo, exec_lo, s23
	s_mov_b32 s28, -1
	s_cbranch_vccz .LBB66_153
.LBB66_151:                             ;   in Loop: Header=BB66_8 Depth=1
                                        ; implicit-def: $sgpr22
                                        ; implicit-def: $sgpr23
                                        ; implicit-def: $sgpr21
	s_branch .LBB66_235
.LBB66_152:                             ;   in Loop: Header=BB66_8 Depth=1
	s_mov_b32 s9, 1
	s_and_not1_b32 vcc_lo, exec_lo, s23
	s_mov_b32 s28, -1
	s_cbranch_vccnz .LBB66_151
.LBB66_153:                             ;   in Loop: Header=BB66_8 Depth=1
	s_cmp_eq_u32 s16, 1
	s_mov_b32 s27, -1
	s_cselect_b32 s9, -1, 0
	s_cmp_eq_u32 s26, 1
	s_cselect_b32 s21, -1, 0
	s_delay_alu instid0(SALU_CYCLE_1) | instskip(NEXT) | instid1(SALU_CYCLE_1)
	s_and_b32 s25, s9, s21
	s_and_b32 vcc_lo, exec_lo, s25
	s_cbranch_vccz .LBB66_165
; %bb.154:                              ;   in Loop: Header=BB66_8 Depth=1
	ds_load_b32 v1, v7 offset:4096
	s_waitcnt lgkmcnt(0)
	s_barrier
	buffer_gl0_inv
	v_readfirstlane_b32 s24, v1
	s_and_saveexec_b32 s9, s2
	s_cbranch_execz .LBB66_156
; %bb.155:                              ;   in Loop: Header=BB66_8 Depth=1
	ds_store_b16 v18, v7
.LBB66_156:                             ;   in Loop: Header=BB66_8 Depth=1
	s_or_b32 exec_lo, exec_lo, s9
	s_lshl_b32 s9, 2, s17
	s_and_b32 s21, s92, s18
	s_or_b32 s93, s93, s11
	s_or_b32 s92, s21, s9
	s_cmp_gt_i32 s24, 0
	s_waitcnt lgkmcnt(0)
	s_barrier
	buffer_gl0_inv
	s_cbranch_scc1 .LBB66_166
; %bb.157:                              ;   in Loop: Header=BB66_8 Depth=1
	s_mov_b32 s27, 0
                                        ; implicit-def: $vgpr29
	s_and_saveexec_b32 s21, s8
	s_cbranch_execz .LBB66_168
; %bb.158:                              ;   in Loop: Header=BB66_8 Depth=1
	v_mov_b32_e32 v1, v5
	v_mov_b32_e32 v3, v0
	s_mov_b32 s22, 0
                                        ; implicit-def: $sgpr23
	s_branch .LBB66_160
.LBB66_159:                             ;   in Loop: Header=BB66_160 Depth=2
	s_or_b32 exec_lo, exec_lo, s9
	s_waitcnt vmcnt(0) lgkmcnt(0)
	s_barrier
	buffer_gl0_inv
	ds_load_b32 v2, v7 offset:3072
	v_add_nc_u32_e32 v3, s64, v3
	v_add_nc_u32_e32 v1, s67, v1
	s_waitcnt lgkmcnt(0)
	s_barrier
	buffer_gl0_inv
	v_cmp_le_i32_e32 vcc_lo, s79, v3
	v_and_b32_e32 v4, 0x7fff, v2
	s_delay_alu instid0(VALU_DEP_1) | instskip(NEXT) | instid1(VALU_DEP_1)
	v_cmp_ne_u16_e64 s9, 0, v4
	s_or_b32 s27, vcc_lo, s9
	s_delay_alu instid0(SALU_CYCLE_1) | instskip(NEXT) | instid1(SALU_CYCLE_1)
	s_and_b32 s27, exec_lo, s27
	s_or_b32 s22, s27, s22
	s_and_not1_b32 s23, s23, exec_lo
	s_and_b32 s9, s9, exec_lo
	s_delay_alu instid0(SALU_CYCLE_1)
	s_or_b32 s23, s23, s9
	s_and_not1_b32 exec_lo, exec_lo, s22
	s_cbranch_execz .LBB66_167
.LBB66_160:                             ;   Parent Loop BB66_8 Depth=1
                                        ; =>  This Inner Loop Header: Depth=2
	s_delay_alu instid0(VALU_DEP_1)
	v_cmp_gt_i32_e32 vcc_lo, s44, v3
	v_mov_b32_e32 v2, 0
	s_and_saveexec_b32 s27, vcc_lo
	s_cbranch_execz .LBB66_162
; %bb.161:                              ;   in Loop: Header=BB66_160 Depth=2
	v_ashrrev_i32_e32 v2, 31, v1
	s_delay_alu instid0(VALU_DEP_1) | instskip(NEXT) | instid1(VALU_DEP_1)
	v_lshlrev_b64 v[13:14], 1, v[1:2]
	v_add_co_u32 v13, s9, s62, v13
	s_delay_alu instid0(VALU_DEP_1)
	v_add_co_ci_u32_e64 v14, s9, s63, v14, s9
	global_load_u16 v2, v[13:14], off
.LBB66_162:                             ;   in Loop: Header=BB66_160 Depth=2
	s_or_b32 exec_lo, exec_lo, s27
	s_and_saveexec_b32 s9, vcc_lo
	s_cbranch_execz .LBB66_159
; %bb.163:                              ;   in Loop: Header=BB66_160 Depth=2
	s_waitcnt vmcnt(0)
	v_cmp_lt_i16_e32 vcc_lo, -1, v2
	v_and_b32_e32 v4, 0xffff, v2
	v_dual_cndmask_b32 v6, 0xffff, v28 :: v_dual_lshlrev_b32 v13, 16, v2
	s_delay_alu instid0(VALU_DEP_1) | instskip(NEXT) | instid1(VALU_DEP_2)
	v_cmp_o_f32_e32 vcc_lo, v13, v13
	v_xor_b32_e32 v4, v6, v4
	s_delay_alu instid0(VALU_DEP_1) | instskip(NEXT) | instid1(VALU_DEP_1)
	v_cndmask_b32_e32 v4, 0xffff, v4, vcc_lo
	v_and_b32_e32 v4, s93, v4
	s_delay_alu instid0(VALU_DEP_1)
	v_cmp_eq_u32_e32 vcc_lo, s92, v4
	s_and_b32 exec_lo, exec_lo, vcc_lo
	s_cbranch_execz .LBB66_159
; %bb.164:                              ;   in Loop: Header=BB66_160 Depth=2
	v_perm_b32 v2, v2, s83, 0x5040100
	ds_store_b32 v7, v2 offset:3072
	s_branch .LBB66_159
.LBB66_165:                             ;   in Loop: Header=BB66_8 Depth=1
                                        ; implicit-def: $sgpr21
                                        ; implicit-def: $sgpr23
                                        ; implicit-def: $sgpr22
	s_branch .LBB66_179
.LBB66_166:                             ;   in Loop: Header=BB66_8 Depth=1
	s_mov_b32 s21, -1
	s_mov_b32 s27, 0
                                        ; implicit-def: $sgpr22
                                        ; implicit-def: $vgpr29
	s_mov_b32 s23, s21
	s_cbranch_execnz .LBB66_169
	s_branch .LBB66_179
.LBB66_167:                             ;   in Loop: Header=BB66_8 Depth=1
	s_or_b32 exec_lo, exec_lo, s22
	v_lshrrev_b32_e32 v29, 16, v2
	s_and_b32 s27, s23, exec_lo
.LBB66_168:                             ;   in Loop: Header=BB66_8 Depth=1
	s_or_b32 exec_lo, exec_lo, s21
	s_mov_b32 s22, -1
	s_mov_b32 s21, 0
	s_delay_alu instid0(SALU_CYCLE_1)
	s_mov_b32 s23, s21
	s_branch .LBB66_179
.LBB66_169:                             ;   in Loop: Header=BB66_8 Depth=1
	s_add_i32 s22, s24, s68
	s_mov_b32 s27, 0
	s_abs_i32 s9, s22
                                        ; implicit-def: $vgpr29
	s_delay_alu instid0(SALU_CYCLE_1) | instskip(NEXT) | instid1(SALU_CYCLE_1)
	s_mul_hi_u32 s21, s9, s78
	s_mul_i32 s21, s21, s64
	s_delay_alu instid0(SALU_CYCLE_1) | instskip(SKIP_4) | instid1(SALU_CYCLE_1)
	s_sub_i32 s9, s9, s21
	s_ashr_i32 s21, s22, 31
	s_sub_i32 s23, s9, s64
	s_cmp_ge_u32 s9, s64
	s_cselect_b32 s9, s23, s9
	s_sub_i32 s23, s9, s64
	s_cmp_ge_u32 s9, s64
	s_cselect_b32 s9, s23, s9
	s_delay_alu instid0(SALU_CYCLE_1) | instskip(NEXT) | instid1(SALU_CYCLE_1)
	s_xor_b32 s9, s9, s21
	s_sub_i32 s9, s21, s9
	s_mov_b32 s21, exec_lo
	s_add_i32 s22, s22, s9
	s_delay_alu instid0(SALU_CYCLE_1)
	v_cmpx_gt_i32_e64 s22, v0
	s_cbranch_execz .LBB66_178
; %bb.170:                              ;   in Loop: Header=BB66_8 Depth=1
	v_dual_mov_b32 v1, v17 :: v_dual_mov_b32 v2, v0
	s_mov_b32 s23, 0
                                        ; implicit-def: $sgpr27
	s_branch .LBB66_172
.LBB66_171:                             ;   in Loop: Header=BB66_172 Depth=2
	s_or_b32 exec_lo, exec_lo, s9
	s_waitcnt lgkmcnt(0)
	s_barrier
	buffer_gl0_inv
	ds_load_b32 v3, v7 offset:3072
	v_add_nc_u32_e32 v2, s64, v2
	v_add_nc_u32_e32 v1, s82, v1
	s_waitcnt lgkmcnt(0)
	s_barrier
	buffer_gl0_inv
	v_cmp_le_i32_e32 vcc_lo, s22, v2
	v_and_b32_e32 v4, 0x7fff, v3
	s_delay_alu instid0(VALU_DEP_1) | instskip(NEXT) | instid1(VALU_DEP_1)
	v_cmp_ne_u16_e64 s9, 0, v4
	s_or_b32 s28, vcc_lo, s9
	s_delay_alu instid0(SALU_CYCLE_1) | instskip(NEXT) | instid1(SALU_CYCLE_1)
	s_and_b32 s28, exec_lo, s28
	s_or_b32 s23, s28, s23
	s_and_not1_b32 s27, s27, exec_lo
	s_and_b32 s9, s9, exec_lo
	s_delay_alu instid0(SALU_CYCLE_1)
	s_or_b32 s27, s27, s9
	s_and_not1_b32 exec_lo, exec_lo, s23
	s_cbranch_execz .LBB66_177
.LBB66_172:                             ;   Parent Loop BB66_8 Depth=1
                                        ; =>  This Inner Loop Header: Depth=2
	s_delay_alu instid0(VALU_DEP_1)
	v_cmp_gt_i32_e32 vcc_lo, s24, v2
	v_mov_b32_e32 v3, 0
	s_and_saveexec_b32 s9, vcc_lo
	s_cbranch_execz .LBB66_174
; %bb.173:                              ;   in Loop: Header=BB66_172 Depth=2
	ds_load_u16 v3, v1
.LBB66_174:                             ;   in Loop: Header=BB66_172 Depth=2
	s_or_b32 exec_lo, exec_lo, s9
	s_and_saveexec_b32 s9, vcc_lo
	s_cbranch_execz .LBB66_171
; %bb.175:                              ;   in Loop: Header=BB66_172 Depth=2
	s_waitcnt lgkmcnt(0)
	v_cmp_lt_i16_e32 vcc_lo, -1, v3
	v_and_b32_e32 v4, 0xffff, v3
	v_dual_cndmask_b32 v6, 0xffff, v28 :: v_dual_lshlrev_b32 v13, 16, v3
	s_delay_alu instid0(VALU_DEP_1) | instskip(NEXT) | instid1(VALU_DEP_2)
	v_cmp_o_f32_e32 vcc_lo, v13, v13
	v_xor_b32_e32 v4, v6, v4
	s_delay_alu instid0(VALU_DEP_1) | instskip(NEXT) | instid1(VALU_DEP_1)
	v_cndmask_b32_e32 v4, 0xffff, v4, vcc_lo
	v_and_b32_e32 v4, s93, v4
	s_delay_alu instid0(VALU_DEP_1)
	v_cmp_eq_u32_e32 vcc_lo, s92, v4
	s_and_b32 exec_lo, exec_lo, vcc_lo
	s_cbranch_execz .LBB66_171
; %bb.176:                              ;   in Loop: Header=BB66_172 Depth=2
	v_perm_b32 v3, v3, s83, 0x5040100
	ds_store_b32 v7, v3 offset:3072
	s_branch .LBB66_171
.LBB66_177:                             ;   in Loop: Header=BB66_8 Depth=1
	s_or_b32 exec_lo, exec_lo, s23
	v_lshrrev_b32_e32 v29, 16, v3
	s_and_b32 s27, s27, exec_lo
.LBB66_178:                             ;   in Loop: Header=BB66_8 Depth=1
	s_or_b32 exec_lo, exec_lo, s21
	s_mov_b32 s23, -1
	s_mov_b32 s21, 0
	s_mov_b32 s22, 0
.LBB66_179:                             ;   in Loop: Header=BB66_8 Depth=1
	s_mov_b32 s28, 0
                                        ; implicit-def: $sgpr9
	s_and_saveexec_b32 s24, s27
	s_cbranch_execz .LBB66_234
; %bb.180:                              ;   in Loop: Header=BB66_8 Depth=1
	s_xor_b32 s9, s25, -1
	s_mov_b32 s27, 0
	s_and_not1_b32 vcc_lo, exec_lo, s9
	s_mov_b32 s25, 1
	s_cbranch_vccnz .LBB66_191
; %bb.181:                              ;   in Loop: Header=BB66_8 Depth=1
	s_cmp_gt_i32 s26, s16
	s_mov_b32 s27, -1
                                        ; implicit-def: $sgpr9
                                        ; implicit-def: $sgpr25
                                        ; implicit-def: $sgpr28
	s_cbranch_scc1 .LBB66_187
; %bb.182:                              ;   in Loop: Header=BB66_8 Depth=1
	ds_load_b32 v1, v7 offset:4096
	s_waitcnt lgkmcnt(0)
	v_cmp_ne_u32_e32 vcc_lo, 0, v1
	s_cbranch_vccnz .LBB66_186
; %bb.183:                              ;   in Loop: Header=BB66_8 Depth=1
	s_and_saveexec_b32 s9, s0
	s_cbranch_execz .LBB66_185
; %bb.184:                              ;   in Loop: Header=BB66_8 Depth=1
	v_mov_b32_e32 v1, s16
	ds_store_b32 v7, v1 offset:4100
.LBB66_185:                             ;   in Loop: Header=BB66_8 Depth=1
	s_or_b32 exec_lo, exec_lo, s9
	s_waitcnt lgkmcnt(0)
	s_barrier
	buffer_gl0_inv
.LBB66_186:                             ;   in Loop: Header=BB66_8 Depth=1
	s_lshl_b32 s9, 2, s17
	s_and_b32 s17, s92, s18
	s_or_b32 s28, s93, s11
	s_or_b32 s25, s17, s9
	s_mov_b32 s27, 0
	s_mov_b32 s9, 8
.LBB66_187:                             ;   in Loop: Header=BB66_8 Depth=1
	s_and_not1_b32 vcc_lo, exec_lo, s27
	s_cbranch_vccnz .LBB66_189
; %bb.188:                              ;   in Loop: Header=BB66_8 Depth=1
	s_sub_i32 s26, s26, s16
	s_mov_b32 s27, -1
	s_mov_b32 s9, 0
	s_mov_b32 s25, s92
	;; [unrolled: 1-line block ×3, first 2 shown]
.LBB66_189:                             ;   in Loop: Header=BB66_8 Depth=1
	s_delay_alu instid0(SALU_CYCLE_1)
	s_mov_b32 s93, s28
	s_mov_b32 s92, s25
	;; [unrolled: 1-line block ×3, first 2 shown]
	s_and_not1_b32 vcc_lo, exec_lo, s27
	s_mov_b32 s45, -1
	s_cbranch_vccz .LBB66_192
.LBB66_190:                             ;   in Loop: Header=BB66_8 Depth=1
                                        ; implicit-def: $sgpr18
                                        ; implicit-def: $sgpr27
                                        ; implicit-def: $sgpr26
	s_branch .LBB66_233
.LBB66_191:                             ;   in Loop: Header=BB66_8 Depth=1
	s_mov_b32 s9, 1
	s_and_not1_b32 vcc_lo, exec_lo, s27
	s_mov_b32 s45, -1
	s_cbranch_vccnz .LBB66_190
.LBB66_192:                             ;   in Loop: Header=BB66_8 Depth=1
	s_cmp_eq_u32 s10, 1
	s_mov_b32 s28, -1
	s_cselect_b32 s9, -1, 0
	s_cmp_eq_u32 s25, 1
	s_cselect_b32 s16, -1, 0
	s_delay_alu instid0(SALU_CYCLE_1) | instskip(NEXT) | instid1(SALU_CYCLE_1)
	s_and_b32 s16, s9, s16
	s_and_b32 vcc_lo, exec_lo, s16
	s_cbranch_vccz .LBB66_204
; %bb.193:                              ;   in Loop: Header=BB66_8 Depth=1
	ds_load_b32 v1, v7 offset:4096
	s_waitcnt lgkmcnt(0)
	s_barrier
	buffer_gl0_inv
	v_readfirstlane_b32 s17, v1
	s_and_saveexec_b32 s9, s2
	s_cbranch_execz .LBB66_195
; %bb.194:                              ;   in Loop: Header=BB66_8 Depth=1
	ds_store_b16 v18, v7
.LBB66_195:                             ;   in Loop: Header=BB66_8 Depth=1
	s_or_b32 exec_lo, exec_lo, s9
	s_or_b32 s92, s92, s11
	s_or_b32 s93, s93, s11
	s_cmp_gt_i32 s17, 0
	s_waitcnt lgkmcnt(0)
	s_barrier
	buffer_gl0_inv
	s_cbranch_scc1 .LBB66_205
; %bb.196:                              ;   in Loop: Header=BB66_8 Depth=1
	s_mov_b32 s28, 0
                                        ; implicit-def: $vgpr29
	s_and_saveexec_b32 s18, s8
	s_cbranch_execz .LBB66_207
; %bb.197:                              ;   in Loop: Header=BB66_8 Depth=1
	v_mov_b32_e32 v1, v5
	v_mov_b32_e32 v3, v0
	s_mov_b32 s26, 0
                                        ; implicit-def: $sgpr27
	s_branch .LBB66_199
.LBB66_198:                             ;   in Loop: Header=BB66_199 Depth=2
	s_or_b32 exec_lo, exec_lo, s9
	s_waitcnt vmcnt(0) lgkmcnt(0)
	s_barrier
	buffer_gl0_inv
	ds_load_b32 v2, v7 offset:3072
	v_add_nc_u32_e32 v3, s64, v3
	v_add_nc_u32_e32 v1, s67, v1
	s_waitcnt lgkmcnt(0)
	s_barrier
	buffer_gl0_inv
	v_cmp_le_i32_e32 vcc_lo, s79, v3
	v_and_b32_e32 v4, 0x7fff, v2
	s_delay_alu instid0(VALU_DEP_1) | instskip(NEXT) | instid1(VALU_DEP_1)
	v_cmp_ne_u16_e64 s9, 0, v4
	s_or_b32 s28, vcc_lo, s9
	s_delay_alu instid0(SALU_CYCLE_1) | instskip(NEXT) | instid1(SALU_CYCLE_1)
	s_and_b32 s28, exec_lo, s28
	s_or_b32 s26, s28, s26
	s_and_not1_b32 s27, s27, exec_lo
	s_and_b32 s9, s9, exec_lo
	s_delay_alu instid0(SALU_CYCLE_1)
	s_or_b32 s27, s27, s9
	s_and_not1_b32 exec_lo, exec_lo, s26
	s_cbranch_execz .LBB66_206
.LBB66_199:                             ;   Parent Loop BB66_8 Depth=1
                                        ; =>  This Inner Loop Header: Depth=2
	s_delay_alu instid0(VALU_DEP_1)
	v_cmp_gt_i32_e32 vcc_lo, s44, v3
	v_mov_b32_e32 v2, 0
	s_and_saveexec_b32 s28, vcc_lo
	s_cbranch_execz .LBB66_201
; %bb.200:                              ;   in Loop: Header=BB66_199 Depth=2
	v_ashrrev_i32_e32 v2, 31, v1
	s_delay_alu instid0(VALU_DEP_1) | instskip(NEXT) | instid1(VALU_DEP_1)
	v_lshlrev_b64 v[13:14], 1, v[1:2]
	v_add_co_u32 v13, s9, s62, v13
	s_delay_alu instid0(VALU_DEP_1)
	v_add_co_ci_u32_e64 v14, s9, s63, v14, s9
	global_load_u16 v2, v[13:14], off
.LBB66_201:                             ;   in Loop: Header=BB66_199 Depth=2
	s_or_b32 exec_lo, exec_lo, s28
	s_and_saveexec_b32 s9, vcc_lo
	s_cbranch_execz .LBB66_198
; %bb.202:                              ;   in Loop: Header=BB66_199 Depth=2
	s_waitcnt vmcnt(0)
	v_cmp_lt_i16_e32 vcc_lo, -1, v2
	v_and_b32_e32 v4, 0xffff, v2
	v_dual_cndmask_b32 v6, 0xffff, v28 :: v_dual_lshlrev_b32 v13, 16, v2
	s_delay_alu instid0(VALU_DEP_1) | instskip(NEXT) | instid1(VALU_DEP_2)
	v_cmp_o_f32_e32 vcc_lo, v13, v13
	v_xor_b32_e32 v4, v6, v4
	s_delay_alu instid0(VALU_DEP_1) | instskip(NEXT) | instid1(VALU_DEP_1)
	v_cndmask_b32_e32 v4, 0xffff, v4, vcc_lo
	v_and_b32_e32 v4, s93, v4
	s_delay_alu instid0(VALU_DEP_1)
	v_cmp_eq_u32_e32 vcc_lo, s92, v4
	s_and_b32 exec_lo, exec_lo, vcc_lo
	s_cbranch_execz .LBB66_198
; %bb.203:                              ;   in Loop: Header=BB66_199 Depth=2
	v_perm_b32 v2, v2, s83, 0x5040100
	ds_store_b32 v7, v2 offset:3072
	s_branch .LBB66_198
.LBB66_204:                             ;   in Loop: Header=BB66_8 Depth=1
                                        ; implicit-def: $sgpr18
                                        ; implicit-def: $sgpr27
                                        ; implicit-def: $sgpr26
	s_branch .LBB66_218
.LBB66_205:                             ;   in Loop: Header=BB66_8 Depth=1
	s_mov_b32 s18, -1
	s_mov_b32 s28, 0
                                        ; implicit-def: $sgpr26
                                        ; implicit-def: $vgpr29
	s_mov_b32 s27, s18
	s_cbranch_execnz .LBB66_208
	s_branch .LBB66_218
.LBB66_206:                             ;   in Loop: Header=BB66_8 Depth=1
	s_or_b32 exec_lo, exec_lo, s26
	v_lshrrev_b32_e32 v29, 16, v2
	s_and_b32 s28, s27, exec_lo
.LBB66_207:                             ;   in Loop: Header=BB66_8 Depth=1
	s_or_b32 exec_lo, exec_lo, s18
	s_mov_b32 s26, -1
	s_mov_b32 s18, 0
	s_delay_alu instid0(SALU_CYCLE_1)
	s_mov_b32 s27, s18
	s_branch .LBB66_218
.LBB66_208:                             ;   in Loop: Header=BB66_8 Depth=1
	s_add_i32 s26, s17, s68
	s_mov_b32 s28, 0
	s_abs_i32 s9, s26
                                        ; implicit-def: $vgpr29
	s_delay_alu instid0(SALU_CYCLE_1) | instskip(NEXT) | instid1(SALU_CYCLE_1)
	s_mul_hi_u32 s18, s9, s78
	s_mul_i32 s18, s18, s64
	s_delay_alu instid0(SALU_CYCLE_1) | instskip(SKIP_4) | instid1(SALU_CYCLE_1)
	s_sub_i32 s9, s9, s18
	s_ashr_i32 s18, s26, 31
	s_sub_i32 s27, s9, s64
	s_cmp_ge_u32 s9, s64
	s_cselect_b32 s9, s27, s9
	s_sub_i32 s27, s9, s64
	s_cmp_ge_u32 s9, s64
	s_cselect_b32 s9, s27, s9
	s_delay_alu instid0(SALU_CYCLE_1) | instskip(NEXT) | instid1(SALU_CYCLE_1)
	s_xor_b32 s9, s9, s18
	s_sub_i32 s9, s18, s9
	s_mov_b32 s18, exec_lo
	s_add_i32 s26, s26, s9
	s_delay_alu instid0(SALU_CYCLE_1)
	v_cmpx_gt_i32_e64 s26, v0
	s_cbranch_execz .LBB66_217
; %bb.209:                              ;   in Loop: Header=BB66_8 Depth=1
	v_dual_mov_b32 v1, v17 :: v_dual_mov_b32 v2, v0
	s_mov_b32 s27, 0
                                        ; implicit-def: $sgpr28
	s_branch .LBB66_211
.LBB66_210:                             ;   in Loop: Header=BB66_211 Depth=2
	s_or_b32 exec_lo, exec_lo, s9
	s_waitcnt lgkmcnt(0)
	s_barrier
	buffer_gl0_inv
	ds_load_b32 v3, v7 offset:3072
	v_add_nc_u32_e32 v2, s64, v2
	v_add_nc_u32_e32 v1, s82, v1
	s_waitcnt lgkmcnt(0)
	s_barrier
	buffer_gl0_inv
	v_cmp_le_i32_e32 vcc_lo, s26, v2
	v_and_b32_e32 v4, 0x7fff, v3
	s_delay_alu instid0(VALU_DEP_1) | instskip(NEXT) | instid1(VALU_DEP_1)
	v_cmp_ne_u16_e64 s9, 0, v4
	s_or_b32 s45, vcc_lo, s9
	s_delay_alu instid0(SALU_CYCLE_1) | instskip(NEXT) | instid1(SALU_CYCLE_1)
	s_and_b32 s45, exec_lo, s45
	s_or_b32 s27, s45, s27
	s_and_not1_b32 s28, s28, exec_lo
	s_and_b32 s9, s9, exec_lo
	s_delay_alu instid0(SALU_CYCLE_1)
	s_or_b32 s28, s28, s9
	s_and_not1_b32 exec_lo, exec_lo, s27
	s_cbranch_execz .LBB66_216
.LBB66_211:                             ;   Parent Loop BB66_8 Depth=1
                                        ; =>  This Inner Loop Header: Depth=2
	s_delay_alu instid0(VALU_DEP_1)
	v_cmp_gt_i32_e32 vcc_lo, s17, v2
	v_mov_b32_e32 v3, 0
	s_and_saveexec_b32 s9, vcc_lo
	s_cbranch_execz .LBB66_213
; %bb.212:                              ;   in Loop: Header=BB66_211 Depth=2
	ds_load_u16 v3, v1
.LBB66_213:                             ;   in Loop: Header=BB66_211 Depth=2
	s_or_b32 exec_lo, exec_lo, s9
	s_and_saveexec_b32 s9, vcc_lo
	s_cbranch_execz .LBB66_210
; %bb.214:                              ;   in Loop: Header=BB66_211 Depth=2
	s_waitcnt lgkmcnt(0)
	v_cmp_lt_i16_e32 vcc_lo, -1, v3
	v_and_b32_e32 v4, 0xffff, v3
	v_dual_cndmask_b32 v6, 0xffff, v28 :: v_dual_lshlrev_b32 v13, 16, v3
	s_delay_alu instid0(VALU_DEP_1) | instskip(NEXT) | instid1(VALU_DEP_2)
	v_cmp_o_f32_e32 vcc_lo, v13, v13
	v_xor_b32_e32 v4, v6, v4
	s_delay_alu instid0(VALU_DEP_1) | instskip(NEXT) | instid1(VALU_DEP_1)
	v_cndmask_b32_e32 v4, 0xffff, v4, vcc_lo
	v_and_b32_e32 v4, s93, v4
	s_delay_alu instid0(VALU_DEP_1)
	v_cmp_eq_u32_e32 vcc_lo, s92, v4
	s_and_b32 exec_lo, exec_lo, vcc_lo
	s_cbranch_execz .LBB66_210
; %bb.215:                              ;   in Loop: Header=BB66_211 Depth=2
	v_perm_b32 v3, v3, s83, 0x5040100
	ds_store_b32 v7, v3 offset:3072
	s_branch .LBB66_210
.LBB66_216:                             ;   in Loop: Header=BB66_8 Depth=1
	s_or_b32 exec_lo, exec_lo, s27
	v_lshrrev_b32_e32 v29, 16, v3
	s_and_b32 s28, s28, exec_lo
.LBB66_217:                             ;   in Loop: Header=BB66_8 Depth=1
	s_or_b32 exec_lo, exec_lo, s18
	s_mov_b32 s27, -1
	s_mov_b32 s18, 0
	s_mov_b32 s26, 0
.LBB66_218:                             ;   in Loop: Header=BB66_8 Depth=1
	s_mov_b32 s45, 0
                                        ; implicit-def: $sgpr9
	s_and_saveexec_b32 s17, s28
	s_cbranch_execz .LBB66_232
; %bb.219:                              ;   in Loop: Header=BB66_8 Depth=1
	s_xor_b32 s9, s16, -1
	s_delay_alu instid0(SALU_CYCLE_1)
	s_and_not1_b32 vcc_lo, exec_lo, s9
	s_mov_b32 s9, 1
	s_cbranch_vccnz .LBB66_226
; %bb.220:                              ;   in Loop: Header=BB66_8 Depth=1
	s_cmp_gt_i32 s25, s10
	s_cbranch_scc1 .LBB66_227
; %bb.221:                              ;   in Loop: Header=BB66_8 Depth=1
	ds_load_b32 v1, v7 offset:4096
	s_waitcnt lgkmcnt(0)
	v_cmp_ne_u32_e32 vcc_lo, 0, v1
	s_cbranch_vccnz .LBB66_225
; %bb.222:                              ;   in Loop: Header=BB66_8 Depth=1
	s_and_saveexec_b32 s9, s0
	s_cbranch_execz .LBB66_224
; %bb.223:                              ;   in Loop: Header=BB66_8 Depth=1
	v_mov_b32_e32 v1, s10
	ds_store_b32 v7, v1 offset:4100
.LBB66_224:                             ;   in Loop: Header=BB66_8 Depth=1
	s_or_b32 exec_lo, exec_lo, s9
	s_waitcnt lgkmcnt(0)
	s_barrier
	buffer_gl0_inv
.LBB66_225:                             ;   in Loop: Header=BB66_8 Depth=1
	s_or_b32 s16, s92, s11
	s_or_b32 s11, s93, s11
	s_mov_b32 s28, 0
	s_mov_b32 s9, 8
	s_branch .LBB66_228
.LBB66_226:                             ;   in Loop: Header=BB66_8 Depth=1
	s_mov_b32 s25, 1
	s_branch .LBB66_231
.LBB66_227:                             ;   in Loop: Header=BB66_8 Depth=1
	s_mov_b32 s28, -1
                                        ; implicit-def: $sgpr9
                                        ; implicit-def: $sgpr16
                                        ; implicit-def: $sgpr11
.LBB66_228:                             ;   in Loop: Header=BB66_8 Depth=1
	s_delay_alu instid0(SALU_CYCLE_1)
	s_and_not1_b32 vcc_lo, exec_lo, s28
	s_cbranch_vccnz .LBB66_230
; %bb.229:                              ;   in Loop: Header=BB66_8 Depth=1
	s_sub_i32 s25, s25, s10
	s_mov_b32 s9, 8
	s_mov_b32 s16, s92
	;; [unrolled: 1-line block ×3, first 2 shown]
.LBB66_230:                             ;   in Loop: Header=BB66_8 Depth=1
	s_mov_b32 s92, s16
	s_mov_b32 s93, s11
.LBB66_231:                             ;   in Loop: Header=BB66_8 Depth=1
	s_mov_b32 s45, exec_lo
.LBB66_232:                             ;   in Loop: Header=BB66_8 Depth=1
	s_or_b32 exec_lo, exec_lo, s17
.LBB66_233:                             ;   in Loop: Header=BB66_8 Depth=1
	s_delay_alu instid0(SALU_CYCLE_1)
	s_and_not1_b32 s10, s21, exec_lo
	s_and_b32 s11, s18, exec_lo
	s_and_not1_b32 s16, s22, exec_lo
	s_or_b32 s21, s10, s11
	s_and_not1_b32 s10, s23, exec_lo
	s_and_b32 s11, s27, exec_lo
	s_and_b32 s17, s26, exec_lo
	s_or_b32 s23, s10, s11
	s_or_b32 s22, s16, s17
	s_and_b32 s28, s45, exec_lo
	s_mov_b32 s26, s25
.LBB66_234:                             ;   in Loop: Header=BB66_8 Depth=1
	s_or_b32 exec_lo, exec_lo, s24
.LBB66_235:                             ;   in Loop: Header=BB66_8 Depth=1
	s_delay_alu instid0(SALU_CYCLE_1)
	s_and_not1_b32 s10, s15, exec_lo
	s_and_b32 s11, s21, exec_lo
	s_and_not1_b32 s14, s14, exec_lo
	s_or_b32 s15, s10, s11
	s_and_not1_b32 s10, s19, exec_lo
	s_and_b32 s11, s23, exec_lo
	s_and_b32 s16, s22, exec_lo
	s_or_b32 s19, s10, s11
	s_or_b32 s14, s14, s16
	s_and_b32 s25, s28, exec_lo
	s_mov_b32 s22, s26
.LBB66_236:                             ;   in Loop: Header=BB66_8 Depth=1
	s_or_b32 exec_lo, exec_lo, s20
	s_and_saveexec_b32 s10, s25
	s_delay_alu instid0(SALU_CYCLE_1)
	s_xor_b32 s10, exec_lo, s10
	s_cbranch_execz .LBB66_6
.LBB66_237:                             ;   in Loop: Header=BB66_8 Depth=1
	s_and_b32 s9, s9, -9
	s_delay_alu instid0(SALU_CYCLE_1)
	s_cmp_eq_u32 s9, 0
	s_cbranch_scc1 .LBB66_4
; %bb.238:                              ;   in Loop: Header=BB66_8 Depth=1
	s_mov_b32 s9, -1
	s_mov_b32 s11, -1
                                        ; implicit-def: $sgpr93
                                        ; implicit-def: $sgpr22
                                        ; implicit-def: $sgpr87
                                        ; implicit-def: $sgpr90
	s_branch .LBB66_5
.LBB66_239:
	s_or_b32 exec_lo, exec_lo, s65
	s_xor_b32 s3, s86, -1
	s_xor_b32 s2, s84, -1
	;; [unrolled: 1-line block ×3, first 2 shown]
	s_mov_b32 s1, 0
	s_and_saveexec_b32 s5, s2
	s_delay_alu instid0(SALU_CYCLE_1)
	s_xor_b32 s2, exec_lo, s5
	s_cbranch_execz .LBB66_260
; %bb.240:
	s_and_saveexec_b32 s1, s3
	s_delay_alu instid0(SALU_CYCLE_1)
	s_xor_b32 s3, exec_lo, s1
	s_cbranch_execz .LBB66_258
; %bb.241:
	s_and_saveexec_b32 s1, s4
	s_delay_alu instid0(SALU_CYCLE_1)
	s_xor_b32 s1, exec_lo, s1
; %bb.242:
	v_and_b32_e32 v2, 0x8000, v1
	v_mov_b32_e32 v3, 0xffff
	s_delay_alu instid0(VALU_DEP_2) | instskip(NEXT) | instid1(VALU_DEP_2)
	v_cmp_eq_u32_e32 vcc_lo, 0, v2
	v_cndmask_b32_e32 v2, 0x8000, v3, vcc_lo
	s_delay_alu instid0(VALU_DEP_1)
	v_xor_b32_e32 v29, v2, v1
; %bb.243:
	s_or_b32 exec_lo, exec_lo, s1
	s_and_saveexec_b32 s1, s0
	s_cbranch_execz .LBB66_245
; %bb.244:
	v_dual_mov_b32 v1, 0 :: v_dual_mov_b32 v2, s44
	ds_store_b32 v1, v2 offset:4108
.LBB66_245:
	s_or_b32 exec_lo, exec_lo, s1
	v_mov_b32_e32 v1, 0
	s_waitcnt lgkmcnt(0)
	s_barrier
	buffer_gl0_inv
	s_mov_b32 s4, exec_lo
	ds_load_b32 v1, v1 offset:4108
	s_waitcnt lgkmcnt(0)
	v_min_i32_e32 v1, s44, v1
	s_delay_alu instid0(VALU_DEP_1)
	v_cmpx_lt_i32_e64 v0, v1
	s_cbranch_execz .LBB66_255
; %bb.246:
	v_lshlrev_b32_e32 v2, 16, v29
	s_mov_b32 s5, 0
                                        ; implicit-def: $sgpr6
                                        ; implicit-def: $sgpr9
                                        ; implicit-def: $sgpr8
	s_delay_alu instid0(VALU_DEP_1)
	v_cmp_u_f32_e32 vcc_lo, v2, v2
	s_xor_b32 s7, vcc_lo, -1
	s_set_inst_prefetch_distance 0x1
	s_branch .LBB66_248
	.p2align	6
.LBB66_247:                             ;   in Loop: Header=BB66_248 Depth=1
	s_or_b32 exec_lo, exec_lo, s1
	s_delay_alu instid0(SALU_CYCLE_1) | instskip(NEXT) | instid1(SALU_CYCLE_1)
	s_and_b32 s1, exec_lo, s9
	s_or_b32 s5, s1, s5
	s_and_not1_b32 s1, s6, exec_lo
	s_and_b32 s6, s8, exec_lo
	s_delay_alu instid0(SALU_CYCLE_1)
	s_or_b32 s6, s1, s6
	s_and_not1_b32 exec_lo, exec_lo, s5
	s_cbranch_execz .LBB66_250
.LBB66_248:                             ; =>This Inner Loop Header: Depth=1
	v_ashrrev_i32_e32 v6, 31, v5
	s_or_b32 s8, s8, exec_lo
	s_or_b32 s9, s9, exec_lo
	s_delay_alu instid0(VALU_DEP_1) | instskip(NEXT) | instid1(VALU_DEP_1)
	v_lshlrev_b64 v[3:4], 1, v[5:6]
	v_add_co_u32 v3, vcc_lo, s62, v3
	s_delay_alu instid0(VALU_DEP_2) | instskip(SKIP_3) | instid1(VALU_DEP_1)
	v_add_co_ci_u32_e32 v4, vcc_lo, s63, v4, vcc_lo
	global_load_u16 v3, v[3:4], off
	s_waitcnt vmcnt(0)
	v_lshlrev_b32_e32 v3, 16, v3
	v_cmp_o_f32_e32 vcc_lo, v3, v3
	v_cmp_neq_f32_e64 s1, v3, v2
	v_mov_b32_e32 v3, v0
                                        ; implicit-def: $vgpr0
	s_or_b32 s10, s7, vcc_lo
	s_delay_alu instid0(VALU_DEP_2) | instid1(SALU_CYCLE_1)
	s_and_b32 s10, s1, s10
	s_delay_alu instid0(SALU_CYCLE_1)
	s_and_saveexec_b32 s1, s10
	s_cbranch_execz .LBB66_247
; %bb.249:                              ;   in Loop: Header=BB66_248 Depth=1
	v_add_nc_u32_e32 v0, s64, v3
	s_and_not1_b32 s9, s9, exec_lo
	v_add_nc_u32_e32 v5, s67, v5
	s_and_not1_b32 s8, s8, exec_lo
	s_delay_alu instid0(VALU_DEP_2) | instskip(SKIP_1) | instid1(SALU_CYCLE_1)
	v_cmp_ge_i32_e32 vcc_lo, v0, v1
	s_and_b32 s10, vcc_lo, exec_lo
	s_or_b32 s9, s9, s10
	s_branch .LBB66_247
.LBB66_250:
	s_set_inst_prefetch_distance 0x2
	s_or_b32 exec_lo, exec_lo, s5
	s_and_saveexec_b32 s1, s6
	s_delay_alu instid0(SALU_CYCLE_1)
	s_xor_b32 s1, exec_lo, s1
	s_cbranch_execz .LBB66_255
; %bb.251:
	s_mov_b32 s5, exec_lo
	s_brev_b32 s1, -2
.LBB66_252:                             ; =>This Inner Loop Header: Depth=1
	s_ctz_i32_b32 s6, s5
	s_delay_alu instid0(SALU_CYCLE_1) | instskip(SKIP_1) | instid1(SALU_CYCLE_1)
	v_readlane_b32 s7, v3, s6
	s_lshl_b32 s6, 1, s6
	s_and_not1_b32 s5, s5, s6
	s_delay_alu instid0(VALU_DEP_1)
	s_min_i32 s1, s1, s7
	s_cmp_lg_u32 s5, 0
	s_cbranch_scc1 .LBB66_252
; %bb.253:
	v_mbcnt_lo_u32_b32 v0, exec_lo, 0
	s_mov_b32 s5, exec_lo
	s_delay_alu instid0(VALU_DEP_1)
	v_cmpx_eq_u32_e32 0, v0
	s_xor_b32 s5, exec_lo, s5
	s_cbranch_execz .LBB66_255
; %bb.254:
	v_dual_mov_b32 v0, 0 :: v_dual_mov_b32 v1, s1
	ds_min_i32 v0, v1 offset:4108
.LBB66_255:
	s_or_b32 exec_lo, exec_lo, s4
	s_waitcnt lgkmcnt(0)
	s_barrier
	buffer_gl0_inv
	s_and_saveexec_b32 s1, s0
	s_cbranch_execz .LBB66_257
; %bb.256:
	s_mul_i32 s4, s59, s54
	s_mul_i32 s0, s46, s31
	s_sub_i32 s4, s55, s4
	s_sub_i32 s0, s29, s0
	s_xor_b32 s5, s60, s61
	s_add_i32 s6, s59, 1
	s_sub_i32 s7, s4, s54
	s_cmp_ge_u32 s4, s54
	s_mul_i32 s0, s0, s42
	s_cselect_b32 s6, s6, s59
	s_cselect_b32 s4, s7, s4
	s_add_i32 s7, s6, 1
	s_cmp_ge_u32 s4, s54
	v_mov_b32_e32 v2, 0
	s_cselect_b32 s4, s7, s6
	s_mul_i32 s7, s43, s33
	s_xor_b32 s4, s4, s5
	s_mul_i32 s6, s39, s35
	s_sub_i32 s4, s4, s5
	s_sub_i32 s6, s29, s6
	s_mul_i32 s5, s4, s30
	s_mul_i32 s4, s4, s40
	s_sub_i32 s5, s46, s5
	s_xor_b32 s8, s57, s58
	s_mul_i32 s5, s5, s41
	ds_load_b32 v0, v2 offset:4108
	s_add_i32 s0, s5, s0
	s_sub_i32 s5, s56, s7
	s_add_i32 s4, s0, s4
	s_add_i32 s0, s43, 1
	s_sub_i32 s7, s5, s33
	s_cmp_ge_u32 s5, s33
	s_mul_i32 s6, s6, s38
	s_cselect_b32 s0, s0, s43
	s_cselect_b32 s5, s7, s5
	s_add_i32 s7, s0, 1
	s_cmp_ge_u32 s5, s33
	s_cselect_b32 s0, s7, s0
	s_delay_alu instid0(SALU_CYCLE_1) | instskip(NEXT) | instid1(SALU_CYCLE_1)
	s_xor_b32 s0, s0, s8
	s_sub_i32 s0, s0, s8
	s_delay_alu instid0(SALU_CYCLE_1)
	s_mul_i32 s5, s0, s34
	s_mul_i32 s0, s0, s36
	s_sub_i32 s7, s39, s5
	s_ashr_i32 s5, s4, 31
	s_mul_i32 s7, s7, s37
	s_lshl_b64 s[4:5], s[4:5], 1
	s_add_i32 s6, s7, s6
	s_waitcnt lgkmcnt(0)
	v_ashrrev_i32_e32 v1, 31, v0
	s_add_i32 s6, s6, s0
	s_add_u32 s4, s50, s4
	s_addc_u32 s5, s51, s5
	s_ashr_i32 s7, s6, 31
	s_delay_alu instid0(SALU_CYCLE_1) | instskip(NEXT) | instid1(SALU_CYCLE_1)
	s_lshl_b64 s[6:7], s[6:7], 3
	s_add_u32 s6, s48, s6
	s_addc_u32 s7, s49, s7
	s_clause 0x1
	global_store_b64 v2, v[0:1], s[6:7]
	global_store_b16 v2, v29, s[4:5]
.LBB66_257:
	s_or_b32 exec_lo, exec_lo, s1
.LBB66_258:
	s_or_saveexec_b32 s0, s3
	s_mov_b32 s1, 0
	s_xor_b32 exec_lo, exec_lo, s0
	s_cbranch_execnz .LBB66_266
.LBB66_259:
	s_or_b32 exec_lo, exec_lo, s0
	s_delay_alu instid0(SALU_CYCLE_1)
	s_and_b32 s1, s1, exec_lo
.LBB66_260:
	s_and_not1_saveexec_b32 s0, s2
	s_cbranch_execnz .LBB66_264
; %bb.261:
	s_or_b32 exec_lo, exec_lo, s0
	s_and_saveexec_b32 s0, s1
.LBB66_262:
	; divergent unreachable
.LBB66_263:
	s_nop 0
	s_sendmsg sendmsg(MSG_DEALLOC_VGPRS)
	s_endpgm
.LBB66_264:
	s_cbranch_execnz .LBB66_268
; %bb.265:
	s_or_b32 s1, s1, exec_lo
	s_or_b32 exec_lo, exec_lo, s0
	s_and_saveexec_b32 s0, s1
	s_cbranch_execnz .LBB66_262
	s_branch .LBB66_263
.LBB66_266:
	s_cbranch_execnz .LBB66_270
; %bb.267:
	s_mov_b32 s1, exec_lo
	s_branch .LBB66_259
.LBB66_268:
	s_trap 2
	s_sendmsg_rtn_b32 s0, sendmsg(MSG_RTN_GET_DOORBELL)
	s_mov_b32 ttmp2, m0
	s_waitcnt lgkmcnt(0)
	s_and_b32 s0, s0, 0x3ff
	s_delay_alu instid0(SALU_CYCLE_1) | instskip(NEXT) | instid1(SALU_CYCLE_1)
	s_bitset1_b32 s0, 10
	s_mov_b32 m0, s0
	s_sendmsg sendmsg(MSG_INTERRUPT)
	s_mov_b32 m0, ttmp2
.LBB66_269:                             ; =>This Inner Loop Header: Depth=1
	s_sethalt 5
	s_branch .LBB66_269
.LBB66_270:
	s_trap 2
	s_sendmsg_rtn_b32 s0, sendmsg(MSG_RTN_GET_DOORBELL)
	s_mov_b32 ttmp2, m0
	s_waitcnt lgkmcnt(0)
	s_and_b32 s0, s0, 0x3ff
	s_delay_alu instid0(SALU_CYCLE_1) | instskip(NEXT) | instid1(SALU_CYCLE_1)
	s_bitset1_b32 s0, 10
	s_mov_b32 m0, s0
	s_sendmsg sendmsg(MSG_INTERRUPT)
	s_mov_b32 m0, ttmp2
.LBB66_271:                             ; =>This Inner Loop Header: Depth=1
	s_sethalt 5
	s_branch .LBB66_271
	.section	.rodata,"a",@progbits
	.p2align	6, 0x0
	.amdhsa_kernel _ZN2at6native12_GLOBAL__N_114gatherKthValueIN3c108BFloat16EiLi3EEEvNS_4cuda6detail10TensorInfoIKT_T0_EESA_SA_SA_SA_NS7_IS8_SA_EENS7_IlSA_EE
		.amdhsa_group_segment_fixed_size 4112
		.amdhsa_private_segment_fixed_size 0
		.amdhsa_kernarg_size 920
		.amdhsa_user_sgpr_count 13
		.amdhsa_user_sgpr_dispatch_ptr 0
		.amdhsa_user_sgpr_queue_ptr 0
		.amdhsa_user_sgpr_kernarg_segment_ptr 1
		.amdhsa_user_sgpr_dispatch_id 0
		.amdhsa_user_sgpr_private_segment_size 0
		.amdhsa_wavefront_size32 1
		.amdhsa_uses_dynamic_stack 0
		.amdhsa_enable_private_segment 0
		.amdhsa_system_sgpr_workgroup_id_x 1
		.amdhsa_system_sgpr_workgroup_id_y 1
		.amdhsa_system_sgpr_workgroup_id_z 1
		.amdhsa_system_sgpr_workgroup_info 0
		.amdhsa_system_vgpr_workitem_id 0
		.amdhsa_next_free_vgpr 40
		.amdhsa_next_free_sgpr 103
		.amdhsa_reserve_vcc 1
		.amdhsa_float_round_mode_32 0
		.amdhsa_float_round_mode_16_64 0
		.amdhsa_float_denorm_mode_32 3
		.amdhsa_float_denorm_mode_16_64 3
		.amdhsa_dx10_clamp 1
		.amdhsa_ieee_mode 1
		.amdhsa_fp16_overflow 0
		.amdhsa_workgroup_processor_mode 1
		.amdhsa_memory_ordered 1
		.amdhsa_forward_progress 0
		.amdhsa_shared_vgpr_count 0
		.amdhsa_exception_fp_ieee_invalid_op 0
		.amdhsa_exception_fp_denorm_src 0
		.amdhsa_exception_fp_ieee_div_zero 0
		.amdhsa_exception_fp_ieee_overflow 0
		.amdhsa_exception_fp_ieee_underflow 0
		.amdhsa_exception_fp_ieee_inexact 0
		.amdhsa_exception_int_div_zero 0
	.end_amdhsa_kernel
	.section	.text._ZN2at6native12_GLOBAL__N_114gatherKthValueIN3c108BFloat16EiLi3EEEvNS_4cuda6detail10TensorInfoIKT_T0_EESA_SA_SA_SA_NS7_IS8_SA_EENS7_IlSA_EE,"axG",@progbits,_ZN2at6native12_GLOBAL__N_114gatherKthValueIN3c108BFloat16EiLi3EEEvNS_4cuda6detail10TensorInfoIKT_T0_EESA_SA_SA_SA_NS7_IS8_SA_EENS7_IlSA_EE,comdat
.Lfunc_end66:
	.size	_ZN2at6native12_GLOBAL__N_114gatherKthValueIN3c108BFloat16EiLi3EEEvNS_4cuda6detail10TensorInfoIKT_T0_EESA_SA_SA_SA_NS7_IS8_SA_EENS7_IlSA_EE, .Lfunc_end66-_ZN2at6native12_GLOBAL__N_114gatherKthValueIN3c108BFloat16EiLi3EEEvNS_4cuda6detail10TensorInfoIKT_T0_EESA_SA_SA_SA_NS7_IS8_SA_EENS7_IlSA_EE
                                        ; -- End function
	.section	.AMDGPU.csdata,"",@progbits
; Kernel info:
; codeLenInByte = 11524
; NumSgprs: 105
; NumVgprs: 40
; ScratchSize: 0
; MemoryBound: 0
; FloatMode: 240
; IeeeMode: 1
; LDSByteSize: 4112 bytes/workgroup (compile time only)
; SGPRBlocks: 13
; VGPRBlocks: 4
; NumSGPRsForWavesPerEU: 105
; NumVGPRsForWavesPerEU: 40
; Occupancy: 16
; WaveLimiterHint : 1
; COMPUTE_PGM_RSRC2:SCRATCH_EN: 0
; COMPUTE_PGM_RSRC2:USER_SGPR: 13
; COMPUTE_PGM_RSRC2:TRAP_HANDLER: 0
; COMPUTE_PGM_RSRC2:TGID_X_EN: 1
; COMPUTE_PGM_RSRC2:TGID_Y_EN: 1
; COMPUTE_PGM_RSRC2:TGID_Z_EN: 1
; COMPUTE_PGM_RSRC2:TIDIG_COMP_CNT: 0
	.section	.text._ZN2at6native12_GLOBAL__N_114gatherKthValueIN3c108BFloat16EiLin1EEEvNS_4cuda6detail10TensorInfoIKT_T0_EESA_SA_SA_SA_NS7_IS8_SA_EENS7_IlSA_EE,"axG",@progbits,_ZN2at6native12_GLOBAL__N_114gatherKthValueIN3c108BFloat16EiLin1EEEvNS_4cuda6detail10TensorInfoIKT_T0_EESA_SA_SA_SA_NS7_IS8_SA_EENS7_IlSA_EE,comdat
	.globl	_ZN2at6native12_GLOBAL__N_114gatherKthValueIN3c108BFloat16EiLin1EEEvNS_4cuda6detail10TensorInfoIKT_T0_EESA_SA_SA_SA_NS7_IS8_SA_EENS7_IlSA_EE ; -- Begin function _ZN2at6native12_GLOBAL__N_114gatherKthValueIN3c108BFloat16EiLin1EEEvNS_4cuda6detail10TensorInfoIKT_T0_EESA_SA_SA_SA_NS7_IS8_SA_EENS7_IlSA_EE
	.p2align	8
	.type	_ZN2at6native12_GLOBAL__N_114gatherKthValueIN3c108BFloat16EiLin1EEEvNS_4cuda6detail10TensorInfoIKT_T0_EESA_SA_SA_SA_NS7_IS8_SA_EENS7_IlSA_EE,@function
_ZN2at6native12_GLOBAL__N_114gatherKthValueIN3c108BFloat16EiLin1EEEvNS_4cuda6detail10TensorInfoIKT_T0_EESA_SA_SA_SA_NS7_IS8_SA_EENS7_IlSA_EE: ; @_ZN2at6native12_GLOBAL__N_114gatherKthValueIN3c108BFloat16EiLin1EEEvNS_4cuda6detail10TensorInfoIKT_T0_EESA_SA_SA_SA_NS7_IS8_SA_EENS7_IlSA_EE
; %bb.0:
	s_clause 0x1
	s_load_b64 s[6:7], s[0:1], 0x298
	s_load_b128 s[36:39], s[0:1], 0xd8
	s_add_u32 s4, s0, 0x298
	s_addc_u32 s5, s1, 0
	s_waitcnt lgkmcnt(0)
	s_mul_i32 s2, s7, s15
	s_delay_alu instid0(SALU_CYCLE_1) | instskip(NEXT) | instid1(SALU_CYCLE_1)
	s_add_i32 s2, s2, s14
	s_mul_i32 s2, s2, s6
	s_delay_alu instid0(SALU_CYCLE_1) | instskip(NEXT) | instid1(SALU_CYCLE_1)
	s_add_i32 s33, s2, s13
	s_cmp_ge_i32 s33, s38
	s_cbranch_scc1 .LBB67_272
; %bb.1:
	s_load_b32 s8, s[0:1], 0xd0
	s_mov_b32 s3, 0
	s_mov_b32 s7, s33
	s_waitcnt lgkmcnt(0)
	s_cmp_lt_i32 s8, 2
	s_cbranch_scc1 .LBB67_4
; %bb.2:
	s_add_i32 s2, s8, -1
	s_delay_alu instid0(SALU_CYCLE_1)
	s_lshl_b64 s[10:11], s[2:3], 2
	s_add_i32 s2, s8, 1
	s_add_u32 s7, s10, s0
	s_addc_u32 s9, s11, s1
	s_add_u32 s8, s7, 8
	s_addc_u32 s9, s9, 0
	s_mov_b32 s7, s33
	s_set_inst_prefetch_distance 0x1
	.p2align	6
.LBB67_3:                               ; =>This Inner Loop Header: Depth=1
	s_clause 0x1
	s_load_b32 s10, s[8:9], 0x0
	s_load_b32 s11, s[8:9], 0x64
	s_mov_b32 s16, s7
	s_waitcnt lgkmcnt(0)
	s_abs_i32 s12, s10
	s_delay_alu instid0(SALU_CYCLE_1)
	v_cvt_f32_u32_e32 v1, s12
	s_sub_i32 s15, 0, s12
	s_waitcnt_depctr 0xfff
	v_rcp_iflag_f32_e32 v1, v1
	s_waitcnt_depctr 0xfff
	v_mul_f32_e32 v1, 0x4f7ffffe, v1
	s_delay_alu instid0(VALU_DEP_1) | instskip(NEXT) | instid1(VALU_DEP_1)
	v_cvt_u32_f32_e32 v1, v1
	v_readfirstlane_b32 s14, v1
	s_delay_alu instid0(VALU_DEP_1) | instskip(NEXT) | instid1(SALU_CYCLE_1)
	s_mul_i32 s15, s15, s14
	s_mul_hi_u32 s7, s14, s15
	s_abs_i32 s15, s16
	s_add_i32 s14, s14, s7
	s_delay_alu instid0(SALU_CYCLE_1)
	s_mul_hi_u32 s7, s15, s14
	s_xor_b32 s14, s16, s10
	s_mul_i32 s17, s7, s12
	s_ashr_i32 s14, s14, 31
	s_sub_i32 s15, s15, s17
	s_add_i32 s17, s7, 1
	s_sub_i32 s18, s15, s12
	s_cmp_ge_u32 s15, s12
	s_cselect_b32 s7, s17, s7
	s_cselect_b32 s15, s18, s15
	s_add_i32 s17, s7, 1
	s_cmp_ge_u32 s15, s12
	s_cselect_b32 s7, s17, s7
	s_add_i32 s2, s2, -1
	s_xor_b32 s7, s7, s14
	s_delay_alu instid0(SALU_CYCLE_1) | instskip(NEXT) | instid1(SALU_CYCLE_1)
	s_sub_i32 s7, s7, s14
	s_mul_i32 s10, s7, s10
	s_delay_alu instid0(SALU_CYCLE_1) | instskip(NEXT) | instid1(SALU_CYCLE_1)
	s_sub_i32 s10, s16, s10
	s_mul_i32 s10, s11, s10
	s_delay_alu instid0(SALU_CYCLE_1)
	s_add_i32 s3, s10, s3
	s_add_u32 s8, s8, -4
	s_addc_u32 s9, s9, -1
	s_cmp_gt_u32 s2, 2
	s_cbranch_scc1 .LBB67_3
.LBB67_4:
	s_set_inst_prefetch_distance 0x2
	s_load_b32 s2, s[0:1], 0x1b8
	s_add_u32 s8, s0, 0xe8
	s_addc_u32 s9, s1, 0
	s_mov_b32 s29, 0
	s_mov_b32 s38, s33
	s_waitcnt lgkmcnt(0)
	s_cmp_lt_i32 s2, 2
	s_cbranch_scc1 .LBB67_7
; %bb.5:
	s_add_i32 s28, s2, -1
	s_add_i32 s2, s2, 1
	s_lshl_b64 s[10:11], s[28:29], 2
	s_mov_b32 s38, s33
	s_add_u32 s10, s10, s8
	s_addc_u32 s11, s11, s9
	s_add_u32 s10, s10, 8
	s_addc_u32 s11, s11, 0
	s_set_inst_prefetch_distance 0x1
	.p2align	6
.LBB67_6:                               ; =>This Inner Loop Header: Depth=1
	s_clause 0x1
	s_load_b32 s12, s[10:11], 0x0
	s_load_b32 s14, s[10:11], 0x64
	s_abs_i32 s19, s38
	s_mov_b32 s18, s38
	s_waitcnt lgkmcnt(0)
	s_abs_i32 s15, s12
	s_delay_alu instid0(SALU_CYCLE_1)
	v_cvt_f32_u32_e32 v1, s15
	s_sub_i32 s17, 0, s15
	s_waitcnt_depctr 0xfff
	v_rcp_iflag_f32_e32 v1, v1
	s_waitcnt_depctr 0xfff
	v_mul_f32_e32 v1, 0x4f7ffffe, v1
	s_delay_alu instid0(VALU_DEP_1) | instskip(NEXT) | instid1(VALU_DEP_1)
	v_cvt_u32_f32_e32 v1, v1
	v_readfirstlane_b32 s16, v1
	s_delay_alu instid0(VALU_DEP_1) | instskip(NEXT) | instid1(SALU_CYCLE_1)
	s_mul_i32 s17, s17, s16
	s_mul_hi_u32 s17, s16, s17
	s_delay_alu instid0(SALU_CYCLE_1) | instskip(SKIP_4) | instid1(SALU_CYCLE_1)
	s_add_i32 s16, s16, s17
	s_xor_b32 s17, s38, s12
	s_mul_hi_u32 s16, s19, s16
	s_ashr_i32 s17, s17, 31
	s_mul_i32 s20, s16, s15
	s_sub_i32 s19, s19, s20
	s_add_i32 s20, s16, 1
	s_sub_i32 s21, s19, s15
	s_cmp_ge_u32 s19, s15
	s_cselect_b32 s16, s20, s16
	s_cselect_b32 s19, s21, s19
	s_add_i32 s20, s16, 1
	s_cmp_ge_u32 s19, s15
	s_cselect_b32 s15, s20, s16
	s_add_i32 s2, s2, -1
	s_xor_b32 s15, s15, s17
	s_delay_alu instid0(SALU_CYCLE_1) | instskip(NEXT) | instid1(SALU_CYCLE_1)
	s_sub_i32 s38, s15, s17
	s_mul_i32 s12, s38, s12
	s_delay_alu instid0(SALU_CYCLE_1) | instskip(NEXT) | instid1(SALU_CYCLE_1)
	s_sub_i32 s12, s18, s12
	s_mul_i32 s12, s14, s12
	s_delay_alu instid0(SALU_CYCLE_1)
	s_add_i32 s29, s12, s29
	s_add_u32 s10, s10, -4
	s_addc_u32 s11, s11, -1
	s_cmp_gt_u32 s2, 2
	s_cbranch_scc1 .LBB67_6
.LBB67_7:
	s_set_inst_prefetch_distance 0x2
	s_clause 0x1
	s_load_b32 s12, s[0:1], 0x6c
	s_load_b32 s2, s[0:1], 0x290
	s_add_u32 s10, s0, 0x1c0
	s_addc_u32 s11, s1, 0
	s_mov_b32 s31, 0
	s_waitcnt lgkmcnt(0)
	s_cmp_lt_i32 s2, 2
	s_cbranch_scc1 .LBB67_10
; %bb.8:
	s_add_i32 s30, s2, -1
	s_add_i32 s2, s2, 1
	s_lshl_b64 s[14:15], s[30:31], 2
	s_delay_alu instid0(SALU_CYCLE_1)
	s_add_u32 s10, s14, s10
	s_addc_u32 s11, s15, s11
	s_add_u32 s10, s10, 8
	s_addc_u32 s11, s11, 0
	s_set_inst_prefetch_distance 0x1
	.p2align	6
.LBB67_9:                               ; =>This Inner Loop Header: Depth=1
	s_clause 0x1
	s_load_b32 s14, s[10:11], 0x0
	s_load_b32 s15, s[10:11], 0x64
	s_abs_i32 s20, s33
	s_mov_b32 s19, s33
	s_waitcnt lgkmcnt(0)
	s_abs_i32 s16, s14
	s_delay_alu instid0(SALU_CYCLE_1)
	v_cvt_f32_u32_e32 v1, s16
	s_sub_i32 s18, 0, s16
	s_waitcnt_depctr 0xfff
	v_rcp_iflag_f32_e32 v1, v1
	s_waitcnt_depctr 0xfff
	v_mul_f32_e32 v1, 0x4f7ffffe, v1
	s_delay_alu instid0(VALU_DEP_1) | instskip(NEXT) | instid1(VALU_DEP_1)
	v_cvt_u32_f32_e32 v1, v1
	v_readfirstlane_b32 s17, v1
	s_delay_alu instid0(VALU_DEP_1) | instskip(NEXT) | instid1(SALU_CYCLE_1)
	s_mul_i32 s18, s18, s17
	s_mul_hi_u32 s18, s17, s18
	s_delay_alu instid0(SALU_CYCLE_1) | instskip(SKIP_4) | instid1(SALU_CYCLE_1)
	s_add_i32 s17, s17, s18
	s_xor_b32 s18, s33, s14
	s_mul_hi_u32 s17, s20, s17
	s_ashr_i32 s18, s18, 31
	s_mul_i32 s21, s17, s16
	s_sub_i32 s20, s20, s21
	s_add_i32 s21, s17, 1
	s_sub_i32 s22, s20, s16
	s_cmp_ge_u32 s20, s16
	s_cselect_b32 s17, s21, s17
	s_cselect_b32 s20, s22, s20
	s_add_i32 s21, s17, 1
	s_cmp_ge_u32 s20, s16
	s_cselect_b32 s16, s21, s17
	s_add_i32 s2, s2, -1
	s_xor_b32 s16, s16, s18
	s_delay_alu instid0(SALU_CYCLE_1) | instskip(NEXT) | instid1(SALU_CYCLE_1)
	s_sub_i32 s33, s16, s18
	s_mul_i32 s14, s33, s14
	s_delay_alu instid0(SALU_CYCLE_1) | instskip(NEXT) | instid1(SALU_CYCLE_1)
	s_sub_i32 s14, s19, s14
	s_mul_i32 s14, s15, s14
	s_delay_alu instid0(SALU_CYCLE_1)
	s_add_i32 s31, s14, s31
	s_add_u32 s10, s10, -4
	s_addc_u32 s11, s11, -1
	s_cmp_gt_u32 s2, 2
	s_cbranch_scc1 .LBB67_9
.LBB67_10:
	s_set_inst_prefetch_distance 0x2
	s_clause 0x3
	s_load_b32 s30, s[8:9], 0x6c
	s_load_b64 s[8:9], s[0:1], 0x0
	s_load_b64 s[40:41], s[0:1], 0xe8
	;; [unrolled: 1-line block ×3, first 2 shown]
	v_cmp_eq_u32_e64 s2, 0, v0
	s_mov_b32 s48, 0
	s_delay_alu instid0(VALU_DEP_1)
	s_and_saveexec_b32 s10, s2
	s_cbranch_execz .LBB67_12
; %bb.11:
	v_dual_mov_b32 v1, 0 :: v_dual_mov_b32 v2, s36
	s_delay_alu instid0(VALU_DEP_1)
	v_mov_b32_e32 v3, v1
	ds_store_b96 v1, v[1:3] offset:4096
.LBB67_12:
	s_or_b32 exec_lo, exec_lo, s10
	s_waitcnt lgkmcnt(0)
	s_barrier
	buffer_gl0_inv
	s_load_b32 s14, s[4:5], 0xc
	s_load_b32 s44, s[0:1], 0x22c
	s_mul_i32 s0, s12, s7
	v_mbcnt_lo_u32_b32 v15, -1, 0
	s_add_i32 s0, s0, s3
	v_cmp_gt_u32_e32 vcc_lo, 32, v0
	s_ashr_i32 s1, s0, 31
	v_mul_lo_u32 v5, v0, s39
	s_lshl_b64 s[10:11], s[0:1], 1
	v_cmp_gt_i32_e64 s1, 4, v15
	s_add_u32 s45, s8, s10
	s_addc_u32 s46, s9, s11
	v_mov_b32_e32 v7, 0
	v_lshrrev_b32_e32 v3, 3, v0
	s_and_b32 s50, vcc_lo, s1
	v_lshlrev_b32_e32 v17, 1, v0
	s_mov_b32 s10, s39
	v_mov_b32_e32 v6, v7
	v_dual_mov_b32 v29, 0 :: v_dual_and_b32 v20, 0x7c, v3
	s_waitcnt lgkmcnt(0)
	s_and_b32 s47, s14, 0xffff
	s_bfe_u32 s1, s14, 0xb0005
	s_lshl_b32 s49, s47, 2
	s_add_i32 s52, s47, -1
	v_cvt_f32_u32_e32 v1, s49
	s_add_i32 s62, s52, s36
	s_cmpk_gt_i32 s36, 0x600
	v_cvt_f32_u32_e32 v2, s47
	s_cselect_b32 s53, -1, 0
	v_rcp_iflag_f32_e32 v1, v1
	s_cmp_gt_u32 s47, 31
	v_lshlrev_b32_e32 v16, 2, v0
	s_cselect_b32 s54, -1, 0
	s_cmp_lt_u32 s13, s6
	v_rcp_iflag_f32_e32 v2, v2
	s_cselect_b32 s3, 12, 18
	v_lshlrev_b64 v[8:9], 1, v[5:6]
	s_add_u32 s42, s4, s3
	s_addc_u32 s43, s5, 0
	s_waitcnt_depctr 0xfff
	v_mul_f32_e32 v1, 0x4f7ffffe, v1
	s_add_i32 s3, s1, -1
	s_bfe_u32 s55, s47, 0x30005
	s_cmp_gt_u32 s3, 6
	v_add_co_u32 v8, vcc_lo, s45, v8
	v_cvt_u32_f32_e32 v1, v1
	s_cselect_b32 s56, -1, 0
	s_and_b32 s57, s1, 0x7f8
	s_cmp_lg_u32 s55, 0
	v_lshlrev_b32_e32 v24, 2, v5
	v_readfirstlane_b32 s4, v1
	s_cselect_b32 s58, -1, 0
	s_sub_i32 s3, 0, s49
	v_mul_f32_e32 v1, 0x4f7ffffe, v2
	v_add_co_ci_u32_e32 v9, vcc_lo, s46, v9, vcc_lo
	s_mul_i32 s5, s3, s4
	v_mad_u64_u32 v[12:13], null, s39, v16, s[10:11]
	s_mul_hi_u32 s5, s4, s5
	v_cvt_u32_f32_e32 v1, v1
	s_add_i32 s59, s4, s5
	v_cmp_gt_u32_e64 s0, 2, v0
	s_mul_hi_u32 s5, s36, s59
	v_cmp_gt_u32_e64 s1, s36, v0
	s_mul_i32 s5, s5, s49
	v_cmp_gt_i32_e64 s3, s36, v0
	s_sub_i32 s5, s36, s5
	v_cmp_eq_u32_e64 s4, 0, v15
	s_sub_i32 s6, s5, s49
	s_cmp_ge_u32 s5, s49
	v_add_nc_u32_e32 v18, 0xc00, v17
	s_cselect_b32 s5, s6, s5
	v_readfirstlane_b32 s6, v1
	s_sub_i32 s7, s5, s49
	s_cmp_ge_u32 s5, s49
	v_lshlrev_b64 v[1:2], v15, -1
	s_cselect_b32 s9, s7, s5
	v_mov_b32_e32 v28, 0x8000
	s_sub_i32 s60, s36, s9
	s_sub_i32 s5, 0, s47
	v_add_nc_u32_e32 v19, s60, v0
	s_mul_i32 s5, s5, s6
	s_abs_i32 s7, s62
	s_mul_hi_u32 s5, s6, s5
	v_not_b32_e32 v21, v1
	v_mul_lo_u32 v2, v19, s39
	s_add_i32 s61, s6, s5
	v_lshlrev_b32_e32 v26, 3, v0
	s_mul_hi_u32 s5, s7, s61
	v_lshl_or_b32 v27, v15, 2, 0xc00
	s_mul_i32 s5, s5, s47
	s_mul_i32 s51, s39, s47
	s_sub_i32 s5, s7, s5
	v_ashrrev_i32_e32 v3, 31, v2
	s_ashr_i32 s7, s62, 31
	s_sub_i32 s6, s5, s47
	s_cmp_ge_u32 s5, s47
	s_mov_b32 s70, 14
	v_lshlrev_b64 v[1:2], 1, v[2:3]
	s_cselect_b32 s5, s6, s5
	v_or_b32_e32 v3, 3, v16
	s_sub_i32 s6, s5, s47
	s_cmp_ge_u32 s5, s47
	s_movk_i32 s66, 0x3f80
	v_add_co_u32 v10, vcc_lo, s45, v1
	v_add3_u32 v1, s47, s36, v0
	s_cselect_b32 s6, s6, s5
	v_add_co_ci_u32_e32 v11, vcc_lo, s46, v2, vcc_lo
	v_or_b32_e32 v2, 2, v16
	s_delay_alu instid0(VALU_DEP_3)
	v_subrev_nc_u32_e32 v1, s9, v1
	s_xor_b32 s8, s6, s7
	v_mul_lo_u32 v23, s39, v3
	s_sub_i32 s7, s7, s8
	v_mul_lo_u32 v22, s39, v2
	v_mul_lo_u32 v25, s39, v1
	s_add_i32 s62, s62, s7
	v_cmp_gt_i32_e64 s5, s60, v16
	v_cmp_gt_u32_e64 s6, s36, v19
	v_cmp_gt_i32_e64 s7, s36, v19
	v_cmp_gt_i32_e64 s8, s62, v0
	s_lshl_b32 s63, s51, 2
	s_lshl_b32 s64, s47, 3
	;; [unrolled: 1-line block ×3, first 2 shown]
	s_mov_b32 s73, 0
	s_mov_b32 s75, 0
	;; [unrolled: 1-line block ×3, first 2 shown]
                                        ; implicit-def: $sgpr67
                                        ; implicit-def: $sgpr69
                                        ; implicit-def: $sgpr68
                                        ; implicit-def: $sgpr72
                                        ; implicit-def: $sgpr74
                                        ; implicit-def: $sgpr71
	s_branch .LBB67_17
.LBB67_13:                              ;   in Loop: Header=BB67_17 Depth=1
	s_xor_b32 s73, s73, 1
	s_add_i32 s13, s70, -2
	s_cmp_eq_u32 s70, 0
	s_mov_b32 s9, 0
	s_cselect_b32 s11, -1, 0
	s_mov_b32 s70, s13
.LBB67_14:                              ;   in Loop: Header=BB67_17 Depth=1
	s_and_not1_b32 s13, s15, exec_lo
	s_and_b32 s9, s9, exec_lo
	s_and_not1_b32 s19, s19, exec_lo
	s_or_b32 s15, s13, s9
	s_and_not1_b32 s14, s14, exec_lo
	s_or_not1_b32 s13, s11, exec_lo
	s_mov_b32 s37, s22
.LBB67_15:                              ;   in Loop: Header=BB67_17 Depth=1
	s_or_b32 exec_lo, exec_lo, s10
	s_delay_alu instid0(SALU_CYCLE_1)
	s_and_not1_b32 s9, s71, exec_lo
	s_and_b32 s10, s15, exec_lo
	s_and_not1_b32 s11, s72, exec_lo
	s_or_b32 s71, s9, s10
	s_and_not1_b32 s9, s74, exec_lo
	s_and_b32 s10, s19, exec_lo
	s_and_b32 s14, s14, exec_lo
	s_or_b32 s74, s9, s10
	s_or_b32 s72, s11, s14
	s_or_not1_b32 s14, s13, exec_lo
.LBB67_16:                              ;   in Loop: Header=BB67_17 Depth=1
	s_or_b32 exec_lo, exec_lo, s12
	s_delay_alu instid0(SALU_CYCLE_1)
	s_and_b32 s9, exec_lo, s14
	v_mov_b32_e32 v1, s75
	s_or_b32 s48, s9, s48
	s_and_not1_b32 s9, s68, exec_lo
	s_and_b32 s10, s71, exec_lo
	s_and_not1_b32 s11, s67, exec_lo
	s_or_b32 s68, s9, s10
	s_and_not1_b32 s9, s69, exec_lo
	s_and_b32 s10, s74, exec_lo
	s_and_b32 s12, s72, exec_lo
	s_or_b32 s69, s9, s10
	s_or_b32 s67, s11, s12
	s_and_not1_b32 exec_lo, exec_lo, s48
	s_cbranch_execz .LBB67_248
.LBB67_17:                              ; =>This Loop Header: Depth=1
                                        ;     Child Loop BB67_22 Depth 2
                                        ;     Child Loop BB67_41 Depth 2
	;; [unrolled: 1-line block ×16, first 2 shown]
	ds_load_b64 v[1:2], v7 offset:4096
	s_waitcnt lgkmcnt(0)
	v_readfirstlane_b32 s77, v1
	s_delay_alu instid0(VALU_DEP_1)
	s_cmp_gt_i32 s77, 0
	s_cbranch_scc1 .LBB67_48
; %bb.18:                               ;   in Loop: Header=BB67_17 Depth=1
	s_and_b32 vcc_lo, exec_lo, s53
	s_cbranch_vccz .LBB67_30
; %bb.19:                               ;   in Loop: Header=BB67_17 Depth=1
	v_cmp_gt_i32_e32 vcc_lo, 0x601, v2
	s_mov_b32 s10, 0
	s_mov_b32 s9, 0
	s_cbranch_vccz .LBB67_35
; %bb.20:                               ;   in Loop: Header=BB67_17 Depth=1
	global_load_u16 v1, v7, s[42:43]
	global_load_u16 v4, v[8:9], off
	v_mov_b32_e32 v3, v0
	s_mov_b32 s11, 0
	s_waitcnt vmcnt(1)
	v_add_nc_u32_e32 v2, v0, v1
	s_delay_alu instid0(VALU_DEP_1)
	v_mul_lo_u32 v6, s39, v2
	v_mul_lo_u32 v2, s39, v1
	s_branch .LBB67_22
.LBB67_21:                              ;   in Loop: Header=BB67_22 Depth=2
	s_or_b32 exec_lo, exec_lo, s9
	v_cmp_le_i32_e32 vcc_lo, s36, v3
	v_add_nc_u32_e32 v6, v6, v2
	v_mov_b32_e32 v4, v13
	s_or_b32 s11, vcc_lo, s11
	s_delay_alu instid0(SALU_CYCLE_1)
	s_and_not1_b32 exec_lo, exec_lo, s11
	s_cbranch_execz .LBB67_31
.LBB67_22:                              ;   Parent Loop BB67_17 Depth=1
                                        ; =>  This Inner Loop Header: Depth=2
	s_waitcnt lgkmcnt(0)
	v_dual_mov_b32 v14, 0 :: v_dual_add_nc_u32 v3, v3, v1
	v_mov_b32_e32 v13, 0
	s_mov_b32 s9, exec_lo
	s_delay_alu instid0(VALU_DEP_2)
	v_cmpx_gt_u32_e64 s36, v3
	s_cbranch_execz .LBB67_24
; %bb.23:                               ;   in Loop: Header=BB67_22 Depth=2
	v_lshlrev_b64 v[30:31], 1, v[6:7]
	s_delay_alu instid0(VALU_DEP_1) | instskip(NEXT) | instid1(VALU_DEP_2)
	v_add_co_u32 v30, vcc_lo, s45, v30
	v_add_co_ci_u32_e32 v31, vcc_lo, s46, v31, vcc_lo
	global_load_u16 v13, v[30:31], off
.LBB67_24:                              ;   in Loop: Header=BB67_22 Depth=2
	s_or_b32 exec_lo, exec_lo, s9
	s_waitcnt vmcnt(0)
	v_cmp_lt_i16_e32 vcc_lo, -1, v4
	v_and_b32_e32 v30, 0xffff, v4
	v_lshlrev_b32_e32 v32, 16, v4
	v_cndmask_b32_e32 v31, 0xffff, v28, vcc_lo
	s_delay_alu instid0(VALU_DEP_2) | instskip(NEXT) | instid1(VALU_DEP_2)
	v_cmp_o_f32_e32 vcc_lo, v32, v32
	v_xor_b32_e32 v30, v31, v30
	s_delay_alu instid0(VALU_DEP_1) | instskip(NEXT) | instid1(VALU_DEP_1)
	v_cndmask_b32_e32 v30, 0xffff, v30, vcc_lo
	v_and_b32_e32 v30, s76, v30
	s_delay_alu instid0(VALU_DEP_1) | instskip(SKIP_2) | instid1(SALU_CYCLE_1)
	v_cmp_eq_u32_e32 vcc_lo, s75, v30
	s_cmp_lg_u32 vcc_lo, 0
	s_cselect_b32 s9, -1, 0
	s_and_b32 s9, s4, s9
	s_delay_alu instid0(SALU_CYCLE_1)
	s_and_saveexec_b32 s12, s9
	s_cbranch_execz .LBB67_28
; %bb.25:                               ;   in Loop: Header=BB67_22 Depth=2
	s_mov_b32 s15, exec_lo
	s_bcnt1_i32_b32 s13, vcc_lo
	v_mbcnt_lo_u32_b32 v14, s15, 0
	s_mov_b32 s14, exec_lo
                                        ; implicit-def: $vgpr30
	s_delay_alu instid0(VALU_DEP_1)
	v_cmpx_eq_u32_e32 0, v14
	s_cbranch_execz .LBB67_27
; %bb.26:                               ;   in Loop: Header=BB67_22 Depth=2
	s_bcnt1_i32_b32 s9, s15
	s_delay_alu instid0(SALU_CYCLE_1) | instskip(NEXT) | instid1(SALU_CYCLE_1)
	s_mul_i32 s9, s13, s9
	v_mov_b32_e32 v30, s9
	ds_add_rtn_u32 v30, v7, v30 offset:4104
.LBB67_27:                              ;   in Loop: Header=BB67_22 Depth=2
	s_or_b32 exec_lo, exec_lo, s14
	s_waitcnt lgkmcnt(0)
	v_readfirstlane_b32 s9, v30
	s_delay_alu instid0(VALU_DEP_1)
	v_mad_u32_u24 v14, s13, v14, s9
.LBB67_28:                              ;   in Loop: Header=BB67_22 Depth=2
	s_or_b32 exec_lo, exec_lo, s12
	ds_bpermute_b32 v14, v7, v14
	s_and_saveexec_b32 s9, vcc_lo
	s_cbranch_execz .LBB67_21
; %bb.29:                               ;   in Loop: Header=BB67_22 Depth=2
	v_and_b32_e32 v30, vcc_lo, v21
	s_delay_alu instid0(VALU_DEP_1) | instskip(NEXT) | instid1(VALU_DEP_1)
	v_bcnt_u32_b32 v30, v30, 0
	v_lshlrev_b32_e32 v30, 1, v30
	s_waitcnt lgkmcnt(0)
	s_delay_alu instid0(VALU_DEP_1)
	v_lshl_add_u32 v14, v14, 1, v30
	ds_store_b16 v14, v4
	s_branch .LBB67_21
.LBB67_30:                              ;   in Loop: Header=BB67_17 Depth=1
	s_mov_b32 s10, -1
	s_mov_b32 s9, 0
	s_branch .LBB67_34
.LBB67_31:                              ;   in Loop: Header=BB67_17 Depth=1
	s_or_b32 exec_lo, exec_lo, s11
	s_waitcnt lgkmcnt(0)
	s_barrier
	buffer_gl0_inv
	s_and_saveexec_b32 s9, s2
	s_cbranch_execz .LBB67_33
; %bb.32:                               ;   in Loop: Header=BB67_17 Depth=1
	ds_load_b32 v1, v7 offset:4104
	s_waitcnt lgkmcnt(0)
	ds_store_b32 v7, v1 offset:4096
.LBB67_33:                              ;   in Loop: Header=BB67_17 Depth=1
	s_or_b32 exec_lo, exec_lo, s9
	s_waitcnt lgkmcnt(0)
	s_mov_b32 s9, -1
	s_barrier
.LBB67_34:                              ;   in Loop: Header=BB67_17 Depth=1
                                        ; implicit-def: $sgpr77
.LBB67_35:                              ;   in Loop: Header=BB67_17 Depth=1
	s_and_b32 vcc_lo, exec_lo, s10
	s_cbranch_vccz .LBB67_46
; %bb.36:                               ;   in Loop: Header=BB67_17 Depth=1
	v_mov_b32_e32 v1, 0
	s_and_saveexec_b32 s9, s1
	s_cbranch_execz .LBB67_38
; %bb.37:                               ;   in Loop: Header=BB67_17 Depth=1
	global_load_u16 v1, v[8:9], off
.LBB67_38:                              ;   in Loop: Header=BB67_17 Depth=1
	s_or_b32 exec_lo, exec_lo, s9
	s_and_saveexec_b32 s9, s3
	s_cbranch_execz .LBB67_43
; %bb.39:                               ;   in Loop: Header=BB67_17 Depth=1
	global_load_u16 v2, v7, s[42:43]
	v_mov_b32_e32 v14, v0
	s_mov_b32 s10, 0
	v_mov_b32_e32 v13, v17
	s_waitcnt vmcnt(0)
	v_add_nc_u32_e32 v3, v0, v2
	v_lshlrev_b32_e32 v4, 1, v2
	s_delay_alu instid0(VALU_DEP_2)
	v_mul_lo_u32 v6, s39, v3
	v_mul_lo_u32 v3, s39, v2
	s_branch .LBB67_41
	.p2align	6
.LBB67_40:                              ;   in Loop: Header=BB67_41 Depth=2
	s_or_b32 exec_lo, exec_lo, s11
	v_cmp_le_i32_e32 vcc_lo, s36, v14
	ds_store_b16 v13, v1
	v_add_nc_u32_e32 v13, v13, v4
	v_add_nc_u32_e32 v6, v6, v3
	s_waitcnt vmcnt(0)
	v_mov_b32_e32 v1, v30
	s_or_b32 s10, vcc_lo, s10
	s_delay_alu instid0(SALU_CYCLE_1)
	s_and_not1_b32 exec_lo, exec_lo, s10
	s_cbranch_execz .LBB67_43
.LBB67_41:                              ;   Parent Loop BB67_17 Depth=1
                                        ; =>  This Inner Loop Header: Depth=2
	v_add_nc_u32_e32 v14, v14, v2
	v_mov_b32_e32 v30, 0
	s_mov_b32 s11, exec_lo
	s_delay_alu instid0(VALU_DEP_2)
	v_cmpx_gt_u32_e64 s36, v14
	s_cbranch_execz .LBB67_40
; %bb.42:                               ;   in Loop: Header=BB67_41 Depth=2
	v_lshlrev_b64 v[30:31], 1, v[6:7]
	s_delay_alu instid0(VALU_DEP_1) | instskip(NEXT) | instid1(VALU_DEP_2)
	v_add_co_u32 v30, vcc_lo, s45, v30
	v_add_co_ci_u32_e32 v31, vcc_lo, s46, v31, vcc_lo
	global_load_u16 v30, v[30:31], off
	s_branch .LBB67_40
.LBB67_43:                              ;   in Loop: Header=BB67_17 Depth=1
	s_or_b32 exec_lo, exec_lo, s9
	s_waitcnt vmcnt(0) lgkmcnt(0)
	s_barrier
	buffer_gl0_inv
	s_and_saveexec_b32 s9, s2
	s_cbranch_execz .LBB67_45
; %bb.44:                               ;   in Loop: Header=BB67_17 Depth=1
	v_mov_b32_e32 v1, s36
	ds_store_b32 v7, v1 offset:4096
.LBB67_45:                              ;   in Loop: Header=BB67_17 Depth=1
	s_or_b32 exec_lo, exec_lo, s9
	s_mov_b32 s9, -1
	s_waitcnt lgkmcnt(0)
	s_barrier
                                        ; implicit-def: $sgpr77
.LBB67_46:                              ;   in Loop: Header=BB67_17 Depth=1
	s_and_b32 vcc_lo, exec_lo, s9
	s_cbranch_vccz .LBB67_48
; %bb.47:                               ;   in Loop: Header=BB67_17 Depth=1
	buffer_gl0_inv
	ds_load_b32 v1, v7 offset:4096
	s_waitcnt lgkmcnt(0)
	v_readfirstlane_b32 s77, v1
.LBB67_48:                              ;   in Loop: Header=BB67_17 Depth=1
	s_delay_alu instid0(VALU_DEP_1)
	s_cmp_lt_i32 s77, 1
	s_cbranch_scc0 .LBB67_52
; %bb.49:                               ;   in Loop: Header=BB67_17 Depth=1
	v_dual_mov_b32 v1, 0 :: v_dual_mov_b32 v2, 0
	v_dual_mov_b32 v3, 0 :: v_dual_mov_b32 v4, 0
	s_mov_b32 s79, 0
	s_and_saveexec_b32 s78, s5
	s_cbranch_execnz .LBB67_53
; %bb.50:                               ;   in Loop: Header=BB67_17 Depth=1
	s_or_b32 exec_lo, exec_lo, s78
	v_mov_b32_e32 v30, 0
	s_and_saveexec_b32 s9, s6
	s_cbranch_execnz .LBB67_56
.LBB67_51:                              ;   in Loop: Header=BB67_17 Depth=1
	s_or_b32 exec_lo, exec_lo, s9
	s_and_saveexec_b32 s13, s7
	s_cbranch_execnz .LBB67_57
	s_branch .LBB67_62
.LBB67_52:                              ;   in Loop: Header=BB67_17 Depth=1
                                        ; implicit-def: $vgpr4
	s_cbranch_execnz .LBB67_63
	s_branch .LBB67_72
.LBB67_53:                              ;   in Loop: Header=BB67_17 Depth=1
	v_mov_b32_e32 v6, v16
	s_and_b32 s80, s70, 0xfe
	s_mov_b32 s81, 0
	s_mov_b32 s82, 0
	;; [unrolled: 1-line block ×5, first 2 shown]
.LBB67_54:                              ;   Parent Loop BB67_17 Depth=1
                                        ; =>  This Inner Loop Header: Depth=2
	v_add_nc_u32_e32 v1, s81, v24
	v_add_nc_u32_e32 v3, s81, v12
	;; [unrolled: 1-line block ×4, first 2 shown]
	s_add_i32 s81, s81, s63
	v_ashrrev_i32_e32 v2, 31, v1
	v_ashrrev_i32_e32 v4, 31, v3
	;; [unrolled: 1-line block ×4, first 2 shown]
	s_delay_alu instid0(VALU_DEP_4) | instskip(NEXT) | instid1(VALU_DEP_4)
	v_lshlrev_b64 v[1:2], 1, v[1:2]
	v_lshlrev_b64 v[3:4], 1, v[3:4]
	s_delay_alu instid0(VALU_DEP_4) | instskip(NEXT) | instid1(VALU_DEP_4)
	v_lshlrev_b64 v[13:14], 1, v[13:14]
	v_lshlrev_b64 v[30:31], 1, v[30:31]
	s_delay_alu instid0(VALU_DEP_4)
	v_add_co_u32 v1, vcc_lo, s45, v1
	v_add_co_ci_u32_e32 v2, vcc_lo, s46, v2, vcc_lo
	v_add_co_u32 v3, vcc_lo, s45, v3
	v_add_co_ci_u32_e32 v4, vcc_lo, s46, v4, vcc_lo
	;; [unrolled: 2-line block ×4, first 2 shown]
	s_clause 0x3
	global_load_u16 v1, v[1:2], off
	global_load_u16 v2, v[3:4], off
	;; [unrolled: 1-line block ×4, first 2 shown]
	s_waitcnt vmcnt(3)
	v_cmp_lt_i16_e64 s9, -1, v1
	v_and_b32_e32 v13, 0xffff, v1
	v_lshlrev_b32_e32 v1, 16, v1
	s_waitcnt vmcnt(2)
	v_and_b32_e32 v30, 0xffff, v2
	s_waitcnt vmcnt(1)
	v_and_b32_e32 v32, 0xffff, v3
	v_cndmask_b32_e64 v14, 0xffff, v28, s9
	v_cmp_lt_i16_e64 s9, -1, v2
	v_lshlrev_b32_e32 v2, 16, v2
	v_cmp_o_f32_e64 s12, v1, v1
	s_waitcnt vmcnt(0)
	v_and_b32_e32 v34, 0xffff, v4
	v_xor_b32_e32 v13, v14, v13
	v_cndmask_b32_e64 v31, 0xffff, v28, s9
	v_cmp_lt_i16_e64 s9, -1, v3
	v_lshlrev_b32_e32 v3, 16, v3
	s_delay_alu instid0(VALU_DEP_4) | instskip(NEXT) | instid1(VALU_DEP_4)
	v_cndmask_b32_e64 v1, 0xffff, v13, s12
	v_xor_b32_e32 v14, v31, v30
	s_delay_alu instid0(VALU_DEP_4)
	v_cndmask_b32_e64 v33, 0xffff, v28, s9
	v_cmp_lt_i16_e64 s9, -1, v4
	v_lshlrev_b32_e32 v4, 16, v4
	v_cmp_o_f32_e64 s10, v3, v3
	v_and_b32_e32 v13, s76, v1
	v_bfe_u32 v1, v1, s80, 2
	v_cndmask_b32_e64 v35, 0xffff, v28, s9
	v_cmp_o_f32_e64 s9, v2, v2
	v_xor_b32_e32 v2, v33, v32
	v_cmp_o_f32_e64 s11, v4, v4
	v_cmp_eq_u32_e64 s13, 0, v1
	v_xor_b32_e32 v3, v35, v34
	v_cndmask_b32_e64 v4, 0xffff, v14, s9
	v_cndmask_b32_e64 v2, 0xffff, v2, s10
	v_cmp_eq_u32_e64 s9, s75, v13
	v_cmp_eq_u32_e64 s17, 1, v1
	v_cndmask_b32_e64 v3, 0xffff, v3, s11
	v_and_b32_e32 v14, s76, v4
	v_bfe_u32 v4, v4, s80, 2
	v_and_b32_e32 v30, s76, v2
	v_bfe_u32 v2, v2, s80, 2
	;; [unrolled: 2-line block ×3, first 2 shown]
	v_cmp_eq_u32_e64 s10, s75, v14
	v_cmp_eq_u32_e64 s14, 0, v4
	;; [unrolled: 1-line block ×4, first 2 shown]
	s_and_b32 s13, s9, s13
	v_cmp_eq_u32_e64 s12, s75, v31
	v_cmp_eq_u32_e64 s16, 0, v3
	v_cmp_eq_u32_e64 s21, 2, v1
	v_cmp_eq_u32_e64 s25, 3, v1
	v_cndmask_b32_e64 v1, 0, 1, s13
	s_and_b32 s13, s10, s14
	v_cmp_eq_u32_e64 s19, 1, v2
	v_cmp_eq_u32_e64 s23, 2, v2
	;; [unrolled: 1-line block ×3, first 2 shown]
	v_cndmask_b32_e64 v2, 0, 1, s13
	s_and_b32 s13, s11, s15
	v_cmp_eq_u32_e64 s18, 1, v4
	v_cmp_eq_u32_e64 s20, 1, v3
	;; [unrolled: 1-line block ×4, first 2 shown]
	v_cndmask_b32_e64 v3, 0, 1, s13
	s_and_b32 s13, s12, s16
	v_cmp_eq_u32_e64 s22, 2, v4
	v_cmp_eq_u32_e64 s26, 3, v4
	v_cndmask_b32_e64 v4, 0, 1, s13
	s_and_b32 s13, s9, s17
	s_delay_alu instid0(SALU_CYCLE_1) | instskip(SKIP_1) | instid1(SALU_CYCLE_1)
	v_cndmask_b32_e64 v13, 0, 1, s13
	s_and_b32 s13, s10, s18
	v_cndmask_b32_e64 v14, 0, 1, s13
	s_and_b32 s13, s11, s19
	s_delay_alu instid0(SALU_CYCLE_1) | instskip(SKIP_1) | instid1(VALU_DEP_2)
	v_cndmask_b32_e64 v30, 0, 1, s13
	s_and_b32 s13, s12, s20
	v_cmp_ne_u32_e64 s14, 0, v14
	v_cndmask_b32_e64 v31, 0, 1, s13
	s_and_b32 s13, s9, s21
	s_and_b32 s9, s9, s25
	v_cndmask_b32_e64 v32, 0, 1, s13
	s_and_b32 s13, s10, s22
	v_cndmask_b32_e64 v36, 0, 1, s9
	;; [unrolled: 2-line block ×7, first 2 shown]
	v_cndmask_b32_e64 v39, 0, 1, s9
	v_cmp_ne_u32_e64 s9, 0, v1
	v_cmp_ne_u32_e64 s13, 0, v13
	;; [unrolled: 1-line block ×8, first 2 shown]
	s_bcnt1_i32_b32 s9, s9
	s_bcnt1_i32_b32 s13, s13
	s_bcnt1_i32_b32 s17, s17
	v_cmp_ne_u32_e64 s20, 0, v35
	v_cmp_ne_u32_e64 s22, 0, v37
	s_bcnt1_i32_b32 s10, s10
	s_bcnt1_i32_b32 s14, s14
	;; [unrolled: 1-line block ×3, first 2 shown]
	s_add_i32 s9, s9, s85
	s_add_i32 s13, s13, s84
	;; [unrolled: 1-line block ×3, first 2 shown]
	v_cmp_ne_u32_e64 s15, 0, v30
	v_cmp_ne_u32_e64 s23, 0, v38
	s_bcnt1_i32_b32 s11, s11
	s_bcnt1_i32_b32 s19, s19
	s_add_i32 s9, s9, s10
	s_add_i32 s10, s13, s14
	;; [unrolled: 1-line block ×3, first 2 shown]
	s_bcnt1_i32_b32 s21, s21
	v_cmp_ne_u32_e64 s12, 0, v4
	v_cmp_ne_u32_e64 s16, 0, v31
	;; [unrolled: 1-line block ×3, first 2 shown]
	s_bcnt1_i32_b32 s20, s20
	s_add_i32 s9, s9, s11
	s_add_i32 s11, s13, s19
	s_bcnt1_i32_b32 s22, s22
	s_add_i32 s21, s21, s82
	s_add_i32 s83, s11, s20
	s_delay_alu instid0(SALU_CYCLE_1)
	v_dual_mov_b32 v3, s83 :: v_dual_add_nc_u32 v6, s49, v6
	s_bcnt1_i32_b32 s15, s15
	s_bcnt1_i32_b32 s23, s23
	s_add_i32 s14, s21, s22
	s_bcnt1_i32_b32 s12, s12
	s_bcnt1_i32_b32 s16, s16
	s_bcnt1_i32_b32 s24, s24
	s_add_i32 s10, s10, s15
	s_add_i32 s13, s14, s23
	v_cmp_le_i32_e32 vcc_lo, s60, v6
	s_add_i32 s85, s9, s12
	s_add_i32 s84, s10, s16
	;; [unrolled: 1-line block ×3, first 2 shown]
	v_dual_mov_b32 v1, s85 :: v_dual_mov_b32 v2, s84
	v_mov_b32_e32 v4, s82
	s_or_b32 s79, vcc_lo, s79
	s_delay_alu instid0(SALU_CYCLE_1)
	s_and_not1_b32 exec_lo, exec_lo, s79
	s_cbranch_execnz .LBB67_54
; %bb.55:                               ;   in Loop: Header=BB67_17 Depth=1
	s_or_b32 exec_lo, exec_lo, s79
	s_delay_alu instid0(SALU_CYCLE_1)
	s_or_b32 exec_lo, exec_lo, s78
	v_mov_b32_e32 v30, 0
	s_and_saveexec_b32 s9, s6
	s_cbranch_execz .LBB67_51
.LBB67_56:                              ;   in Loop: Header=BB67_17 Depth=1
	global_load_u16 v30, v[10:11], off
	s_or_b32 exec_lo, exec_lo, s9
	s_and_saveexec_b32 s13, s7
	s_cbranch_execz .LBB67_62
.LBB67_57:                              ;   in Loop: Header=BB67_17 Depth=1
	v_dual_mov_b32 v13, v25 :: v_dual_mov_b32 v6, v19
	s_and_b32 s15, s70, 0xfe
	s_mov_b32 s14, 0
	s_branch .LBB67_59
.LBB67_58:                              ;   in Loop: Header=BB67_59 Depth=2
	s_or_b32 exec_lo, exec_lo, s9
	s_waitcnt vmcnt(0)
	v_cmp_lt_i16_e32 vcc_lo, -1, v30
	v_and_b32_e32 v31, 0xffff, v30
	v_lshlrev_b32_e32 v30, 16, v30
	v_add_nc_u32_e32 v13, s51, v13
	v_cndmask_b32_e32 v32, 0xffff, v28, vcc_lo
	s_delay_alu instid0(VALU_DEP_3) | instskip(NEXT) | instid1(VALU_DEP_2)
	v_cmp_o_f32_e32 vcc_lo, v30, v30
	v_xor_b32_e32 v31, v32, v31
	s_delay_alu instid0(VALU_DEP_1) | instskip(NEXT) | instid1(VALU_DEP_1)
	v_cndmask_b32_e32 v30, 0xffff, v31, vcc_lo
	v_and_b32_e32 v31, s76, v30
	v_bfe_u32 v30, v30, s15, 2
	s_delay_alu instid0(VALU_DEP_2) | instskip(NEXT) | instid1(VALU_DEP_2)
	v_cmp_eq_u32_e32 vcc_lo, s75, v31
	v_cmp_eq_u32_e64 s9, 0, v30
	v_cmp_eq_u32_e64 s10, 1, v30
	;; [unrolled: 1-line block ×4, first 2 shown]
	s_delay_alu instid0(VALU_DEP_4) | instskip(NEXT) | instid1(SALU_CYCLE_1)
	s_and_b32 s9, vcc_lo, s9
	v_cndmask_b32_e64 v30, 0, 1, s9
	s_and_b32 s9, vcc_lo, s10
	s_delay_alu instid0(SALU_CYCLE_1) | instskip(SKIP_1) | instid1(SALU_CYCLE_1)
	v_cndmask_b32_e64 v31, 0, 1, s9
	s_and_b32 s9, vcc_lo, s11
	v_cndmask_b32_e64 v32, 0, 1, s9
	s_and_b32 s9, vcc_lo, s12
	v_cmp_ne_u32_e32 vcc_lo, 0, v30
	v_mov_b32_e32 v30, v14
	v_cndmask_b32_e64 v33, 0, 1, s9
	v_cmp_ne_u32_e64 s9, 0, v31
	v_cmp_ne_u32_e64 s10, 0, v32
	v_cmp_le_i32_e64 s12, s36, v6
	s_bcnt1_i32_b32 s16, vcc_lo
	v_cmp_ne_u32_e64 s11, 0, v33
	s_bcnt1_i32_b32 s9, s9
	s_bcnt1_i32_b32 s10, s10
	v_add_nc_u32_e32 v1, s16, v1
	v_add_nc_u32_e32 v2, s9, v2
	s_bcnt1_i32_b32 s11, s11
	v_add_nc_u32_e32 v3, s10, v3
	v_add_nc_u32_e32 v4, s11, v4
	s_or_b32 s14, s12, s14
	s_delay_alu instid0(SALU_CYCLE_1)
	s_and_not1_b32 exec_lo, exec_lo, s14
	s_cbranch_execz .LBB67_61
.LBB67_59:                              ;   Parent Loop BB67_17 Depth=1
                                        ; =>  This Inner Loop Header: Depth=2
	s_delay_alu instid0(VALU_DEP_1) | instskip(SKIP_2) | instid1(VALU_DEP_2)
	v_add_nc_u32_e32 v6, s47, v6
	v_mov_b32_e32 v14, 0
	s_mov_b32 s9, exec_lo
	v_cmpx_gt_u32_e64 s36, v6
	s_cbranch_execz .LBB67_58
; %bb.60:                               ;   in Loop: Header=BB67_59 Depth=2
	v_ashrrev_i32_e32 v14, 31, v13
	s_delay_alu instid0(VALU_DEP_1) | instskip(NEXT) | instid1(VALU_DEP_1)
	v_lshlrev_b64 v[31:32], 1, v[13:14]
	v_add_co_u32 v31, vcc_lo, s45, v31
	s_delay_alu instid0(VALU_DEP_2)
	v_add_co_ci_u32_e32 v32, vcc_lo, s46, v32, vcc_lo
	global_load_u16 v14, v[31:32], off
	s_branch .LBB67_58
.LBB67_61:                              ;   in Loop: Header=BB67_17 Depth=1
	s_or_b32 exec_lo, exec_lo, s14
.LBB67_62:                              ;   in Loop: Header=BB67_17 Depth=1
	s_delay_alu instid0(SALU_CYCLE_1)
	s_or_b32 exec_lo, exec_lo, s13
	s_branch .LBB67_72
.LBB67_63:                              ;   in Loop: Header=BB67_17 Depth=1
	s_mul_hi_u32 s9, s77, s59
	v_dual_mov_b32 v1, 0 :: v_dual_mov_b32 v2, 0
	s_mul_i32 s9, s9, s49
	v_dual_mov_b32 v3, 0 :: v_dual_mov_b32 v4, 0
	s_sub_i32 s9, s77, s9
	s_mov_b32 s25, 0
	s_sub_i32 s10, s9, s49
	s_cmp_ge_u32 s9, s49
	s_mov_b32 s24, exec_lo
	s_cselect_b32 s9, s10, s9
	s_delay_alu instid0(SALU_CYCLE_1) | instskip(SKIP_2) | instid1(SALU_CYCLE_1)
	s_sub_i32 s10, s9, s49
	s_cmp_ge_u32 s9, s49
	s_cselect_b32 s9, s10, s9
	s_sub_i32 s23, s77, s9
	s_delay_alu instid0(SALU_CYCLE_1)
	v_cmpx_gt_u32_e64 s23, v16
	s_cbranch_execz .LBB67_67
; %bb.64:                               ;   in Loop: Header=BB67_17 Depth=1
	v_dual_mov_b32 v6, v26 :: v_dual_mov_b32 v13, v16
	s_and_b32 s26, s70, 0xfe
	s_mov_b32 s27, 0
	s_mov_b32 s28, 0
	;; [unrolled: 1-line block ×4, first 2 shown]
.LBB67_65:                              ;   Parent Loop BB67_17 Depth=1
                                        ; =>  This Inner Loop Header: Depth=2
	ds_load_b64 v[1:2], v6
	s_waitcnt lgkmcnt(0)
	v_cmp_lt_i16_e64 s9, -1, v1
	v_lshrrev_b32_e32 v4, 16, v2
	v_lshrrev_b32_e32 v3, 16, v1
	v_and_b32_e32 v14, 0xffff, v1
	v_lshlrev_b32_e32 v31, 16, v1
	s_waitcnt vmcnt(0)
	v_cndmask_b32_e64 v30, 0xffff, v28, s9
	v_cmp_lt_i16_e64 s9, -1, v2
	v_and_b32_e32 v32, 0xffff, v2
	v_cmp_lt_i16_e64 s10, -1, v4
	v_lshlrev_b32_e32 v34, 16, v2
	v_xor_b32_e32 v14, v30, v14
	v_cndmask_b32_e64 v33, 0xffff, v28, s9
	v_cmp_lt_i16_e64 s9, -1, v3
	v_and_b32_e32 v1, 0xffff0000, v1
	v_and_b32_e32 v2, 0xffff0000, v2
	s_delay_alu instid0(VALU_DEP_4) | instskip(SKIP_4) | instid1(VALU_DEP_4)
	v_xor_b32_e32 v32, v33, v32
	v_cndmask_b32_e64 v33, 0xffff, v28, s10
	v_cmp_o_f32_e64 s10, v31, v31
	v_cndmask_b32_e64 v30, 0xffff, v28, s9
	v_cmp_o_f32_e64 s9, v34, v34
	v_xor_b32_e32 v4, v33, v4
	s_delay_alu instid0(VALU_DEP_4) | instskip(NEXT) | instid1(VALU_DEP_4)
	v_cndmask_b32_e64 v14, 0xffff, v14, s10
	v_xor_b32_e32 v3, v30, v3
	s_delay_alu instid0(VALU_DEP_4) | instskip(SKIP_4) | instid1(VALU_DEP_3)
	v_cndmask_b32_e64 v30, 0xffff, v32, s9
	v_cmp_o_f32_e64 s9, v2, v2
	v_cmp_o_f32_e64 s10, v1, v1
	v_and_b32_e32 v2, s76, v14
	v_bfe_u32 v14, v14, s26, 2
	v_cndmask_b32_e64 v1, 0xffff, v3, s10
	v_cndmask_b32_e64 v3, 0xffff, v4, s9
	v_and_b32_e32 v4, s76, v30
	v_bfe_u32 v30, v30, s26, 2
	v_cmp_eq_u32_e64 s9, s75, v2
	v_cmp_eq_u32_e64 s11, 0, v14
	v_and_b32_e32 v2, s76, v1
	v_cmp_eq_u32_e64 s10, s75, v4
	v_cmp_eq_u32_e64 s12, 0, v30
	v_and_b32_e32 v4, s76, v3
	v_bfe_u32 v1, v1, s26, 2
	v_bfe_u32 v3, v3, s26, 2
	v_cmp_eq_u32_e64 s13, 1, v14
	v_cmp_eq_u32_e64 s15, 2, v14
	s_and_b32 s11, s9, s11
	v_cmp_eq_u32_e64 s14, 1, v30
	v_cmp_eq_u32_e64 s16, 2, v30
	;; [unrolled: 1-line block ×4, first 2 shown]
	v_cndmask_b32_e64 v2, 0, 1, s11
	s_and_b32 s11, s10, s12
	v_cmp_eq_u32_e64 s18, 3, v30
	v_cmp_eq_u32_e64 s20, s75, v4
	;; [unrolled: 1-line block ×4, first 2 shown]
	v_cndmask_b32_e64 v4, 0, 1, s11
	v_cmp_eq_u32_e64 s11, 1, v1
	s_and_b32 s13, s9, s13
	s_and_b32 s15, s9, s15
	v_cndmask_b32_e64 v14, 0, 1, s13
	s_and_b32 s13, s10, s14
	v_cndmask_b32_e64 v31, 0, 1, s15
	s_and_b32 s15, s10, s16
	s_and_b32 s9, s9, s17
	v_cmp_eq_u32_e64 s12, 1, v3
	v_cndmask_b32_e64 v30, 0, 1, s13
	v_cmp_eq_u32_e64 s13, 2, v1
	v_cmp_eq_u32_e64 s14, 2, v3
	v_cndmask_b32_e64 v32, 0, 1, s15
	v_cmp_eq_u32_e64 s15, 3, v1
	v_cmp_eq_u32_e64 s16, 3, v3
	v_cndmask_b32_e64 v1, 0, 1, s9
	s_and_b32 s9, s10, s18
	s_and_b32 s10, s19, s21
	;; [unrolled: 1-line block ×4, first 2 shown]
	v_cndmask_b32_e64 v3, 0, 1, s9
	v_cmp_ne_u32_e64 s9, 0, v2
	v_cndmask_b32_e64 v2, 0, 1, s10
	v_cmp_ne_u32_e64 s10, 0, v4
	;; [unrolled: 2-line block ×3, first 2 shown]
	v_cndmask_b32_e64 v14, 0, 1, s11
	s_and_b32 s12, s20, s12
	s_and_b32 s13, s19, s13
	;; [unrolled: 1-line block ×5, first 2 shown]
	v_cmp_ne_u32_e64 s11, 0, v30
	v_cndmask_b32_e64 v30, 0, 1, s12
	v_cmp_ne_u32_e64 s12, 0, v31
	v_cndmask_b32_e64 v31, 0, 1, s13
	;; [unrolled: 2-line block ×5, first 2 shown]
	v_cmp_ne_u32_e64 s16, 0, v14
	s_bcnt1_i32_b32 s17, s17
	s_bcnt1_i32_b32 s20, s11
	v_cmp_ne_u32_e64 s11, 0, v30
	s_bcnt1_i32_b32 s18, s9
	v_cmp_ne_u32_e64 s9, 0, v2
	;; [unrolled: 2-line block ×4, first 2 shown]
	s_add_i32 s17, s17, s78
	s_bcnt1_i32_b32 s16, s16
	s_bcnt1_i32_b32 s19, s10
	s_add_i32 s16, s17, s16
	v_cmp_ne_u32_e64 s10, 0, v4
	s_bcnt1_i32_b32 s22, s13
	v_cmp_ne_u32_e64 s13, 0, v32
	s_bcnt1_i32_b32 s81, s15
	;; [unrolled: 2-line block ×3, first 2 shown]
	s_add_i32 s16, s16, s20
	s_add_i32 s18, s18, s79
	;; [unrolled: 1-line block ×4, first 2 shown]
	s_bcnt1_i32_b32 s9, s9
	s_bcnt1_i32_b32 s12, s12
	;; [unrolled: 1-line block ×3, first 2 shown]
	s_add_i32 s78, s16, s11
	s_delay_alu instid0(SALU_CYCLE_1)
	v_dual_mov_b32 v2, s78 :: v_dual_add_nc_u32 v13, s49, v13
	s_add_i32 s9, s18, s9
	s_add_i32 s12, s21, s12
	;; [unrolled: 1-line block ×3, first 2 shown]
	s_bcnt1_i32_b32 s10, s10
	s_bcnt1_i32_b32 s13, s13
	;; [unrolled: 1-line block ×3, first 2 shown]
	s_add_i32 s9, s9, s19
	s_add_i32 s12, s12, s22
	;; [unrolled: 1-line block ×3, first 2 shown]
	v_cmp_le_i32_e32 vcc_lo, s23, v13
	s_add_i32 s79, s9, s10
	s_add_i32 s28, s12, s13
	s_add_i32 s27, s14, s15
	v_dual_mov_b32 v1, s79 :: v_dual_add_nc_u32 v6, s64, v6
	v_dual_mov_b32 v3, s28 :: v_dual_mov_b32 v4, s27
	s_or_b32 s25, vcc_lo, s25
	s_delay_alu instid0(SALU_CYCLE_1)
	s_and_not1_b32 exec_lo, exec_lo, s25
	s_cbranch_execnz .LBB67_65
; %bb.66:                               ;   in Loop: Header=BB67_17 Depth=1
	s_or_b32 exec_lo, exec_lo, s25
.LBB67_67:                              ;   in Loop: Header=BB67_17 Depth=1
	s_delay_alu instid0(SALU_CYCLE_1) | instskip(SKIP_2) | instid1(VALU_DEP_1)
	s_or_b32 exec_lo, exec_lo, s24
	v_add_nc_u32_e32 v6, s23, v0
	s_mov_b32 s14, exec_lo
	v_cmpx_gt_i32_e64 s77, v6
	s_cbranch_execz .LBB67_71
; %bb.68:                               ;   in Loop: Header=BB67_17 Depth=1
	v_lshlrev_b32_e32 v13, 1, v6
	s_and_b32 s16, s70, 0xfe
	s_mov_b32 s15, 0
.LBB67_69:                              ;   Parent Loop BB67_17 Depth=1
                                        ; =>  This Inner Loop Header: Depth=2
	ds_load_u16 v14, v13
	v_add_nc_u32_e32 v6, s47, v6
	v_add_nc_u32_e32 v13, s65, v13
	s_delay_alu instid0(VALU_DEP_2)
	v_cmp_le_i32_e32 vcc_lo, s77, v6
	s_waitcnt lgkmcnt(0)
	v_cmp_lt_i16_e64 s9, -1, v14
	s_waitcnt vmcnt(0)
	v_and_b32_e32 v30, 0xffff, v14
	v_lshlrev_b32_e32 v14, 16, v14
	s_delay_alu instid0(VALU_DEP_3) | instskip(NEXT) | instid1(VALU_DEP_2)
	v_cndmask_b32_e64 v31, 0xffff, v28, s9
	v_cmp_o_f32_e64 s9, v14, v14
	s_delay_alu instid0(VALU_DEP_2) | instskip(NEXT) | instid1(VALU_DEP_1)
	v_xor_b32_e32 v30, v31, v30
	v_cndmask_b32_e64 v14, 0xffff, v30, s9
	s_delay_alu instid0(VALU_DEP_1) | instskip(SKIP_1) | instid1(VALU_DEP_2)
	v_and_b32_e32 v30, s76, v14
	v_bfe_u32 v14, v14, s16, 2
	v_cmp_eq_u32_e64 s9, s75, v30
	s_delay_alu instid0(VALU_DEP_2) | instskip(SKIP_3) | instid1(VALU_DEP_4)
	v_cmp_eq_u32_e64 s10, 0, v14
	v_cmp_eq_u32_e64 s11, 1, v14
	;; [unrolled: 1-line block ×4, first 2 shown]
	s_and_b32 s10, s9, s10
	s_delay_alu instid0(SALU_CYCLE_1) | instskip(SKIP_1) | instid1(SALU_CYCLE_1)
	v_cndmask_b32_e64 v14, 0, 1, s10
	s_and_b32 s10, s9, s11
	v_cndmask_b32_e64 v30, 0, 1, s10
	s_and_b32 s10, s9, s12
	s_and_b32 s9, s9, s13
	v_cndmask_b32_e64 v31, 0, 1, s10
	v_cndmask_b32_e64 v32, 0, 1, s9
	v_cmp_ne_u32_e64 s9, 0, v14
	v_cmp_ne_u32_e64 s10, 0, v30
	s_delay_alu instid0(VALU_DEP_4) | instskip(NEXT) | instid1(VALU_DEP_4)
	v_cmp_ne_u32_e64 s11, 0, v31
	v_cmp_ne_u32_e64 s12, 0, v32
	s_delay_alu instid0(VALU_DEP_4) | instskip(NEXT) | instid1(VALU_DEP_3)
	s_bcnt1_i32_b32 s9, s9
	s_bcnt1_i32_b32 s10, s10
	v_add_nc_u32_e32 v1, s9, v1
	s_bcnt1_i32_b32 s11, s11
	s_bcnt1_i32_b32 s12, s12
	v_add_nc_u32_e32 v2, s10, v2
	v_add_nc_u32_e32 v3, s11, v3
	v_add_nc_u32_e32 v4, s12, v4
	s_or_b32 s15, vcc_lo, s15
	s_delay_alu instid0(SALU_CYCLE_1)
	s_and_not1_b32 exec_lo, exec_lo, s15
	s_cbranch_execnz .LBB67_69
; %bb.70:                               ;   in Loop: Header=BB67_17 Depth=1
	s_or_b32 exec_lo, exec_lo, s15
.LBB67_71:                              ;   in Loop: Header=BB67_17 Depth=1
	s_delay_alu instid0(SALU_CYCLE_1)
	s_or_b32 exec_lo, exec_lo, s14
.LBB67_72:                              ;   in Loop: Header=BB67_17 Depth=1
	s_lshl_b32 s9, s73, 7
	s_and_saveexec_b32 s10, s4
	s_cbranch_execz .LBB67_74
; %bb.73:                               ;   in Loop: Header=BB67_17 Depth=1
	v_or_b32_e32 v6, s9, v20
	s_delay_alu instid0(VALU_DEP_1)
	v_lshlrev_b32_e32 v6, 2, v6
	ds_store_b128 v6, v[1:4] offset:3072
.LBB67_74:                              ;   in Loop: Header=BB67_17 Depth=1
	s_or_b32 exec_lo, exec_lo, s10
	s_waitcnt vmcnt(0) lgkmcnt(0)
	s_barrier
	buffer_gl0_inv
	s_and_saveexec_b32 s10, s50
	s_cbranch_execz .LBB67_84
; %bb.75:                               ;   in Loop: Header=BB67_17 Depth=1
	v_mov_b32_e32 v1, 0
	s_and_not1_b32 vcc_lo, exec_lo, s54
	s_cbranch_vccnz .LBB67_83
; %bb.76:                               ;   in Loop: Header=BB67_17 Depth=1
	v_mov_b32_e32 v1, 0
	s_and_not1_b32 vcc_lo, exec_lo, s56
	s_mov_b32 s11, 0
	s_cbranch_vccnz .LBB67_80
; %bb.77:                               ;   in Loop: Header=BB67_17 Depth=1
	v_lshl_add_u32 v2, s73, 9, v27
	v_mov_b32_e32 v1, 0
	.p2align	6
.LBB67_78:                              ;   Parent Loop BB67_17 Depth=1
                                        ; =>  This Inner Loop Header: Depth=2
	ds_load_2addr_b32 v[3:4], v2 offset1:4
	ds_load_2addr_b32 v[13:14], v2 offset0:8 offset1:12
	ds_load_2addr_b32 v[30:31], v2 offset0:16 offset1:20
	;; [unrolled: 1-line block ×3, first 2 shown]
	v_add_nc_u32_e32 v2, 0x80, v2
	s_add_i32 s11, s11, 8
	s_delay_alu instid0(SALU_CYCLE_1) | instskip(SKIP_3) | instid1(VALU_DEP_1)
	s_cmp_eq_u32 s57, s11
	s_waitcnt lgkmcnt(3)
	v_add3_u32 v1, v3, v1, v4
	s_waitcnt lgkmcnt(2)
	v_add3_u32 v1, v13, v1, v14
	s_waitcnt lgkmcnt(1)
	s_delay_alu instid0(VALU_DEP_1) | instskip(SKIP_1) | instid1(VALU_DEP_1)
	v_add3_u32 v1, v30, v1, v31
	s_waitcnt lgkmcnt(0)
	v_add3_u32 v1, v32, v1, v33
	s_cbranch_scc0 .LBB67_78
; %bb.79:                               ;   in Loop: Header=BB67_17 Depth=1
	s_mov_b32 s11, s57
.LBB67_80:                              ;   in Loop: Header=BB67_17 Depth=1
	s_and_not1_b32 vcc_lo, exec_lo, s58
	s_cbranch_vccnz .LBB67_83
; %bb.81:                               ;   in Loop: Header=BB67_17 Depth=1
	s_lshl_b32 s12, s73, 9
	s_lshl_b32 s11, s11, 4
	s_delay_alu instid0(SALU_CYCLE_1)
	v_add3_u32 v2, s12, s11, v27
	s_mov_b32 s11, s55
.LBB67_82:                              ;   Parent Loop BB67_17 Depth=1
                                        ; =>  This Inner Loop Header: Depth=2
	ds_load_b32 v3, v2
	v_add_nc_u32_e32 v2, 16, v2
	s_add_i32 s11, s11, -1
	s_delay_alu instid0(SALU_CYCLE_1)
	s_cmp_lg_u32 s11, 0
	s_waitcnt lgkmcnt(0)
	v_add_nc_u32_e32 v1, v3, v1
	s_cbranch_scc1 .LBB67_82
.LBB67_83:                              ;   in Loop: Header=BB67_17 Depth=1
	v_add_lshl_u32 v2, s9, v15, 2
	ds_store_b32 v2, v1 offset:3072
.LBB67_84:                              ;   in Loop: Header=BB67_17 Depth=1
	s_or_b32 exec_lo, exec_lo, s10
	s_lshl_b32 s9, s9, 2
	s_waitcnt lgkmcnt(0)
	v_mov_b32_e32 v1, s9
	s_barrier
	buffer_gl0_inv
	s_and_b32 s17, s70, 0xfe
	s_mov_b32 s14, -1
	ds_load_b128 v[1:4], v1 offset:3072
	s_lshl_b32 s11, 3, s17
	s_delay_alu instid0(SALU_CYCLE_1) | instskip(SKIP_4) | instid1(VALU_DEP_3)
	s_not_b32 s18, s11
	s_waitcnt lgkmcnt(0)
	v_readfirstlane_b32 s13, v1
	v_readfirstlane_b32 s21, v2
	;; [unrolled: 1-line block ×3, first 2 shown]
	s_cmp_eq_u32 s13, 1
	s_cselect_b32 s9, -1, 0
	s_cmp_eq_u32 s37, 1
	s_cselect_b32 s10, -1, 0
	s_delay_alu instid0(SALU_CYCLE_1)
	s_and_b32 s15, s9, s10
	v_readfirstlane_b32 s10, v4
	s_and_b32 vcc_lo, exec_lo, s15
	s_cbranch_vccz .LBB67_96
; %bb.85:                               ;   in Loop: Header=BB67_17 Depth=1
	ds_load_b32 v1, v7 offset:4096
	s_waitcnt lgkmcnt(0)
	s_barrier
	buffer_gl0_inv
	v_readfirstlane_b32 s12, v1
	s_and_saveexec_b32 s9, s0
	s_cbranch_execz .LBB67_87
; %bb.86:                               ;   in Loop: Header=BB67_17 Depth=1
	ds_store_b16 v18, v7
.LBB67_87:                              ;   in Loop: Header=BB67_17 Depth=1
	s_or_b32 exec_lo, exec_lo, s9
	s_and_b32 s75, s75, s18
	s_or_b32 s76, s76, s11
	s_cmp_lt_i32 s12, 1
	s_waitcnt lgkmcnt(0)
	s_barrier
	buffer_gl0_inv
	s_cbranch_scc0 .LBB67_97
; %bb.88:                               ;   in Loop: Header=BB67_17 Depth=1
	s_mov_b32 s9, 0
                                        ; implicit-def: $vgpr29
	s_and_saveexec_b32 s19, s8
	s_cbranch_execz .LBB67_99
; %bb.89:                               ;   in Loop: Header=BB67_17 Depth=1
	v_mov_b32_e32 v1, v5
	v_mov_b32_e32 v3, v0
	s_mov_b32 s20, 0
                                        ; implicit-def: $sgpr22
	s_branch .LBB67_91
.LBB67_90:                              ;   in Loop: Header=BB67_91 Depth=2
	s_or_b32 exec_lo, exec_lo, s9
	s_waitcnt vmcnt(0) lgkmcnt(0)
	s_barrier
	buffer_gl0_inv
	ds_load_b32 v2, v7 offset:3072
	v_add_nc_u32_e32 v3, s47, v3
	v_add_nc_u32_e32 v1, s51, v1
	s_waitcnt lgkmcnt(0)
	s_barrier
	buffer_gl0_inv
	v_cmp_le_i32_e32 vcc_lo, s62, v3
	v_and_b32_e32 v4, 0x7fff, v2
	s_delay_alu instid0(VALU_DEP_1) | instskip(NEXT) | instid1(VALU_DEP_1)
	v_cmp_ne_u16_e64 s9, 0, v4
	s_or_b32 s23, vcc_lo, s9
	s_delay_alu instid0(SALU_CYCLE_1) | instskip(NEXT) | instid1(SALU_CYCLE_1)
	s_and_b32 s23, exec_lo, s23
	s_or_b32 s20, s23, s20
	s_and_not1_b32 s22, s22, exec_lo
	s_and_b32 s9, s9, exec_lo
	s_delay_alu instid0(SALU_CYCLE_1)
	s_or_b32 s22, s22, s9
	s_and_not1_b32 exec_lo, exec_lo, s20
	s_cbranch_execz .LBB67_98
.LBB67_91:                              ;   Parent Loop BB67_17 Depth=1
                                        ; =>  This Inner Loop Header: Depth=2
	s_delay_alu instid0(VALU_DEP_1)
	v_cmp_gt_i32_e32 vcc_lo, s36, v3
	v_mov_b32_e32 v2, 0
	s_and_saveexec_b32 s23, vcc_lo
	s_cbranch_execz .LBB67_93
; %bb.92:                               ;   in Loop: Header=BB67_91 Depth=2
	v_ashrrev_i32_e32 v2, 31, v1
	s_delay_alu instid0(VALU_DEP_1) | instskip(NEXT) | instid1(VALU_DEP_1)
	v_lshlrev_b64 v[13:14], 1, v[1:2]
	v_add_co_u32 v13, s9, s45, v13
	s_delay_alu instid0(VALU_DEP_1)
	v_add_co_ci_u32_e64 v14, s9, s46, v14, s9
	global_load_u16 v2, v[13:14], off
.LBB67_93:                              ;   in Loop: Header=BB67_91 Depth=2
	s_or_b32 exec_lo, exec_lo, s23
	s_and_saveexec_b32 s9, vcc_lo
	s_cbranch_execz .LBB67_90
; %bb.94:                               ;   in Loop: Header=BB67_91 Depth=2
	s_waitcnt vmcnt(0)
	v_cmp_lt_i16_e32 vcc_lo, -1, v2
	v_and_b32_e32 v4, 0xffff, v2
	v_dual_cndmask_b32 v6, 0xffff, v28 :: v_dual_lshlrev_b32 v13, 16, v2
	s_delay_alu instid0(VALU_DEP_1) | instskip(NEXT) | instid1(VALU_DEP_2)
	v_cmp_o_f32_e32 vcc_lo, v13, v13
	v_xor_b32_e32 v4, v6, v4
	s_delay_alu instid0(VALU_DEP_1) | instskip(NEXT) | instid1(VALU_DEP_1)
	v_cndmask_b32_e32 v4, 0xffff, v4, vcc_lo
	v_and_b32_e32 v4, s76, v4
	s_delay_alu instid0(VALU_DEP_1)
	v_cmp_eq_u32_e32 vcc_lo, s75, v4
	s_and_b32 exec_lo, exec_lo, vcc_lo
	s_cbranch_execz .LBB67_90
; %bb.95:                               ;   in Loop: Header=BB67_91 Depth=2
	v_perm_b32 v2, v2, s66, 0x5040100
	ds_store_b32 v7, v2 offset:3072
	s_branch .LBB67_90
.LBB67_96:                              ;   in Loop: Header=BB67_17 Depth=1
	s_mov_b32 s9, -1
                                        ; implicit-def: $sgpr19
                                        ; implicit-def: $sgpr22
                                        ; implicit-def: $sgpr20
	s_branch .LBB67_110
.LBB67_97:                              ;   in Loop: Header=BB67_17 Depth=1
	s_mov_b32 s19, -1
	s_mov_b32 s9, 0
                                        ; implicit-def: $sgpr20
                                        ; implicit-def: $vgpr29
	s_mov_b32 s22, s19
	s_cbranch_execnz .LBB67_100
	s_branch .LBB67_110
.LBB67_98:                              ;   in Loop: Header=BB67_17 Depth=1
	s_or_b32 exec_lo, exec_lo, s20
	v_lshrrev_b32_e32 v29, 16, v2
	s_and_b32 s9, s22, exec_lo
.LBB67_99:                              ;   in Loop: Header=BB67_17 Depth=1
	s_or_b32 exec_lo, exec_lo, s19
	s_mov_b32 s20, -1
	s_mov_b32 s19, 0
	s_delay_alu instid0(SALU_CYCLE_1)
	s_mov_b32 s22, s19
	s_branch .LBB67_110
.LBB67_100:                             ;   in Loop: Header=BB67_17 Depth=1
	s_add_i32 s20, s12, s52
                                        ; implicit-def: $vgpr29
	s_delay_alu instid0(SALU_CYCLE_1) | instskip(NEXT) | instid1(SALU_CYCLE_1)
	s_abs_i32 s9, s20
	s_mul_hi_u32 s19, s9, s61
	s_delay_alu instid0(SALU_CYCLE_1) | instskip(NEXT) | instid1(SALU_CYCLE_1)
	s_mul_i32 s19, s19, s47
	s_sub_i32 s9, s9, s19
	s_ashr_i32 s19, s20, 31
	s_sub_i32 s22, s9, s47
	s_cmp_ge_u32 s9, s47
	s_cselect_b32 s9, s22, s9
	s_delay_alu instid0(SALU_CYCLE_1) | instskip(SKIP_2) | instid1(SALU_CYCLE_1)
	s_sub_i32 s22, s9, s47
	s_cmp_ge_u32 s9, s47
	s_cselect_b32 s9, s22, s9
	s_xor_b32 s9, s9, s19
	s_delay_alu instid0(SALU_CYCLE_1)
	s_sub_i32 s9, s19, s9
	s_mov_b32 s19, exec_lo
	s_add_i32 s20, s20, s9
	s_mov_b32 s9, 0
	v_cmpx_gt_i32_e64 s20, v0
	s_cbranch_execz .LBB67_109
; %bb.101:                              ;   in Loop: Header=BB67_17 Depth=1
	v_dual_mov_b32 v1, v17 :: v_dual_mov_b32 v2, v0
	s_mov_b32 s22, 0
                                        ; implicit-def: $sgpr23
	s_branch .LBB67_103
.LBB67_102:                             ;   in Loop: Header=BB67_103 Depth=2
	s_or_b32 exec_lo, exec_lo, s9
	s_waitcnt lgkmcnt(0)
	s_barrier
	buffer_gl0_inv
	ds_load_b32 v3, v7 offset:3072
	v_add_nc_u32_e32 v2, s47, v2
	v_add_nc_u32_e32 v1, s65, v1
	s_waitcnt lgkmcnt(0)
	s_barrier
	buffer_gl0_inv
	v_cmp_le_i32_e32 vcc_lo, s20, v2
	v_and_b32_e32 v4, 0x7fff, v3
	s_delay_alu instid0(VALU_DEP_1) | instskip(NEXT) | instid1(VALU_DEP_1)
	v_cmp_ne_u16_e64 s9, 0, v4
	s_or_b32 s24, vcc_lo, s9
	s_delay_alu instid0(SALU_CYCLE_1) | instskip(NEXT) | instid1(SALU_CYCLE_1)
	s_and_b32 s24, exec_lo, s24
	s_or_b32 s22, s24, s22
	s_and_not1_b32 s23, s23, exec_lo
	s_and_b32 s9, s9, exec_lo
	s_delay_alu instid0(SALU_CYCLE_1)
	s_or_b32 s23, s23, s9
	s_and_not1_b32 exec_lo, exec_lo, s22
	s_cbranch_execz .LBB67_108
.LBB67_103:                             ;   Parent Loop BB67_17 Depth=1
                                        ; =>  This Inner Loop Header: Depth=2
	s_delay_alu instid0(VALU_DEP_1)
	v_cmp_gt_i32_e32 vcc_lo, s12, v2
	v_mov_b32_e32 v3, 0
	s_and_saveexec_b32 s9, vcc_lo
	s_cbranch_execz .LBB67_105
; %bb.104:                              ;   in Loop: Header=BB67_103 Depth=2
	ds_load_u16 v3, v1
.LBB67_105:                             ;   in Loop: Header=BB67_103 Depth=2
	s_or_b32 exec_lo, exec_lo, s9
	s_and_saveexec_b32 s9, vcc_lo
	s_cbranch_execz .LBB67_102
; %bb.106:                              ;   in Loop: Header=BB67_103 Depth=2
	s_waitcnt lgkmcnt(0)
	v_cmp_lt_i16_e32 vcc_lo, -1, v3
	v_and_b32_e32 v4, 0xffff, v3
	v_dual_cndmask_b32 v6, 0xffff, v28 :: v_dual_lshlrev_b32 v13, 16, v3
	s_delay_alu instid0(VALU_DEP_1) | instskip(NEXT) | instid1(VALU_DEP_2)
	v_cmp_o_f32_e32 vcc_lo, v13, v13
	v_xor_b32_e32 v4, v6, v4
	s_delay_alu instid0(VALU_DEP_1) | instskip(NEXT) | instid1(VALU_DEP_1)
	v_cndmask_b32_e32 v4, 0xffff, v4, vcc_lo
	v_and_b32_e32 v4, s76, v4
	s_delay_alu instid0(VALU_DEP_1)
	v_cmp_eq_u32_e32 vcc_lo, s75, v4
	s_and_b32 exec_lo, exec_lo, vcc_lo
	s_cbranch_execz .LBB67_102
; %bb.107:                              ;   in Loop: Header=BB67_103 Depth=2
	v_perm_b32 v3, v3, s66, 0x5040100
	ds_store_b32 v7, v3 offset:3072
	s_branch .LBB67_102
.LBB67_108:                             ;   in Loop: Header=BB67_17 Depth=1
	s_or_b32 exec_lo, exec_lo, s22
	v_lshrrev_b32_e32 v29, 16, v3
	s_and_b32 s9, s23, exec_lo
.LBB67_109:                             ;   in Loop: Header=BB67_17 Depth=1
	s_or_b32 exec_lo, exec_lo, s19
	s_mov_b32 s22, -1
	s_mov_b32 s19, 0
	s_mov_b32 s20, 0
.LBB67_110:                             ;   in Loop: Header=BB67_17 Depth=1
	s_and_not1_b32 s12, s71, exec_lo
	s_and_b32 s19, s19, exec_lo
	s_and_b32 s20, s20, exec_lo
	s_or_b32 s71, s12, s19
	s_and_not1_b32 s12, s74, exec_lo
	s_and_b32 s19, s22, exec_lo
	s_and_not1_b32 s22, s72, exec_lo
	s_or_b32 s74, s12, s19
	s_or_b32 s72, s22, s20
	s_and_saveexec_b32 s12, s9
	s_cbranch_execz .LBB67_16
; %bb.111:                              ;   in Loop: Header=BB67_17 Depth=1
	s_xor_b32 s9, s15, -1
	s_mov_b32 s14, 0
	s_and_not1_b32 vcc_lo, exec_lo, s9
	s_mov_b32 s22, 1
	s_cbranch_vccnz .LBB67_122
; %bb.112:                              ;   in Loop: Header=BB67_17 Depth=1
	s_cmp_gt_i32 s37, s13
	s_mov_b32 s14, -1
                                        ; implicit-def: $sgpr9
                                        ; implicit-def: $sgpr15
                                        ; implicit-def: $sgpr19
	s_cbranch_scc1 .LBB67_118
; %bb.113:                              ;   in Loop: Header=BB67_17 Depth=1
	ds_load_b32 v1, v7 offset:4096
	s_waitcnt lgkmcnt(0)
	v_cmp_ne_u32_e32 vcc_lo, 0, v1
	s_cbranch_vccnz .LBB67_117
; %bb.114:                              ;   in Loop: Header=BB67_17 Depth=1
	s_and_saveexec_b32 s9, s2
	s_cbranch_execz .LBB67_116
; %bb.115:                              ;   in Loop: Header=BB67_17 Depth=1
	v_mov_b32_e32 v1, s13
	ds_store_b32 v7, v1 offset:4100
.LBB67_116:                             ;   in Loop: Header=BB67_17 Depth=1
	s_or_b32 exec_lo, exec_lo, s9
	s_waitcnt lgkmcnt(0)
	s_barrier
	buffer_gl0_inv
.LBB67_117:                             ;   in Loop: Header=BB67_17 Depth=1
	s_and_b32 s15, s75, s18
	s_or_b32 s19, s76, s11
	s_mov_b32 s14, 0
	s_mov_b32 s9, 8
.LBB67_118:                             ;   in Loop: Header=BB67_17 Depth=1
	s_and_not1_b32 vcc_lo, exec_lo, s14
	s_cbranch_vccnz .LBB67_120
; %bb.119:                              ;   in Loop: Header=BB67_17 Depth=1
	s_sub_i32 s37, s37, s13
	s_mov_b32 s14, -1
	s_mov_b32 s9, 0
	s_mov_b32 s15, s75
	;; [unrolled: 1-line block ×3, first 2 shown]
.LBB67_120:                             ;   in Loop: Header=BB67_17 Depth=1
	s_delay_alu instid0(SALU_CYCLE_1)
	s_mov_b32 s76, s19
	s_mov_b32 s75, s15
	;; [unrolled: 1-line block ×3, first 2 shown]
	s_and_b32 vcc_lo, exec_lo, s14
	s_mov_b32 s13, -1
	s_cbranch_vccnz .LBB67_123
.LBB67_121:                             ;   in Loop: Header=BB67_17 Depth=1
	s_mov_b32 s25, -1
                                        ; implicit-def: $sgpr14
                                        ; implicit-def: $sgpr19
                                        ; implicit-def: $sgpr15
	s_delay_alu instid0(SALU_CYCLE_1) | instskip(NEXT) | instid1(SALU_CYCLE_1)
	s_and_saveexec_b32 s10, s25
	s_xor_b32 s10, exec_lo, s10
	s_cbranch_execz .LBB67_15
	s_branch .LBB67_246
.LBB67_122:                             ;   in Loop: Header=BB67_17 Depth=1
	s_mov_b32 s9, 1
	s_and_b32 vcc_lo, exec_lo, s14
	s_mov_b32 s13, -1
	s_cbranch_vccz .LBB67_121
.LBB67_123:                             ;   in Loop: Header=BB67_17 Depth=1
	s_cmp_eq_u32 s21, 1
	s_mov_b32 s24, -1
	s_cselect_b32 s9, -1, 0
	s_cmp_eq_u32 s22, 1
	s_cselect_b32 s14, -1, 0
	s_delay_alu instid0(SALU_CYCLE_1) | instskip(NEXT) | instid1(SALU_CYCLE_1)
	s_and_b32 s23, s9, s14
	s_and_b32 vcc_lo, exec_lo, s23
	s_cbranch_vccz .LBB67_135
; %bb.124:                              ;   in Loop: Header=BB67_17 Depth=1
	ds_load_b32 v1, v7 offset:4096
	s_waitcnt lgkmcnt(0)
	s_barrier
	buffer_gl0_inv
	v_readfirstlane_b32 s20, v1
	s_and_saveexec_b32 s9, s0
	s_cbranch_execz .LBB67_126
; %bb.125:                              ;   in Loop: Header=BB67_17 Depth=1
	ds_store_b16 v18, v7
.LBB67_126:                             ;   in Loop: Header=BB67_17 Depth=1
	s_or_b32 exec_lo, exec_lo, s9
	s_lshl_b32 s9, 1, s17
	s_and_b32 s14, s75, s18
	s_or_b32 s76, s76, s11
	s_or_b32 s75, s14, s9
	s_cmp_gt_i32 s20, 0
	s_waitcnt lgkmcnt(0)
	s_barrier
	buffer_gl0_inv
	s_cbranch_scc1 .LBB67_136
; %bb.127:                              ;   in Loop: Header=BB67_17 Depth=1
	s_mov_b32 s24, 0
                                        ; implicit-def: $vgpr29
	s_and_saveexec_b32 s14, s8
	s_cbranch_execz .LBB67_138
; %bb.128:                              ;   in Loop: Header=BB67_17 Depth=1
	v_mov_b32_e32 v1, v5
	v_mov_b32_e32 v3, v0
	s_mov_b32 s15, 0
                                        ; implicit-def: $sgpr19
	s_branch .LBB67_130
.LBB67_129:                             ;   in Loop: Header=BB67_130 Depth=2
	s_or_b32 exec_lo, exec_lo, s9
	s_waitcnt vmcnt(0) lgkmcnt(0)
	s_barrier
	buffer_gl0_inv
	ds_load_b32 v2, v7 offset:3072
	v_add_nc_u32_e32 v3, s47, v3
	v_add_nc_u32_e32 v1, s51, v1
	s_waitcnt lgkmcnt(0)
	s_barrier
	buffer_gl0_inv
	v_cmp_le_i32_e32 vcc_lo, s62, v3
	v_and_b32_e32 v4, 0x7fff, v2
	s_delay_alu instid0(VALU_DEP_1) | instskip(NEXT) | instid1(VALU_DEP_1)
	v_cmp_ne_u16_e64 s9, 0, v4
	s_or_b32 s24, vcc_lo, s9
	s_delay_alu instid0(SALU_CYCLE_1) | instskip(NEXT) | instid1(SALU_CYCLE_1)
	s_and_b32 s24, exec_lo, s24
	s_or_b32 s15, s24, s15
	s_and_not1_b32 s19, s19, exec_lo
	s_and_b32 s9, s9, exec_lo
	s_delay_alu instid0(SALU_CYCLE_1)
	s_or_b32 s19, s19, s9
	s_and_not1_b32 exec_lo, exec_lo, s15
	s_cbranch_execz .LBB67_137
.LBB67_130:                             ;   Parent Loop BB67_17 Depth=1
                                        ; =>  This Inner Loop Header: Depth=2
	s_delay_alu instid0(VALU_DEP_1)
	v_cmp_gt_i32_e32 vcc_lo, s36, v3
	v_mov_b32_e32 v2, 0
	s_and_saveexec_b32 s24, vcc_lo
	s_cbranch_execz .LBB67_132
; %bb.131:                              ;   in Loop: Header=BB67_130 Depth=2
	v_ashrrev_i32_e32 v2, 31, v1
	s_delay_alu instid0(VALU_DEP_1) | instskip(NEXT) | instid1(VALU_DEP_1)
	v_lshlrev_b64 v[13:14], 1, v[1:2]
	v_add_co_u32 v13, s9, s45, v13
	s_delay_alu instid0(VALU_DEP_1)
	v_add_co_ci_u32_e64 v14, s9, s46, v14, s9
	global_load_u16 v2, v[13:14], off
.LBB67_132:                             ;   in Loop: Header=BB67_130 Depth=2
	s_or_b32 exec_lo, exec_lo, s24
	s_and_saveexec_b32 s9, vcc_lo
	s_cbranch_execz .LBB67_129
; %bb.133:                              ;   in Loop: Header=BB67_130 Depth=2
	s_waitcnt vmcnt(0)
	v_cmp_lt_i16_e32 vcc_lo, -1, v2
	v_and_b32_e32 v4, 0xffff, v2
	v_dual_cndmask_b32 v6, 0xffff, v28 :: v_dual_lshlrev_b32 v13, 16, v2
	s_delay_alu instid0(VALU_DEP_1) | instskip(NEXT) | instid1(VALU_DEP_2)
	v_cmp_o_f32_e32 vcc_lo, v13, v13
	v_xor_b32_e32 v4, v6, v4
	s_delay_alu instid0(VALU_DEP_1) | instskip(NEXT) | instid1(VALU_DEP_1)
	v_cndmask_b32_e32 v4, 0xffff, v4, vcc_lo
	v_and_b32_e32 v4, s76, v4
	s_delay_alu instid0(VALU_DEP_1)
	v_cmp_eq_u32_e32 vcc_lo, s75, v4
	s_and_b32 exec_lo, exec_lo, vcc_lo
	s_cbranch_execz .LBB67_129
; %bb.134:                              ;   in Loop: Header=BB67_130 Depth=2
	v_perm_b32 v2, v2, s66, 0x5040100
	ds_store_b32 v7, v2 offset:3072
	s_branch .LBB67_129
.LBB67_135:                             ;   in Loop: Header=BB67_17 Depth=1
                                        ; implicit-def: $sgpr15
                                        ; implicit-def: $sgpr19
                                        ; implicit-def: $sgpr14
	s_branch .LBB67_149
.LBB67_136:                             ;   in Loop: Header=BB67_17 Depth=1
	s_mov_b32 s15, -1
	s_mov_b32 s24, 0
                                        ; implicit-def: $sgpr14
                                        ; implicit-def: $vgpr29
	s_mov_b32 s19, s15
	s_cbranch_execnz .LBB67_139
	s_branch .LBB67_149
.LBB67_137:                             ;   in Loop: Header=BB67_17 Depth=1
	s_or_b32 exec_lo, exec_lo, s15
	v_lshrrev_b32_e32 v29, 16, v2
	s_and_b32 s24, s19, exec_lo
.LBB67_138:                             ;   in Loop: Header=BB67_17 Depth=1
	s_or_b32 exec_lo, exec_lo, s14
	s_mov_b32 s14, -1
	s_mov_b32 s15, 0
	s_delay_alu instid0(SALU_CYCLE_1)
	s_mov_b32 s19, s15
	s_branch .LBB67_149
.LBB67_139:                             ;   in Loop: Header=BB67_17 Depth=1
	s_add_i32 s15, s20, s52
	s_mov_b32 s24, 0
	s_abs_i32 s9, s15
                                        ; implicit-def: $vgpr29
	s_delay_alu instid0(SALU_CYCLE_1) | instskip(NEXT) | instid1(SALU_CYCLE_1)
	s_mul_hi_u32 s14, s9, s61
	s_mul_i32 s14, s14, s47
	s_delay_alu instid0(SALU_CYCLE_1) | instskip(SKIP_4) | instid1(SALU_CYCLE_1)
	s_sub_i32 s9, s9, s14
	s_ashr_i32 s14, s15, 31
	s_sub_i32 s19, s9, s47
	s_cmp_ge_u32 s9, s47
	s_cselect_b32 s9, s19, s9
	s_sub_i32 s19, s9, s47
	s_cmp_ge_u32 s9, s47
	s_cselect_b32 s9, s19, s9
	s_delay_alu instid0(SALU_CYCLE_1) | instskip(NEXT) | instid1(SALU_CYCLE_1)
	s_xor_b32 s9, s9, s14
	s_sub_i32 s9, s14, s9
	s_mov_b32 s14, exec_lo
	s_add_i32 s15, s15, s9
	s_delay_alu instid0(SALU_CYCLE_1)
	v_cmpx_gt_i32_e64 s15, v0
	s_cbranch_execz .LBB67_148
; %bb.140:                              ;   in Loop: Header=BB67_17 Depth=1
	v_dual_mov_b32 v1, v17 :: v_dual_mov_b32 v2, v0
	s_mov_b32 s19, 0
                                        ; implicit-def: $sgpr24
	s_branch .LBB67_142
.LBB67_141:                             ;   in Loop: Header=BB67_142 Depth=2
	s_or_b32 exec_lo, exec_lo, s9
	s_waitcnt lgkmcnt(0)
	s_barrier
	buffer_gl0_inv
	ds_load_b32 v3, v7 offset:3072
	v_add_nc_u32_e32 v2, s47, v2
	v_add_nc_u32_e32 v1, s65, v1
	s_waitcnt lgkmcnt(0)
	s_barrier
	buffer_gl0_inv
	v_cmp_le_i32_e32 vcc_lo, s15, v2
	v_and_b32_e32 v4, 0x7fff, v3
	s_delay_alu instid0(VALU_DEP_1) | instskip(NEXT) | instid1(VALU_DEP_1)
	v_cmp_ne_u16_e64 s9, 0, v4
	s_or_b32 s25, vcc_lo, s9
	s_delay_alu instid0(SALU_CYCLE_1) | instskip(NEXT) | instid1(SALU_CYCLE_1)
	s_and_b32 s25, exec_lo, s25
	s_or_b32 s19, s25, s19
	s_and_not1_b32 s24, s24, exec_lo
	s_and_b32 s9, s9, exec_lo
	s_delay_alu instid0(SALU_CYCLE_1)
	s_or_b32 s24, s24, s9
	s_and_not1_b32 exec_lo, exec_lo, s19
	s_cbranch_execz .LBB67_147
.LBB67_142:                             ;   Parent Loop BB67_17 Depth=1
                                        ; =>  This Inner Loop Header: Depth=2
	s_delay_alu instid0(VALU_DEP_1)
	v_cmp_gt_i32_e32 vcc_lo, s20, v2
	v_mov_b32_e32 v3, 0
	s_and_saveexec_b32 s9, vcc_lo
	s_cbranch_execz .LBB67_144
; %bb.143:                              ;   in Loop: Header=BB67_142 Depth=2
	ds_load_u16 v3, v1
.LBB67_144:                             ;   in Loop: Header=BB67_142 Depth=2
	s_or_b32 exec_lo, exec_lo, s9
	s_and_saveexec_b32 s9, vcc_lo
	s_cbranch_execz .LBB67_141
; %bb.145:                              ;   in Loop: Header=BB67_142 Depth=2
	s_waitcnt lgkmcnt(0)
	v_cmp_lt_i16_e32 vcc_lo, -1, v3
	v_and_b32_e32 v4, 0xffff, v3
	v_dual_cndmask_b32 v6, 0xffff, v28 :: v_dual_lshlrev_b32 v13, 16, v3
	s_delay_alu instid0(VALU_DEP_1) | instskip(NEXT) | instid1(VALU_DEP_2)
	v_cmp_o_f32_e32 vcc_lo, v13, v13
	v_xor_b32_e32 v4, v6, v4
	s_delay_alu instid0(VALU_DEP_1) | instskip(NEXT) | instid1(VALU_DEP_1)
	v_cndmask_b32_e32 v4, 0xffff, v4, vcc_lo
	v_and_b32_e32 v4, s76, v4
	s_delay_alu instid0(VALU_DEP_1)
	v_cmp_eq_u32_e32 vcc_lo, s75, v4
	s_and_b32 exec_lo, exec_lo, vcc_lo
	s_cbranch_execz .LBB67_141
; %bb.146:                              ;   in Loop: Header=BB67_142 Depth=2
	v_perm_b32 v3, v3, s66, 0x5040100
	ds_store_b32 v7, v3 offset:3072
	s_branch .LBB67_141
.LBB67_147:                             ;   in Loop: Header=BB67_17 Depth=1
	s_or_b32 exec_lo, exec_lo, s19
	v_lshrrev_b32_e32 v29, 16, v3
	s_and_b32 s24, s24, exec_lo
.LBB67_148:                             ;   in Loop: Header=BB67_17 Depth=1
	s_or_b32 exec_lo, exec_lo, s14
	s_mov_b32 s19, -1
	s_mov_b32 s15, 0
	s_mov_b32 s14, 0
.LBB67_149:                             ;   in Loop: Header=BB67_17 Depth=1
	s_mov_b32 s25, 0
                                        ; implicit-def: $sgpr9
	s_and_saveexec_b32 s20, s24
	s_cbranch_execz .LBB67_245
; %bb.150:                              ;   in Loop: Header=BB67_17 Depth=1
	s_xor_b32 s9, s23, -1
	s_mov_b32 s23, 0
	s_and_not1_b32 vcc_lo, exec_lo, s9
	s_mov_b32 s26, 1
	s_cbranch_vccnz .LBB67_161
; %bb.151:                              ;   in Loop: Header=BB67_17 Depth=1
	s_cmp_gt_i32 s22, s21
	s_mov_b32 s23, -1
                                        ; implicit-def: $sgpr9
                                        ; implicit-def: $sgpr24
                                        ; implicit-def: $sgpr25
	s_cbranch_scc1 .LBB67_157
; %bb.152:                              ;   in Loop: Header=BB67_17 Depth=1
	ds_load_b32 v1, v7 offset:4096
	s_waitcnt lgkmcnt(0)
	v_cmp_ne_u32_e32 vcc_lo, 0, v1
	s_cbranch_vccnz .LBB67_156
; %bb.153:                              ;   in Loop: Header=BB67_17 Depth=1
	s_and_saveexec_b32 s9, s2
	s_cbranch_execz .LBB67_155
; %bb.154:                              ;   in Loop: Header=BB67_17 Depth=1
	v_mov_b32_e32 v1, s21
	ds_store_b32 v7, v1 offset:4100
.LBB67_155:                             ;   in Loop: Header=BB67_17 Depth=1
	s_or_b32 exec_lo, exec_lo, s9
	s_waitcnt lgkmcnt(0)
	s_barrier
	buffer_gl0_inv
.LBB67_156:                             ;   in Loop: Header=BB67_17 Depth=1
	s_lshl_b32 s9, 1, s17
	s_and_b32 s23, s75, s18
	s_or_b32 s25, s76, s11
	s_or_b32 s24, s23, s9
	s_mov_b32 s23, 0
	s_mov_b32 s9, 8
.LBB67_157:                             ;   in Loop: Header=BB67_17 Depth=1
	s_and_not1_b32 vcc_lo, exec_lo, s23
	s_cbranch_vccnz .LBB67_159
; %bb.158:                              ;   in Loop: Header=BB67_17 Depth=1
	s_sub_i32 s22, s22, s21
	s_mov_b32 s23, -1
	s_mov_b32 s9, 0
	s_mov_b32 s24, s75
	;; [unrolled: 1-line block ×3, first 2 shown]
.LBB67_159:                             ;   in Loop: Header=BB67_17 Depth=1
	s_delay_alu instid0(SALU_CYCLE_1)
	s_mov_b32 s76, s25
	s_mov_b32 s75, s24
	;; [unrolled: 1-line block ×3, first 2 shown]
	s_and_not1_b32 vcc_lo, exec_lo, s23
	s_mov_b32 s28, -1
	s_cbranch_vccz .LBB67_162
.LBB67_160:                             ;   in Loop: Header=BB67_17 Depth=1
                                        ; implicit-def: $sgpr22
                                        ; implicit-def: $sgpr23
                                        ; implicit-def: $sgpr21
	s_branch .LBB67_244
.LBB67_161:                             ;   in Loop: Header=BB67_17 Depth=1
	s_mov_b32 s9, 1
	s_and_not1_b32 vcc_lo, exec_lo, s23
	s_mov_b32 s28, -1
	s_cbranch_vccnz .LBB67_160
.LBB67_162:                             ;   in Loop: Header=BB67_17 Depth=1
	s_cmp_eq_u32 s16, 1
	s_mov_b32 s27, -1
	s_cselect_b32 s9, -1, 0
	s_cmp_eq_u32 s26, 1
	s_cselect_b32 s21, -1, 0
	s_delay_alu instid0(SALU_CYCLE_1) | instskip(NEXT) | instid1(SALU_CYCLE_1)
	s_and_b32 s25, s9, s21
	s_and_b32 vcc_lo, exec_lo, s25
	s_cbranch_vccz .LBB67_174
; %bb.163:                              ;   in Loop: Header=BB67_17 Depth=1
	ds_load_b32 v1, v7 offset:4096
	s_waitcnt lgkmcnt(0)
	s_barrier
	buffer_gl0_inv
	v_readfirstlane_b32 s24, v1
	s_and_saveexec_b32 s9, s0
	s_cbranch_execz .LBB67_165
; %bb.164:                              ;   in Loop: Header=BB67_17 Depth=1
	ds_store_b16 v18, v7
.LBB67_165:                             ;   in Loop: Header=BB67_17 Depth=1
	s_or_b32 exec_lo, exec_lo, s9
	s_lshl_b32 s9, 2, s17
	s_and_b32 s21, s75, s18
	s_or_b32 s76, s76, s11
	s_or_b32 s75, s21, s9
	s_cmp_gt_i32 s24, 0
	s_waitcnt lgkmcnt(0)
	s_barrier
	buffer_gl0_inv
	s_cbranch_scc1 .LBB67_175
; %bb.166:                              ;   in Loop: Header=BB67_17 Depth=1
	s_mov_b32 s27, 0
                                        ; implicit-def: $vgpr29
	s_and_saveexec_b32 s21, s8
	s_cbranch_execz .LBB67_177
; %bb.167:                              ;   in Loop: Header=BB67_17 Depth=1
	v_mov_b32_e32 v1, v5
	v_mov_b32_e32 v3, v0
	s_mov_b32 s22, 0
                                        ; implicit-def: $sgpr23
	s_branch .LBB67_169
.LBB67_168:                             ;   in Loop: Header=BB67_169 Depth=2
	s_or_b32 exec_lo, exec_lo, s9
	s_waitcnt vmcnt(0) lgkmcnt(0)
	s_barrier
	buffer_gl0_inv
	ds_load_b32 v2, v7 offset:3072
	v_add_nc_u32_e32 v3, s47, v3
	v_add_nc_u32_e32 v1, s51, v1
	s_waitcnt lgkmcnt(0)
	s_barrier
	buffer_gl0_inv
	v_cmp_le_i32_e32 vcc_lo, s62, v3
	v_and_b32_e32 v4, 0x7fff, v2
	s_delay_alu instid0(VALU_DEP_1) | instskip(NEXT) | instid1(VALU_DEP_1)
	v_cmp_ne_u16_e64 s9, 0, v4
	s_or_b32 s27, vcc_lo, s9
	s_delay_alu instid0(SALU_CYCLE_1) | instskip(NEXT) | instid1(SALU_CYCLE_1)
	s_and_b32 s27, exec_lo, s27
	s_or_b32 s22, s27, s22
	s_and_not1_b32 s23, s23, exec_lo
	s_and_b32 s9, s9, exec_lo
	s_delay_alu instid0(SALU_CYCLE_1)
	s_or_b32 s23, s23, s9
	s_and_not1_b32 exec_lo, exec_lo, s22
	s_cbranch_execz .LBB67_176
.LBB67_169:                             ;   Parent Loop BB67_17 Depth=1
                                        ; =>  This Inner Loop Header: Depth=2
	s_delay_alu instid0(VALU_DEP_1)
	v_cmp_gt_i32_e32 vcc_lo, s36, v3
	v_mov_b32_e32 v2, 0
	s_and_saveexec_b32 s27, vcc_lo
	s_cbranch_execz .LBB67_171
; %bb.170:                              ;   in Loop: Header=BB67_169 Depth=2
	v_ashrrev_i32_e32 v2, 31, v1
	s_delay_alu instid0(VALU_DEP_1) | instskip(NEXT) | instid1(VALU_DEP_1)
	v_lshlrev_b64 v[13:14], 1, v[1:2]
	v_add_co_u32 v13, s9, s45, v13
	s_delay_alu instid0(VALU_DEP_1)
	v_add_co_ci_u32_e64 v14, s9, s46, v14, s9
	global_load_u16 v2, v[13:14], off
.LBB67_171:                             ;   in Loop: Header=BB67_169 Depth=2
	s_or_b32 exec_lo, exec_lo, s27
	s_and_saveexec_b32 s9, vcc_lo
	s_cbranch_execz .LBB67_168
; %bb.172:                              ;   in Loop: Header=BB67_169 Depth=2
	s_waitcnt vmcnt(0)
	v_cmp_lt_i16_e32 vcc_lo, -1, v2
	v_and_b32_e32 v4, 0xffff, v2
	v_dual_cndmask_b32 v6, 0xffff, v28 :: v_dual_lshlrev_b32 v13, 16, v2
	s_delay_alu instid0(VALU_DEP_1) | instskip(NEXT) | instid1(VALU_DEP_2)
	v_cmp_o_f32_e32 vcc_lo, v13, v13
	v_xor_b32_e32 v4, v6, v4
	s_delay_alu instid0(VALU_DEP_1) | instskip(NEXT) | instid1(VALU_DEP_1)
	v_cndmask_b32_e32 v4, 0xffff, v4, vcc_lo
	v_and_b32_e32 v4, s76, v4
	s_delay_alu instid0(VALU_DEP_1)
	v_cmp_eq_u32_e32 vcc_lo, s75, v4
	s_and_b32 exec_lo, exec_lo, vcc_lo
	s_cbranch_execz .LBB67_168
; %bb.173:                              ;   in Loop: Header=BB67_169 Depth=2
	v_perm_b32 v2, v2, s66, 0x5040100
	ds_store_b32 v7, v2 offset:3072
	s_branch .LBB67_168
.LBB67_174:                             ;   in Loop: Header=BB67_17 Depth=1
                                        ; implicit-def: $sgpr21
                                        ; implicit-def: $sgpr23
                                        ; implicit-def: $sgpr22
	s_branch .LBB67_188
.LBB67_175:                             ;   in Loop: Header=BB67_17 Depth=1
	s_mov_b32 s21, -1
	s_mov_b32 s27, 0
                                        ; implicit-def: $sgpr22
                                        ; implicit-def: $vgpr29
	s_mov_b32 s23, s21
	s_cbranch_execnz .LBB67_178
	s_branch .LBB67_188
.LBB67_176:                             ;   in Loop: Header=BB67_17 Depth=1
	s_or_b32 exec_lo, exec_lo, s22
	v_lshrrev_b32_e32 v29, 16, v2
	s_and_b32 s27, s23, exec_lo
.LBB67_177:                             ;   in Loop: Header=BB67_17 Depth=1
	s_or_b32 exec_lo, exec_lo, s21
	s_mov_b32 s22, -1
	s_mov_b32 s21, 0
	s_delay_alu instid0(SALU_CYCLE_1)
	s_mov_b32 s23, s21
	s_branch .LBB67_188
.LBB67_178:                             ;   in Loop: Header=BB67_17 Depth=1
	s_add_i32 s22, s24, s52
	s_mov_b32 s27, 0
	s_abs_i32 s9, s22
                                        ; implicit-def: $vgpr29
	s_delay_alu instid0(SALU_CYCLE_1) | instskip(NEXT) | instid1(SALU_CYCLE_1)
	s_mul_hi_u32 s21, s9, s61
	s_mul_i32 s21, s21, s47
	s_delay_alu instid0(SALU_CYCLE_1) | instskip(SKIP_4) | instid1(SALU_CYCLE_1)
	s_sub_i32 s9, s9, s21
	s_ashr_i32 s21, s22, 31
	s_sub_i32 s23, s9, s47
	s_cmp_ge_u32 s9, s47
	s_cselect_b32 s9, s23, s9
	s_sub_i32 s23, s9, s47
	s_cmp_ge_u32 s9, s47
	s_cselect_b32 s9, s23, s9
	s_delay_alu instid0(SALU_CYCLE_1) | instskip(NEXT) | instid1(SALU_CYCLE_1)
	s_xor_b32 s9, s9, s21
	s_sub_i32 s9, s21, s9
	s_mov_b32 s21, exec_lo
	s_add_i32 s22, s22, s9
	s_delay_alu instid0(SALU_CYCLE_1)
	v_cmpx_gt_i32_e64 s22, v0
	s_cbranch_execz .LBB67_187
; %bb.179:                              ;   in Loop: Header=BB67_17 Depth=1
	v_dual_mov_b32 v1, v17 :: v_dual_mov_b32 v2, v0
	s_mov_b32 s23, 0
                                        ; implicit-def: $sgpr27
	s_branch .LBB67_181
.LBB67_180:                             ;   in Loop: Header=BB67_181 Depth=2
	s_or_b32 exec_lo, exec_lo, s9
	s_waitcnt lgkmcnt(0)
	s_barrier
	buffer_gl0_inv
	ds_load_b32 v3, v7 offset:3072
	v_add_nc_u32_e32 v2, s47, v2
	v_add_nc_u32_e32 v1, s65, v1
	s_waitcnt lgkmcnt(0)
	s_barrier
	buffer_gl0_inv
	v_cmp_le_i32_e32 vcc_lo, s22, v2
	v_and_b32_e32 v4, 0x7fff, v3
	s_delay_alu instid0(VALU_DEP_1) | instskip(NEXT) | instid1(VALU_DEP_1)
	v_cmp_ne_u16_e64 s9, 0, v4
	s_or_b32 s28, vcc_lo, s9
	s_delay_alu instid0(SALU_CYCLE_1) | instskip(NEXT) | instid1(SALU_CYCLE_1)
	s_and_b32 s28, exec_lo, s28
	s_or_b32 s23, s28, s23
	s_and_not1_b32 s27, s27, exec_lo
	s_and_b32 s9, s9, exec_lo
	s_delay_alu instid0(SALU_CYCLE_1)
	s_or_b32 s27, s27, s9
	s_and_not1_b32 exec_lo, exec_lo, s23
	s_cbranch_execz .LBB67_186
.LBB67_181:                             ;   Parent Loop BB67_17 Depth=1
                                        ; =>  This Inner Loop Header: Depth=2
	s_delay_alu instid0(VALU_DEP_1)
	v_cmp_gt_i32_e32 vcc_lo, s24, v2
	v_mov_b32_e32 v3, 0
	s_and_saveexec_b32 s9, vcc_lo
	s_cbranch_execz .LBB67_183
; %bb.182:                              ;   in Loop: Header=BB67_181 Depth=2
	ds_load_u16 v3, v1
.LBB67_183:                             ;   in Loop: Header=BB67_181 Depth=2
	s_or_b32 exec_lo, exec_lo, s9
	s_and_saveexec_b32 s9, vcc_lo
	s_cbranch_execz .LBB67_180
; %bb.184:                              ;   in Loop: Header=BB67_181 Depth=2
	s_waitcnt lgkmcnt(0)
	v_cmp_lt_i16_e32 vcc_lo, -1, v3
	v_and_b32_e32 v4, 0xffff, v3
	v_dual_cndmask_b32 v6, 0xffff, v28 :: v_dual_lshlrev_b32 v13, 16, v3
	s_delay_alu instid0(VALU_DEP_1) | instskip(NEXT) | instid1(VALU_DEP_2)
	v_cmp_o_f32_e32 vcc_lo, v13, v13
	v_xor_b32_e32 v4, v6, v4
	s_delay_alu instid0(VALU_DEP_1) | instskip(NEXT) | instid1(VALU_DEP_1)
	v_cndmask_b32_e32 v4, 0xffff, v4, vcc_lo
	v_and_b32_e32 v4, s76, v4
	s_delay_alu instid0(VALU_DEP_1)
	v_cmp_eq_u32_e32 vcc_lo, s75, v4
	s_and_b32 exec_lo, exec_lo, vcc_lo
	s_cbranch_execz .LBB67_180
; %bb.185:                              ;   in Loop: Header=BB67_181 Depth=2
	v_perm_b32 v3, v3, s66, 0x5040100
	ds_store_b32 v7, v3 offset:3072
	s_branch .LBB67_180
.LBB67_186:                             ;   in Loop: Header=BB67_17 Depth=1
	s_or_b32 exec_lo, exec_lo, s23
	v_lshrrev_b32_e32 v29, 16, v3
	s_and_b32 s27, s27, exec_lo
.LBB67_187:                             ;   in Loop: Header=BB67_17 Depth=1
	s_or_b32 exec_lo, exec_lo, s21
	s_mov_b32 s23, -1
	s_mov_b32 s21, 0
	s_mov_b32 s22, 0
.LBB67_188:                             ;   in Loop: Header=BB67_17 Depth=1
	s_mov_b32 s28, 0
                                        ; implicit-def: $sgpr9
	s_and_saveexec_b32 s24, s27
	s_cbranch_execz .LBB67_243
; %bb.189:                              ;   in Loop: Header=BB67_17 Depth=1
	s_xor_b32 s9, s25, -1
	s_mov_b32 s27, 0
	s_and_not1_b32 vcc_lo, exec_lo, s9
	s_mov_b32 s25, 1
	s_cbranch_vccnz .LBB67_200
; %bb.190:                              ;   in Loop: Header=BB67_17 Depth=1
	s_cmp_gt_i32 s26, s16
	s_mov_b32 s27, -1
                                        ; implicit-def: $sgpr9
                                        ; implicit-def: $sgpr25
                                        ; implicit-def: $sgpr28
	s_cbranch_scc1 .LBB67_196
; %bb.191:                              ;   in Loop: Header=BB67_17 Depth=1
	ds_load_b32 v1, v7 offset:4096
	s_waitcnt lgkmcnt(0)
	v_cmp_ne_u32_e32 vcc_lo, 0, v1
	s_cbranch_vccnz .LBB67_195
; %bb.192:                              ;   in Loop: Header=BB67_17 Depth=1
	s_and_saveexec_b32 s9, s2
	s_cbranch_execz .LBB67_194
; %bb.193:                              ;   in Loop: Header=BB67_17 Depth=1
	v_mov_b32_e32 v1, s16
	ds_store_b32 v7, v1 offset:4100
.LBB67_194:                             ;   in Loop: Header=BB67_17 Depth=1
	s_or_b32 exec_lo, exec_lo, s9
	s_waitcnt lgkmcnt(0)
	s_barrier
	buffer_gl0_inv
.LBB67_195:                             ;   in Loop: Header=BB67_17 Depth=1
	s_lshl_b32 s9, 2, s17
	s_and_b32 s17, s75, s18
	s_or_b32 s28, s76, s11
	s_or_b32 s25, s17, s9
	s_mov_b32 s27, 0
	s_mov_b32 s9, 8
.LBB67_196:                             ;   in Loop: Header=BB67_17 Depth=1
	s_and_not1_b32 vcc_lo, exec_lo, s27
	s_cbranch_vccnz .LBB67_198
; %bb.197:                              ;   in Loop: Header=BB67_17 Depth=1
	s_sub_i32 s26, s26, s16
	s_mov_b32 s27, -1
	s_mov_b32 s9, 0
	s_mov_b32 s25, s75
	;; [unrolled: 1-line block ×3, first 2 shown]
.LBB67_198:                             ;   in Loop: Header=BB67_17 Depth=1
	s_delay_alu instid0(SALU_CYCLE_1)
	s_mov_b32 s76, s28
	s_mov_b32 s75, s25
	;; [unrolled: 1-line block ×3, first 2 shown]
	s_and_not1_b32 vcc_lo, exec_lo, s27
	s_mov_b32 s37, -1
	s_cbranch_vccz .LBB67_201
.LBB67_199:                             ;   in Loop: Header=BB67_17 Depth=1
                                        ; implicit-def: $sgpr18
                                        ; implicit-def: $sgpr27
                                        ; implicit-def: $sgpr26
	s_branch .LBB67_242
.LBB67_200:                             ;   in Loop: Header=BB67_17 Depth=1
	s_mov_b32 s9, 1
	s_and_not1_b32 vcc_lo, exec_lo, s27
	s_mov_b32 s37, -1
	s_cbranch_vccnz .LBB67_199
.LBB67_201:                             ;   in Loop: Header=BB67_17 Depth=1
	s_cmp_eq_u32 s10, 1
	s_mov_b32 s28, -1
	s_cselect_b32 s9, -1, 0
	s_cmp_eq_u32 s25, 1
	s_cselect_b32 s16, -1, 0
	s_delay_alu instid0(SALU_CYCLE_1) | instskip(NEXT) | instid1(SALU_CYCLE_1)
	s_and_b32 s16, s9, s16
	s_and_b32 vcc_lo, exec_lo, s16
	s_cbranch_vccz .LBB67_213
; %bb.202:                              ;   in Loop: Header=BB67_17 Depth=1
	ds_load_b32 v1, v7 offset:4096
	s_waitcnt lgkmcnt(0)
	s_barrier
	buffer_gl0_inv
	v_readfirstlane_b32 s17, v1
	s_and_saveexec_b32 s9, s0
	s_cbranch_execz .LBB67_204
; %bb.203:                              ;   in Loop: Header=BB67_17 Depth=1
	ds_store_b16 v18, v7
.LBB67_204:                             ;   in Loop: Header=BB67_17 Depth=1
	s_or_b32 exec_lo, exec_lo, s9
	s_or_b32 s75, s75, s11
	s_or_b32 s76, s76, s11
	s_cmp_gt_i32 s17, 0
	s_waitcnt lgkmcnt(0)
	s_barrier
	buffer_gl0_inv
	s_cbranch_scc1 .LBB67_214
; %bb.205:                              ;   in Loop: Header=BB67_17 Depth=1
	s_mov_b32 s28, 0
                                        ; implicit-def: $vgpr29
	s_and_saveexec_b32 s18, s8
	s_cbranch_execz .LBB67_216
; %bb.206:                              ;   in Loop: Header=BB67_17 Depth=1
	v_mov_b32_e32 v1, v5
	v_mov_b32_e32 v3, v0
	s_mov_b32 s26, 0
                                        ; implicit-def: $sgpr27
	s_branch .LBB67_208
.LBB67_207:                             ;   in Loop: Header=BB67_208 Depth=2
	s_or_b32 exec_lo, exec_lo, s9
	s_waitcnt vmcnt(0) lgkmcnt(0)
	s_barrier
	buffer_gl0_inv
	ds_load_b32 v2, v7 offset:3072
	v_add_nc_u32_e32 v3, s47, v3
	v_add_nc_u32_e32 v1, s51, v1
	s_waitcnt lgkmcnt(0)
	s_barrier
	buffer_gl0_inv
	v_cmp_le_i32_e32 vcc_lo, s62, v3
	v_and_b32_e32 v4, 0x7fff, v2
	s_delay_alu instid0(VALU_DEP_1) | instskip(NEXT) | instid1(VALU_DEP_1)
	v_cmp_ne_u16_e64 s9, 0, v4
	s_or_b32 s28, vcc_lo, s9
	s_delay_alu instid0(SALU_CYCLE_1) | instskip(NEXT) | instid1(SALU_CYCLE_1)
	s_and_b32 s28, exec_lo, s28
	s_or_b32 s26, s28, s26
	s_and_not1_b32 s27, s27, exec_lo
	s_and_b32 s9, s9, exec_lo
	s_delay_alu instid0(SALU_CYCLE_1)
	s_or_b32 s27, s27, s9
	s_and_not1_b32 exec_lo, exec_lo, s26
	s_cbranch_execz .LBB67_215
.LBB67_208:                             ;   Parent Loop BB67_17 Depth=1
                                        ; =>  This Inner Loop Header: Depth=2
	s_delay_alu instid0(VALU_DEP_1)
	v_cmp_gt_i32_e32 vcc_lo, s36, v3
	v_mov_b32_e32 v2, 0
	s_and_saveexec_b32 s28, vcc_lo
	s_cbranch_execz .LBB67_210
; %bb.209:                              ;   in Loop: Header=BB67_208 Depth=2
	v_ashrrev_i32_e32 v2, 31, v1
	s_delay_alu instid0(VALU_DEP_1) | instskip(NEXT) | instid1(VALU_DEP_1)
	v_lshlrev_b64 v[13:14], 1, v[1:2]
	v_add_co_u32 v13, s9, s45, v13
	s_delay_alu instid0(VALU_DEP_1)
	v_add_co_ci_u32_e64 v14, s9, s46, v14, s9
	global_load_u16 v2, v[13:14], off
.LBB67_210:                             ;   in Loop: Header=BB67_208 Depth=2
	s_or_b32 exec_lo, exec_lo, s28
	s_and_saveexec_b32 s9, vcc_lo
	s_cbranch_execz .LBB67_207
; %bb.211:                              ;   in Loop: Header=BB67_208 Depth=2
	s_waitcnt vmcnt(0)
	v_cmp_lt_i16_e32 vcc_lo, -1, v2
	v_and_b32_e32 v4, 0xffff, v2
	v_dual_cndmask_b32 v6, 0xffff, v28 :: v_dual_lshlrev_b32 v13, 16, v2
	s_delay_alu instid0(VALU_DEP_1) | instskip(NEXT) | instid1(VALU_DEP_2)
	v_cmp_o_f32_e32 vcc_lo, v13, v13
	v_xor_b32_e32 v4, v6, v4
	s_delay_alu instid0(VALU_DEP_1) | instskip(NEXT) | instid1(VALU_DEP_1)
	v_cndmask_b32_e32 v4, 0xffff, v4, vcc_lo
	v_and_b32_e32 v4, s76, v4
	s_delay_alu instid0(VALU_DEP_1)
	v_cmp_eq_u32_e32 vcc_lo, s75, v4
	s_and_b32 exec_lo, exec_lo, vcc_lo
	s_cbranch_execz .LBB67_207
; %bb.212:                              ;   in Loop: Header=BB67_208 Depth=2
	v_perm_b32 v2, v2, s66, 0x5040100
	ds_store_b32 v7, v2 offset:3072
	s_branch .LBB67_207
.LBB67_213:                             ;   in Loop: Header=BB67_17 Depth=1
                                        ; implicit-def: $sgpr18
                                        ; implicit-def: $sgpr27
                                        ; implicit-def: $sgpr26
	s_branch .LBB67_227
.LBB67_214:                             ;   in Loop: Header=BB67_17 Depth=1
	s_mov_b32 s18, -1
	s_mov_b32 s28, 0
                                        ; implicit-def: $sgpr26
                                        ; implicit-def: $vgpr29
	s_mov_b32 s27, s18
	s_cbranch_execnz .LBB67_217
	s_branch .LBB67_227
.LBB67_215:                             ;   in Loop: Header=BB67_17 Depth=1
	s_or_b32 exec_lo, exec_lo, s26
	v_lshrrev_b32_e32 v29, 16, v2
	s_and_b32 s28, s27, exec_lo
.LBB67_216:                             ;   in Loop: Header=BB67_17 Depth=1
	s_or_b32 exec_lo, exec_lo, s18
	s_mov_b32 s26, -1
	s_mov_b32 s18, 0
	s_delay_alu instid0(SALU_CYCLE_1)
	s_mov_b32 s27, s18
	s_branch .LBB67_227
.LBB67_217:                             ;   in Loop: Header=BB67_17 Depth=1
	s_add_i32 s26, s17, s52
	s_mov_b32 s28, 0
	s_abs_i32 s9, s26
                                        ; implicit-def: $vgpr29
	s_delay_alu instid0(SALU_CYCLE_1) | instskip(NEXT) | instid1(SALU_CYCLE_1)
	s_mul_hi_u32 s18, s9, s61
	s_mul_i32 s18, s18, s47
	s_delay_alu instid0(SALU_CYCLE_1) | instskip(SKIP_4) | instid1(SALU_CYCLE_1)
	s_sub_i32 s9, s9, s18
	s_ashr_i32 s18, s26, 31
	s_sub_i32 s27, s9, s47
	s_cmp_ge_u32 s9, s47
	s_cselect_b32 s9, s27, s9
	s_sub_i32 s27, s9, s47
	s_cmp_ge_u32 s9, s47
	s_cselect_b32 s9, s27, s9
	s_delay_alu instid0(SALU_CYCLE_1) | instskip(NEXT) | instid1(SALU_CYCLE_1)
	s_xor_b32 s9, s9, s18
	s_sub_i32 s9, s18, s9
	s_mov_b32 s18, exec_lo
	s_add_i32 s26, s26, s9
	s_delay_alu instid0(SALU_CYCLE_1)
	v_cmpx_gt_i32_e64 s26, v0
	s_cbranch_execz .LBB67_226
; %bb.218:                              ;   in Loop: Header=BB67_17 Depth=1
	v_dual_mov_b32 v1, v17 :: v_dual_mov_b32 v2, v0
	s_mov_b32 s27, 0
                                        ; implicit-def: $sgpr28
	s_branch .LBB67_220
.LBB67_219:                             ;   in Loop: Header=BB67_220 Depth=2
	s_or_b32 exec_lo, exec_lo, s9
	s_waitcnt lgkmcnt(0)
	s_barrier
	buffer_gl0_inv
	ds_load_b32 v3, v7 offset:3072
	v_add_nc_u32_e32 v2, s47, v2
	v_add_nc_u32_e32 v1, s65, v1
	s_waitcnt lgkmcnt(0)
	s_barrier
	buffer_gl0_inv
	v_cmp_le_i32_e32 vcc_lo, s26, v2
	v_and_b32_e32 v4, 0x7fff, v3
	s_delay_alu instid0(VALU_DEP_1) | instskip(NEXT) | instid1(VALU_DEP_1)
	v_cmp_ne_u16_e64 s9, 0, v4
	s_or_b32 s37, vcc_lo, s9
	s_delay_alu instid0(SALU_CYCLE_1) | instskip(NEXT) | instid1(SALU_CYCLE_1)
	s_and_b32 s37, exec_lo, s37
	s_or_b32 s27, s37, s27
	s_and_not1_b32 s28, s28, exec_lo
	s_and_b32 s9, s9, exec_lo
	s_delay_alu instid0(SALU_CYCLE_1)
	s_or_b32 s28, s28, s9
	s_and_not1_b32 exec_lo, exec_lo, s27
	s_cbranch_execz .LBB67_225
.LBB67_220:                             ;   Parent Loop BB67_17 Depth=1
                                        ; =>  This Inner Loop Header: Depth=2
	s_delay_alu instid0(VALU_DEP_1)
	v_cmp_gt_i32_e32 vcc_lo, s17, v2
	v_mov_b32_e32 v3, 0
	s_and_saveexec_b32 s9, vcc_lo
	s_cbranch_execz .LBB67_222
; %bb.221:                              ;   in Loop: Header=BB67_220 Depth=2
	ds_load_u16 v3, v1
.LBB67_222:                             ;   in Loop: Header=BB67_220 Depth=2
	s_or_b32 exec_lo, exec_lo, s9
	s_and_saveexec_b32 s9, vcc_lo
	s_cbranch_execz .LBB67_219
; %bb.223:                              ;   in Loop: Header=BB67_220 Depth=2
	s_waitcnt lgkmcnt(0)
	v_cmp_lt_i16_e32 vcc_lo, -1, v3
	v_and_b32_e32 v4, 0xffff, v3
	v_dual_cndmask_b32 v6, 0xffff, v28 :: v_dual_lshlrev_b32 v13, 16, v3
	s_delay_alu instid0(VALU_DEP_1) | instskip(NEXT) | instid1(VALU_DEP_2)
	v_cmp_o_f32_e32 vcc_lo, v13, v13
	v_xor_b32_e32 v4, v6, v4
	s_delay_alu instid0(VALU_DEP_1) | instskip(NEXT) | instid1(VALU_DEP_1)
	v_cndmask_b32_e32 v4, 0xffff, v4, vcc_lo
	v_and_b32_e32 v4, s76, v4
	s_delay_alu instid0(VALU_DEP_1)
	v_cmp_eq_u32_e32 vcc_lo, s75, v4
	s_and_b32 exec_lo, exec_lo, vcc_lo
	s_cbranch_execz .LBB67_219
; %bb.224:                              ;   in Loop: Header=BB67_220 Depth=2
	v_perm_b32 v3, v3, s66, 0x5040100
	ds_store_b32 v7, v3 offset:3072
	s_branch .LBB67_219
.LBB67_225:                             ;   in Loop: Header=BB67_17 Depth=1
	s_or_b32 exec_lo, exec_lo, s27
	v_lshrrev_b32_e32 v29, 16, v3
	s_and_b32 s28, s28, exec_lo
.LBB67_226:                             ;   in Loop: Header=BB67_17 Depth=1
	s_or_b32 exec_lo, exec_lo, s18
	s_mov_b32 s27, -1
	s_mov_b32 s18, 0
	s_mov_b32 s26, 0
.LBB67_227:                             ;   in Loop: Header=BB67_17 Depth=1
	s_mov_b32 s37, 0
                                        ; implicit-def: $sgpr9
	s_and_saveexec_b32 s17, s28
	s_cbranch_execz .LBB67_241
; %bb.228:                              ;   in Loop: Header=BB67_17 Depth=1
	s_xor_b32 s9, s16, -1
	s_delay_alu instid0(SALU_CYCLE_1)
	s_and_not1_b32 vcc_lo, exec_lo, s9
	s_mov_b32 s9, 1
	s_cbranch_vccnz .LBB67_235
; %bb.229:                              ;   in Loop: Header=BB67_17 Depth=1
	s_cmp_gt_i32 s25, s10
	s_cbranch_scc1 .LBB67_236
; %bb.230:                              ;   in Loop: Header=BB67_17 Depth=1
	ds_load_b32 v1, v7 offset:4096
	s_waitcnt lgkmcnt(0)
	v_cmp_ne_u32_e32 vcc_lo, 0, v1
	s_cbranch_vccnz .LBB67_234
; %bb.231:                              ;   in Loop: Header=BB67_17 Depth=1
	s_and_saveexec_b32 s9, s2
	s_cbranch_execz .LBB67_233
; %bb.232:                              ;   in Loop: Header=BB67_17 Depth=1
	v_mov_b32_e32 v1, s10
	ds_store_b32 v7, v1 offset:4100
.LBB67_233:                             ;   in Loop: Header=BB67_17 Depth=1
	s_or_b32 exec_lo, exec_lo, s9
	s_waitcnt lgkmcnt(0)
	s_barrier
	buffer_gl0_inv
.LBB67_234:                             ;   in Loop: Header=BB67_17 Depth=1
	s_or_b32 s16, s75, s11
	s_or_b32 s11, s76, s11
	s_mov_b32 s28, 0
	s_mov_b32 s9, 8
	s_branch .LBB67_237
.LBB67_235:                             ;   in Loop: Header=BB67_17 Depth=1
	s_mov_b32 s25, 1
	s_branch .LBB67_240
.LBB67_236:                             ;   in Loop: Header=BB67_17 Depth=1
	s_mov_b32 s28, -1
                                        ; implicit-def: $sgpr9
                                        ; implicit-def: $sgpr16
                                        ; implicit-def: $sgpr11
.LBB67_237:                             ;   in Loop: Header=BB67_17 Depth=1
	s_delay_alu instid0(SALU_CYCLE_1)
	s_and_not1_b32 vcc_lo, exec_lo, s28
	s_cbranch_vccnz .LBB67_239
; %bb.238:                              ;   in Loop: Header=BB67_17 Depth=1
	s_sub_i32 s25, s25, s10
	s_mov_b32 s9, 8
	s_mov_b32 s16, s75
	;; [unrolled: 1-line block ×3, first 2 shown]
.LBB67_239:                             ;   in Loop: Header=BB67_17 Depth=1
	s_mov_b32 s75, s16
	s_mov_b32 s76, s11
.LBB67_240:                             ;   in Loop: Header=BB67_17 Depth=1
	s_mov_b32 s37, exec_lo
.LBB67_241:                             ;   in Loop: Header=BB67_17 Depth=1
	s_or_b32 exec_lo, exec_lo, s17
.LBB67_242:                             ;   in Loop: Header=BB67_17 Depth=1
	s_delay_alu instid0(SALU_CYCLE_1)
	s_and_not1_b32 s10, s21, exec_lo
	s_and_b32 s11, s18, exec_lo
	s_and_not1_b32 s16, s22, exec_lo
	s_or_b32 s21, s10, s11
	s_and_not1_b32 s10, s23, exec_lo
	s_and_b32 s11, s27, exec_lo
	s_and_b32 s17, s26, exec_lo
	s_or_b32 s23, s10, s11
	s_or_b32 s22, s16, s17
	s_and_b32 s28, s37, exec_lo
	s_mov_b32 s26, s25
.LBB67_243:                             ;   in Loop: Header=BB67_17 Depth=1
	s_or_b32 exec_lo, exec_lo, s24
.LBB67_244:                             ;   in Loop: Header=BB67_17 Depth=1
	s_delay_alu instid0(SALU_CYCLE_1)
	s_and_not1_b32 s10, s15, exec_lo
	s_and_b32 s11, s21, exec_lo
	s_and_not1_b32 s14, s14, exec_lo
	s_or_b32 s15, s10, s11
	s_and_not1_b32 s10, s19, exec_lo
	s_and_b32 s11, s23, exec_lo
	s_and_b32 s16, s22, exec_lo
	s_or_b32 s19, s10, s11
	s_or_b32 s14, s14, s16
	s_and_b32 s25, s28, exec_lo
	s_mov_b32 s22, s26
.LBB67_245:                             ;   in Loop: Header=BB67_17 Depth=1
	s_or_b32 exec_lo, exec_lo, s20
	s_and_saveexec_b32 s10, s25
	s_delay_alu instid0(SALU_CYCLE_1)
	s_xor_b32 s10, exec_lo, s10
	s_cbranch_execz .LBB67_15
.LBB67_246:                             ;   in Loop: Header=BB67_17 Depth=1
	s_and_b32 s9, s9, -9
	s_delay_alu instid0(SALU_CYCLE_1)
	s_cmp_eq_u32 s9, 0
	s_cbranch_scc1 .LBB67_13
; %bb.247:                              ;   in Loop: Header=BB67_17 Depth=1
	s_mov_b32 s9, -1
	s_mov_b32 s11, -1
                                        ; implicit-def: $sgpr76
                                        ; implicit-def: $sgpr22
                                        ; implicit-def: $sgpr70
                                        ; implicit-def: $sgpr73
	s_branch .LBB67_14
.LBB67_248:
	s_or_b32 exec_lo, exec_lo, s48
	s_xor_b32 s3, s69, -1
	s_xor_b32 s1, s67, -1
	;; [unrolled: 1-line block ×3, first 2 shown]
	s_mov_b32 s0, 0
	s_and_saveexec_b32 s5, s1
	s_delay_alu instid0(SALU_CYCLE_1)
	s_xor_b32 s1, exec_lo, s5
	s_cbranch_execz .LBB67_269
; %bb.249:
	s_and_saveexec_b32 s0, s3
	s_delay_alu instid0(SALU_CYCLE_1)
	s_xor_b32 s3, exec_lo, s0
	s_cbranch_execz .LBB67_267
; %bb.250:
	s_and_saveexec_b32 s0, s4
	s_delay_alu instid0(SALU_CYCLE_1)
	s_xor_b32 s0, exec_lo, s0
; %bb.251:
	v_and_b32_e32 v2, 0x8000, v1
	v_mov_b32_e32 v3, 0xffff
	s_delay_alu instid0(VALU_DEP_2) | instskip(NEXT) | instid1(VALU_DEP_2)
	v_cmp_eq_u32_e32 vcc_lo, 0, v2
	v_cndmask_b32_e32 v2, 0x8000, v3, vcc_lo
	s_delay_alu instid0(VALU_DEP_1)
	v_xor_b32_e32 v29, v2, v1
; %bb.252:
	s_or_b32 exec_lo, exec_lo, s0
	s_and_saveexec_b32 s0, s2
	s_cbranch_execz .LBB67_254
; %bb.253:
	v_dual_mov_b32 v1, 0 :: v_dual_mov_b32 v2, s36
	ds_store_b32 v1, v2 offset:4108
.LBB67_254:
	s_or_b32 exec_lo, exec_lo, s0
	v_mov_b32_e32 v1, 0
	s_waitcnt lgkmcnt(0)
	s_barrier
	buffer_gl0_inv
	s_mov_b32 s4, exec_lo
	ds_load_b32 v1, v1 offset:4108
	s_waitcnt lgkmcnt(0)
	v_min_i32_e32 v1, s36, v1
	s_delay_alu instid0(VALU_DEP_1)
	v_cmpx_lt_i32_e64 v0, v1
	s_cbranch_execz .LBB67_264
; %bb.255:
	v_lshlrev_b32_e32 v2, 16, v29
	s_mov_b32 s5, 0
                                        ; implicit-def: $sgpr6
                                        ; implicit-def: $sgpr9
                                        ; implicit-def: $sgpr8
	s_delay_alu instid0(VALU_DEP_1)
	v_cmp_u_f32_e32 vcc_lo, v2, v2
	s_xor_b32 s7, vcc_lo, -1
	s_set_inst_prefetch_distance 0x1
	s_branch .LBB67_257
	.p2align	6
.LBB67_256:                             ;   in Loop: Header=BB67_257 Depth=1
	s_or_b32 exec_lo, exec_lo, s0
	s_delay_alu instid0(SALU_CYCLE_1) | instskip(NEXT) | instid1(SALU_CYCLE_1)
	s_and_b32 s0, exec_lo, s9
	s_or_b32 s5, s0, s5
	s_and_not1_b32 s0, s6, exec_lo
	s_and_b32 s6, s8, exec_lo
	s_delay_alu instid0(SALU_CYCLE_1)
	s_or_b32 s6, s0, s6
	s_and_not1_b32 exec_lo, exec_lo, s5
	s_cbranch_execz .LBB67_259
.LBB67_257:                             ; =>This Inner Loop Header: Depth=1
	v_ashrrev_i32_e32 v6, 31, v5
	s_or_b32 s8, s8, exec_lo
	s_or_b32 s9, s9, exec_lo
	s_delay_alu instid0(VALU_DEP_1) | instskip(NEXT) | instid1(VALU_DEP_1)
	v_lshlrev_b64 v[3:4], 1, v[5:6]
	v_add_co_u32 v3, vcc_lo, s45, v3
	s_delay_alu instid0(VALU_DEP_2) | instskip(SKIP_3) | instid1(VALU_DEP_1)
	v_add_co_ci_u32_e32 v4, vcc_lo, s46, v4, vcc_lo
	global_load_u16 v3, v[3:4], off
	s_waitcnt vmcnt(0)
	v_lshlrev_b32_e32 v3, 16, v3
	v_cmp_o_f32_e32 vcc_lo, v3, v3
	v_cmp_neq_f32_e64 s0, v3, v2
	v_mov_b32_e32 v3, v0
                                        ; implicit-def: $vgpr0
	s_or_b32 s10, s7, vcc_lo
	s_delay_alu instid0(VALU_DEP_2) | instid1(SALU_CYCLE_1)
	s_and_b32 s10, s0, s10
	s_delay_alu instid0(SALU_CYCLE_1)
	s_and_saveexec_b32 s0, s10
	s_cbranch_execz .LBB67_256
; %bb.258:                              ;   in Loop: Header=BB67_257 Depth=1
	v_add_nc_u32_e32 v0, s47, v3
	s_and_not1_b32 s9, s9, exec_lo
	v_add_nc_u32_e32 v5, s51, v5
	s_and_not1_b32 s8, s8, exec_lo
	s_delay_alu instid0(VALU_DEP_2) | instskip(SKIP_1) | instid1(SALU_CYCLE_1)
	v_cmp_ge_i32_e32 vcc_lo, v0, v1
	s_and_b32 s10, vcc_lo, exec_lo
	s_or_b32 s9, s9, s10
	s_branch .LBB67_256
.LBB67_259:
	s_set_inst_prefetch_distance 0x2
	s_or_b32 exec_lo, exec_lo, s5
	s_and_saveexec_b32 s0, s6
	s_delay_alu instid0(SALU_CYCLE_1)
	s_xor_b32 s0, exec_lo, s0
	s_cbranch_execz .LBB67_264
; %bb.260:
	s_mov_b32 s5, exec_lo
	s_brev_b32 s0, -2
.LBB67_261:                             ; =>This Inner Loop Header: Depth=1
	s_ctz_i32_b32 s6, s5
	s_delay_alu instid0(SALU_CYCLE_1) | instskip(SKIP_1) | instid1(SALU_CYCLE_1)
	v_readlane_b32 s7, v3, s6
	s_lshl_b32 s6, 1, s6
	s_and_not1_b32 s5, s5, s6
	s_delay_alu instid0(VALU_DEP_1)
	s_min_i32 s0, s0, s7
	s_cmp_lg_u32 s5, 0
	s_cbranch_scc1 .LBB67_261
; %bb.262:
	v_mbcnt_lo_u32_b32 v0, exec_lo, 0
	s_mov_b32 s5, exec_lo
	s_delay_alu instid0(VALU_DEP_1)
	v_cmpx_eq_u32_e32 0, v0
	s_xor_b32 s5, exec_lo, s5
	s_cbranch_execz .LBB67_264
; %bb.263:
	v_dual_mov_b32 v0, 0 :: v_dual_mov_b32 v1, s0
	ds_min_i32 v0, v1 offset:4108
.LBB67_264:
	s_or_b32 exec_lo, exec_lo, s4
	s_waitcnt lgkmcnt(0)
	s_barrier
	buffer_gl0_inv
	s_and_saveexec_b32 s0, s2
	s_cbranch_execz .LBB67_266
; %bb.265:
	v_mov_b32_e32 v2, 0
	s_mul_i32 s2, s30, s38
	s_delay_alu instid0(SALU_CYCLE_1)
	s_add_i32 s4, s2, s29
	s_mul_i32 s2, s44, s33
	ds_load_b32 v0, v2 offset:4108
	s_ashr_i32 s5, s4, 31
	s_add_i32 s6, s2, s31
	s_lshl_b64 s[4:5], s[4:5], 1
	s_delay_alu instid0(SALU_CYCLE_1) | instskip(SKIP_2) | instid1(SALU_CYCLE_1)
	s_add_u32 s4, s40, s4
	s_addc_u32 s5, s41, s5
	s_ashr_i32 s7, s6, 31
	s_lshl_b64 s[6:7], s[6:7], 3
	s_delay_alu instid0(SALU_CYCLE_1)
	s_add_u32 s6, s34, s6
	s_addc_u32 s7, s35, s7
	s_waitcnt lgkmcnt(0)
	v_ashrrev_i32_e32 v1, 31, v0
	s_clause 0x1
	global_store_b64 v2, v[0:1], s[6:7]
	global_store_b16 v2, v29, s[4:5]
.LBB67_266:
	s_or_b32 exec_lo, exec_lo, s0
.LBB67_267:
	s_or_saveexec_b32 s0, s3
	s_mov_b32 s2, 0
	s_xor_b32 exec_lo, exec_lo, s0
	s_cbranch_execnz .LBB67_275
.LBB67_268:
	s_or_b32 exec_lo, exec_lo, s0
	s_delay_alu instid0(SALU_CYCLE_1)
	s_and_b32 s0, s2, exec_lo
.LBB67_269:
	s_and_not1_saveexec_b32 s1, s1
	s_cbranch_execnz .LBB67_273
; %bb.270:
	s_or_b32 exec_lo, exec_lo, s1
	s_and_saveexec_b32 s1, s0
.LBB67_271:
	; divergent unreachable
.LBB67_272:
	s_nop 0
	s_sendmsg sendmsg(MSG_DEALLOC_VGPRS)
	s_endpgm
.LBB67_273:
	s_cbranch_execnz .LBB67_277
; %bb.274:
	s_or_b32 s0, s0, exec_lo
	s_or_b32 exec_lo, exec_lo, s1
	s_and_saveexec_b32 s1, s0
	s_cbranch_execnz .LBB67_271
	s_branch .LBB67_272
.LBB67_275:
	s_cbranch_execnz .LBB67_279
; %bb.276:
	s_mov_b32 s2, exec_lo
	s_branch .LBB67_268
.LBB67_277:
	s_trap 2
	s_sendmsg_rtn_b32 s0, sendmsg(MSG_RTN_GET_DOORBELL)
	s_mov_b32 ttmp2, m0
	s_waitcnt lgkmcnt(0)
	s_and_b32 s0, s0, 0x3ff
	s_delay_alu instid0(SALU_CYCLE_1) | instskip(NEXT) | instid1(SALU_CYCLE_1)
	s_bitset1_b32 s0, 10
	s_mov_b32 m0, s0
	s_sendmsg sendmsg(MSG_INTERRUPT)
	s_mov_b32 m0, ttmp2
.LBB67_278:                             ; =>This Inner Loop Header: Depth=1
	s_sethalt 5
	s_branch .LBB67_278
.LBB67_279:
	s_trap 2
	s_sendmsg_rtn_b32 s0, sendmsg(MSG_RTN_GET_DOORBELL)
	s_mov_b32 ttmp2, m0
	s_waitcnt lgkmcnt(0)
	s_and_b32 s0, s0, 0x3ff
	s_delay_alu instid0(SALU_CYCLE_1) | instskip(NEXT) | instid1(SALU_CYCLE_1)
	s_bitset1_b32 s0, 10
	s_mov_b32 m0, s0
	s_sendmsg sendmsg(MSG_INTERRUPT)
	s_mov_b32 m0, ttmp2
.LBB67_280:                             ; =>This Inner Loop Header: Depth=1
	s_sethalt 5
	s_branch .LBB67_280
	.section	.rodata,"a",@progbits
	.p2align	6, 0x0
	.amdhsa_kernel _ZN2at6native12_GLOBAL__N_114gatherKthValueIN3c108BFloat16EiLin1EEEvNS_4cuda6detail10TensorInfoIKT_T0_EESA_SA_SA_SA_NS7_IS8_SA_EENS7_IlSA_EE
		.amdhsa_group_segment_fixed_size 4112
		.amdhsa_private_segment_fixed_size 0
		.amdhsa_kernarg_size 920
		.amdhsa_user_sgpr_count 13
		.amdhsa_user_sgpr_dispatch_ptr 0
		.amdhsa_user_sgpr_queue_ptr 0
		.amdhsa_user_sgpr_kernarg_segment_ptr 1
		.amdhsa_user_sgpr_dispatch_id 0
		.amdhsa_user_sgpr_private_segment_size 0
		.amdhsa_wavefront_size32 1
		.amdhsa_uses_dynamic_stack 0
		.amdhsa_enable_private_segment 0
		.amdhsa_system_sgpr_workgroup_id_x 1
		.amdhsa_system_sgpr_workgroup_id_y 1
		.amdhsa_system_sgpr_workgroup_id_z 1
		.amdhsa_system_sgpr_workgroup_info 0
		.amdhsa_system_vgpr_workitem_id 0
		.amdhsa_next_free_vgpr 40
		.amdhsa_next_free_sgpr 86
		.amdhsa_reserve_vcc 1
		.amdhsa_float_round_mode_32 0
		.amdhsa_float_round_mode_16_64 0
		.amdhsa_float_denorm_mode_32 3
		.amdhsa_float_denorm_mode_16_64 3
		.amdhsa_dx10_clamp 1
		.amdhsa_ieee_mode 1
		.amdhsa_fp16_overflow 0
		.amdhsa_workgroup_processor_mode 1
		.amdhsa_memory_ordered 1
		.amdhsa_forward_progress 0
		.amdhsa_shared_vgpr_count 0
		.amdhsa_exception_fp_ieee_invalid_op 0
		.amdhsa_exception_fp_denorm_src 0
		.amdhsa_exception_fp_ieee_div_zero 0
		.amdhsa_exception_fp_ieee_overflow 0
		.amdhsa_exception_fp_ieee_underflow 0
		.amdhsa_exception_fp_ieee_inexact 0
		.amdhsa_exception_int_div_zero 0
	.end_amdhsa_kernel
	.section	.text._ZN2at6native12_GLOBAL__N_114gatherKthValueIN3c108BFloat16EiLin1EEEvNS_4cuda6detail10TensorInfoIKT_T0_EESA_SA_SA_SA_NS7_IS8_SA_EENS7_IlSA_EE,"axG",@progbits,_ZN2at6native12_GLOBAL__N_114gatherKthValueIN3c108BFloat16EiLin1EEEvNS_4cuda6detail10TensorInfoIKT_T0_EESA_SA_SA_SA_NS7_IS8_SA_EENS7_IlSA_EE,comdat
.Lfunc_end67:
	.size	_ZN2at6native12_GLOBAL__N_114gatherKthValueIN3c108BFloat16EiLin1EEEvNS_4cuda6detail10TensorInfoIKT_T0_EESA_SA_SA_SA_NS7_IS8_SA_EENS7_IlSA_EE, .Lfunc_end67-_ZN2at6native12_GLOBAL__N_114gatherKthValueIN3c108BFloat16EiLin1EEEvNS_4cuda6detail10TensorInfoIKT_T0_EESA_SA_SA_SA_NS7_IS8_SA_EENS7_IlSA_EE
                                        ; -- End function
	.section	.AMDGPU.csdata,"",@progbits
; Kernel info:
; codeLenInByte = 11492
; NumSgprs: 88
; NumVgprs: 40
; ScratchSize: 0
; MemoryBound: 0
; FloatMode: 240
; IeeeMode: 1
; LDSByteSize: 4112 bytes/workgroup (compile time only)
; SGPRBlocks: 10
; VGPRBlocks: 4
; NumSGPRsForWavesPerEU: 88
; NumVGPRsForWavesPerEU: 40
; Occupancy: 16
; WaveLimiterHint : 1
; COMPUTE_PGM_RSRC2:SCRATCH_EN: 0
; COMPUTE_PGM_RSRC2:USER_SGPR: 13
; COMPUTE_PGM_RSRC2:TRAP_HANDLER: 0
; COMPUTE_PGM_RSRC2:TGID_X_EN: 1
; COMPUTE_PGM_RSRC2:TGID_Y_EN: 1
; COMPUTE_PGM_RSRC2:TGID_Z_EN: 1
; COMPUTE_PGM_RSRC2:TIDIG_COMP_CNT: 0
	.section	.text._ZN2at6native12_GLOBAL__N_114gatherKthValueIN3c108BFloat16ElLi1EEEvNS_4cuda6detail10TensorInfoIKT_T0_EESA_SA_SA_SA_NS7_IS8_SA_EENS7_IlSA_EE,"axG",@progbits,_ZN2at6native12_GLOBAL__N_114gatherKthValueIN3c108BFloat16ElLi1EEEvNS_4cuda6detail10TensorInfoIKT_T0_EESA_SA_SA_SA_NS7_IS8_SA_EENS7_IlSA_EE,comdat
	.globl	_ZN2at6native12_GLOBAL__N_114gatherKthValueIN3c108BFloat16ElLi1EEEvNS_4cuda6detail10TensorInfoIKT_T0_EESA_SA_SA_SA_NS7_IS8_SA_EENS7_IlSA_EE ; -- Begin function _ZN2at6native12_GLOBAL__N_114gatherKthValueIN3c108BFloat16ElLi1EEEvNS_4cuda6detail10TensorInfoIKT_T0_EESA_SA_SA_SA_NS7_IS8_SA_EENS7_IlSA_EE
	.p2align	8
	.type	_ZN2at6native12_GLOBAL__N_114gatherKthValueIN3c108BFloat16ElLi1EEEvNS_4cuda6detail10TensorInfoIKT_T0_EESA_SA_SA_SA_NS7_IS8_SA_EENS7_IlSA_EE,@function
_ZN2at6native12_GLOBAL__N_114gatherKthValueIN3c108BFloat16ElLi1EEEvNS_4cuda6detail10TensorInfoIKT_T0_EESA_SA_SA_SA_NS7_IS8_SA_EENS7_IlSA_EE: ; @_ZN2at6native12_GLOBAL__N_114gatherKthValueIN3c108BFloat16ElLi1EEEvNS_4cuda6detail10TensorInfoIKT_T0_EESA_SA_SA_SA_NS7_IS8_SA_EENS7_IlSA_EE
; %bb.0:
	s_clause 0x1
	s_load_b64 s[6:7], s[0:1], 0x500
	s_load_b256 s[24:31], s[0:1], 0x1a0
	s_add_u32 s4, s0, 0x500
	s_addc_u32 s5, s1, 0
	s_mov_b32 s35, 0
	s_waitcnt lgkmcnt(0)
	s_mul_i32 s2, s7, s15
	s_delay_alu instid0(SALU_CYCLE_1) | instskip(NEXT) | instid1(SALU_CYCLE_1)
	s_add_i32 s2, s2, s14
	s_mul_i32 s2, s2, s6
	s_delay_alu instid0(SALU_CYCLE_1) | instskip(NEXT) | instid1(SALU_CYCLE_1)
	s_add_i32 s34, s2, s13
	v_cmp_ge_i64_e64 s2, s[34:35], s[28:29]
	s_delay_alu instid0(VALU_DEP_1)
	s_and_b32 vcc_lo, exec_lo, s2
	s_cbranch_vccnz .LBB68_300
; %bb.1:
	s_clause 0x5
	s_load_b64 s[38:39], s[0:1], 0x430
	s_load_b64 s[28:29], s[0:1], 0x360
	;; [unrolled: 1-line block ×6, first 2 shown]
	v_cmp_eq_u32_e64 s0, 0, v0
	s_delay_alu instid0(VALU_DEP_1)
	s_and_saveexec_b32 s1, s0
	s_cbranch_execz .LBB68_3
; %bb.2:
	v_dual_mov_b32 v1, 0 :: v_dual_mov_b32 v4, s25
	s_delay_alu instid0(VALU_DEP_1)
	v_dual_mov_b32 v3, s24 :: v_dual_mov_b32 v2, v1
	ds_store_b32 v1, v1 offset:5136
	ds_store_b128 v1, v[1:4] offset:5120
.LBB68_3:
	s_or_b32 exec_lo, exec_lo, s1
	v_mad_u64_u32 v[2:3], null, v0, s30, 0
	v_lshlrev_b32_e32 v33, 3, v0
	v_mbcnt_lo_u32_b32 v29, -1, 0
	v_dual_mov_b32 v13, 0 :: v_dual_lshlrev_b32 v14, 2, v0
	v_lshrrev_b32_e32 v6, 3, v0
	s_delay_alu instid0(VALU_DEP_4)
	v_or_b32_e32 v22, 2, v33
	v_dual_mov_b32 v1, v3 :: v_dual_lshlrev_b32 v30, 1, v0
	s_waitcnt lgkmcnt(0)
	s_mul_i32 s1, s3, s34
	s_mul_hi_u32 s3, s2, s34
	v_mad_u64_u32 v[20:21], null, s30, v22, 0
	v_mad_u64_u32 v[3:4], null, v0, s31, v[1:2]
	s_barrier
	buffer_gl0_inv
	s_load_b32 s7, s[4:5], 0xc
	s_mul_i32 s10, s2, s34
	s_add_i32 s11, s3, s1
	v_lshlrev_b64 v[4:5], 1, v[2:3]
	v_cmp_gt_u32_e32 vcc_lo, 32, v0
	v_cmp_gt_i32_e64 s1, 4, v29
	v_dual_mov_b32 v1, v13 :: v_dual_and_b32 v32, 0x7c, v6
	v_mov_b32_e32 v6, v21
	v_or_b32_e32 v9, 6, v33
	v_or_b32_e32 v12, 4, v33
	s_lshl_b64 s[10:11], s[10:11], 1
	v_cmp_lt_i64_e64 s35, 0x600, s[24:25]
	s_add_u32 s46, s8, s10
	s_addc_u32 s47, s9, s11
	s_and_b32 s68, vcc_lo, s1
	v_add_co_u32 v10, vcc_lo, s46, v4
	v_mad_u64_u32 v[16:17], null, s30, v9, 0
	v_mad_u64_u32 v[18:19], null, s30, v12, 0
	v_add_co_ci_u32_e32 v11, vcc_lo, s47, v5, vcc_lo
	v_lshlrev_b64 v[4:5], v29, -1
	v_add_nc_u32_e32 v31, 0xc00, v30
	s_waitcnt lgkmcnt(0)
	s_and_b32 s33, s7, 0xffff
	s_bfe_u32 s8, s7, 0xb0005
	s_delay_alu instid0(VALU_DEP_4)
	v_mov_b32_e32 v5, v19
	s_add_u32 s69, s33, -1
	v_not_b32_e32 v34, v4
	v_mov_b32_e32 v4, v17
	s_addc_u32 s70, 0, -1
	s_add_u32 s71, s69, s24
	s_addc_u32 s49, s70, s25
	s_cmp_lt_u32 s13, s6
	v_mad_u64_u32 v[7:8], null, s31, v9, v[4:5]
	s_cselect_b32 s6, 12, 18
	v_mad_u64_u32 v[8:9], null, s31, v12, v[5:6]
	s_add_u32 s50, s4, s6
	s_addc_u32 s51, s5, 0
	s_add_i32 s4, s8, -1
	s_delay_alu instid0(VALU_DEP_2)
	v_mad_u64_u32 v[4:5], null, s31, v22, v[6:7]
	s_bfe_u32 s72, s33, 0x30005
	s_cmp_gt_u32 s4, 6
	v_add_co_u32 v36, s6, s24, v0
	s_cselect_b32 s73, -1, 0
	s_and_b32 s74, s8, 0x7f8
	v_cmp_gt_i64_e64 s1, s[24:25], v[0:1]
	s_cmp_lg_u32 s72, 0
	v_lshlrev_b64 v[21:22], 3, v[2:3]
	s_mul_i32 s4, s31, s33
	s_mul_hi_u32 s5, s30, s33
	v_cmp_gt_u32_e64 s2, 2, v0
	v_cmp_eq_u32_e64 s3, 0, v29
	v_mov_b32_e32 v15, v13
	v_cmp_gt_u16_e64 s75, s7, 31
	v_mov_b32_e32 v17, v7
	v_mov_b32_e32 v19, v8
	;; [unrolled: 1-line block ×3, first 2 shown]
	v_add_co_ci_u32_e64 v37, null, s25, 0, s6
	v_lshl_or_b32 v38, v29, 3, 0xc00
	v_mov_b32_e32 v39, 0x8000
	v_cvt_f32_ubyte0_e32 v40, 0
	v_mov_b32_e32 v41, 0
	s_cselect_b32 s76, -1, 0
	s_add_i32 s5, s5, s4
	s_mul_i32 s4, s30, s33
	s_mov_b32 s45, 0
	s_lshl_b64 s[52:53], s[30:31], 1
	s_lshl_b64 s[54:55], s[30:31], 3
	;; [unrolled: 1-line block ×3, first 2 shown]
	s_lshl_b32 s77, s33, 1
	s_mov_b32 s82, 14
	s_movk_i32 s78, 0x3f80
	s_mov_b32 s79, 0
	s_mov_b32 s84, 0
	;; [unrolled: 1-line block ×4, first 2 shown]
                                        ; implicit-def: $sgpr80
                                        ; implicit-def: $sgpr83
                                        ; implicit-def: $sgpr81
                                        ; implicit-def: $sgpr86
                                        ; implicit-def: $sgpr87
                                        ; implicit-def: $sgpr85
	s_branch .LBB68_8
.LBB68_4:                               ;   in Loop: Header=BB68_8 Depth=1
	s_xor_b32 s84, s84, 1
	s_add_i32 s7, s82, -2
	s_cmp_eq_u32 s82, 0
	s_mov_b32 s5, 0
	s_cselect_b32 s6, -1, 0
	s_mov_b32 s82, s7
.LBB68_5:                               ;   in Loop: Header=BB68_8 Depth=1
	s_and_not1_b32 s7, s20, exec_lo
	s_and_b32 s5, s5, exec_lo
	s_and_not1_b32 s21, s21, exec_lo
	s_or_b32 s20, s7, s5
	s_and_not1_b32 s19, s19, exec_lo
	s_or_not1_b32 s15, s6, exec_lo
.LBB68_6:                               ;   in Loop: Header=BB68_8 Depth=1
	s_or_b32 exec_lo, exec_lo, s4
	s_delay_alu instid0(SALU_CYCLE_1)
	s_and_not1_b32 s4, s85, exec_lo
	s_and_b32 s5, s20, exec_lo
	s_and_not1_b32 s6, s86, exec_lo
	s_or_b32 s85, s4, s5
	s_and_not1_b32 s4, s87, exec_lo
	s_and_b32 s5, s21, exec_lo
	s_and_b32 s7, s19, exec_lo
	s_or_b32 s87, s4, s5
	s_or_b32 s86, s6, s7
	s_or_not1_b32 s19, s15, exec_lo
.LBB68_7:                               ;   in Loop: Header=BB68_8 Depth=1
	s_or_b32 exec_lo, exec_lo, s14
	s_delay_alu instid0(SALU_CYCLE_1)
	s_and_b32 s4, exec_lo, s19
	v_mov_b32_e32 v2, s89
	s_or_b32 s79, s4, s79
	s_and_not1_b32 s4, s81, exec_lo
	s_and_b32 s5, s85, exec_lo
	s_and_not1_b32 s6, s80, exec_lo
	s_or_b32 s81, s4, s5
	s_and_not1_b32 s4, s83, exec_lo
	s_and_b32 s5, s87, exec_lo
	s_and_b32 s7, s86, exec_lo
	s_or_b32 s83, s4, s5
	s_or_b32 s80, s6, s7
	s_and_not1_b32 exec_lo, exec_lo, s79
	s_cbranch_execz .LBB68_274
.LBB68_8:                               ; =>This Loop Header: Depth=1
                                        ;     Child Loop BB68_13 Depth 2
                                        ;     Child Loop BB68_32 Depth 2
	;; [unrolled: 1-line block ×16, first 2 shown]
	ds_load_b128 v[2:5], v13 offset:5120
	s_waitcnt lgkmcnt(0)
	v_readfirstlane_b32 s57, v3
	v_readfirstlane_b32 s56, v2
	s_delay_alu instid0(VALU_DEP_1) | instskip(NEXT) | instid1(VALU_DEP_1)
	v_cmp_gt_i64_e64 s4, s[56:57], 0
	s_and_b32 vcc_lo, exec_lo, s4
	s_cbranch_vccnz .LBB68_39
; %bb.9:                                ;   in Loop: Header=BB68_8 Depth=1
	s_and_b32 vcc_lo, exec_lo, s35
	s_cbranch_vccz .LBB68_21
; %bb.10:                               ;   in Loop: Header=BB68_8 Depth=1
	v_cmp_gt_i64_e32 vcc_lo, 0x601, v[4:5]
	s_mov_b32 s6, 0
	s_mov_b32 s4, 0
	s_cbranch_vccz .LBB68_26
; %bb.11:                               ;   in Loop: Header=BB68_8 Depth=1
	global_load_u16 v6, v13, s[50:51]
	global_load_u16 v7, v[10:11], off
	s_mov_b32 s8, 0
	s_waitcnt vmcnt(1)
	v_readfirstlane_b32 s4, v6
	v_and_b32_e32 v6, 0xffff, v6
	s_delay_alu instid0(VALU_DEP_2) | instskip(NEXT) | instid1(SALU_CYCLE_1)
	s_and_b32 s4, 0xffff, s4
	v_add_nc_u32_e32 v8, s4, v0
	s_mul_i32 s5, s53, s4
	s_mul_hi_u32 s7, s52, s4
	s_mul_i32 s9, s52, s4
	s_add_i32 s7, s7, s5
	v_mad_u64_u32 v[2:3], null, s52, v8, s[46:47]
	s_delay_alu instid0(VALU_DEP_1) | instskip(NEXT) | instid1(VALU_DEP_1)
	v_mad_u64_u32 v[4:5], null, s53, v8, v[3:4]
	v_mov_b32_e32 v3, v4
	v_dual_mov_b32 v5, v1 :: v_dual_mov_b32 v4, v0
	s_branch .LBB68_13
.LBB68_12:                              ;   in Loop: Header=BB68_13 Depth=2
	s_or_b32 exec_lo, exec_lo, s5
	v_add_co_u32 v2, vcc_lo, v2, s9
	v_add_co_ci_u32_e32 v3, vcc_lo, s7, v3, vcc_lo
	v_mov_b32_e32 v7, v8
	s_and_not1_b32 exec_lo, exec_lo, s8
	s_cbranch_execz .LBB68_22
.LBB68_13:                              ;   Parent Loop BB68_8 Depth=1
                                        ; =>  This Inner Loop Header: Depth=2
	s_delay_alu instid0(VALU_DEP_1) | instskip(NEXT) | instid1(VALU_DEP_2)
	v_add_co_u32 v4, vcc_lo, v4, v6
	v_add_co_ci_u32_e32 v5, vcc_lo, 0, v5, vcc_lo
	s_waitcnt lgkmcnt(0)
	v_dual_mov_b32 v9, 0 :: v_dual_mov_b32 v8, 0
	s_mov_b32 s5, exec_lo
	s_delay_alu instid0(VALU_DEP_2)
	v_cmp_le_i64_e32 vcc_lo, s[24:25], v[4:5]
	v_cmpx_gt_i64_e64 s[24:25], v[4:5]
	s_cbranch_execz .LBB68_15
; %bb.14:                               ;   in Loop: Header=BB68_13 Depth=2
	global_load_u16 v8, v[2:3], off
.LBB68_15:                              ;   in Loop: Header=BB68_13 Depth=2
	s_or_b32 exec_lo, exec_lo, s5
	s_waitcnt vmcnt(0)
	v_cmp_lt_i16_e64 s4, -1, v7
	v_and_b32_e32 v12, 0xffff, v7
	v_lshlrev_b32_e32 v24, 16, v7
	s_delay_alu instid0(VALU_DEP_3) | instskip(NEXT) | instid1(VALU_DEP_2)
	v_cndmask_b32_e64 v23, 0xffff, v39, s4
	v_cmp_o_f32_e64 s4, v24, v24
	s_delay_alu instid0(VALU_DEP_2) | instskip(NEXT) | instid1(VALU_DEP_1)
	v_xor_b32_e32 v12, v23, v12
	v_cndmask_b32_e64 v12, 0xffff, v12, s4
	s_delay_alu instid0(VALU_DEP_1) | instskip(NEXT) | instid1(VALU_DEP_1)
	v_and_b32_e32 v12, s88, v12
	v_cmp_eq_u32_e64 s4, s89, v12
	s_delay_alu instid0(VALU_DEP_1) | instskip(SKIP_1) | instid1(SALU_CYCLE_1)
	s_cmp_lg_u32 s4, 0
	s_cselect_b32 s5, -1, 0
	s_and_b32 s5, s3, s5
	s_delay_alu instid0(SALU_CYCLE_1)
	s_and_saveexec_b32 s10, s5
	s_cbranch_execz .LBB68_19
; %bb.16:                               ;   in Loop: Header=BB68_13 Depth=2
	s_mov_b32 s13, exec_lo
	s_bcnt1_i32_b32 s11, s4
	v_mbcnt_lo_u32_b32 v9, s13, 0
	s_mov_b32 s12, exec_lo
                                        ; implicit-def: $vgpr12
	s_delay_alu instid0(VALU_DEP_1)
	v_cmpx_eq_u32_e32 0, v9
	s_cbranch_execz .LBB68_18
; %bb.17:                               ;   in Loop: Header=BB68_13 Depth=2
	s_bcnt1_i32_b32 s5, s13
	s_delay_alu instid0(SALU_CYCLE_1) | instskip(NEXT) | instid1(SALU_CYCLE_1)
	s_mul_i32 s5, s11, s5
	v_mov_b32_e32 v12, s5
	ds_add_rtn_u32 v12, v13, v12 offset:5136
.LBB68_18:                              ;   in Loop: Header=BB68_13 Depth=2
	s_or_b32 exec_lo, exec_lo, s12
	s_waitcnt lgkmcnt(0)
	v_readfirstlane_b32 s5, v12
	s_delay_alu instid0(VALU_DEP_1)
	v_mad_u32_u24 v9, s11, v9, s5
.LBB68_19:                              ;   in Loop: Header=BB68_13 Depth=2
	s_or_b32 exec_lo, exec_lo, s10
	ds_bpermute_b32 v9, v13, v9
	s_and_b32 s5, exec_lo, vcc_lo
	s_delay_alu instid0(SALU_CYCLE_1)
	s_or_b32 s8, s5, s8
	s_and_saveexec_b32 s5, s4
	s_cbranch_execz .LBB68_12
; %bb.20:                               ;   in Loop: Header=BB68_13 Depth=2
	v_and_b32_e32 v12, s4, v34
	s_delay_alu instid0(VALU_DEP_1) | instskip(NEXT) | instid1(VALU_DEP_1)
	v_bcnt_u32_b32 v12, v12, 0
	v_lshlrev_b32_e32 v12, 1, v12
	s_waitcnt lgkmcnt(0)
	s_delay_alu instid0(VALU_DEP_1)
	v_lshl_add_u32 v9, v9, 1, v12
	ds_store_b16 v9, v7
	s_branch .LBB68_12
.LBB68_21:                              ;   in Loop: Header=BB68_8 Depth=1
	s_mov_b32 s6, -1
	s_mov_b32 s4, 0
	s_branch .LBB68_25
.LBB68_22:                              ;   in Loop: Header=BB68_8 Depth=1
	s_or_b32 exec_lo, exec_lo, s8
	s_waitcnt lgkmcnt(0)
	s_barrier
	buffer_gl0_inv
	s_and_saveexec_b32 s4, s0
	s_cbranch_execz .LBB68_24
; %bb.23:                               ;   in Loop: Header=BB68_8 Depth=1
	ds_load_b32 v2, v13 offset:5136
	s_waitcnt lgkmcnt(0)
	v_ashrrev_i32_e32 v3, 31, v2
	ds_store_b64 v13, v[2:3] offset:5120
.LBB68_24:                              ;   in Loop: Header=BB68_8 Depth=1
	s_or_b32 exec_lo, exec_lo, s4
	s_waitcnt lgkmcnt(0)
	s_mov_b32 s4, -1
	s_barrier
.LBB68_25:                              ;   in Loop: Header=BB68_8 Depth=1
                                        ; implicit-def: $sgpr56_sgpr57
.LBB68_26:                              ;   in Loop: Header=BB68_8 Depth=1
	s_and_b32 vcc_lo, exec_lo, s6
	s_cbranch_vccz .LBB68_37
; %bb.27:                               ;   in Loop: Header=BB68_8 Depth=1
	v_mov_b32_e32 v6, 0
	s_and_saveexec_b32 s4, s1
	s_cbranch_execz .LBB68_29
; %bb.28:                               ;   in Loop: Header=BB68_8 Depth=1
	global_load_u16 v6, v[10:11], off
.LBB68_29:                              ;   in Loop: Header=BB68_8 Depth=1
	s_or_b32 exec_lo, exec_lo, s4
	s_and_saveexec_b32 s5, s1
	s_cbranch_execz .LBB68_34
; %bb.30:                               ;   in Loop: Header=BB68_8 Depth=1
	global_load_u16 v8, v13, s[50:51]
	s_mov_b32 s9, 0
	s_waitcnt vmcnt(0)
	v_readfirstlane_b32 s4, v8
	v_and_b32_e32 v8, 0xffff, v8
	s_delay_alu instid0(VALU_DEP_2) | instskip(NEXT) | instid1(SALU_CYCLE_1)
	s_and_b32 s4, 0xffff, s4
	v_add_nc_u32_e32 v7, s4, v0
	s_mul_i32 s7, s53, s4
	s_mul_hi_u32 s8, s52, s4
	s_lshl_b32 s6, s4, 1
	s_add_i32 s7, s8, s7
	v_mad_u64_u32 v[2:3], null, s52, v7, s[46:47]
	s_mul_i32 s8, s52, s4
	s_delay_alu instid0(VALU_DEP_1) | instskip(SKIP_1) | instid1(VALU_DEP_2)
	v_mad_u64_u32 v[4:5], null, s53, v7, v[3:4]
	v_mov_b32_e32 v7, v30
	v_mov_b32_e32 v3, v4
	v_dual_mov_b32 v5, v1 :: v_dual_mov_b32 v4, v0
	s_branch .LBB68_32
	.p2align	6
.LBB68_31:                              ;   in Loop: Header=BB68_32 Depth=2
	s_or_b32 exec_lo, exec_lo, s10
	s_delay_alu instid0(SALU_CYCLE_1)
	s_and_b32 s4, exec_lo, vcc_lo
	v_add_co_u32 v2, vcc_lo, v2, s8
	ds_store_b16 v7, v6
	s_waitcnt vmcnt(0)
	v_dual_mov_b32 v6, v9 :: v_dual_add_nc_u32 v7, s6, v7
	v_add_co_ci_u32_e32 v3, vcc_lo, s7, v3, vcc_lo
	s_or_b32 s9, s4, s9
	s_delay_alu instid0(SALU_CYCLE_1)
	s_and_not1_b32 exec_lo, exec_lo, s9
	s_cbranch_execz .LBB68_34
.LBB68_32:                              ;   Parent Loop BB68_8 Depth=1
                                        ; =>  This Inner Loop Header: Depth=2
	s_delay_alu instid0(VALU_DEP_1) | instskip(NEXT) | instid1(VALU_DEP_2)
	v_add_co_u32 v4, vcc_lo, v4, v8
	v_add_co_ci_u32_e32 v5, vcc_lo, 0, v5, vcc_lo
	v_mov_b32_e32 v9, 0
	s_mov_b32 s10, exec_lo
	s_delay_alu instid0(VALU_DEP_2)
	v_cmp_le_i64_e32 vcc_lo, s[24:25], v[4:5]
	v_cmpx_gt_i64_e64 s[24:25], v[4:5]
	s_cbranch_execz .LBB68_31
; %bb.33:                               ;   in Loop: Header=BB68_32 Depth=2
	global_load_u16 v9, v[2:3], off
	s_branch .LBB68_31
.LBB68_34:                              ;   in Loop: Header=BB68_8 Depth=1
	s_or_b32 exec_lo, exec_lo, s5
	s_waitcnt vmcnt(0) lgkmcnt(0)
	s_barrier
	buffer_gl0_inv
	s_and_saveexec_b32 s4, s0
	s_cbranch_execz .LBB68_36
; %bb.35:                               ;   in Loop: Header=BB68_8 Depth=1
	v_dual_mov_b32 v2, s24 :: v_dual_mov_b32 v3, s25
	ds_store_b64 v13, v[2:3] offset:5120
.LBB68_36:                              ;   in Loop: Header=BB68_8 Depth=1
	s_or_b32 exec_lo, exec_lo, s4
	s_mov_b32 s4, -1
	s_waitcnt lgkmcnt(0)
	s_barrier
                                        ; implicit-def: $sgpr56_sgpr57
.LBB68_37:                              ;   in Loop: Header=BB68_8 Depth=1
	s_and_b32 vcc_lo, exec_lo, s4
	s_cbranch_vccz .LBB68_39
; %bb.38:                               ;   in Loop: Header=BB68_8 Depth=1
	buffer_gl0_inv
	ds_load_b64 v[2:3], v13 offset:5120
	s_waitcnt lgkmcnt(0)
	v_readfirstlane_b32 s56, v2
.LBB68_39:                              ;   in Loop: Header=BB68_8 Depth=1
	s_delay_alu instid0(VALU_DEP_1)
	s_cmp_lt_i32 s56, 1
	s_cbranch_scc0 .LBB68_54
; %bb.40:                               ;   in Loop: Header=BB68_8 Depth=1
	global_load_u16 v2, v13, s[50:51]
	s_mov_b32 s5, s25
	s_waitcnt vmcnt(0)
	v_readfirstlane_b32 s4, v2
	s_delay_alu instid0(VALU_DEP_1)
	s_and_b32 s44, s4, 0xffff
	s_mov_b32 s4, s45
	s_lshl_b32 s48, s44, 2
	s_cmp_lg_u64 s[4:5], 0
	s_cbranch_scc0 .LBB68_74
; %bb.41:                               ;   in Loop: Header=BB68_8 Depth=1
	v_cvt_f32_u32_e32 v2, s48
	s_sub_u32 s6, 0, s48
	s_subb_u32 s7, 0, 0
	s_delay_alu instid0(VALU_DEP_1) | instskip(NEXT) | instid1(VALU_DEP_1)
	v_fmac_f32_e32 v2, 0x4f800000, v40
	v_rcp_f32_e32 v2, v2
	s_waitcnt_depctr 0xfff
	v_mul_f32_e32 v2, 0x5f7ffffc, v2
	s_delay_alu instid0(VALU_DEP_1) | instskip(NEXT) | instid1(VALU_DEP_1)
	v_mul_f32_e32 v3, 0x2f800000, v2
	v_trunc_f32_e32 v3, v3
	s_delay_alu instid0(VALU_DEP_1) | instskip(SKIP_1) | instid1(VALU_DEP_2)
	v_fmac_f32_e32 v2, 0xcf800000, v3
	v_cvt_u32_f32_e32 v3, v3
	v_cvt_u32_f32_e32 v2, v2
	s_delay_alu instid0(VALU_DEP_2) | instskip(NEXT) | instid1(VALU_DEP_2)
	v_readfirstlane_b32 s4, v3
	v_readfirstlane_b32 s5, v2
	s_delay_alu instid0(VALU_DEP_2) | instskip(NEXT) | instid1(VALU_DEP_1)
	s_mul_i32 s8, s6, s4
	s_mul_hi_u32 s10, s6, s5
	s_mul_i32 s9, s7, s5
	s_add_i32 s8, s10, s8
	s_mul_i32 s11, s6, s5
	s_add_i32 s8, s8, s9
	s_mul_hi_u32 s10, s5, s11
	s_mul_hi_u32 s12, s4, s11
	s_mul_i32 s9, s4, s11
	s_mul_hi_u32 s11, s5, s8
	s_mul_i32 s5, s5, s8
	s_mul_hi_u32 s13, s4, s8
	s_add_u32 s5, s10, s5
	s_addc_u32 s10, 0, s11
	s_add_u32 s5, s5, s9
	s_mul_i32 s8, s4, s8
	s_addc_u32 s5, s10, s12
	s_addc_u32 s9, s13, 0
	s_add_u32 s5, s5, s8
	s_addc_u32 s8, 0, s9
	v_add_co_u32 v2, s5, v2, s5
	s_delay_alu instid0(VALU_DEP_1) | instskip(SKIP_1) | instid1(VALU_DEP_1)
	s_cmp_lg_u32 s5, 0
	s_addc_u32 s4, s4, s8
	v_readfirstlane_b32 s5, v2
	s_mul_i32 s8, s6, s4
	s_delay_alu instid0(VALU_DEP_1)
	s_mul_hi_u32 s9, s6, s5
	s_mul_i32 s7, s7, s5
	s_add_i32 s8, s9, s8
	s_mul_i32 s6, s6, s5
	s_add_i32 s8, s8, s7
	s_mul_hi_u32 s9, s4, s6
	s_mul_i32 s10, s4, s6
	s_mul_hi_u32 s6, s5, s6
	s_mul_hi_u32 s11, s5, s8
	s_mul_i32 s5, s5, s8
	s_mul_hi_u32 s7, s4, s8
	s_add_u32 s5, s6, s5
	s_addc_u32 s6, 0, s11
	s_add_u32 s5, s5, s10
	s_mul_i32 s8, s4, s8
	s_addc_u32 s5, s6, s9
	s_addc_u32 s6, s7, 0
	s_add_u32 s5, s5, s8
	s_addc_u32 s6, 0, s6
	v_add_co_u32 v2, s5, v2, s5
	s_delay_alu instid0(VALU_DEP_1) | instskip(SKIP_2) | instid1(VALU_DEP_1)
	s_cmp_lg_u32 s5, 0
	s_addc_u32 s8, s4, s6
	s_ashr_i32 s6, s25, 31
	v_readfirstlane_b32 s9, v2
	s_add_u32 s4, s24, s6
	s_mov_b32 s7, s6
	s_addc_u32 s5, s25, s6
	s_delay_alu instid0(SALU_CYCLE_1) | instskip(NEXT) | instid1(SALU_CYCLE_1)
	s_xor_b64 s[4:5], s[4:5], s[6:7]
	s_mul_i32 s10, s4, s8
	s_mul_hi_u32 s11, s4, s9
	s_mul_hi_u32 s7, s4, s8
	s_mul_hi_u32 s13, s5, s9
	s_mul_i32 s9, s5, s9
	s_add_u32 s10, s11, s10
	s_addc_u32 s7, 0, s7
	s_mul_hi_u32 s12, s5, s8
	s_add_u32 s9, s10, s9
	s_mul_i32 s8, s5, s8
	s_addc_u32 s7, s7, s13
	s_addc_u32 s9, s12, 0
	s_add_u32 s7, s7, s8
	s_addc_u32 s8, 0, s9
	s_mul_hi_u32 s9, s48, s7
	s_mul_i32 s7, s48, s7
	s_mul_i32 s8, s48, s8
	v_sub_co_u32 v2, s4, s4, s7
	s_add_i32 s9, s9, s8
	s_cmp_lg_u32 s4, 0
	s_delay_alu instid0(VALU_DEP_1) | instskip(SKIP_2) | instid1(VALU_DEP_1)
	v_sub_co_u32 v3, s4, v2, s48
	s_subb_u32 s5, s5, s9
	s_cmp_lg_u32 s4, 0
	v_cmp_le_u32_e32 vcc_lo, s48, v3
	v_sub_co_u32 v4, s4, v3, s48
	s_subb_u32 s7, s5, 0
	s_cmp_lg_u32 s4, 0
	v_cndmask_b32_e64 v5, 0, -1, vcc_lo
	s_subb_u32 s4, s7, 0
	s_cmp_eq_u32 s7, 0
	v_mov_b32_e32 v7, s4
	s_cselect_b32 vcc_lo, -1, 0
	s_cmp_eq_u32 s5, 0
	v_cndmask_b32_e32 v5, -1, v5, vcc_lo
	v_cmp_le_u32_e32 vcc_lo, s48, v2
	s_cselect_b32 s4, -1, 0
	v_cndmask_b32_e64 v6, 0, -1, vcc_lo
	s_delay_alu instid0(VALU_DEP_3) | instskip(NEXT) | instid1(VALU_DEP_2)
	v_cmp_ne_u32_e32 vcc_lo, 0, v5
	v_cndmask_b32_e64 v5, -1, v6, s4
	v_cndmask_b32_e32 v3, v3, v4, vcc_lo
	v_cndmask_b32_e32 v6, s7, v7, vcc_lo
	s_delay_alu instid0(VALU_DEP_3) | instskip(NEXT) | instid1(VALU_DEP_3)
	v_cmp_ne_u32_e32 vcc_lo, 0, v5
	v_cndmask_b32_e32 v2, v2, v3, vcc_lo
	s_delay_alu instid0(VALU_DEP_3) | instskip(NEXT) | instid1(VALU_DEP_2)
	v_cndmask_b32_e32 v4, s5, v6, vcc_lo
	v_xor_b32_e32 v2, s6, v2
	s_delay_alu instid0(VALU_DEP_2) | instskip(NEXT) | instid1(VALU_DEP_2)
	v_xor_b32_e32 v3, s6, v4
	v_sub_co_u32 v23, vcc_lo, v2, s6
	s_delay_alu instid0(VALU_DEP_2)
	v_subrev_co_ci_u32_e32 v24, vcc_lo, s6, v3, vcc_lo
	s_cbranch_execnz .LBB68_43
.LBB68_42:                              ;   in Loop: Header=BB68_8 Depth=1
	v_cvt_f32_u32_e32 v2, s48
	s_sub_i32 s4, 0, s48
	s_delay_alu instid0(VALU_DEP_1) | instskip(SKIP_2) | instid1(VALU_DEP_1)
	v_rcp_iflag_f32_e32 v2, v2
	s_waitcnt_depctr 0xfff
	v_mul_f32_e32 v2, 0x4f7ffffe, v2
	v_cvt_u32_f32_e32 v2, v2
	s_delay_alu instid0(VALU_DEP_1) | instskip(NEXT) | instid1(VALU_DEP_1)
	v_mul_lo_u32 v3, s4, v2
	v_mul_hi_u32 v3, v2, v3
	s_delay_alu instid0(VALU_DEP_1) | instskip(NEXT) | instid1(VALU_DEP_1)
	v_add_nc_u32_e32 v2, v2, v3
	v_mul_hi_u32 v2, s24, v2
	s_delay_alu instid0(VALU_DEP_1) | instskip(NEXT) | instid1(VALU_DEP_1)
	v_mul_lo_u32 v2, v2, s48
	v_sub_nc_u32_e32 v2, s24, v2
	s_delay_alu instid0(VALU_DEP_1) | instskip(SKIP_1) | instid1(VALU_DEP_2)
	v_subrev_nc_u32_e32 v3, s48, v2
	v_cmp_le_u32_e32 vcc_lo, s48, v2
	v_cndmask_b32_e32 v2, v2, v3, vcc_lo
	s_delay_alu instid0(VALU_DEP_1) | instskip(SKIP_1) | instid1(VALU_DEP_2)
	v_subrev_nc_u32_e32 v3, s48, v2
	v_cmp_le_u32_e32 vcc_lo, s48, v2
	v_cndmask_b32_e32 v12, v2, v3, vcc_lo
	s_delay_alu instid0(VALU_DEP_1)
	v_dual_mov_b32 v24, v13 :: v_dual_mov_b32 v23, v12
.LBB68_43:                              ;   in Loop: Header=BB68_8 Depth=1
	v_mov_b32_e32 v2, 0
	v_mov_b32_e32 v3, 0
	s_delay_alu instid0(VALU_DEP_3) | instskip(NEXT) | instid1(VALU_DEP_4)
	v_sub_co_u32 v25, vcc_lo, s24, v23
	v_sub_co_ci_u32_e32 v26, vcc_lo, s25, v24, vcc_lo
	s_delay_alu instid0(VALU_DEP_3)
	v_dual_mov_b32 v5, v3 :: v_dual_mov_b32 v4, v2
	v_dual_mov_b32 v7, v3 :: v_dual_mov_b32 v6, v2
	;; [unrolled: 1-line block ×3, first 2 shown]
	s_mov_b64 s[58:59], 0
	s_mov_b32 s57, exec_lo
	v_cmpx_gt_i64_e64 v[25:26], v[14:15]
	s_cbranch_execz .LBB68_47
; %bb.44:                               ;   in Loop: Header=BB68_8 Depth=1
	v_dual_mov_b32 v28, v15 :: v_dual_mov_b32 v27, v14
	s_mul_i32 s4, s55, s44
	s_mul_hi_u32 s5, s54, s44
	s_and_b32 s90, s82, 0xfe
	s_add_i32 s91, s5, s4
	s_mul_i32 s92, s54, s44
	s_mov_b32 s93, 0
	s_mov_b64 s[60:61], s[46:47]
	s_mov_b64 s[62:63], 0
	;; [unrolled: 1-line block ×4, first 2 shown]
.LBB68_45:                              ;   Parent Loop BB68_8 Depth=1
                                        ; =>  This Inner Loop Header: Depth=2
	v_add_co_u32 v2, vcc_lo, s60, v21
	v_add_co_ci_u32_e32 v3, vcc_lo, s61, v22, vcc_lo
	v_add_co_u32 v4, vcc_lo, s60, v20
	v_add_co_ci_u32_e32 v5, vcc_lo, s61, v35, vcc_lo
	;; [unrolled: 2-line block ×4, first 2 shown]
	s_clause 0x3
	global_load_u16 v2, v[2:3], off
	global_load_u16 v3, v[4:5], off
	;; [unrolled: 1-line block ×4, first 2 shown]
	v_add_co_u32 v27, vcc_lo, v27, s48
	v_add_co_ci_u32_e32 v28, vcc_lo, 0, v28, vcc_lo
	s_delay_alu instid0(VALU_DEP_1)
	v_cmp_ge_i64_e32 vcc_lo, v[27:28], v[25:26]
	s_waitcnt vmcnt(3)
	v_cmp_lt_i16_e64 s4, -1, v2
	v_and_b32_e32 v6, 0xffff, v2
	v_lshlrev_b32_e32 v2, 16, v2
	s_waitcnt vmcnt(2)
	v_and_b32_e32 v8, 0xffff, v3
	s_waitcnt vmcnt(1)
	v_and_b32_e32 v12, 0xffff, v4
	v_cndmask_b32_e64 v7, 0xffff, v39, s4
	v_cmp_lt_i16_e64 s4, -1, v3
	v_lshlrev_b32_e32 v3, 16, v3
	v_cmp_o_f32_e64 s7, v2, v2
	s_waitcnt vmcnt(0)
	v_and_b32_e32 v43, 0xffff, v5
	v_xor_b32_e32 v6, v7, v6
	v_cndmask_b32_e64 v9, 0xffff, v39, s4
	v_cmp_lt_i16_e64 s4, -1, v4
	v_lshlrev_b32_e32 v4, 16, v4
	s_delay_alu instid0(VALU_DEP_4) | instskip(NEXT) | instid1(VALU_DEP_4)
	v_cndmask_b32_e64 v2, 0xffff, v6, s7
	v_xor_b32_e32 v7, v9, v8
	s_delay_alu instid0(VALU_DEP_4)
	v_cndmask_b32_e64 v42, 0xffff, v39, s4
	v_cmp_lt_i16_e64 s4, -1, v5
	v_lshlrev_b32_e32 v5, 16, v5
	v_cmp_o_f32_e64 s5, v4, v4
	v_and_b32_e32 v6, s88, v2
	v_bfe_u32 v2, v2, s90, 2
	v_cndmask_b32_e64 v44, 0xffff, v39, s4
	v_cmp_o_f32_e64 s4, v3, v3
	v_xor_b32_e32 v3, v42, v12
	v_cmp_o_f32_e64 s6, v5, v5
	v_cmp_eq_u32_e64 s8, 0, v2
	v_xor_b32_e32 v4, v44, v43
	v_cndmask_b32_e64 v5, 0xffff, v7, s4
	v_cndmask_b32_e64 v3, 0xffff, v3, s5
	v_cmp_eq_u32_e64 s4, s89, v6
	v_cmp_eq_u32_e64 s12, 1, v2
	v_cndmask_b32_e64 v4, 0xffff, v4, s6
	v_and_b32_e32 v7, s88, v5
	v_bfe_u32 v5, v5, s90, 2
	v_and_b32_e32 v8, s88, v3
	v_bfe_u32 v3, v3, s90, 2
	;; [unrolled: 2-line block ×3, first 2 shown]
	v_cmp_eq_u32_e64 s5, s89, v7
	v_cmp_eq_u32_e64 s9, 0, v5
	;; [unrolled: 1-line block ×4, first 2 shown]
	s_and_b32 s8, s4, s8
	v_cmp_eq_u32_e64 s7, s89, v9
	v_cmp_eq_u32_e64 s11, 0, v4
	;; [unrolled: 1-line block ×4, first 2 shown]
	v_cndmask_b32_e64 v2, 0, 1, s8
	s_and_b32 s8, s5, s9
	v_cmp_eq_u32_e64 s14, 1, v3
	v_cmp_eq_u32_e64 s18, 2, v3
	v_cmp_eq_u32_e64 s22, 3, v3
	v_cndmask_b32_e64 v3, 0, 1, s8
	s_and_b32 s8, s6, s10
	v_cmp_eq_u32_e64 s15, 1, v4
	v_cmp_eq_u32_e64 s19, 2, v4
	v_cmp_eq_u32_e64 s23, 3, v4
	;; [unrolled: 5-line block ×3, first 2 shown]
	v_cndmask_b32_e64 v5, 0, 1, s8
	v_cmp_ne_u32_e64 s8, 0, v2
	v_cmp_ne_u32_e64 s9, 0, v3
	;; [unrolled: 1-line block ×3, first 2 shown]
	s_delay_alu instid0(VALU_DEP_4) | instskip(NEXT) | instid1(VALU_DEP_4)
	v_cmp_ne_u32_e64 s11, 0, v5
	s_bcnt1_i32_b32 s8, s8
	s_delay_alu instid0(VALU_DEP_3) | instskip(NEXT) | instid1(VALU_DEP_2)
	s_bcnt1_i32_b32 s9, s9
	s_bcnt1_i32_b32 s10, s10
	s_add_i32 s8, s9, s8
	s_bcnt1_i32_b32 s11, s11
	s_add_i32 s8, s8, s10
	s_delay_alu instid0(SALU_CYCLE_1) | instskip(NEXT) | instid1(SALU_CYCLE_1)
	s_add_i32 s8, s8, s11
	s_add_u32 s66, s66, s8
	s_addc_u32 s67, s67, 0
	s_and_b32 s8, s4, s12
	v_mov_b32_e32 v2, s66
	v_cndmask_b32_e64 v4, 0, 1, s8
	s_and_b32 s8, s5, s13
	v_mov_b32_e32 v3, s67
	v_cndmask_b32_e64 v5, 0, 1, s8
	s_and_b32 s8, s6, s14
	s_delay_alu instid0(SALU_CYCLE_1) | instskip(SKIP_1) | instid1(VALU_DEP_2)
	v_cndmask_b32_e64 v6, 0, 1, s8
	s_and_b32 s8, s7, s15
	v_cmp_ne_u32_e64 s9, 0, v5
	v_cndmask_b32_e64 v7, 0, 1, s8
	v_cmp_ne_u32_e64 s8, 0, v4
	v_cmp_ne_u32_e64 s10, 0, v6
	s_delay_alu instid0(VALU_DEP_4) | instskip(NEXT) | instid1(VALU_DEP_3)
	s_bcnt1_i32_b32 s9, s9
	v_cmp_ne_u32_e64 s11, 0, v7
	s_delay_alu instid0(VALU_DEP_3) | instskip(NEXT) | instid1(VALU_DEP_2)
	s_bcnt1_i32_b32 s8, s8
	s_bcnt1_i32_b32 s10, s10
	s_add_i32 s8, s9, s8
	s_delay_alu instid0(VALU_DEP_1) | instskip(SKIP_1) | instid1(SALU_CYCLE_1)
	s_bcnt1_i32_b32 s11, s11
	s_add_i32 s8, s8, s10
	s_add_i32 s8, s8, s11
	s_delay_alu instid0(SALU_CYCLE_1) | instskip(SKIP_2) | instid1(SALU_CYCLE_1)
	s_add_u32 s64, s64, s8
	s_addc_u32 s65, s65, 0
	s_and_b32 s8, s4, s16
	v_cndmask_b32_e64 v4, 0, 1, s8
	s_and_b32 s8, s5, s17
	s_delay_alu instid0(SALU_CYCLE_1) | instskip(SKIP_1) | instid1(SALU_CYCLE_1)
	v_cndmask_b32_e64 v5, 0, 1, s8
	s_and_b32 s8, s6, s18
	v_cndmask_b32_e64 v6, 0, 1, s8
	s_and_b32 s8, s7, s19
	s_delay_alu instid0(VALU_DEP_2) | instskip(SKIP_3) | instid1(VALU_DEP_4)
	v_cmp_ne_u32_e64 s9, 0, v5
	v_cndmask_b32_e64 v7, 0, 1, s8
	v_cmp_ne_u32_e64 s8, 0, v4
	v_cmp_ne_u32_e64 s10, 0, v6
	s_bcnt1_i32_b32 s9, s9
	s_delay_alu instid0(VALU_DEP_3) | instskip(NEXT) | instid1(VALU_DEP_3)
	v_cmp_ne_u32_e64 s11, 0, v7
	s_bcnt1_i32_b32 s8, s8
	s_delay_alu instid0(VALU_DEP_2) | instskip(SKIP_1) | instid1(VALU_DEP_1)
	s_bcnt1_i32_b32 s10, s10
	s_add_i32 s8, s9, s8
	s_bcnt1_i32_b32 s11, s11
	s_add_i32 s8, s8, s10
	s_delay_alu instid0(SALU_CYCLE_1) | instskip(NEXT) | instid1(SALU_CYCLE_1)
	s_add_i32 s8, s8, s11
	s_add_u32 s62, s62, s8
	s_addc_u32 s63, s63, 0
	s_and_b32 s4, s4, s20
	s_delay_alu instid0(SALU_CYCLE_1) | instskip(SKIP_1) | instid1(SALU_CYCLE_1)
	v_cndmask_b32_e64 v4, 0, 1, s4
	s_and_b32 s4, s5, s21
	v_cndmask_b32_e64 v5, 0, 1, s4
	s_and_b32 s4, s6, s22
	s_delay_alu instid0(SALU_CYCLE_1) | instskip(SKIP_1) | instid1(VALU_DEP_2)
	v_cndmask_b32_e64 v6, 0, 1, s4
	s_and_b32 s4, s7, s23
	v_cmp_ne_u32_e64 s5, 0, v5
	v_cndmask_b32_e64 v7, 0, 1, s4
	v_cmp_ne_u32_e64 s4, 0, v4
	v_cmp_ne_u32_e64 s6, 0, v6
	v_mov_b32_e32 v4, s64
	s_bcnt1_i32_b32 s5, s5
	v_cmp_ne_u32_e64 s7, 0, v7
	s_bcnt1_i32_b32 s4, s4
	s_bcnt1_i32_b32 s6, s6
	s_add_i32 s4, s5, s4
	v_mov_b32_e32 v6, s62
	s_bcnt1_i32_b32 s5, s7
	s_add_i32 s4, s4, s6
	v_mov_b32_e32 v5, s65
	s_add_i32 s4, s4, s5
	v_mov_b32_e32 v7, s63
	s_add_u32 s58, s58, s4
	s_addc_u32 s59, s59, 0
	s_delay_alu instid0(SALU_CYCLE_1) | instskip(SKIP_3) | instid1(SALU_CYCLE_1)
	v_dual_mov_b32 v8, s58 :: v_dual_mov_b32 v9, s59
	s_add_u32 s60, s60, s92
	s_addc_u32 s61, s61, s91
	s_or_b32 s93, vcc_lo, s93
	s_and_not1_b32 exec_lo, exec_lo, s93
	s_cbranch_execnz .LBB68_45
; %bb.46:                               ;   in Loop: Header=BB68_8 Depth=1
	s_or_b32 exec_lo, exec_lo, s93
.LBB68_47:                              ;   in Loop: Header=BB68_8 Depth=1
	s_delay_alu instid0(SALU_CYCLE_1) | instskip(SKIP_3) | instid1(VALU_DEP_2)
	s_or_b32 exec_lo, exec_lo, s57
	v_add_co_u32 v25, vcc_lo, v25, v0
	v_add_co_ci_u32_e32 v26, vcc_lo, 0, v26, vcc_lo
	v_mov_b32_e32 v27, 0
	v_cmp_gt_i64_e32 vcc_lo, s[24:25], v[25:26]
	s_and_saveexec_b32 s5, vcc_lo
	s_cbranch_execz .LBB68_49
; %bb.48:                               ;   in Loop: Header=BB68_8 Depth=1
	v_mul_lo_u32 v12, v26, s30
	v_mul_lo_u32 v42, v25, s31
	v_mad_u64_u32 v[27:28], null, v25, s30, 0
	s_delay_alu instid0(VALU_DEP_1) | instskip(NEXT) | instid1(VALU_DEP_1)
	v_add3_u32 v28, v28, v42, v12
	v_lshlrev_b64 v[27:28], 1, v[27:28]
	s_delay_alu instid0(VALU_DEP_1) | instskip(NEXT) | instid1(VALU_DEP_1)
	v_add_co_u32 v27, s4, s46, v27
	v_add_co_ci_u32_e64 v28, s4, s47, v28, s4
	global_load_u16 v27, v[27:28], off
.LBB68_49:                              ;   in Loop: Header=BB68_8 Depth=1
	s_or_b32 exec_lo, exec_lo, s5
	s_and_saveexec_b32 s8, vcc_lo
	s_cbranch_execz .LBB68_56
; %bb.50:                               ;   in Loop: Header=BB68_8 Depth=1
	v_add_co_u32 v12, vcc_lo, v36, s44
	v_add_co_ci_u32_e32 v28, vcc_lo, 0, v37, vcc_lo
	s_mul_i32 s4, s53, s44
	s_delay_alu instid0(VALU_DEP_2) | instskip(NEXT) | instid1(VALU_DEP_2)
	v_sub_co_u32 v12, vcc_lo, v12, v23
	v_sub_co_ci_u32_e32 v23, vcc_lo, v28, v24, vcc_lo
	s_mul_hi_u32 s5, s52, s44
	s_delay_alu instid0(VALU_DEP_2) | instskip(SKIP_1) | instid1(VALU_DEP_2)
	v_mul_lo_u32 v42, s53, v12
	s_and_b32 s9, s82, 0xfe
	v_mul_lo_u32 v28, s52, v23
	v_mad_u64_u32 v[23:24], null, s52, v12, s[46:47]
	s_add_i32 s10, s5, s4
	s_mul_i32 s11, s52, s44
	s_mov_b32 s12, 0
	s_delay_alu instid0(VALU_DEP_1)
	v_add3_u32 v24, v42, v24, v28
	s_branch .LBB68_52
.LBB68_51:                              ;   in Loop: Header=BB68_52 Depth=2
	s_or_b32 exec_lo, exec_lo, s5
	s_waitcnt vmcnt(0)
	v_cmp_lt_i16_e64 s4, -1, v27
	v_and_b32_e32 v28, 0xffff, v27
	v_lshlrev_b32_e32 v27, 16, v27
	s_and_b32 s6, exec_lo, vcc_lo
	s_delay_alu instid0(SALU_CYCLE_1) | instskip(SKIP_1) | instid1(VALU_DEP_2)
	s_or_b32 s12, s6, s12
	v_cndmask_b32_e64 v42, 0xffff, v39, s4
	v_cmp_o_f32_e64 s4, v27, v27
	s_delay_alu instid0(VALU_DEP_2) | instskip(NEXT) | instid1(VALU_DEP_1)
	v_xor_b32_e32 v28, v42, v28
	v_cndmask_b32_e64 v27, 0xffff, v28, s4
	s_delay_alu instid0(VALU_DEP_1) | instskip(SKIP_1) | instid1(VALU_DEP_2)
	v_and_b32_e32 v28, s88, v27
	v_bfe_u32 v27, v27, s9, 2
	v_cmp_eq_u32_e64 s4, s89, v28
	s_delay_alu instid0(VALU_DEP_2) | instskip(SKIP_2) | instid1(VALU_DEP_3)
	v_cmp_eq_u32_e64 s5, 0, v27
	v_cmp_eq_u32_e32 vcc_lo, 1, v27
	v_cmp_eq_u32_e64 s6, 2, v27
	s_and_b32 s5, s4, s5
	s_delay_alu instid0(SALU_CYCLE_1) | instskip(SKIP_4) | instid1(SALU_CYCLE_1)
	v_cndmask_b32_e64 v28, 0, 1, s5
	s_and_b32 s5, s4, vcc_lo
	v_cmp_eq_u32_e32 vcc_lo, 3, v27
	v_cndmask_b32_e64 v42, 0, 1, s5
	s_and_b32 s5, s4, s6
	v_cndmask_b32_e64 v43, 0, 1, s5
	v_cmp_ne_u32_e64 s5, 0, v28
	s_delay_alu instid0(VALU_DEP_3) | instskip(SKIP_1) | instid1(SALU_CYCLE_1)
	v_cmp_ne_u32_e64 s6, 0, v42
	s_and_b32 s4, s4, vcc_lo
	v_cndmask_b32_e64 v27, 0, 1, s4
	s_delay_alu instid0(VALU_DEP_3)
	s_bcnt1_i32_b32 s4, s5
	v_cmp_ne_u32_e64 s7, 0, v43
	v_add_co_u32 v2, vcc_lo, v2, s4
	s_bcnt1_i32_b32 s5, s6
	v_add_co_ci_u32_e32 v3, vcc_lo, 0, v3, vcc_lo
	v_add_co_u32 v4, vcc_lo, v4, s5
	v_add_co_ci_u32_e32 v5, vcc_lo, 0, v5, vcc_lo
	s_bcnt1_i32_b32 s6, s7
	v_cmp_ne_u32_e32 vcc_lo, 0, v27
	v_mov_b32_e32 v27, v12
	v_add_co_u32 v6, s4, v6, s6
	s_delay_alu instid0(VALU_DEP_1) | instskip(SKIP_1) | instid1(SALU_CYCLE_1)
	v_add_co_ci_u32_e64 v7, s4, 0, v7, s4
	s_bcnt1_i32_b32 s4, vcc_lo
	v_add_co_u32 v8, vcc_lo, v8, s4
	v_add_co_ci_u32_e32 v9, vcc_lo, 0, v9, vcc_lo
	v_add_co_u32 v23, vcc_lo, v23, s11
	v_add_co_ci_u32_e32 v24, vcc_lo, s10, v24, vcc_lo
	s_and_not1_b32 exec_lo, exec_lo, s12
	s_cbranch_execz .LBB68_55
.LBB68_52:                              ;   Parent Loop BB68_8 Depth=1
                                        ; =>  This Inner Loop Header: Depth=2
	v_add_co_u32 v25, vcc_lo, v25, s44
	v_add_co_ci_u32_e32 v26, vcc_lo, 0, v26, vcc_lo
	v_mov_b32_e32 v12, 0
	s_mov_b32 s5, exec_lo
	s_delay_alu instid0(VALU_DEP_2)
	v_cmp_le_i64_e32 vcc_lo, s[24:25], v[25:26]
	v_cmpx_gt_i64_e64 s[24:25], v[25:26]
	s_cbranch_execz .LBB68_51
; %bb.53:                               ;   in Loop: Header=BB68_52 Depth=2
	global_load_u16 v12, v[23:24], off
	s_branch .LBB68_51
.LBB68_54:                              ;   in Loop: Header=BB68_8 Depth=1
                                        ; implicit-def: $vgpr8_vgpr9
                                        ; implicit-def: $vgpr4_vgpr5
	s_cbranch_execnz .LBB68_57
	s_branch .LBB68_66
.LBB68_55:                              ;   in Loop: Header=BB68_8 Depth=1
	s_or_b32 exec_lo, exec_lo, s12
.LBB68_56:                              ;   in Loop: Header=BB68_8 Depth=1
	s_delay_alu instid0(SALU_CYCLE_1)
	s_or_b32 exec_lo, exec_lo, s8
	s_branch .LBB68_66
.LBB68_57:                              ;   in Loop: Header=BB68_8 Depth=1
	global_load_u16 v8, v13, s[50:51]
	s_mov_b64 s[58:59], 0
	s_mov_b32 s57, exec_lo
	s_waitcnt vmcnt(0)
	v_readfirstlane_b32 s4, v8
	v_and_b32_e32 v25, 0xffff, v8
	s_delay_alu instid0(VALU_DEP_2) | instskip(NEXT) | instid1(SALU_CYCLE_1)
	s_and_b32 s4, 0xffff, s4
	s_lshl_b32 s48, s4, 2
	s_delay_alu instid0(SALU_CYCLE_1) | instskip(SKIP_1) | instid1(VALU_DEP_1)
	v_cvt_f32_u32_e32 v2, s48
	s_sub_i32 s5, 0, s48
	v_rcp_iflag_f32_e32 v2, v2
	s_waitcnt_depctr 0xfff
	v_mul_f32_e32 v2, 0x4f7ffffe, v2
	s_delay_alu instid0(VALU_DEP_1) | instskip(NEXT) | instid1(VALU_DEP_1)
	v_cvt_u32_f32_e32 v2, v2
	v_readfirstlane_b32 s4, v2
	v_mov_b32_e32 v2, 0
	v_mov_b32_e32 v3, 0
	s_delay_alu instid0(VALU_DEP_3) | instskip(NEXT) | instid1(VALU_DEP_1)
	s_mul_i32 s5, s5, s4
	v_dual_mov_b32 v5, v3 :: v_dual_mov_b32 v4, v2
	s_mul_hi_u32 s5, s4, s5
	v_dual_mov_b32 v7, v3 :: v_dual_mov_b32 v6, v2
	s_add_i32 s4, s4, s5
	v_dual_mov_b32 v9, v3 :: v_dual_mov_b32 v8, v2
	s_mul_hi_u32 s4, s56, s4
	s_delay_alu instid0(SALU_CYCLE_1) | instskip(NEXT) | instid1(SALU_CYCLE_1)
	s_mul_i32 s4, s4, s48
	s_sub_i32 s4, s56, s4
	s_delay_alu instid0(SALU_CYCLE_1) | instskip(SKIP_2) | instid1(SALU_CYCLE_1)
	s_sub_i32 s5, s4, s48
	s_cmp_ge_u32 s4, s48
	s_cselect_b32 s4, s5, s4
	s_sub_i32 s5, s4, s48
	s_cmp_ge_u32 s4, s48
	s_cselect_b32 s4, s5, s4
	s_delay_alu instid0(SALU_CYCLE_1) | instskip(NEXT) | instid1(SALU_CYCLE_1)
	s_sub_i32 s44, s56, s4
	v_cmpx_gt_u32_e64 s44, v14
	s_cbranch_execz .LBB68_61
; %bb.58:                               ;   in Loop: Header=BB68_8 Depth=1
	v_mov_b32_e32 v24, v15
	v_dual_mov_b32 v23, v14 :: v_dual_lshlrev_b32 v12, 3, v25
	v_mov_b32_e32 v26, v33
	s_and_b32 s66, s82, 0xfe
	s_mov_b32 s67, 0
	s_mov_b64 s[60:61], 0
	s_mov_b64 s[62:63], 0
	;; [unrolled: 1-line block ×3, first 2 shown]
.LBB68_59:                              ;   Parent Loop BB68_8 Depth=1
                                        ; =>  This Inner Loop Header: Depth=2
	ds_load_b64 v[2:3], v26
	v_add_co_u32 v23, vcc_lo, v23, s48
	v_add_co_ci_u32_e32 v24, vcc_lo, 0, v24, vcc_lo
	s_delay_alu instid0(VALU_DEP_1)
	v_cmp_le_u64_e32 vcc_lo, s[44:45], v[23:24]
	s_waitcnt lgkmcnt(0)
	v_cmp_lt_i16_e64 s4, -1, v2
	v_lshrrev_b32_e32 v4, 16, v2
	v_lshrrev_b32_e32 v5, 16, v3
	v_and_b32_e32 v6, 0xffff, v2
	v_lshlrev_b32_e32 v8, 16, v2
	v_cndmask_b32_e64 v7, 0xffff, v39, s4
	v_cmp_lt_i16_e64 s4, -1, v3
	v_and_b32_e32 v9, 0xffff, v3
	v_cmp_lt_i16_e64 s5, -1, v5
	v_lshlrev_b32_e32 v28, 16, v3
	v_and_b32_e32 v2, 0xffff0000, v2
	v_cndmask_b32_e64 v27, 0xffff, v39, s4
	v_cmp_lt_i16_e64 s4, -1, v4
	v_xor_b32_e32 v6, v7, v6
	v_and_b32_e32 v3, 0xffff0000, v3
	s_delay_alu instid0(VALU_DEP_4) | instskip(NEXT) | instid1(VALU_DEP_4)
	v_xor_b32_e32 v9, v27, v9
	v_cndmask_b32_e64 v7, 0xffff, v39, s4
	v_cndmask_b32_e64 v27, 0xffff, v39, s5
	v_cmp_o_f32_e64 s5, v8, v8
	v_cmp_o_f32_e64 s4, v28, v28
	s_delay_alu instid0(VALU_DEP_4) | instskip(NEXT) | instid1(VALU_DEP_4)
	v_xor_b32_e32 v4, v7, v4
	v_xor_b32_e32 v5, v27, v5
	s_delay_alu instid0(VALU_DEP_4) | instskip(SKIP_3) | instid1(VALU_DEP_4)
	v_cndmask_b32_e64 v6, 0xffff, v6, s5
	v_cmp_o_f32_e64 s5, v2, v2
	v_cndmask_b32_e64 v7, 0xffff, v9, s4
	v_cmp_o_f32_e64 s4, v3, v3
	v_and_b32_e32 v3, s88, v6
	s_delay_alu instid0(VALU_DEP_4) | instskip(SKIP_1) | instid1(VALU_DEP_4)
	v_cndmask_b32_e64 v2, 0xffff, v4, s5
	v_bfe_u32 v6, v6, s66, 2
	v_cndmask_b32_e64 v4, 0xffff, v5, s4
	v_and_b32_e32 v5, s88, v7
	v_bfe_u32 v7, v7, s66, 2
	v_cmp_eq_u32_e64 s4, s89, v3
	v_and_b32_e32 v3, s88, v2
	v_bfe_u32 v2, v2, s66, 2
	v_cmp_eq_u32_e64 s6, 0, v6
	v_cmp_eq_u32_e64 s5, s89, v5
	v_and_b32_e32 v5, s88, v4
	v_bfe_u32 v4, v4, s66, 2
	v_cmp_eq_u32_e64 s7, 0, v7
	v_cmp_eq_u32_e64 s14, s89, v3
	;; [unrolled: 1-line block ×3, first 2 shown]
	s_and_b32 s6, s4, s6
	v_cmp_eq_u32_e64 s15, s89, v5
	v_cmp_eq_u32_e64 s17, 0, v4
	v_cndmask_b32_e64 v3, 0, 1, s6
	s_and_b32 s6, s5, s7
	s_and_b32 s16, s14, s16
	v_cndmask_b32_e64 v5, 0, 1, s6
	v_cmp_eq_u32_e64 s6, 1, v2
	v_cmp_eq_u32_e64 s18, 2, v2
	;; [unrolled: 1-line block ×3, first 2 shown]
	v_cndmask_b32_e64 v2, 0, 1, s16
	s_and_b32 s16, s15, s17
	v_cmp_eq_u32_e64 s7, 1, v4
	v_cmp_eq_u32_e64 s19, 2, v4
	;; [unrolled: 1-line block ×3, first 2 shown]
	v_cndmask_b32_e64 v4, 0, 1, s16
	v_cmp_ne_u32_e64 s16, 0, v3
	v_cmp_ne_u32_e64 s22, 0, v2
	;; [unrolled: 1-line block ×3, first 2 shown]
	v_cmp_eq_u32_e64 s8, 1, v6
	v_cmp_ne_u32_e64 s23, 0, v4
	s_bcnt1_i32_b32 s16, s16
	s_bcnt1_i32_b32 s22, s22
	;; [unrolled: 1-line block ×3, first 2 shown]
	s_add_i32 s16, s22, s16
	s_bcnt1_i32_b32 s23, s23
	s_add_i32 s16, s16, s17
	v_cmp_eq_u32_e64 s9, 1, v7
	s_add_i32 s16, s16, s23
	v_cmp_eq_u32_e64 s10, 2, v6
	s_add_u32 s64, s64, s16
	s_addc_u32 s65, s65, 0
	s_and_b32 s8, s4, s8
	s_and_b32 s6, s14, s6
	v_cndmask_b32_e64 v2, 0, 1, s8
	v_cndmask_b32_e64 v3, 0, 1, s6
	s_and_b32 s6, s5, s9
	v_cmp_eq_u32_e64 s11, 2, v7
	v_cndmask_b32_e64 v4, 0, 1, s6
	s_and_b32 s6, s15, s7
	v_cmp_ne_u32_e64 s7, 0, v3
	v_cndmask_b32_e64 v5, 0, 1, s6
	v_cmp_ne_u32_e64 s6, 0, v2
	v_cmp_ne_u32_e64 s8, 0, v4
	v_cmp_eq_u32_e64 s12, 3, v6
	s_bcnt1_i32_b32 s7, s7
	v_cmp_ne_u32_e64 s9, 0, v5
	s_bcnt1_i32_b32 s6, s6
	s_bcnt1_i32_b32 s8, s8
	s_add_i32 s6, s7, s6
	v_cmp_eq_u32_e64 s13, 3, v7
	s_bcnt1_i32_b32 s9, s9
	s_add_i32 s6, s6, s8
	v_add_nc_u32_e32 v26, v26, v12
	s_add_i32 s6, s6, s9
	s_delay_alu instid0(SALU_CYCLE_1) | instskip(SKIP_2) | instid1(SALU_CYCLE_1)
	s_add_u32 s62, s62, s6
	s_addc_u32 s63, s63, 0
	s_and_b32 s6, s4, s10
	v_cndmask_b32_e64 v2, 0, 1, s6
	s_and_b32 s6, s14, s18
	s_delay_alu instid0(SALU_CYCLE_1) | instskip(SKIP_1) | instid1(SALU_CYCLE_1)
	v_cndmask_b32_e64 v3, 0, 1, s6
	s_and_b32 s6, s5, s11
	v_cndmask_b32_e64 v4, 0, 1, s6
	s_and_b32 s6, s15, s19
	s_delay_alu instid0(VALU_DEP_2) | instskip(SKIP_3) | instid1(VALU_DEP_4)
	v_cmp_ne_u32_e64 s7, 0, v3
	v_cndmask_b32_e64 v5, 0, 1, s6
	v_cmp_ne_u32_e64 s6, 0, v2
	v_cmp_ne_u32_e64 s8, 0, v4
	s_bcnt1_i32_b32 s7, s7
	s_delay_alu instid0(VALU_DEP_3) | instskip(NEXT) | instid1(VALU_DEP_3)
	v_cmp_ne_u32_e64 s9, 0, v5
	s_bcnt1_i32_b32 s6, s6
	s_delay_alu instid0(VALU_DEP_2) | instskip(SKIP_1) | instid1(VALU_DEP_1)
	s_bcnt1_i32_b32 s8, s8
	s_add_i32 s6, s7, s6
	s_bcnt1_i32_b32 s9, s9
	s_add_i32 s6, s6, s8
	s_delay_alu instid0(SALU_CYCLE_1) | instskip(NEXT) | instid1(SALU_CYCLE_1)
	s_add_i32 s6, s6, s9
	s_add_u32 s60, s60, s6
	s_addc_u32 s61, s61, 0
	s_and_b32 s4, s4, s12
	v_mov_b32_e32 v6, s60
	v_cndmask_b32_e64 v2, 0, 1, s4
	s_and_b32 s4, s14, s20
	v_mov_b32_e32 v7, s61
	v_cndmask_b32_e64 v3, 0, 1, s4
	s_and_b32 s4, s5, s13
	s_delay_alu instid0(SALU_CYCLE_1) | instskip(SKIP_1) | instid1(VALU_DEP_2)
	v_cndmask_b32_e64 v4, 0, 1, s4
	s_and_b32 s4, s15, s21
	v_cmp_ne_u32_e64 s5, 0, v3
	v_cndmask_b32_e64 v5, 0, 1, s4
	v_cmp_ne_u32_e64 s4, 0, v2
	v_cmp_ne_u32_e64 s6, 0, v4
	v_dual_mov_b32 v2, s64 :: v_dual_mov_b32 v3, s65
	s_delay_alu instid0(VALU_DEP_4) | instskip(NEXT) | instid1(VALU_DEP_4)
	v_cmp_ne_u32_e64 s7, 0, v5
	s_bcnt1_i32_b32 s4, s4
	s_bcnt1_i32_b32 s5, s5
	;; [unrolled: 1-line block ×3, first 2 shown]
	s_add_i32 s4, s5, s4
	s_bcnt1_i32_b32 s5, s7
	s_add_i32 s4, s4, s6
	v_mov_b32_e32 v4, s62
	s_add_i32 s4, s4, s5
	v_mov_b32_e32 v5, s63
	s_add_u32 s58, s58, s4
	s_addc_u32 s59, s59, 0
	s_delay_alu instid0(SALU_CYCLE_1) | instskip(SKIP_1) | instid1(SALU_CYCLE_1)
	v_dual_mov_b32 v8, s58 :: v_dual_mov_b32 v9, s59
	s_or_b32 s67, vcc_lo, s67
	s_and_not1_b32 exec_lo, exec_lo, s67
	s_cbranch_execnz .LBB68_59
; %bb.60:                               ;   in Loop: Header=BB68_8 Depth=1
	s_or_b32 exec_lo, exec_lo, s67
.LBB68_61:                              ;   in Loop: Header=BB68_8 Depth=1
	s_delay_alu instid0(SALU_CYCLE_1) | instskip(SKIP_2) | instid1(VALU_DEP_1)
	s_or_b32 exec_lo, exec_lo, s57
	v_add_nc_u32_e32 v12, s44, v0
	s_mov_b32 s9, exec_lo
	v_cmpx_gt_u32_e64 s56, v12
	s_cbranch_execz .LBB68_65
; %bb.62:                               ;   in Loop: Header=BB68_8 Depth=1
	v_dual_mov_b32 v24, v13 :: v_dual_lshlrev_b32 v27, 1, v25
	v_dual_mov_b32 v23, v12 :: v_dual_lshlrev_b32 v26, 1, v12
	s_mov_b32 s11, 0
	s_and_b32 s10, s56, 0x7fffffff
	s_and_b32 s13, s82, 0xfe
	s_mov_b32 s12, s11
.LBB68_63:                              ;   Parent Loop BB68_8 Depth=1
                                        ; =>  This Inner Loop Header: Depth=2
	ds_load_u16 v12, v26
	v_add_co_u32 v23, vcc_lo, v23, v25
	v_add_co_ci_u32_e32 v24, vcc_lo, 0, v24, vcc_lo
	v_add_nc_u32_e32 v26, v26, v27
	s_delay_alu instid0(VALU_DEP_2) | instskip(SKIP_4) | instid1(VALU_DEP_3)
	v_cmp_le_u64_e32 vcc_lo, s[10:11], v[23:24]
	s_waitcnt lgkmcnt(0)
	v_cmp_lt_i16_e64 s4, -1, v12
	v_and_b32_e32 v28, 0xffff, v12
	v_lshlrev_b32_e32 v12, 16, v12
	v_cndmask_b32_e64 v42, 0xffff, v39, s4
	s_delay_alu instid0(VALU_DEP_2) | instskip(NEXT) | instid1(VALU_DEP_2)
	v_cmp_o_f32_e64 s4, v12, v12
	v_xor_b32_e32 v28, v42, v28
	s_delay_alu instid0(VALU_DEP_1) | instskip(NEXT) | instid1(VALU_DEP_1)
	v_cndmask_b32_e64 v12, 0xffff, v28, s4
	v_and_b32_e32 v28, s88, v12
	v_bfe_u32 v12, v12, s13, 2
	s_delay_alu instid0(VALU_DEP_2) | instskip(NEXT) | instid1(VALU_DEP_2)
	v_cmp_eq_u32_e64 s4, s89, v28
	v_cmp_eq_u32_e64 s5, 0, v12
	;; [unrolled: 1-line block ×5, first 2 shown]
	s_delay_alu instid0(VALU_DEP_4) | instskip(NEXT) | instid1(SALU_CYCLE_1)
	s_and_b32 s5, s4, s5
	v_cndmask_b32_e64 v12, 0, 1, s5
	s_and_b32 s5, s4, s6
	s_delay_alu instid0(SALU_CYCLE_1)
	v_cndmask_b32_e64 v28, 0, 1, s5
	s_and_b32 s5, s4, s7
	s_and_b32 s4, s4, s8
	v_cndmask_b32_e64 v42, 0, 1, s5
	v_cndmask_b32_e64 v43, 0, 1, s4
	v_cmp_ne_u32_e64 s4, 0, v12
	v_cmp_ne_u32_e64 s5, 0, v28
	s_delay_alu instid0(VALU_DEP_4) | instskip(NEXT) | instid1(VALU_DEP_4)
	v_cmp_ne_u32_e64 s6, 0, v42
	v_cmp_ne_u32_e64 s7, 0, v43
	s_delay_alu instid0(VALU_DEP_4) | instskip(NEXT) | instid1(VALU_DEP_3)
	s_bcnt1_i32_b32 s4, s4
	s_bcnt1_i32_b32 s5, s5
	v_add_co_u32 v2, s4, v2, s4
	s_delay_alu instid0(VALU_DEP_1)
	v_add_co_ci_u32_e64 v3, s4, 0, v3, s4
	v_add_co_u32 v4, s4, v4, s5
	s_bcnt1_i32_b32 s6, s6
	v_add_co_ci_u32_e64 v5, s4, 0, v5, s4
	v_add_co_u32 v6, s4, v6, s6
	s_bcnt1_i32_b32 s7, s7
	v_add_co_ci_u32_e64 v7, s4, 0, v7, s4
	v_add_co_u32 v8, s4, v8, s7
	s_delay_alu instid0(VALU_DEP_1) | instskip(SKIP_1) | instid1(SALU_CYCLE_1)
	v_add_co_ci_u32_e64 v9, s4, 0, v9, s4
	s_or_b32 s12, vcc_lo, s12
	s_and_not1_b32 exec_lo, exec_lo, s12
	s_cbranch_execnz .LBB68_63
; %bb.64:                               ;   in Loop: Header=BB68_8 Depth=1
	s_or_b32 exec_lo, exec_lo, s12
.LBB68_65:                              ;   in Loop: Header=BB68_8 Depth=1
	s_delay_alu instid0(SALU_CYCLE_1)
	s_or_b32 exec_lo, exec_lo, s9
.LBB68_66:                              ;   in Loop: Header=BB68_8 Depth=1
	s_lshl_b32 s4, s84, 7
	s_and_saveexec_b32 s5, s3
	s_cbranch_execz .LBB68_68
; %bb.67:                               ;   in Loop: Header=BB68_8 Depth=1
	v_or_b32_e32 v12, s4, v32
	s_delay_alu instid0(VALU_DEP_1)
	v_lshlrev_b32_e32 v12, 3, v12
	ds_store_b128 v12, v[2:5] offset:3072
	ds_store_b128 v12, v[6:9] offset:3088
.LBB68_68:                              ;   in Loop: Header=BB68_8 Depth=1
	s_or_b32 exec_lo, exec_lo, s5
	s_waitcnt vmcnt(0) lgkmcnt(0)
	s_barrier
	buffer_gl0_inv
	s_and_saveexec_b32 s5, s68
	s_cbranch_execz .LBB68_79
; %bb.69:                               ;   in Loop: Header=BB68_8 Depth=1
	v_mov_b32_e32 v2, 0
	v_mov_b32_e32 v3, 0
	s_and_not1_b32 vcc_lo, exec_lo, s75
	s_cbranch_vccnz .LBB68_78
; %bb.70:                               ;   in Loop: Header=BB68_8 Depth=1
	v_mov_b32_e32 v2, 0
	v_mov_b32_e32 v3, 0
	s_and_not1_b32 vcc_lo, exec_lo, s73
	s_cbranch_vccnz .LBB68_75
; %bb.71:                               ;   in Loop: Header=BB68_8 Depth=1
	v_lshl_add_u32 v4, s84, 10, v38
	s_mov_b32 s6, 0
	s_set_inst_prefetch_distance 0x1
	.p2align	6
.LBB68_72:                              ;   Parent Loop BB68_8 Depth=1
                                        ; =>  This Inner Loop Header: Depth=2
	ds_load_2addr_b64 v[5:8], v4 offset1:4
	ds_load_2addr_b64 v[23:26], v4 offset0:8 offset1:12
	ds_load_2addr_b64 v[42:45], v4 offset0:16 offset1:20
	s_add_i32 s6, s6, 8
	s_delay_alu instid0(SALU_CYCLE_1) | instskip(SKIP_3) | instid1(VALU_DEP_2)
	s_cmp_eq_u32 s74, s6
	s_waitcnt lgkmcnt(2)
	v_add_co_u32 v2, vcc_lo, v5, v2
	v_add_co_ci_u32_e32 v3, vcc_lo, v6, v3, vcc_lo
	v_add_co_u32 v2, vcc_lo, v7, v2
	s_delay_alu instid0(VALU_DEP_2)
	v_add_co_ci_u32_e32 v3, vcc_lo, v8, v3, vcc_lo
	ds_load_2addr_b64 v[5:8], v4 offset0:24 offset1:28
	s_waitcnt lgkmcnt(2)
	v_add_co_u32 v2, vcc_lo, v23, v2
	v_add_co_ci_u32_e32 v3, vcc_lo, v24, v3, vcc_lo
	v_add_nc_u32_e32 v4, 0x100, v4
	s_delay_alu instid0(VALU_DEP_3) | instskip(NEXT) | instid1(VALU_DEP_3)
	v_add_co_u32 v2, vcc_lo, v25, v2
	v_add_co_ci_u32_e32 v3, vcc_lo, v26, v3, vcc_lo
	s_waitcnt lgkmcnt(1)
	s_delay_alu instid0(VALU_DEP_2) | instskip(NEXT) | instid1(VALU_DEP_2)
	v_add_co_u32 v2, vcc_lo, v42, v2
	v_add_co_ci_u32_e32 v3, vcc_lo, v43, v3, vcc_lo
	s_delay_alu instid0(VALU_DEP_2) | instskip(NEXT) | instid1(VALU_DEP_2)
	v_add_co_u32 v2, vcc_lo, v44, v2
	v_add_co_ci_u32_e32 v3, vcc_lo, v45, v3, vcc_lo
	s_waitcnt lgkmcnt(0)
	s_delay_alu instid0(VALU_DEP_2) | instskip(NEXT) | instid1(VALU_DEP_2)
	v_add_co_u32 v2, vcc_lo, v5, v2
	v_add_co_ci_u32_e32 v3, vcc_lo, v6, v3, vcc_lo
	s_delay_alu instid0(VALU_DEP_2) | instskip(NEXT) | instid1(VALU_DEP_2)
	v_add_co_u32 v2, vcc_lo, v7, v2
	v_add_co_ci_u32_e32 v3, vcc_lo, v8, v3, vcc_lo
	s_cbranch_scc0 .LBB68_72
; %bb.73:                               ;   in Loop: Header=BB68_8 Depth=1
	s_set_inst_prefetch_distance 0x2
	s_mov_b32 s6, s74
	s_and_not1_b32 vcc_lo, exec_lo, s76
	s_cbranch_vccz .LBB68_76
	s_branch .LBB68_78
.LBB68_74:                              ;   in Loop: Header=BB68_8 Depth=1
                                        ; implicit-def: $vgpr23_vgpr24
	s_branch .LBB68_42
.LBB68_75:                              ;   in Loop: Header=BB68_8 Depth=1
	s_mov_b32 s6, 0
	s_and_not1_b32 vcc_lo, exec_lo, s76
	s_cbranch_vccnz .LBB68_78
.LBB68_76:                              ;   in Loop: Header=BB68_8 Depth=1
	s_lshl_b32 s7, s84, 10
	s_lshl_b32 s6, s6, 5
	s_delay_alu instid0(SALU_CYCLE_1)
	v_add3_u32 v4, s7, s6, v38
	s_mov_b32 s6, s72
.LBB68_77:                              ;   Parent Loop BB68_8 Depth=1
                                        ; =>  This Inner Loop Header: Depth=2
	ds_load_b64 v[5:6], v4
	v_add_nc_u32_e32 v4, 32, v4
	s_add_i32 s6, s6, -1
	s_delay_alu instid0(SALU_CYCLE_1)
	s_cmp_lg_u32 s6, 0
	s_waitcnt lgkmcnt(0)
	v_add_co_u32 v2, vcc_lo, v5, v2
	v_add_co_ci_u32_e32 v3, vcc_lo, v6, v3, vcc_lo
	s_cbranch_scc1 .LBB68_77
.LBB68_78:                              ;   in Loop: Header=BB68_8 Depth=1
	v_add_lshl_u32 v4, s4, v29, 3
	ds_store_b64 v4, v[2:3] offset:3072
.LBB68_79:                              ;   in Loop: Header=BB68_8 Depth=1
	s_or_b32 exec_lo, exec_lo, s5
	s_lshl_b32 s4, s4, 3
	s_waitcnt lgkmcnt(0)
	v_mov_b32_e32 v6, s4
	s_barrier
	buffer_gl0_inv
	s_and_b32 s17, s82, 0xfe
	s_mov_b32 s19, -1
	ds_load_b128 v[2:5], v6 offset:3072
	ds_load_b128 v[6:9], v6 offset:3088
	s_lshl_b32 s16, 3, s17
	s_delay_alu instid0(SALU_CYCLE_1)
	s_not_b32 s18, s16
	s_waitcnt lgkmcnt(1)
	v_readfirstlane_b32 s13, v3
	v_readfirstlane_b32 s12, v2
	;; [unrolled: 1-line block ×4, first 2 shown]
	s_waitcnt lgkmcnt(0)
	v_readfirstlane_b32 s8, v6
	v_readfirstlane_b32 s9, v7
	s_cmp_eq_u64 s[12:13], 1
	v_readfirstlane_b32 s6, v8
	s_cselect_b32 s4, -1, 0
	s_cmp_eq_u64 s[26:27], 1
	v_readfirstlane_b32 s7, v9
	s_cselect_b32 s5, -1, 0
	s_delay_alu instid0(SALU_CYCLE_1) | instskip(NEXT) | instid1(SALU_CYCLE_1)
	s_and_b32 s20, s4, s5
	s_and_b32 vcc_lo, exec_lo, s20
	s_cbranch_vccz .LBB68_94
; %bb.80:                               ;   in Loop: Header=BB68_8 Depth=1
	ds_load_b64 v[2:3], v13 offset:5120
	s_waitcnt lgkmcnt(0)
	s_barrier
	buffer_gl0_inv
	v_readfirstlane_b32 s14, v2
	v_readfirstlane_b32 s15, v3
	s_and_saveexec_b32 s4, s2
	s_cbranch_execz .LBB68_82
; %bb.81:                               ;   in Loop: Header=BB68_8 Depth=1
	ds_store_b16 v31, v13
.LBB68_82:                              ;   in Loop: Header=BB68_8 Depth=1
	s_or_b32 exec_lo, exec_lo, s4
	s_delay_alu instid0(VALU_DEP_1)
	v_cmp_lt_i64_e64 s4, s[14:15], 1
	s_and_b32 s89, s89, s18
	s_or_b32 s88, s88, s16
	s_waitcnt lgkmcnt(0)
	s_barrier
	buffer_gl0_inv
	s_and_b32 vcc_lo, exec_lo, s4
	s_cbranch_vccz .LBB68_95
; %bb.83:                               ;   in Loop: Header=BB68_8 Depth=1
	s_mov_b32 s48, s45
	s_delay_alu instid0(SALU_CYCLE_1)
	s_cmp_lg_u64 s[48:49], 0
	s_cbranch_scc0 .LBB68_140
; %bb.84:                               ;   in Loop: Header=BB68_8 Depth=1
	v_cvt_f32_u32_e32 v2, s33
	s_sub_u32 s21, 0, s33
	s_subb_u32 s22, 0, 0
	s_delay_alu instid0(VALU_DEP_1) | instskip(NEXT) | instid1(VALU_DEP_1)
	v_fmac_f32_e32 v2, 0x4f800000, v40
	v_rcp_f32_e32 v2, v2
	s_waitcnt_depctr 0xfff
	v_mul_f32_e32 v2, 0x5f7ffffc, v2
	s_delay_alu instid0(VALU_DEP_1) | instskip(NEXT) | instid1(VALU_DEP_1)
	v_mul_f32_e32 v3, 0x2f800000, v2
	v_trunc_f32_e32 v3, v3
	s_delay_alu instid0(VALU_DEP_1) | instskip(SKIP_1) | instid1(VALU_DEP_2)
	v_fmac_f32_e32 v2, 0xcf800000, v3
	v_cvt_u32_f32_e32 v3, v3
	v_cvt_u32_f32_e32 v2, v2
	s_delay_alu instid0(VALU_DEP_2) | instskip(NEXT) | instid1(VALU_DEP_2)
	v_readfirstlane_b32 s4, v3
	v_readfirstlane_b32 s5, v2
	s_delay_alu instid0(VALU_DEP_2) | instskip(NEXT) | instid1(VALU_DEP_1)
	s_mul_i32 s23, s21, s4
	s_mul_hi_u32 s48, s21, s5
	s_mul_i32 s44, s22, s5
	s_add_i32 s23, s48, s23
	s_mul_i32 s56, s21, s5
	s_add_i32 s23, s23, s44
	s_mul_hi_u32 s48, s5, s56
	s_mul_hi_u32 s57, s4, s56
	s_mul_i32 s44, s4, s56
	s_mul_hi_u32 s56, s5, s23
	s_mul_i32 s5, s5, s23
	s_mul_hi_u32 s58, s4, s23
	s_add_u32 s5, s48, s5
	s_addc_u32 s48, 0, s56
	s_add_u32 s5, s5, s44
	s_mul_i32 s23, s4, s23
	s_addc_u32 s5, s48, s57
	s_addc_u32 s44, s58, 0
	s_add_u32 s5, s5, s23
	s_addc_u32 s23, 0, s44
	v_add_co_u32 v2, s5, v2, s5
	s_delay_alu instid0(VALU_DEP_1) | instskip(SKIP_1) | instid1(VALU_DEP_1)
	s_cmp_lg_u32 s5, 0
	s_addc_u32 s4, s4, s23
	v_readfirstlane_b32 s5, v2
	s_mul_i32 s23, s21, s4
	s_delay_alu instid0(VALU_DEP_1)
	s_mul_hi_u32 s44, s21, s5
	s_mul_i32 s22, s22, s5
	s_add_i32 s23, s44, s23
	s_mul_i32 s21, s21, s5
	s_add_i32 s23, s23, s22
	s_mul_hi_u32 s44, s4, s21
	s_mul_i32 s48, s4, s21
	s_mul_hi_u32 s21, s5, s21
	s_mul_hi_u32 s56, s5, s23
	s_mul_i32 s5, s5, s23
	s_mul_hi_u32 s22, s4, s23
	s_add_u32 s5, s21, s5
	s_addc_u32 s21, 0, s56
	s_add_u32 s5, s5, s48
	s_mul_i32 s23, s4, s23
	s_addc_u32 s5, s21, s44
	s_addc_u32 s21, s22, 0
	s_add_u32 s5, s5, s23
	s_addc_u32 s21, 0, s21
	v_add_co_u32 v2, s5, v2, s5
	s_delay_alu instid0(VALU_DEP_1) | instskip(SKIP_2) | instid1(VALU_DEP_1)
	s_cmp_lg_u32 s5, 0
	s_addc_u32 s21, s4, s21
	s_ashr_i32 s22, s49, 31
	v_readfirstlane_b32 s44, v2
	s_add_u32 s4, s71, s22
	s_mov_b32 s23, s22
	s_addc_u32 s5, s49, s22
	s_delay_alu instid0(SALU_CYCLE_1) | instskip(NEXT) | instid1(SALU_CYCLE_1)
	s_xor_b64 s[4:5], s[4:5], s[22:23]
	s_mul_i32 s48, s4, s21
	s_mul_hi_u32 s56, s4, s44
	s_mul_hi_u32 s23, s4, s21
	s_mul_hi_u32 s58, s5, s44
	s_mul_i32 s44, s5, s44
	s_add_u32 s48, s56, s48
	s_addc_u32 s23, 0, s23
	s_mul_hi_u32 s57, s5, s21
	s_add_u32 s44, s48, s44
	s_mul_i32 s21, s5, s21
	s_addc_u32 s23, s23, s58
	s_addc_u32 s44, s57, 0
	s_add_u32 s21, s23, s21
	s_addc_u32 s23, 0, s44
	s_mul_hi_u32 s44, s33, s21
	s_mul_i32 s21, s33, s21
	s_mul_i32 s23, s33, s23
	v_sub_co_u32 v2, s4, s4, s21
	s_add_i32 s44, s44, s23
	s_cmp_lg_u32 s4, 0
	s_delay_alu instid0(VALU_DEP_1) | instskip(SKIP_2) | instid1(VALU_DEP_1)
	v_sub_co_u32 v3, s4, v2, s33
	s_subb_u32 s5, s5, s44
	s_cmp_lg_u32 s4, 0
	v_cmp_le_u32_e32 vcc_lo, s33, v3
	v_sub_co_u32 v4, s4, v3, s33
	s_subb_u32 s21, s5, 0
	s_cmp_lg_u32 s4, 0
	v_cndmask_b32_e64 v5, 0, -1, vcc_lo
	s_subb_u32 s4, s21, 0
	s_cmp_eq_u32 s21, 0
	v_mov_b32_e32 v7, s4
	s_cselect_b32 vcc_lo, -1, 0
	s_cmp_eq_u32 s5, 0
	v_cndmask_b32_e32 v5, -1, v5, vcc_lo
	v_cmp_le_u32_e32 vcc_lo, s33, v2
	s_cselect_b32 s4, -1, 0
	v_cndmask_b32_e64 v6, 0, -1, vcc_lo
	s_delay_alu instid0(VALU_DEP_3) | instskip(NEXT) | instid1(VALU_DEP_2)
	v_cmp_ne_u32_e32 vcc_lo, 0, v5
	v_cndmask_b32_e64 v5, -1, v6, s4
	v_cndmask_b32_e32 v3, v3, v4, vcc_lo
	v_cndmask_b32_e32 v6, s21, v7, vcc_lo
	s_delay_alu instid0(VALU_DEP_3) | instskip(NEXT) | instid1(VALU_DEP_3)
	v_cmp_ne_u32_e32 vcc_lo, 0, v5
	v_cndmask_b32_e32 v2, v2, v3, vcc_lo
	s_delay_alu instid0(VALU_DEP_3) | instskip(NEXT) | instid1(VALU_DEP_2)
	v_cndmask_b32_e32 v4, s5, v6, vcc_lo
	v_xor_b32_e32 v2, s22, v2
	s_delay_alu instid0(VALU_DEP_2) | instskip(NEXT) | instid1(VALU_DEP_2)
	v_xor_b32_e32 v3, s22, v4
	v_sub_co_u32 v2, vcc_lo, v2, s22
	s_delay_alu instid0(VALU_DEP_2)
	v_subrev_co_ci_u32_e32 v3, vcc_lo, s22, v3, vcc_lo
	s_cbranch_execnz .LBB68_86
.LBB68_85:                              ;   in Loop: Header=BB68_8 Depth=1
	v_cvt_f32_u32_e32 v2, s33
	s_sub_i32 s4, 0, s33
	s_delay_alu instid0(VALU_DEP_1) | instskip(SKIP_2) | instid1(VALU_DEP_1)
	v_rcp_iflag_f32_e32 v2, v2
	s_waitcnt_depctr 0xfff
	v_mul_f32_e32 v2, 0x4f7ffffe, v2
	v_cvt_u32_f32_e32 v2, v2
	s_delay_alu instid0(VALU_DEP_1) | instskip(NEXT) | instid1(VALU_DEP_1)
	v_mul_lo_u32 v3, s4, v2
	v_mul_hi_u32 v3, v2, v3
	s_delay_alu instid0(VALU_DEP_1) | instskip(NEXT) | instid1(VALU_DEP_1)
	v_add_nc_u32_e32 v2, v2, v3
	v_mul_hi_u32 v2, s71, v2
	s_delay_alu instid0(VALU_DEP_1) | instskip(NEXT) | instid1(VALU_DEP_1)
	v_mul_lo_u32 v2, v2, s33
	v_sub_nc_u32_e32 v2, s71, v2
	s_delay_alu instid0(VALU_DEP_1) | instskip(SKIP_1) | instid1(VALU_DEP_2)
	v_subrev_nc_u32_e32 v3, s33, v2
	v_cmp_le_u32_e32 vcc_lo, s33, v2
	v_cndmask_b32_e32 v2, v2, v3, vcc_lo
	s_delay_alu instid0(VALU_DEP_1) | instskip(SKIP_1) | instid1(VALU_DEP_2)
	v_subrev_nc_u32_e32 v3, s33, v2
	v_cmp_le_u32_e32 vcc_lo, s33, v2
	v_cndmask_b32_e32 v12, v2, v3, vcc_lo
	s_delay_alu instid0(VALU_DEP_1)
	v_dual_mov_b32 v2, v12 :: v_dual_mov_b32 v3, v13
.LBB68_86:                              ;   in Loop: Header=BB68_8 Depth=1
	s_delay_alu instid0(VALU_DEP_1) | instskip(NEXT) | instid1(VALU_DEP_2)
	v_sub_co_u32 v2, vcc_lo, s71, v2
	v_sub_co_ci_u32_e32 v3, vcc_lo, s49, v3, vcc_lo
	s_mov_b32 s4, 0
	s_mov_b32 s5, exec_lo
                                        ; implicit-def: $vgpr41
	s_delay_alu instid0(VALU_DEP_1)
	v_cmpx_gt_i64_e64 v[2:3], v[0:1]
	s_cbranch_execz .LBB68_97
; %bb.87:                               ;   in Loop: Header=BB68_8 Depth=1
	v_dual_mov_b32 v4, v10 :: v_dual_mov_b32 v5, v11
	v_dual_mov_b32 v7, v1 :: v_dual_mov_b32 v6, v0
	s_mov_b32 s21, 0
                                        ; implicit-def: $sgpr22
	s_branch .LBB68_89
.LBB68_88:                              ;   in Loop: Header=BB68_89 Depth=2
	s_or_b32 exec_lo, exec_lo, s4
	s_waitcnt vmcnt(0) lgkmcnt(0)
	s_barrier
	buffer_gl0_inv
	ds_load_b32 v8, v13 offset:3072
	v_add_co_u32 v6, vcc_lo, v6, s33
	v_add_co_ci_u32_e32 v7, vcc_lo, 0, v7, vcc_lo
	s_waitcnt lgkmcnt(0)
	s_barrier
	buffer_gl0_inv
	v_cmp_ge_i64_e32 vcc_lo, v[6:7], v[2:3]
	v_and_b32_e32 v9, 0x7fff, v8
	s_delay_alu instid0(VALU_DEP_1) | instskip(NEXT) | instid1(VALU_DEP_1)
	v_cmp_ne_u16_e64 s4, 0, v9
	s_or_b32 s23, s4, vcc_lo
	v_add_co_u32 v4, vcc_lo, v4, s42
	s_and_b32 s23, exec_lo, s23
	v_add_co_ci_u32_e32 v5, vcc_lo, s43, v5, vcc_lo
	s_or_b32 s21, s23, s21
	s_and_not1_b32 s22, s22, exec_lo
	s_and_b32 s4, s4, exec_lo
	s_delay_alu instid0(SALU_CYCLE_1)
	s_or_b32 s22, s22, s4
	s_and_not1_b32 exec_lo, exec_lo, s21
	s_cbranch_execz .LBB68_96
.LBB68_89:                              ;   Parent Loop BB68_8 Depth=1
                                        ; =>  This Inner Loop Header: Depth=2
	s_delay_alu instid0(VALU_DEP_1)
	v_cmp_gt_i64_e32 vcc_lo, s[24:25], v[6:7]
	v_mov_b32_e32 v8, 0
	s_and_saveexec_b32 s4, vcc_lo
	s_cbranch_execz .LBB68_91
; %bb.90:                               ;   in Loop: Header=BB68_89 Depth=2
	global_load_u16 v8, v[4:5], off
.LBB68_91:                              ;   in Loop: Header=BB68_89 Depth=2
	s_or_b32 exec_lo, exec_lo, s4
	s_and_saveexec_b32 s4, vcc_lo
	s_cbranch_execz .LBB68_88
; %bb.92:                               ;   in Loop: Header=BB68_89 Depth=2
	s_waitcnt vmcnt(0)
	v_cmp_lt_i16_e32 vcc_lo, -1, v8
	v_and_b32_e32 v9, 0xffff, v8
	v_dual_cndmask_b32 v12, 0xffff, v39 :: v_dual_lshlrev_b32 v23, 16, v8
	s_delay_alu instid0(VALU_DEP_1) | instskip(NEXT) | instid1(VALU_DEP_2)
	v_cmp_o_f32_e32 vcc_lo, v23, v23
	v_xor_b32_e32 v9, v12, v9
	s_delay_alu instid0(VALU_DEP_1) | instskip(NEXT) | instid1(VALU_DEP_1)
	v_cndmask_b32_e32 v9, 0xffff, v9, vcc_lo
	v_and_b32_e32 v9, s88, v9
	s_delay_alu instid0(VALU_DEP_1)
	v_cmp_eq_u32_e32 vcc_lo, s89, v9
	s_and_b32 exec_lo, exec_lo, vcc_lo
	s_cbranch_execz .LBB68_88
; %bb.93:                               ;   in Loop: Header=BB68_89 Depth=2
	v_perm_b32 v8, v8, s78, 0x5040100
	ds_store_b32 v13, v8 offset:3072
	s_branch .LBB68_88
.LBB68_94:                              ;   in Loop: Header=BB68_8 Depth=1
	s_mov_b32 s4, -1
                                        ; implicit-def: $sgpr5
                                        ; implicit-def: $sgpr22
                                        ; implicit-def: $sgpr21
	s_branch .LBB68_111
.LBB68_95:                              ;   in Loop: Header=BB68_8 Depth=1
	s_mov_b32 s5, -1
	s_mov_b32 s4, 0
                                        ; implicit-def: $sgpr21
                                        ; implicit-def: $vgpr41
	s_mov_b32 s22, s5
	s_cbranch_execnz .LBB68_98
	s_branch .LBB68_111
.LBB68_96:                              ;   in Loop: Header=BB68_8 Depth=1
	s_or_b32 exec_lo, exec_lo, s21
	v_lshrrev_b32_e32 v41, 16, v8
	s_and_b32 s4, s22, exec_lo
.LBB68_97:                              ;   in Loop: Header=BB68_8 Depth=1
	s_or_b32 exec_lo, exec_lo, s5
	s_mov_b32 s21, -1
	s_mov_b32 s5, 0
	s_delay_alu instid0(SALU_CYCLE_1)
	s_mov_b32 s22, s5
	s_branch .LBB68_111
.LBB68_98:                              ;   in Loop: Header=BB68_8 Depth=1
	s_add_u32 s21, s69, s14
	s_addc_u32 s5, s70, s15
	s_mov_b32 s4, s45
	s_delay_alu instid0(SALU_CYCLE_1)
	s_cmp_lg_u64 s[4:5], 0
	s_cbranch_scc0 .LBB68_141
; %bb.99:                               ;   in Loop: Header=BB68_8 Depth=1
	v_cvt_f32_u32_e32 v2, s33
	s_sub_u32 s23, 0, s33
	s_subb_u32 s44, 0, 0
	s_delay_alu instid0(VALU_DEP_1) | instskip(NEXT) | instid1(VALU_DEP_1)
	v_fmac_f32_e32 v2, 0x4f800000, v40
	v_rcp_f32_e32 v2, v2
	s_waitcnt_depctr 0xfff
	v_mul_f32_e32 v2, 0x5f7ffffc, v2
	s_delay_alu instid0(VALU_DEP_1) | instskip(NEXT) | instid1(VALU_DEP_1)
	v_mul_f32_e32 v3, 0x2f800000, v2
	v_trunc_f32_e32 v3, v3
	s_delay_alu instid0(VALU_DEP_1) | instskip(SKIP_1) | instid1(VALU_DEP_2)
	v_fmac_f32_e32 v2, 0xcf800000, v3
	v_cvt_u32_f32_e32 v3, v3
	v_cvt_u32_f32_e32 v2, v2
	s_delay_alu instid0(VALU_DEP_2) | instskip(NEXT) | instid1(VALU_DEP_2)
	v_readfirstlane_b32 s4, v3
	v_readfirstlane_b32 s22, v2
	s_delay_alu instid0(VALU_DEP_2) | instskip(NEXT) | instid1(VALU_DEP_1)
	s_mul_i32 s48, s23, s4
	s_mul_hi_u32 s57, s23, s22
	s_mul_i32 s56, s44, s22
	s_add_i32 s48, s57, s48
	s_mul_i32 s58, s23, s22
	s_add_i32 s48, s48, s56
	s_mul_hi_u32 s57, s22, s58
	s_mul_hi_u32 s59, s4, s58
	s_mul_i32 s56, s4, s58
	s_mul_hi_u32 s58, s22, s48
	s_mul_i32 s22, s22, s48
	s_mul_hi_u32 s60, s4, s48
	s_add_u32 s22, s57, s22
	s_addc_u32 s57, 0, s58
	s_add_u32 s22, s22, s56
	s_mul_i32 s48, s4, s48
	s_addc_u32 s22, s57, s59
	s_addc_u32 s56, s60, 0
	s_add_u32 s22, s22, s48
	s_addc_u32 s48, 0, s56
	v_add_co_u32 v2, s22, v2, s22
	s_delay_alu instid0(VALU_DEP_1) | instskip(SKIP_1) | instid1(VALU_DEP_1)
	s_cmp_lg_u32 s22, 0
	s_addc_u32 s4, s4, s48
	v_readfirstlane_b32 s22, v2
	s_mul_i32 s48, s23, s4
	s_delay_alu instid0(VALU_DEP_1)
	s_mul_hi_u32 s56, s23, s22
	s_mul_i32 s44, s44, s22
	s_add_i32 s48, s56, s48
	s_mul_i32 s23, s23, s22
	s_add_i32 s48, s48, s44
	s_mul_hi_u32 s56, s4, s23
	s_mul_i32 s57, s4, s23
	s_mul_hi_u32 s23, s22, s23
	s_mul_hi_u32 s58, s22, s48
	s_mul_i32 s22, s22, s48
	s_mul_hi_u32 s44, s4, s48
	s_add_u32 s22, s23, s22
	s_addc_u32 s23, 0, s58
	s_add_u32 s22, s22, s57
	s_mul_i32 s48, s4, s48
	s_addc_u32 s22, s23, s56
	s_addc_u32 s23, s44, 0
	s_add_u32 s22, s22, s48
	s_addc_u32 s23, 0, s23
	v_add_co_u32 v2, s22, v2, s22
	s_delay_alu instid0(VALU_DEP_1) | instskip(SKIP_2) | instid1(VALU_DEP_1)
	s_cmp_lg_u32 s22, 0
	s_addc_u32 s4, s4, s23
	s_ashr_i32 s22, s5, 31
	v_readfirstlane_b32 s44, v2
	s_add_u32 s56, s21, s22
	s_mov_b32 s23, s22
	s_addc_u32 s57, s5, s22
	s_delay_alu instid0(SALU_CYCLE_1) | instskip(NEXT) | instid1(SALU_CYCLE_1)
	s_xor_b64 s[56:57], s[56:57], s[22:23]
	s_mul_i32 s48, s56, s4
	s_mul_hi_u32 s58, s56, s44
	s_mul_hi_u32 s23, s56, s4
	;; [unrolled: 1-line block ×3, first 2 shown]
	s_mul_i32 s44, s57, s44
	s_add_u32 s48, s58, s48
	s_addc_u32 s23, 0, s23
	s_mul_hi_u32 s59, s57, s4
	s_add_u32 s44, s48, s44
	s_mul_i32 s4, s57, s4
	s_addc_u32 s23, s23, s60
	s_addc_u32 s44, s59, 0
	s_add_u32 s4, s23, s4
	s_addc_u32 s23, 0, s44
	s_mul_hi_u32 s44, s33, s4
	s_mul_i32 s4, s33, s4
	s_mul_i32 s23, s33, s23
	v_sub_co_u32 v2, s4, s56, s4
	s_add_i32 s44, s44, s23
	s_cmp_lg_u32 s4, 0
	s_delay_alu instid0(VALU_DEP_1) | instskip(SKIP_2) | instid1(VALU_DEP_1)
	v_sub_co_u32 v3, s4, v2, s33
	s_subb_u32 s23, s57, s44
	s_cmp_lg_u32 s4, 0
	v_cmp_le_u32_e32 vcc_lo, s33, v3
	v_sub_co_u32 v4, s4, v3, s33
	s_subb_u32 s44, s23, 0
	s_cmp_lg_u32 s4, 0
	v_cndmask_b32_e64 v5, 0, -1, vcc_lo
	s_subb_u32 s4, s44, 0
	s_cmp_eq_u32 s44, 0
	v_mov_b32_e32 v7, s4
	s_cselect_b32 vcc_lo, -1, 0
	s_cmp_eq_u32 s23, 0
	v_cndmask_b32_e32 v5, -1, v5, vcc_lo
	v_cmp_le_u32_e32 vcc_lo, s33, v2
	s_cselect_b32 s4, -1, 0
	v_cndmask_b32_e64 v6, 0, -1, vcc_lo
	s_delay_alu instid0(VALU_DEP_3) | instskip(NEXT) | instid1(VALU_DEP_2)
	v_cmp_ne_u32_e32 vcc_lo, 0, v5
	v_cndmask_b32_e64 v5, -1, v6, s4
	v_cndmask_b32_e32 v3, v3, v4, vcc_lo
	v_cndmask_b32_e32 v6, s44, v7, vcc_lo
	s_delay_alu instid0(VALU_DEP_3) | instskip(NEXT) | instid1(VALU_DEP_3)
	v_cmp_ne_u32_e32 vcc_lo, 0, v5
	v_cndmask_b32_e32 v2, v2, v3, vcc_lo
	s_delay_alu instid0(VALU_DEP_3) | instskip(NEXT) | instid1(VALU_DEP_2)
	v_cndmask_b32_e32 v4, s23, v6, vcc_lo
	v_xor_b32_e32 v2, s22, v2
	s_delay_alu instid0(VALU_DEP_2) | instskip(NEXT) | instid1(VALU_DEP_2)
	v_xor_b32_e32 v3, s22, v4
	v_sub_co_u32 v2, vcc_lo, v2, s22
	s_delay_alu instid0(VALU_DEP_2)
	v_subrev_co_ci_u32_e32 v3, vcc_lo, s22, v3, vcc_lo
	s_cbranch_execnz .LBB68_101
.LBB68_100:                             ;   in Loop: Header=BB68_8 Depth=1
	v_cvt_f32_u32_e32 v2, s33
	s_sub_i32 s4, 0, s33
	s_delay_alu instid0(VALU_DEP_1) | instskip(SKIP_2) | instid1(VALU_DEP_1)
	v_rcp_iflag_f32_e32 v2, v2
	s_waitcnt_depctr 0xfff
	v_mul_f32_e32 v2, 0x4f7ffffe, v2
	v_cvt_u32_f32_e32 v2, v2
	s_delay_alu instid0(VALU_DEP_1) | instskip(NEXT) | instid1(VALU_DEP_1)
	v_mul_lo_u32 v3, s4, v2
	v_mul_hi_u32 v3, v2, v3
	s_delay_alu instid0(VALU_DEP_1) | instskip(NEXT) | instid1(VALU_DEP_1)
	v_add_nc_u32_e32 v2, v2, v3
	v_mul_hi_u32 v2, s21, v2
	s_delay_alu instid0(VALU_DEP_1) | instskip(NEXT) | instid1(VALU_DEP_1)
	v_mul_lo_u32 v2, v2, s33
	v_sub_nc_u32_e32 v2, s21, v2
	s_delay_alu instid0(VALU_DEP_1) | instskip(SKIP_1) | instid1(VALU_DEP_2)
	v_subrev_nc_u32_e32 v3, s33, v2
	v_cmp_le_u32_e32 vcc_lo, s33, v2
	v_cndmask_b32_e32 v2, v2, v3, vcc_lo
	s_delay_alu instid0(VALU_DEP_1) | instskip(SKIP_1) | instid1(VALU_DEP_2)
	v_subrev_nc_u32_e32 v3, s33, v2
	v_cmp_le_u32_e32 vcc_lo, s33, v2
	v_cndmask_b32_e32 v12, v2, v3, vcc_lo
	s_delay_alu instid0(VALU_DEP_1)
	v_dual_mov_b32 v2, v12 :: v_dual_mov_b32 v3, v13
.LBB68_101:                             ;   in Loop: Header=BB68_8 Depth=1
	s_delay_alu instid0(VALU_DEP_1) | instskip(NEXT) | instid1(VALU_DEP_2)
	v_sub_co_u32 v2, vcc_lo, s21, v2
	v_sub_co_ci_u32_e32 v3, vcc_lo, s5, v3, vcc_lo
	s_mov_b32 s4, 0
	s_mov_b32 s5, exec_lo
                                        ; implicit-def: $vgpr41
	s_delay_alu instid0(VALU_DEP_1)
	v_cmpx_gt_i64_e64 v[2:3], v[0:1]
	s_cbranch_execz .LBB68_110
; %bb.102:                              ;   in Loop: Header=BB68_8 Depth=1
	v_dual_mov_b32 v6, v30 :: v_dual_mov_b32 v5, v1
	v_mov_b32_e32 v4, v0
	s_mov_b32 s21, 0
                                        ; implicit-def: $sgpr22
	s_branch .LBB68_104
.LBB68_103:                             ;   in Loop: Header=BB68_104 Depth=2
	s_or_b32 exec_lo, exec_lo, s4
	s_waitcnt lgkmcnt(0)
	s_barrier
	buffer_gl0_inv
	ds_load_b32 v7, v13 offset:3072
	v_add_co_u32 v4, vcc_lo, v4, s33
	v_add_co_ci_u32_e32 v5, vcc_lo, 0, v5, vcc_lo
	v_add_nc_u32_e32 v6, s77, v6
	s_waitcnt lgkmcnt(0)
	s_barrier
	s_delay_alu instid0(VALU_DEP_2) | instskip(SKIP_2) | instid1(VALU_DEP_1)
	v_cmp_ge_i64_e32 vcc_lo, v[4:5], v[2:3]
	buffer_gl0_inv
	v_and_b32_e32 v8, 0x7fff, v7
	v_cmp_ne_u16_e64 s4, 0, v8
	s_delay_alu instid0(VALU_DEP_1) | instskip(NEXT) | instid1(SALU_CYCLE_1)
	s_or_b32 s23, s4, vcc_lo
	s_and_b32 s23, exec_lo, s23
	s_delay_alu instid0(SALU_CYCLE_1) | instskip(SKIP_2) | instid1(SALU_CYCLE_1)
	s_or_b32 s21, s23, s21
	s_and_not1_b32 s22, s22, exec_lo
	s_and_b32 s4, s4, exec_lo
	s_or_b32 s22, s22, s4
	s_and_not1_b32 exec_lo, exec_lo, s21
	s_cbranch_execz .LBB68_109
.LBB68_104:                             ;   Parent Loop BB68_8 Depth=1
                                        ; =>  This Inner Loop Header: Depth=2
	s_delay_alu instid0(VALU_DEP_1)
	v_cmp_gt_i64_e32 vcc_lo, s[14:15], v[4:5]
	v_mov_b32_e32 v7, 0
	s_and_saveexec_b32 s4, vcc_lo
	s_cbranch_execz .LBB68_106
; %bb.105:                              ;   in Loop: Header=BB68_104 Depth=2
	ds_load_u16 v7, v6
.LBB68_106:                             ;   in Loop: Header=BB68_104 Depth=2
	s_or_b32 exec_lo, exec_lo, s4
	s_and_saveexec_b32 s4, vcc_lo
	s_cbranch_execz .LBB68_103
; %bb.107:                              ;   in Loop: Header=BB68_104 Depth=2
	s_waitcnt lgkmcnt(0)
	v_cmp_lt_i16_e32 vcc_lo, -1, v7
	v_and_b32_e32 v8, 0xffff, v7
	v_lshlrev_b32_e32 v12, 16, v7
	v_cndmask_b32_e32 v9, 0xffff, v39, vcc_lo
	s_delay_alu instid0(VALU_DEP_2) | instskip(NEXT) | instid1(VALU_DEP_2)
	v_cmp_o_f32_e32 vcc_lo, v12, v12
	v_xor_b32_e32 v8, v9, v8
	s_delay_alu instid0(VALU_DEP_1) | instskip(NEXT) | instid1(VALU_DEP_1)
	v_cndmask_b32_e32 v8, 0xffff, v8, vcc_lo
	v_and_b32_e32 v8, s88, v8
	s_delay_alu instid0(VALU_DEP_1)
	v_cmp_eq_u32_e32 vcc_lo, s89, v8
	s_and_b32 exec_lo, exec_lo, vcc_lo
	s_cbranch_execz .LBB68_103
; %bb.108:                              ;   in Loop: Header=BB68_104 Depth=2
	v_perm_b32 v7, v7, s78, 0x5040100
	ds_store_b32 v13, v7 offset:3072
	s_branch .LBB68_103
.LBB68_109:                             ;   in Loop: Header=BB68_8 Depth=1
	s_or_b32 exec_lo, exec_lo, s21
	v_lshrrev_b32_e32 v41, 16, v7
	s_and_b32 s4, s22, exec_lo
.LBB68_110:                             ;   in Loop: Header=BB68_8 Depth=1
	s_or_b32 exec_lo, exec_lo, s5
	s_mov_b32 s22, -1
	s_mov_b32 s5, 0
	s_mov_b32 s21, 0
.LBB68_111:                             ;   in Loop: Header=BB68_8 Depth=1
	s_and_not1_b32 s14, s85, exec_lo
	s_and_b32 s5, s5, exec_lo
	s_and_not1_b32 s15, s86, exec_lo
	s_or_b32 s85, s14, s5
	s_and_not1_b32 s5, s87, exec_lo
	s_and_b32 s14, s22, exec_lo
	s_and_b32 s21, s21, exec_lo
	s_or_b32 s87, s5, s14
	s_or_b32 s86, s15, s21
	s_and_saveexec_b32 s14, s4
	s_cbranch_execz .LBB68_7
; %bb.112:                              ;   in Loop: Header=BB68_8 Depth=1
	s_xor_b32 s4, s20, -1
	s_mov_b32 s48, 1
	s_and_not1_b32 vcc_lo, exec_lo, s4
	s_cbranch_vccnz .LBB68_123
; %bb.113:                              ;   in Loop: Header=BB68_8 Depth=1
	v_cmp_gt_i64_e64 s4, s[26:27], s[12:13]
                                        ; implicit-def: $sgpr48
                                        ; implicit-def: $sgpr5
                                        ; implicit-def: $sgpr15
	s_delay_alu instid0(VALU_DEP_1)
	s_and_b32 vcc_lo, exec_lo, s4
	s_mov_b32 s4, -1
	s_cbranch_vccnz .LBB68_119
; %bb.114:                              ;   in Loop: Header=BB68_8 Depth=1
	ds_load_b64 v[2:3], v13 offset:5120
	s_waitcnt lgkmcnt(0)
	v_cmp_ne_u64_e32 vcc_lo, 0, v[2:3]
	s_cbranch_vccnz .LBB68_118
; %bb.115:                              ;   in Loop: Header=BB68_8 Depth=1
	s_and_saveexec_b32 s4, s0
	s_cbranch_execz .LBB68_117
; %bb.116:                              ;   in Loop: Header=BB68_8 Depth=1
	v_dual_mov_b32 v2, s12 :: v_dual_mov_b32 v3, s13
	ds_store_b64 v13, v[2:3] offset:5128
.LBB68_117:                             ;   in Loop: Header=BB68_8 Depth=1
	s_or_b32 exec_lo, exec_lo, s4
	s_waitcnt lgkmcnt(0)
	s_barrier
	buffer_gl0_inv
.LBB68_118:                             ;   in Loop: Header=BB68_8 Depth=1
	s_and_b32 s5, s89, s18
	s_or_b32 s15, s88, s16
	s_mov_b32 s4, 0
	s_mov_b32 s48, 8
.LBB68_119:                             ;   in Loop: Header=BB68_8 Depth=1
	s_and_not1_b32 vcc_lo, exec_lo, s4
	s_cbranch_vccnz .LBB68_121
; %bb.120:                              ;   in Loop: Header=BB68_8 Depth=1
	s_sub_u32 s26, s26, s12
	s_subb_u32 s27, s27, s13
	s_mov_b32 s4, -1
	s_mov_b32 s48, 0
	s_mov_b32 s5, s89
	;; [unrolled: 1-line block ×3, first 2 shown]
.LBB68_121:                             ;   in Loop: Header=BB68_8 Depth=1
	s_delay_alu instid0(SALU_CYCLE_1)
	s_mov_b32 s88, s15
	s_mov_b32 s89, s5
	s_and_b32 vcc_lo, exec_lo, s4
	s_mov_b32 s15, -1
	s_cbranch_vccnz .LBB68_124
.LBB68_122:                             ;   in Loop: Header=BB68_8 Depth=1
	s_mov_b32 s5, -1
                                        ; implicit-def: $sgpr19
                                        ; implicit-def: $sgpr21
                                        ; implicit-def: $sgpr20
	s_delay_alu instid0(SALU_CYCLE_1) | instskip(NEXT) | instid1(SALU_CYCLE_1)
	s_and_saveexec_b32 s4, s5
	s_xor_b32 s4, exec_lo, s4
	s_cbranch_execz .LBB68_6
	s_branch .LBB68_270
.LBB68_123:                             ;   in Loop: Header=BB68_8 Depth=1
	s_mov_b64 s[26:27], 1
	s_mov_b32 s15, -1
	s_branch .LBB68_122
.LBB68_124:                             ;   in Loop: Header=BB68_8 Depth=1
	s_cmp_eq_u64 s[10:11], 1
	s_cselect_b32 s4, -1, 0
	s_cmp_eq_u64 s[26:27], 1
	s_cselect_b32 s5, -1, 0
	s_delay_alu instid0(SALU_CYCLE_1)
	s_and_b32 s22, s4, s5
	s_mov_b32 s4, -1
	s_and_b32 vcc_lo, exec_lo, s22
	s_cbranch_vccz .LBB68_139
; %bb.125:                              ;   in Loop: Header=BB68_8 Depth=1
	ds_load_b64 v[2:3], v13 offset:5120
	s_waitcnt lgkmcnt(0)
	s_barrier
	buffer_gl0_inv
	v_readfirstlane_b32 s12, v2
	v_readfirstlane_b32 s13, v3
	s_and_saveexec_b32 s4, s2
	s_cbranch_execz .LBB68_127
; %bb.126:                              ;   in Loop: Header=BB68_8 Depth=1
	ds_store_b16 v31, v13
.LBB68_127:                             ;   in Loop: Header=BB68_8 Depth=1
	s_or_b32 exec_lo, exec_lo, s4
	s_delay_alu instid0(VALU_DEP_1)
	v_cmp_gt_i64_e64 s19, s[12:13], 0
	s_lshl_b32 s4, 1, s17
	s_and_b32 s5, s89, s18
	s_or_b32 s88, s88, s16
	s_or_b32 s89, s5, s4
	s_waitcnt lgkmcnt(0)
	s_and_b32 vcc_lo, exec_lo, s19
	s_barrier
	buffer_gl0_inv
	s_cbranch_vccnz .LBB68_142
; %bb.128:                              ;   in Loop: Header=BB68_8 Depth=1
	s_mov_b32 s48, s45
	s_delay_alu instid0(SALU_CYCLE_1)
	s_cmp_lg_u64 s[48:49], 0
	s_cbranch_scc0 .LBB68_187
; %bb.129:                              ;   in Loop: Header=BB68_8 Depth=1
	v_cvt_f32_u32_e32 v2, s33
	s_sub_u32 s19, 0, s33
	s_subb_u32 s20, 0, 0
	s_delay_alu instid0(VALU_DEP_1) | instskip(NEXT) | instid1(VALU_DEP_1)
	v_fmac_f32_e32 v2, 0x4f800000, v40
	v_rcp_f32_e32 v2, v2
	s_waitcnt_depctr 0xfff
	v_mul_f32_e32 v2, 0x5f7ffffc, v2
	s_delay_alu instid0(VALU_DEP_1) | instskip(NEXT) | instid1(VALU_DEP_1)
	v_mul_f32_e32 v3, 0x2f800000, v2
	v_trunc_f32_e32 v3, v3
	s_delay_alu instid0(VALU_DEP_1) | instskip(SKIP_1) | instid1(VALU_DEP_2)
	v_fmac_f32_e32 v2, 0xcf800000, v3
	v_cvt_u32_f32_e32 v3, v3
	v_cvt_u32_f32_e32 v2, v2
	s_delay_alu instid0(VALU_DEP_2) | instskip(NEXT) | instid1(VALU_DEP_2)
	v_readfirstlane_b32 s4, v3
	v_readfirstlane_b32 s5, v2
	s_delay_alu instid0(VALU_DEP_2) | instskip(NEXT) | instid1(VALU_DEP_1)
	s_mul_i32 s21, s19, s4
	s_mul_hi_u32 s44, s19, s5
	s_mul_i32 s23, s20, s5
	s_add_i32 s21, s44, s21
	s_mul_i32 s48, s19, s5
	s_add_i32 s21, s21, s23
	s_mul_hi_u32 s44, s5, s48
	s_mul_hi_u32 s56, s4, s48
	s_mul_i32 s23, s4, s48
	s_mul_hi_u32 s48, s5, s21
	s_mul_i32 s5, s5, s21
	s_mul_hi_u32 s57, s4, s21
	s_add_u32 s5, s44, s5
	s_addc_u32 s44, 0, s48
	s_add_u32 s5, s5, s23
	s_mul_i32 s21, s4, s21
	s_addc_u32 s5, s44, s56
	s_addc_u32 s23, s57, 0
	s_add_u32 s5, s5, s21
	s_addc_u32 s21, 0, s23
	v_add_co_u32 v2, s5, v2, s5
	s_delay_alu instid0(VALU_DEP_1) | instskip(SKIP_1) | instid1(VALU_DEP_1)
	s_cmp_lg_u32 s5, 0
	s_addc_u32 s4, s4, s21
	v_readfirstlane_b32 s5, v2
	s_mul_i32 s21, s19, s4
	s_delay_alu instid0(VALU_DEP_1)
	s_mul_hi_u32 s23, s19, s5
	s_mul_i32 s20, s20, s5
	s_add_i32 s21, s23, s21
	s_mul_i32 s19, s19, s5
	s_add_i32 s21, s21, s20
	s_mul_hi_u32 s23, s4, s19
	s_mul_i32 s44, s4, s19
	s_mul_hi_u32 s19, s5, s19
	s_mul_hi_u32 s48, s5, s21
	s_mul_i32 s5, s5, s21
	s_mul_hi_u32 s20, s4, s21
	s_add_u32 s5, s19, s5
	s_addc_u32 s19, 0, s48
	s_add_u32 s5, s5, s44
	s_mul_i32 s21, s4, s21
	s_addc_u32 s5, s19, s23
	s_addc_u32 s19, s20, 0
	s_add_u32 s5, s5, s21
	s_addc_u32 s19, 0, s19
	v_add_co_u32 v2, s5, v2, s5
	s_delay_alu instid0(VALU_DEP_1) | instskip(SKIP_2) | instid1(VALU_DEP_1)
	s_cmp_lg_u32 s5, 0
	s_addc_u32 s19, s4, s19
	s_ashr_i32 s20, s49, 31
	v_readfirstlane_b32 s23, v2
	s_add_u32 s4, s71, s20
	s_mov_b32 s21, s20
	s_addc_u32 s5, s49, s20
	s_delay_alu instid0(SALU_CYCLE_1) | instskip(NEXT) | instid1(SALU_CYCLE_1)
	s_xor_b64 s[4:5], s[4:5], s[20:21]
	s_mul_i32 s44, s4, s19
	s_mul_hi_u32 s48, s4, s23
	s_mul_hi_u32 s21, s4, s19
	;; [unrolled: 1-line block ×3, first 2 shown]
	s_mul_i32 s23, s5, s23
	s_add_u32 s44, s48, s44
	s_addc_u32 s21, 0, s21
	s_mul_hi_u32 s56, s5, s19
	s_add_u32 s23, s44, s23
	s_mul_i32 s19, s5, s19
	s_addc_u32 s21, s21, s57
	s_addc_u32 s23, s56, 0
	s_add_u32 s19, s21, s19
	s_addc_u32 s21, 0, s23
	s_mul_hi_u32 s23, s33, s19
	s_mul_i32 s19, s33, s19
	s_mul_i32 s21, s33, s21
	v_sub_co_u32 v2, s4, s4, s19
	s_add_i32 s23, s23, s21
	s_cmp_lg_u32 s4, 0
	s_delay_alu instid0(VALU_DEP_1) | instskip(SKIP_2) | instid1(VALU_DEP_1)
	v_sub_co_u32 v3, s4, v2, s33
	s_subb_u32 s5, s5, s23
	s_cmp_lg_u32 s4, 0
	v_cmp_le_u32_e32 vcc_lo, s33, v3
	v_sub_co_u32 v4, s4, v3, s33
	s_subb_u32 s19, s5, 0
	s_cmp_lg_u32 s4, 0
	v_cndmask_b32_e64 v5, 0, -1, vcc_lo
	s_subb_u32 s4, s19, 0
	s_cmp_eq_u32 s19, 0
	v_mov_b32_e32 v7, s4
	s_cselect_b32 vcc_lo, -1, 0
	s_cmp_eq_u32 s5, 0
	v_cndmask_b32_e32 v5, -1, v5, vcc_lo
	v_cmp_le_u32_e32 vcc_lo, s33, v2
	s_cselect_b32 s4, -1, 0
	v_cndmask_b32_e64 v6, 0, -1, vcc_lo
	s_delay_alu instid0(VALU_DEP_3) | instskip(NEXT) | instid1(VALU_DEP_2)
	v_cmp_ne_u32_e32 vcc_lo, 0, v5
	v_cndmask_b32_e64 v5, -1, v6, s4
	v_cndmask_b32_e32 v3, v3, v4, vcc_lo
	v_cndmask_b32_e32 v6, s19, v7, vcc_lo
	s_delay_alu instid0(VALU_DEP_3) | instskip(NEXT) | instid1(VALU_DEP_3)
	v_cmp_ne_u32_e32 vcc_lo, 0, v5
	v_cndmask_b32_e32 v2, v2, v3, vcc_lo
	s_delay_alu instid0(VALU_DEP_3) | instskip(NEXT) | instid1(VALU_DEP_2)
	v_cndmask_b32_e32 v4, s5, v6, vcc_lo
	v_xor_b32_e32 v2, s20, v2
	s_delay_alu instid0(VALU_DEP_2) | instskip(NEXT) | instid1(VALU_DEP_2)
	v_xor_b32_e32 v3, s20, v4
	v_sub_co_u32 v2, vcc_lo, v2, s20
	s_delay_alu instid0(VALU_DEP_2)
	v_subrev_co_ci_u32_e32 v3, vcc_lo, s20, v3, vcc_lo
	s_cbranch_execnz .LBB68_131
.LBB68_130:                             ;   in Loop: Header=BB68_8 Depth=1
	v_cvt_f32_u32_e32 v2, s33
	s_sub_i32 s4, 0, s33
	s_delay_alu instid0(VALU_DEP_1) | instskip(SKIP_2) | instid1(VALU_DEP_1)
	v_rcp_iflag_f32_e32 v2, v2
	s_waitcnt_depctr 0xfff
	v_mul_f32_e32 v2, 0x4f7ffffe, v2
	v_cvt_u32_f32_e32 v2, v2
	s_delay_alu instid0(VALU_DEP_1) | instskip(NEXT) | instid1(VALU_DEP_1)
	v_mul_lo_u32 v3, s4, v2
	v_mul_hi_u32 v3, v2, v3
	s_delay_alu instid0(VALU_DEP_1) | instskip(NEXT) | instid1(VALU_DEP_1)
	v_add_nc_u32_e32 v2, v2, v3
	v_mul_hi_u32 v2, s71, v2
	s_delay_alu instid0(VALU_DEP_1) | instskip(NEXT) | instid1(VALU_DEP_1)
	v_mul_lo_u32 v2, v2, s33
	v_sub_nc_u32_e32 v2, s71, v2
	s_delay_alu instid0(VALU_DEP_1) | instskip(SKIP_1) | instid1(VALU_DEP_2)
	v_subrev_nc_u32_e32 v3, s33, v2
	v_cmp_le_u32_e32 vcc_lo, s33, v2
	v_cndmask_b32_e32 v2, v2, v3, vcc_lo
	s_delay_alu instid0(VALU_DEP_1) | instskip(SKIP_1) | instid1(VALU_DEP_2)
	v_subrev_nc_u32_e32 v3, s33, v2
	v_cmp_le_u32_e32 vcc_lo, s33, v2
	v_cndmask_b32_e32 v12, v2, v3, vcc_lo
	s_delay_alu instid0(VALU_DEP_1)
	v_dual_mov_b32 v2, v12 :: v_dual_mov_b32 v3, v13
.LBB68_131:                             ;   in Loop: Header=BB68_8 Depth=1
	s_delay_alu instid0(VALU_DEP_1) | instskip(NEXT) | instid1(VALU_DEP_2)
	v_sub_co_u32 v2, vcc_lo, s71, v2
	v_sub_co_ci_u32_e32 v3, vcc_lo, s49, v3, vcc_lo
	s_mov_b32 s4, 0
	s_mov_b32 s5, exec_lo
                                        ; implicit-def: $vgpr41
	s_delay_alu instid0(VALU_DEP_1)
	v_cmpx_gt_i64_e64 v[2:3], v[0:1]
	s_cbranch_execz .LBB68_144
; %bb.132:                              ;   in Loop: Header=BB68_8 Depth=1
	v_dual_mov_b32 v4, v10 :: v_dual_mov_b32 v5, v11
	v_dual_mov_b32 v7, v1 :: v_dual_mov_b32 v6, v0
	s_mov_b32 s19, 0
                                        ; implicit-def: $sgpr20
	s_branch .LBB68_134
.LBB68_133:                             ;   in Loop: Header=BB68_134 Depth=2
	s_or_b32 exec_lo, exec_lo, s4
	s_waitcnt vmcnt(0) lgkmcnt(0)
	s_barrier
	buffer_gl0_inv
	ds_load_b32 v8, v13 offset:3072
	v_add_co_u32 v6, vcc_lo, v6, s33
	v_add_co_ci_u32_e32 v7, vcc_lo, 0, v7, vcc_lo
	s_waitcnt lgkmcnt(0)
	s_barrier
	buffer_gl0_inv
	v_cmp_ge_i64_e32 vcc_lo, v[6:7], v[2:3]
	v_and_b32_e32 v9, 0x7fff, v8
	s_delay_alu instid0(VALU_DEP_1) | instskip(NEXT) | instid1(VALU_DEP_1)
	v_cmp_ne_u16_e64 s4, 0, v9
	s_or_b32 s21, s4, vcc_lo
	v_add_co_u32 v4, vcc_lo, v4, s42
	s_and_b32 s21, exec_lo, s21
	v_add_co_ci_u32_e32 v5, vcc_lo, s43, v5, vcc_lo
	s_or_b32 s19, s21, s19
	s_and_not1_b32 s20, s20, exec_lo
	s_and_b32 s4, s4, exec_lo
	s_delay_alu instid0(SALU_CYCLE_1)
	s_or_b32 s20, s20, s4
	s_and_not1_b32 exec_lo, exec_lo, s19
	s_cbranch_execz .LBB68_143
.LBB68_134:                             ;   Parent Loop BB68_8 Depth=1
                                        ; =>  This Inner Loop Header: Depth=2
	s_delay_alu instid0(VALU_DEP_1)
	v_cmp_gt_i64_e32 vcc_lo, s[24:25], v[6:7]
	v_mov_b32_e32 v8, 0
	s_and_saveexec_b32 s4, vcc_lo
	s_cbranch_execz .LBB68_136
; %bb.135:                              ;   in Loop: Header=BB68_134 Depth=2
	global_load_u16 v8, v[4:5], off
.LBB68_136:                             ;   in Loop: Header=BB68_134 Depth=2
	s_or_b32 exec_lo, exec_lo, s4
	s_and_saveexec_b32 s4, vcc_lo
	s_cbranch_execz .LBB68_133
; %bb.137:                              ;   in Loop: Header=BB68_134 Depth=2
	s_waitcnt vmcnt(0)
	v_cmp_lt_i16_e32 vcc_lo, -1, v8
	v_and_b32_e32 v9, 0xffff, v8
	v_dual_cndmask_b32 v12, 0xffff, v39 :: v_dual_lshlrev_b32 v23, 16, v8
	s_delay_alu instid0(VALU_DEP_1) | instskip(NEXT) | instid1(VALU_DEP_2)
	v_cmp_o_f32_e32 vcc_lo, v23, v23
	v_xor_b32_e32 v9, v12, v9
	s_delay_alu instid0(VALU_DEP_1) | instskip(NEXT) | instid1(VALU_DEP_1)
	v_cndmask_b32_e32 v9, 0xffff, v9, vcc_lo
	v_and_b32_e32 v9, s88, v9
	s_delay_alu instid0(VALU_DEP_1)
	v_cmp_eq_u32_e32 vcc_lo, s89, v9
	s_and_b32 exec_lo, exec_lo, vcc_lo
	s_cbranch_execz .LBB68_133
; %bb.138:                              ;   in Loop: Header=BB68_134 Depth=2
	v_perm_b32 v8, v8, s78, 0x5040100
	ds_store_b32 v13, v8 offset:3072
	s_branch .LBB68_133
.LBB68_139:                             ;   in Loop: Header=BB68_8 Depth=1
                                        ; implicit-def: $sgpr20
                                        ; implicit-def: $sgpr21
                                        ; implicit-def: $sgpr19
	s_branch .LBB68_158
.LBB68_140:                             ;   in Loop: Header=BB68_8 Depth=1
                                        ; implicit-def: $vgpr2_vgpr3
	s_branch .LBB68_85
.LBB68_141:                             ;   in Loop: Header=BB68_8 Depth=1
                                        ; implicit-def: $vgpr2_vgpr3
	s_branch .LBB68_100
.LBB68_142:                             ;   in Loop: Header=BB68_8 Depth=1
	s_mov_b32 s20, -1
	s_mov_b32 s4, 0
                                        ; implicit-def: $sgpr19
                                        ; implicit-def: $vgpr41
	s_mov_b32 s21, s20
	s_cbranch_execnz .LBB68_145
	s_branch .LBB68_158
.LBB68_143:                             ;   in Loop: Header=BB68_8 Depth=1
	s_or_b32 exec_lo, exec_lo, s19
	v_lshrrev_b32_e32 v41, 16, v8
	s_and_b32 s4, s20, exec_lo
.LBB68_144:                             ;   in Loop: Header=BB68_8 Depth=1
	s_or_b32 exec_lo, exec_lo, s5
	s_mov_b32 s19, -1
	s_mov_b32 s20, 0
	s_delay_alu instid0(SALU_CYCLE_1)
	s_mov_b32 s21, s20
	s_branch .LBB68_158
.LBB68_145:                             ;   in Loop: Header=BB68_8 Depth=1
	s_add_u32 s19, s69, s12
	s_addc_u32 s5, s70, s13
	s_mov_b32 s4, s45
	s_delay_alu instid0(SALU_CYCLE_1)
	s_cmp_lg_u64 s[4:5], 0
	s_cbranch_scc0 .LBB68_188
; %bb.146:                              ;   in Loop: Header=BB68_8 Depth=1
	v_cvt_f32_u32_e32 v2, s33
	s_sub_u32 s21, 0, s33
	s_subb_u32 s23, 0, 0
	s_delay_alu instid0(VALU_DEP_1) | instskip(NEXT) | instid1(VALU_DEP_1)
	v_fmac_f32_e32 v2, 0x4f800000, v40
	v_rcp_f32_e32 v2, v2
	s_waitcnt_depctr 0xfff
	v_mul_f32_e32 v2, 0x5f7ffffc, v2
	s_delay_alu instid0(VALU_DEP_1) | instskip(NEXT) | instid1(VALU_DEP_1)
	v_mul_f32_e32 v3, 0x2f800000, v2
	v_trunc_f32_e32 v3, v3
	s_delay_alu instid0(VALU_DEP_1) | instskip(SKIP_1) | instid1(VALU_DEP_2)
	v_fmac_f32_e32 v2, 0xcf800000, v3
	v_cvt_u32_f32_e32 v3, v3
	v_cvt_u32_f32_e32 v2, v2
	s_delay_alu instid0(VALU_DEP_2) | instskip(NEXT) | instid1(VALU_DEP_2)
	v_readfirstlane_b32 s4, v3
	v_readfirstlane_b32 s20, v2
	s_delay_alu instid0(VALU_DEP_2) | instskip(NEXT) | instid1(VALU_DEP_1)
	s_mul_i32 s44, s21, s4
	s_mul_hi_u32 s56, s21, s20
	s_mul_i32 s48, s23, s20
	s_add_i32 s44, s56, s44
	s_mul_i32 s57, s21, s20
	s_add_i32 s44, s44, s48
	s_mul_hi_u32 s56, s20, s57
	s_mul_hi_u32 s58, s4, s57
	s_mul_i32 s48, s4, s57
	s_mul_hi_u32 s57, s20, s44
	s_mul_i32 s20, s20, s44
	s_mul_hi_u32 s59, s4, s44
	s_add_u32 s20, s56, s20
	s_addc_u32 s56, 0, s57
	s_add_u32 s20, s20, s48
	s_mul_i32 s44, s4, s44
	s_addc_u32 s20, s56, s58
	s_addc_u32 s48, s59, 0
	s_add_u32 s20, s20, s44
	s_addc_u32 s44, 0, s48
	v_add_co_u32 v2, s20, v2, s20
	s_delay_alu instid0(VALU_DEP_1) | instskip(SKIP_1) | instid1(VALU_DEP_1)
	s_cmp_lg_u32 s20, 0
	s_addc_u32 s4, s4, s44
	v_readfirstlane_b32 s20, v2
	s_mul_i32 s44, s21, s4
	s_delay_alu instid0(VALU_DEP_1)
	s_mul_hi_u32 s48, s21, s20
	s_mul_i32 s23, s23, s20
	s_add_i32 s44, s48, s44
	s_mul_i32 s21, s21, s20
	s_add_i32 s44, s44, s23
	s_mul_hi_u32 s48, s4, s21
	s_mul_i32 s56, s4, s21
	s_mul_hi_u32 s21, s20, s21
	s_mul_hi_u32 s57, s20, s44
	s_mul_i32 s20, s20, s44
	s_mul_hi_u32 s23, s4, s44
	s_add_u32 s20, s21, s20
	s_addc_u32 s21, 0, s57
	s_add_u32 s20, s20, s56
	s_mul_i32 s44, s4, s44
	s_addc_u32 s20, s21, s48
	s_addc_u32 s21, s23, 0
	s_add_u32 s20, s20, s44
	s_addc_u32 s21, 0, s21
	v_add_co_u32 v2, s20, v2, s20
	s_delay_alu instid0(VALU_DEP_1) | instskip(SKIP_2) | instid1(VALU_DEP_1)
	s_cmp_lg_u32 s20, 0
	s_addc_u32 s4, s4, s21
	s_ashr_i32 s20, s5, 31
	v_readfirstlane_b32 s23, v2
	s_add_u32 s56, s19, s20
	s_mov_b32 s21, s20
	s_addc_u32 s57, s5, s20
	s_delay_alu instid0(SALU_CYCLE_1) | instskip(NEXT) | instid1(SALU_CYCLE_1)
	s_xor_b64 s[56:57], s[56:57], s[20:21]
	s_mul_i32 s44, s56, s4
	s_mul_hi_u32 s48, s56, s23
	s_mul_hi_u32 s21, s56, s4
	;; [unrolled: 1-line block ×3, first 2 shown]
	s_mul_i32 s23, s57, s23
	s_add_u32 s44, s48, s44
	s_addc_u32 s21, 0, s21
	s_mul_hi_u32 s58, s57, s4
	s_add_u32 s23, s44, s23
	s_mul_i32 s4, s57, s4
	s_addc_u32 s21, s21, s59
	s_addc_u32 s23, s58, 0
	s_add_u32 s4, s21, s4
	s_addc_u32 s21, 0, s23
	s_mul_hi_u32 s23, s33, s4
	s_mul_i32 s4, s33, s4
	s_mul_i32 s21, s33, s21
	v_sub_co_u32 v2, s4, s56, s4
	s_add_i32 s23, s23, s21
	s_cmp_lg_u32 s4, 0
	s_delay_alu instid0(VALU_DEP_1) | instskip(SKIP_2) | instid1(VALU_DEP_1)
	v_sub_co_u32 v3, s4, v2, s33
	s_subb_u32 s21, s57, s23
	s_cmp_lg_u32 s4, 0
	v_cmp_le_u32_e32 vcc_lo, s33, v3
	v_sub_co_u32 v4, s4, v3, s33
	s_subb_u32 s23, s21, 0
	s_cmp_lg_u32 s4, 0
	v_cndmask_b32_e64 v5, 0, -1, vcc_lo
	s_subb_u32 s4, s23, 0
	s_cmp_eq_u32 s23, 0
	v_mov_b32_e32 v7, s4
	s_cselect_b32 vcc_lo, -1, 0
	s_cmp_eq_u32 s21, 0
	v_cndmask_b32_e32 v5, -1, v5, vcc_lo
	v_cmp_le_u32_e32 vcc_lo, s33, v2
	s_cselect_b32 s4, -1, 0
	v_cndmask_b32_e64 v6, 0, -1, vcc_lo
	s_delay_alu instid0(VALU_DEP_3) | instskip(NEXT) | instid1(VALU_DEP_2)
	v_cmp_ne_u32_e32 vcc_lo, 0, v5
	v_cndmask_b32_e64 v5, -1, v6, s4
	v_cndmask_b32_e32 v3, v3, v4, vcc_lo
	v_cndmask_b32_e32 v6, s23, v7, vcc_lo
	s_delay_alu instid0(VALU_DEP_3) | instskip(NEXT) | instid1(VALU_DEP_3)
	v_cmp_ne_u32_e32 vcc_lo, 0, v5
	v_cndmask_b32_e32 v2, v2, v3, vcc_lo
	s_delay_alu instid0(VALU_DEP_3) | instskip(NEXT) | instid1(VALU_DEP_2)
	v_cndmask_b32_e32 v4, s21, v6, vcc_lo
	v_xor_b32_e32 v2, s20, v2
	s_delay_alu instid0(VALU_DEP_2) | instskip(NEXT) | instid1(VALU_DEP_2)
	v_xor_b32_e32 v3, s20, v4
	v_sub_co_u32 v2, vcc_lo, v2, s20
	s_delay_alu instid0(VALU_DEP_2)
	v_subrev_co_ci_u32_e32 v3, vcc_lo, s20, v3, vcc_lo
	s_cbranch_execnz .LBB68_148
.LBB68_147:                             ;   in Loop: Header=BB68_8 Depth=1
	v_cvt_f32_u32_e32 v2, s33
	s_sub_i32 s4, 0, s33
	s_delay_alu instid0(VALU_DEP_1) | instskip(SKIP_2) | instid1(VALU_DEP_1)
	v_rcp_iflag_f32_e32 v2, v2
	s_waitcnt_depctr 0xfff
	v_mul_f32_e32 v2, 0x4f7ffffe, v2
	v_cvt_u32_f32_e32 v2, v2
	s_delay_alu instid0(VALU_DEP_1) | instskip(NEXT) | instid1(VALU_DEP_1)
	v_mul_lo_u32 v3, s4, v2
	v_mul_hi_u32 v3, v2, v3
	s_delay_alu instid0(VALU_DEP_1) | instskip(NEXT) | instid1(VALU_DEP_1)
	v_add_nc_u32_e32 v2, v2, v3
	v_mul_hi_u32 v2, s19, v2
	s_delay_alu instid0(VALU_DEP_1) | instskip(NEXT) | instid1(VALU_DEP_1)
	v_mul_lo_u32 v2, v2, s33
	v_sub_nc_u32_e32 v2, s19, v2
	s_delay_alu instid0(VALU_DEP_1) | instskip(SKIP_1) | instid1(VALU_DEP_2)
	v_subrev_nc_u32_e32 v3, s33, v2
	v_cmp_le_u32_e32 vcc_lo, s33, v2
	v_cndmask_b32_e32 v2, v2, v3, vcc_lo
	s_delay_alu instid0(VALU_DEP_1) | instskip(SKIP_1) | instid1(VALU_DEP_2)
	v_subrev_nc_u32_e32 v3, s33, v2
	v_cmp_le_u32_e32 vcc_lo, s33, v2
	v_cndmask_b32_e32 v12, v2, v3, vcc_lo
	s_delay_alu instid0(VALU_DEP_1)
	v_dual_mov_b32 v2, v12 :: v_dual_mov_b32 v3, v13
.LBB68_148:                             ;   in Loop: Header=BB68_8 Depth=1
	s_delay_alu instid0(VALU_DEP_1) | instskip(NEXT) | instid1(VALU_DEP_2)
	v_sub_co_u32 v2, vcc_lo, s19, v2
	v_sub_co_ci_u32_e32 v3, vcc_lo, s5, v3, vcc_lo
	s_mov_b32 s4, 0
	s_mov_b32 s5, exec_lo
                                        ; implicit-def: $vgpr41
	s_delay_alu instid0(VALU_DEP_1)
	v_cmpx_gt_i64_e64 v[2:3], v[0:1]
	s_cbranch_execz .LBB68_157
; %bb.149:                              ;   in Loop: Header=BB68_8 Depth=1
	v_dual_mov_b32 v6, v30 :: v_dual_mov_b32 v5, v1
	v_mov_b32_e32 v4, v0
	s_mov_b32 s19, 0
                                        ; implicit-def: $sgpr20
	s_branch .LBB68_151
.LBB68_150:                             ;   in Loop: Header=BB68_151 Depth=2
	s_or_b32 exec_lo, exec_lo, s4
	s_waitcnt lgkmcnt(0)
	s_barrier
	buffer_gl0_inv
	ds_load_b32 v7, v13 offset:3072
	v_add_co_u32 v4, vcc_lo, v4, s33
	v_add_co_ci_u32_e32 v5, vcc_lo, 0, v5, vcc_lo
	v_add_nc_u32_e32 v6, s77, v6
	s_waitcnt lgkmcnt(0)
	s_barrier
	s_delay_alu instid0(VALU_DEP_2) | instskip(SKIP_2) | instid1(VALU_DEP_1)
	v_cmp_ge_i64_e32 vcc_lo, v[4:5], v[2:3]
	buffer_gl0_inv
	v_and_b32_e32 v8, 0x7fff, v7
	v_cmp_ne_u16_e64 s4, 0, v8
	s_delay_alu instid0(VALU_DEP_1) | instskip(NEXT) | instid1(SALU_CYCLE_1)
	s_or_b32 s21, s4, vcc_lo
	s_and_b32 s21, exec_lo, s21
	s_delay_alu instid0(SALU_CYCLE_1) | instskip(SKIP_2) | instid1(SALU_CYCLE_1)
	s_or_b32 s19, s21, s19
	s_and_not1_b32 s20, s20, exec_lo
	s_and_b32 s4, s4, exec_lo
	s_or_b32 s20, s20, s4
	s_and_not1_b32 exec_lo, exec_lo, s19
	s_cbranch_execz .LBB68_156
.LBB68_151:                             ;   Parent Loop BB68_8 Depth=1
                                        ; =>  This Inner Loop Header: Depth=2
	s_delay_alu instid0(VALU_DEP_1)
	v_cmp_gt_i64_e32 vcc_lo, s[12:13], v[4:5]
	v_mov_b32_e32 v7, 0
	s_and_saveexec_b32 s4, vcc_lo
	s_cbranch_execz .LBB68_153
; %bb.152:                              ;   in Loop: Header=BB68_151 Depth=2
	ds_load_u16 v7, v6
.LBB68_153:                             ;   in Loop: Header=BB68_151 Depth=2
	s_or_b32 exec_lo, exec_lo, s4
	s_and_saveexec_b32 s4, vcc_lo
	s_cbranch_execz .LBB68_150
; %bb.154:                              ;   in Loop: Header=BB68_151 Depth=2
	s_waitcnt lgkmcnt(0)
	v_cmp_lt_i16_e32 vcc_lo, -1, v7
	v_and_b32_e32 v8, 0xffff, v7
	v_lshlrev_b32_e32 v12, 16, v7
	v_cndmask_b32_e32 v9, 0xffff, v39, vcc_lo
	s_delay_alu instid0(VALU_DEP_2) | instskip(NEXT) | instid1(VALU_DEP_2)
	v_cmp_o_f32_e32 vcc_lo, v12, v12
	v_xor_b32_e32 v8, v9, v8
	s_delay_alu instid0(VALU_DEP_1) | instskip(NEXT) | instid1(VALU_DEP_1)
	v_cndmask_b32_e32 v8, 0xffff, v8, vcc_lo
	v_and_b32_e32 v8, s88, v8
	s_delay_alu instid0(VALU_DEP_1)
	v_cmp_eq_u32_e32 vcc_lo, s89, v8
	s_and_b32 exec_lo, exec_lo, vcc_lo
	s_cbranch_execz .LBB68_150
; %bb.155:                              ;   in Loop: Header=BB68_151 Depth=2
	v_perm_b32 v7, v7, s78, 0x5040100
	ds_store_b32 v13, v7 offset:3072
	s_branch .LBB68_150
.LBB68_156:                             ;   in Loop: Header=BB68_8 Depth=1
	s_or_b32 exec_lo, exec_lo, s19
	v_lshrrev_b32_e32 v41, 16, v7
	s_and_b32 s4, s20, exec_lo
.LBB68_157:                             ;   in Loop: Header=BB68_8 Depth=1
	s_or_b32 exec_lo, exec_lo, s5
	s_mov_b32 s21, -1
	s_mov_b32 s20, 0
	s_mov_b32 s19, 0
.LBB68_158:                             ;   in Loop: Header=BB68_8 Depth=1
	s_mov_b32 s5, 0
                                        ; implicit-def: $sgpr48
	s_and_saveexec_b32 s12, s4
	s_cbranch_execz .LBB68_269
; %bb.159:                              ;   in Loop: Header=BB68_8 Depth=1
	s_xor_b32 s4, s22, -1
	s_mov_b32 s48, 1
	s_and_not1_b32 vcc_lo, exec_lo, s4
	s_cbranch_vccnz .LBB68_170
; %bb.160:                              ;   in Loop: Header=BB68_8 Depth=1
	v_cmp_gt_i64_e64 s4, s[26:27], s[10:11]
                                        ; implicit-def: $sgpr48
                                        ; implicit-def: $sgpr5
                                        ; implicit-def: $sgpr13
	s_delay_alu instid0(VALU_DEP_1)
	s_and_b32 vcc_lo, exec_lo, s4
	s_mov_b32 s4, -1
	s_cbranch_vccnz .LBB68_166
; %bb.161:                              ;   in Loop: Header=BB68_8 Depth=1
	ds_load_b64 v[2:3], v13 offset:5120
	s_waitcnt lgkmcnt(0)
	v_cmp_ne_u64_e32 vcc_lo, 0, v[2:3]
	s_cbranch_vccnz .LBB68_165
; %bb.162:                              ;   in Loop: Header=BB68_8 Depth=1
	s_and_saveexec_b32 s4, s0
	s_cbranch_execz .LBB68_164
; %bb.163:                              ;   in Loop: Header=BB68_8 Depth=1
	v_dual_mov_b32 v2, s10 :: v_dual_mov_b32 v3, s11
	ds_store_b64 v13, v[2:3] offset:5128
.LBB68_164:                             ;   in Loop: Header=BB68_8 Depth=1
	s_or_b32 exec_lo, exec_lo, s4
	s_waitcnt lgkmcnt(0)
	s_barrier
	buffer_gl0_inv
.LBB68_165:                             ;   in Loop: Header=BB68_8 Depth=1
	s_lshl_b32 s4, 1, s17
	s_and_b32 s5, s89, s18
	s_or_b32 s13, s88, s16
	s_or_b32 s5, s5, s4
	s_mov_b32 s4, 0
	s_mov_b32 s48, 8
.LBB68_166:                             ;   in Loop: Header=BB68_8 Depth=1
	s_and_not1_b32 vcc_lo, exec_lo, s4
	s_cbranch_vccnz .LBB68_168
; %bb.167:                              ;   in Loop: Header=BB68_8 Depth=1
	s_sub_u32 s26, s26, s10
	s_subb_u32 s27, s27, s11
	s_mov_b32 s4, -1
	s_mov_b32 s48, 0
	s_mov_b32 s5, s89
	;; [unrolled: 1-line block ×3, first 2 shown]
.LBB68_168:                             ;   in Loop: Header=BB68_8 Depth=1
	s_delay_alu instid0(SALU_CYCLE_1)
	s_mov_b32 s88, s13
	s_mov_b32 s89, s5
	s_and_not1_b32 vcc_lo, exec_lo, s4
	s_mov_b32 s5, -1
	s_cbranch_vccz .LBB68_171
.LBB68_169:                             ;   in Loop: Header=BB68_8 Depth=1
                                        ; implicit-def: $sgpr22
                                        ; implicit-def: $sgpr23
                                        ; implicit-def: $sgpr13
	s_branch .LBB68_268
.LBB68_170:                             ;   in Loop: Header=BB68_8 Depth=1
	s_mov_b64 s[26:27], 1
	s_mov_b32 s5, -1
	s_cbranch_execnz .LBB68_169
.LBB68_171:                             ;   in Loop: Header=BB68_8 Depth=1
	s_cmp_eq_u64 s[8:9], 1
	s_cselect_b32 s4, -1, 0
	s_cmp_eq_u64 s[26:27], 1
	s_cselect_b32 s5, -1, 0
	s_delay_alu instid0(SALU_CYCLE_1)
	s_and_b32 s44, s4, s5
	s_mov_b32 s4, -1
	s_and_b32 vcc_lo, exec_lo, s44
	s_cbranch_vccz .LBB68_186
; %bb.172:                              ;   in Loop: Header=BB68_8 Depth=1
	ds_load_b64 v[2:3], v13 offset:5120
	s_waitcnt lgkmcnt(0)
	s_barrier
	buffer_gl0_inv
	v_readfirstlane_b32 s10, v2
	v_readfirstlane_b32 s11, v3
	s_and_saveexec_b32 s4, s2
	s_cbranch_execz .LBB68_174
; %bb.173:                              ;   in Loop: Header=BB68_8 Depth=1
	ds_store_b16 v31, v13
.LBB68_174:                             ;   in Loop: Header=BB68_8 Depth=1
	s_or_b32 exec_lo, exec_lo, s4
	s_delay_alu instid0(VALU_DEP_1)
	v_cmp_gt_i64_e64 s13, s[10:11], 0
	s_lshl_b32 s4, 2, s17
	s_and_b32 s5, s89, s18
	s_or_b32 s88, s88, s16
	s_or_b32 s89, s5, s4
	s_waitcnt lgkmcnt(0)
	s_and_b32 vcc_lo, exec_lo, s13
	s_barrier
	buffer_gl0_inv
	s_cbranch_vccnz .LBB68_189
; %bb.175:                              ;   in Loop: Header=BB68_8 Depth=1
	s_mov_b32 s48, s45
	s_delay_alu instid0(SALU_CYCLE_1)
	s_cmp_lg_u64 s[48:49], 0
	s_cbranch_scc0 .LBB68_234
; %bb.176:                              ;   in Loop: Header=BB68_8 Depth=1
	v_cvt_f32_u32_e32 v2, s33
	s_sub_u32 s13, 0, s33
	s_subb_u32 s22, 0, 0
	s_delay_alu instid0(VALU_DEP_1) | instskip(NEXT) | instid1(VALU_DEP_1)
	v_fmac_f32_e32 v2, 0x4f800000, v40
	v_rcp_f32_e32 v2, v2
	s_waitcnt_depctr 0xfff
	v_mul_f32_e32 v2, 0x5f7ffffc, v2
	s_delay_alu instid0(VALU_DEP_1) | instskip(NEXT) | instid1(VALU_DEP_1)
	v_mul_f32_e32 v3, 0x2f800000, v2
	v_trunc_f32_e32 v3, v3
	s_delay_alu instid0(VALU_DEP_1) | instskip(SKIP_1) | instid1(VALU_DEP_2)
	v_fmac_f32_e32 v2, 0xcf800000, v3
	v_cvt_u32_f32_e32 v3, v3
	v_cvt_u32_f32_e32 v2, v2
	s_delay_alu instid0(VALU_DEP_2) | instskip(NEXT) | instid1(VALU_DEP_2)
	v_readfirstlane_b32 s4, v3
	v_readfirstlane_b32 s5, v2
	s_delay_alu instid0(VALU_DEP_2) | instskip(NEXT) | instid1(VALU_DEP_1)
	s_mul_i32 s23, s13, s4
	s_mul_hi_u32 s56, s13, s5
	s_mul_i32 s48, s22, s5
	s_add_i32 s23, s56, s23
	s_mul_i32 s57, s13, s5
	s_add_i32 s23, s23, s48
	s_mul_hi_u32 s56, s5, s57
	s_mul_hi_u32 s58, s4, s57
	s_mul_i32 s48, s4, s57
	s_mul_hi_u32 s57, s5, s23
	s_mul_i32 s5, s5, s23
	s_mul_hi_u32 s59, s4, s23
	s_add_u32 s5, s56, s5
	s_addc_u32 s56, 0, s57
	s_add_u32 s5, s5, s48
	s_mul_i32 s23, s4, s23
	s_addc_u32 s5, s56, s58
	s_addc_u32 s48, s59, 0
	s_add_u32 s5, s5, s23
	s_addc_u32 s23, 0, s48
	v_add_co_u32 v2, s5, v2, s5
	s_delay_alu instid0(VALU_DEP_1) | instskip(SKIP_1) | instid1(VALU_DEP_1)
	s_cmp_lg_u32 s5, 0
	s_addc_u32 s4, s4, s23
	v_readfirstlane_b32 s5, v2
	s_mul_i32 s23, s13, s4
	s_delay_alu instid0(VALU_DEP_1)
	s_mul_hi_u32 s48, s13, s5
	s_mul_i32 s22, s22, s5
	s_add_i32 s23, s48, s23
	s_mul_i32 s13, s13, s5
	s_add_i32 s23, s23, s22
	s_mul_hi_u32 s48, s4, s13
	s_mul_i32 s56, s4, s13
	s_mul_hi_u32 s13, s5, s13
	s_mul_hi_u32 s57, s5, s23
	s_mul_i32 s5, s5, s23
	s_mul_hi_u32 s22, s4, s23
	s_add_u32 s5, s13, s5
	s_addc_u32 s13, 0, s57
	s_add_u32 s5, s5, s56
	s_mul_i32 s23, s4, s23
	s_addc_u32 s5, s13, s48
	s_addc_u32 s13, s22, 0
	s_add_u32 s5, s5, s23
	s_addc_u32 s13, 0, s13
	v_add_co_u32 v2, s5, v2, s5
	s_delay_alu instid0(VALU_DEP_1) | instskip(SKIP_2) | instid1(VALU_DEP_1)
	s_cmp_lg_u32 s5, 0
	s_addc_u32 s13, s4, s13
	s_ashr_i32 s22, s49, 31
	v_readfirstlane_b32 s48, v2
	s_add_u32 s4, s71, s22
	s_mov_b32 s23, s22
	s_addc_u32 s5, s49, s22
	s_delay_alu instid0(SALU_CYCLE_1) | instskip(NEXT) | instid1(SALU_CYCLE_1)
	s_xor_b64 s[4:5], s[4:5], s[22:23]
	s_mul_i32 s56, s4, s13
	s_mul_hi_u32 s57, s4, s48
	s_mul_hi_u32 s23, s4, s13
	s_mul_hi_u32 s59, s5, s48
	s_mul_i32 s48, s5, s48
	s_add_u32 s56, s57, s56
	s_addc_u32 s23, 0, s23
	s_mul_hi_u32 s58, s5, s13
	s_add_u32 s48, s56, s48
	s_mul_i32 s13, s5, s13
	s_addc_u32 s23, s23, s59
	s_addc_u32 s48, s58, 0
	s_add_u32 s13, s23, s13
	s_addc_u32 s23, 0, s48
	s_mul_hi_u32 s48, s33, s13
	s_mul_i32 s13, s33, s13
	s_mul_i32 s23, s33, s23
	v_sub_co_u32 v2, s4, s4, s13
	s_add_i32 s48, s48, s23
	s_cmp_lg_u32 s4, 0
	s_delay_alu instid0(VALU_DEP_1) | instskip(SKIP_2) | instid1(VALU_DEP_1)
	v_sub_co_u32 v3, s4, v2, s33
	s_subb_u32 s5, s5, s48
	s_cmp_lg_u32 s4, 0
	v_cmp_le_u32_e32 vcc_lo, s33, v3
	v_sub_co_u32 v4, s4, v3, s33
	s_subb_u32 s13, s5, 0
	s_cmp_lg_u32 s4, 0
	v_cndmask_b32_e64 v5, 0, -1, vcc_lo
	s_subb_u32 s4, s13, 0
	s_cmp_eq_u32 s13, 0
	v_mov_b32_e32 v7, s4
	s_cselect_b32 vcc_lo, -1, 0
	s_cmp_eq_u32 s5, 0
	v_cndmask_b32_e32 v5, -1, v5, vcc_lo
	v_cmp_le_u32_e32 vcc_lo, s33, v2
	s_cselect_b32 s4, -1, 0
	v_cndmask_b32_e64 v6, 0, -1, vcc_lo
	s_delay_alu instid0(VALU_DEP_3) | instskip(NEXT) | instid1(VALU_DEP_2)
	v_cmp_ne_u32_e32 vcc_lo, 0, v5
	v_cndmask_b32_e64 v5, -1, v6, s4
	v_cndmask_b32_e32 v3, v3, v4, vcc_lo
	v_cndmask_b32_e32 v6, s13, v7, vcc_lo
	s_delay_alu instid0(VALU_DEP_3) | instskip(NEXT) | instid1(VALU_DEP_3)
	v_cmp_ne_u32_e32 vcc_lo, 0, v5
	v_cndmask_b32_e32 v2, v2, v3, vcc_lo
	s_delay_alu instid0(VALU_DEP_3) | instskip(NEXT) | instid1(VALU_DEP_2)
	v_cndmask_b32_e32 v4, s5, v6, vcc_lo
	v_xor_b32_e32 v2, s22, v2
	s_delay_alu instid0(VALU_DEP_2) | instskip(NEXT) | instid1(VALU_DEP_2)
	v_xor_b32_e32 v3, s22, v4
	v_sub_co_u32 v2, vcc_lo, v2, s22
	s_delay_alu instid0(VALU_DEP_2)
	v_subrev_co_ci_u32_e32 v3, vcc_lo, s22, v3, vcc_lo
	s_cbranch_execnz .LBB68_178
.LBB68_177:                             ;   in Loop: Header=BB68_8 Depth=1
	v_cvt_f32_u32_e32 v2, s33
	s_sub_i32 s4, 0, s33
	s_delay_alu instid0(VALU_DEP_1) | instskip(SKIP_2) | instid1(VALU_DEP_1)
	v_rcp_iflag_f32_e32 v2, v2
	s_waitcnt_depctr 0xfff
	v_mul_f32_e32 v2, 0x4f7ffffe, v2
	v_cvt_u32_f32_e32 v2, v2
	s_delay_alu instid0(VALU_DEP_1) | instskip(NEXT) | instid1(VALU_DEP_1)
	v_mul_lo_u32 v3, s4, v2
	v_mul_hi_u32 v3, v2, v3
	s_delay_alu instid0(VALU_DEP_1) | instskip(NEXT) | instid1(VALU_DEP_1)
	v_add_nc_u32_e32 v2, v2, v3
	v_mul_hi_u32 v2, s71, v2
	s_delay_alu instid0(VALU_DEP_1) | instskip(NEXT) | instid1(VALU_DEP_1)
	v_mul_lo_u32 v2, v2, s33
	v_sub_nc_u32_e32 v2, s71, v2
	s_delay_alu instid0(VALU_DEP_1) | instskip(SKIP_1) | instid1(VALU_DEP_2)
	v_subrev_nc_u32_e32 v3, s33, v2
	v_cmp_le_u32_e32 vcc_lo, s33, v2
	v_cndmask_b32_e32 v2, v2, v3, vcc_lo
	s_delay_alu instid0(VALU_DEP_1) | instskip(SKIP_1) | instid1(VALU_DEP_2)
	v_subrev_nc_u32_e32 v3, s33, v2
	v_cmp_le_u32_e32 vcc_lo, s33, v2
	v_cndmask_b32_e32 v12, v2, v3, vcc_lo
	s_delay_alu instid0(VALU_DEP_1)
	v_dual_mov_b32 v2, v12 :: v_dual_mov_b32 v3, v13
.LBB68_178:                             ;   in Loop: Header=BB68_8 Depth=1
	s_delay_alu instid0(VALU_DEP_1) | instskip(NEXT) | instid1(VALU_DEP_2)
	v_sub_co_u32 v2, vcc_lo, s71, v2
	v_sub_co_ci_u32_e32 v3, vcc_lo, s49, v3, vcc_lo
	s_mov_b32 s4, 0
	s_mov_b32 s5, exec_lo
                                        ; implicit-def: $vgpr41
	s_delay_alu instid0(VALU_DEP_1)
	v_cmpx_gt_i64_e64 v[2:3], v[0:1]
	s_cbranch_execz .LBB68_191
; %bb.179:                              ;   in Loop: Header=BB68_8 Depth=1
	v_dual_mov_b32 v4, v10 :: v_dual_mov_b32 v5, v11
	v_dual_mov_b32 v7, v1 :: v_dual_mov_b32 v6, v0
	s_mov_b32 s13, 0
                                        ; implicit-def: $sgpr22
	s_branch .LBB68_181
.LBB68_180:                             ;   in Loop: Header=BB68_181 Depth=2
	s_or_b32 exec_lo, exec_lo, s4
	s_waitcnt vmcnt(0) lgkmcnt(0)
	s_barrier
	buffer_gl0_inv
	ds_load_b32 v8, v13 offset:3072
	v_add_co_u32 v6, vcc_lo, v6, s33
	v_add_co_ci_u32_e32 v7, vcc_lo, 0, v7, vcc_lo
	s_waitcnt lgkmcnt(0)
	s_barrier
	buffer_gl0_inv
	v_cmp_ge_i64_e32 vcc_lo, v[6:7], v[2:3]
	v_and_b32_e32 v9, 0x7fff, v8
	s_delay_alu instid0(VALU_DEP_1) | instskip(NEXT) | instid1(VALU_DEP_1)
	v_cmp_ne_u16_e64 s4, 0, v9
	s_or_b32 s23, s4, vcc_lo
	v_add_co_u32 v4, vcc_lo, v4, s42
	s_and_b32 s23, exec_lo, s23
	v_add_co_ci_u32_e32 v5, vcc_lo, s43, v5, vcc_lo
	s_or_b32 s13, s23, s13
	s_and_not1_b32 s22, s22, exec_lo
	s_and_b32 s4, s4, exec_lo
	s_delay_alu instid0(SALU_CYCLE_1)
	s_or_b32 s22, s22, s4
	s_and_not1_b32 exec_lo, exec_lo, s13
	s_cbranch_execz .LBB68_190
.LBB68_181:                             ;   Parent Loop BB68_8 Depth=1
                                        ; =>  This Inner Loop Header: Depth=2
	s_delay_alu instid0(VALU_DEP_1)
	v_cmp_gt_i64_e32 vcc_lo, s[24:25], v[6:7]
	v_mov_b32_e32 v8, 0
	s_and_saveexec_b32 s4, vcc_lo
	s_cbranch_execz .LBB68_183
; %bb.182:                              ;   in Loop: Header=BB68_181 Depth=2
	global_load_u16 v8, v[4:5], off
.LBB68_183:                             ;   in Loop: Header=BB68_181 Depth=2
	s_or_b32 exec_lo, exec_lo, s4
	s_and_saveexec_b32 s4, vcc_lo
	s_cbranch_execz .LBB68_180
; %bb.184:                              ;   in Loop: Header=BB68_181 Depth=2
	s_waitcnt vmcnt(0)
	v_cmp_lt_i16_e32 vcc_lo, -1, v8
	v_and_b32_e32 v9, 0xffff, v8
	v_dual_cndmask_b32 v12, 0xffff, v39 :: v_dual_lshlrev_b32 v23, 16, v8
	s_delay_alu instid0(VALU_DEP_1) | instskip(NEXT) | instid1(VALU_DEP_2)
	v_cmp_o_f32_e32 vcc_lo, v23, v23
	v_xor_b32_e32 v9, v12, v9
	s_delay_alu instid0(VALU_DEP_1) | instskip(NEXT) | instid1(VALU_DEP_1)
	v_cndmask_b32_e32 v9, 0xffff, v9, vcc_lo
	v_and_b32_e32 v9, s88, v9
	s_delay_alu instid0(VALU_DEP_1)
	v_cmp_eq_u32_e32 vcc_lo, s89, v9
	s_and_b32 exec_lo, exec_lo, vcc_lo
	s_cbranch_execz .LBB68_180
; %bb.185:                              ;   in Loop: Header=BB68_181 Depth=2
	v_perm_b32 v8, v8, s78, 0x5040100
	ds_store_b32 v13, v8 offset:3072
	s_branch .LBB68_180
.LBB68_186:                             ;   in Loop: Header=BB68_8 Depth=1
                                        ; implicit-def: $sgpr13
                                        ; implicit-def: $sgpr23
                                        ; implicit-def: $sgpr22
	s_branch .LBB68_205
.LBB68_187:                             ;   in Loop: Header=BB68_8 Depth=1
                                        ; implicit-def: $vgpr2_vgpr3
	s_branch .LBB68_130
.LBB68_188:                             ;   in Loop: Header=BB68_8 Depth=1
                                        ; implicit-def: $vgpr2_vgpr3
	s_branch .LBB68_147
.LBB68_189:                             ;   in Loop: Header=BB68_8 Depth=1
	s_mov_b32 s13, -1
	s_mov_b32 s4, 0
                                        ; implicit-def: $sgpr22
                                        ; implicit-def: $vgpr41
	s_mov_b32 s23, s13
	s_cbranch_execnz .LBB68_192
	s_branch .LBB68_205
.LBB68_190:                             ;   in Loop: Header=BB68_8 Depth=1
	s_or_b32 exec_lo, exec_lo, s13
	v_lshrrev_b32_e32 v41, 16, v8
	s_and_b32 s4, s22, exec_lo
.LBB68_191:                             ;   in Loop: Header=BB68_8 Depth=1
	s_or_b32 exec_lo, exec_lo, s5
	s_mov_b32 s22, -1
	s_mov_b32 s13, 0
	s_delay_alu instid0(SALU_CYCLE_1)
	s_mov_b32 s23, s13
	s_branch .LBB68_205
.LBB68_192:                             ;   in Loop: Header=BB68_8 Depth=1
	s_add_u32 s13, s69, s10
	s_addc_u32 s5, s70, s11
	s_mov_b32 s4, s45
	s_delay_alu instid0(SALU_CYCLE_1)
	s_cmp_lg_u64 s[4:5], 0
	s_cbranch_scc0 .LBB68_235
; %bb.193:                              ;   in Loop: Header=BB68_8 Depth=1
	v_cvt_f32_u32_e32 v2, s33
	s_sub_u32 s23, 0, s33
	s_subb_u32 s48, 0, 0
	s_delay_alu instid0(VALU_DEP_1) | instskip(NEXT) | instid1(VALU_DEP_1)
	v_fmac_f32_e32 v2, 0x4f800000, v40
	v_rcp_f32_e32 v2, v2
	s_waitcnt_depctr 0xfff
	v_mul_f32_e32 v2, 0x5f7ffffc, v2
	s_delay_alu instid0(VALU_DEP_1) | instskip(NEXT) | instid1(VALU_DEP_1)
	v_mul_f32_e32 v3, 0x2f800000, v2
	v_trunc_f32_e32 v3, v3
	s_delay_alu instid0(VALU_DEP_1) | instskip(SKIP_1) | instid1(VALU_DEP_2)
	v_fmac_f32_e32 v2, 0xcf800000, v3
	v_cvt_u32_f32_e32 v3, v3
	v_cvt_u32_f32_e32 v2, v2
	s_delay_alu instid0(VALU_DEP_2) | instskip(NEXT) | instid1(VALU_DEP_2)
	v_readfirstlane_b32 s4, v3
	v_readfirstlane_b32 s22, v2
	s_delay_alu instid0(VALU_DEP_2) | instskip(NEXT) | instid1(VALU_DEP_1)
	s_mul_i32 s56, s23, s4
	s_mul_hi_u32 s58, s23, s22
	s_mul_i32 s57, s48, s22
	s_add_i32 s56, s58, s56
	s_mul_i32 s59, s23, s22
	s_add_i32 s56, s56, s57
	s_mul_hi_u32 s58, s22, s59
	s_mul_hi_u32 s60, s4, s59
	s_mul_i32 s57, s4, s59
	s_mul_hi_u32 s59, s22, s56
	s_mul_i32 s22, s22, s56
	s_mul_hi_u32 s61, s4, s56
	s_add_u32 s22, s58, s22
	s_addc_u32 s58, 0, s59
	s_add_u32 s22, s22, s57
	s_mul_i32 s56, s4, s56
	s_addc_u32 s22, s58, s60
	s_addc_u32 s57, s61, 0
	s_add_u32 s22, s22, s56
	s_addc_u32 s56, 0, s57
	v_add_co_u32 v2, s22, v2, s22
	s_delay_alu instid0(VALU_DEP_1) | instskip(SKIP_1) | instid1(VALU_DEP_1)
	s_cmp_lg_u32 s22, 0
	s_addc_u32 s4, s4, s56
	v_readfirstlane_b32 s22, v2
	s_mul_i32 s56, s23, s4
	s_delay_alu instid0(VALU_DEP_1)
	s_mul_hi_u32 s57, s23, s22
	s_mul_i32 s48, s48, s22
	s_add_i32 s56, s57, s56
	s_mul_i32 s23, s23, s22
	s_add_i32 s56, s56, s48
	s_mul_hi_u32 s57, s4, s23
	s_mul_i32 s58, s4, s23
	s_mul_hi_u32 s23, s22, s23
	s_mul_hi_u32 s59, s22, s56
	s_mul_i32 s22, s22, s56
	s_mul_hi_u32 s48, s4, s56
	s_add_u32 s22, s23, s22
	s_addc_u32 s23, 0, s59
	s_add_u32 s22, s22, s58
	s_mul_i32 s56, s4, s56
	s_addc_u32 s22, s23, s57
	s_addc_u32 s23, s48, 0
	s_add_u32 s22, s22, s56
	s_addc_u32 s23, 0, s23
	v_add_co_u32 v2, s22, v2, s22
	s_delay_alu instid0(VALU_DEP_1) | instskip(SKIP_2) | instid1(VALU_DEP_1)
	s_cmp_lg_u32 s22, 0
	s_addc_u32 s4, s4, s23
	s_ashr_i32 s22, s5, 31
	v_readfirstlane_b32 s48, v2
	s_add_u32 s56, s13, s22
	s_mov_b32 s23, s22
	s_addc_u32 s57, s5, s22
	s_delay_alu instid0(SALU_CYCLE_1) | instskip(NEXT) | instid1(SALU_CYCLE_1)
	s_xor_b64 s[56:57], s[56:57], s[22:23]
	s_mul_i32 s58, s56, s4
	s_mul_hi_u32 s59, s56, s48
	s_mul_hi_u32 s23, s56, s4
	s_mul_hi_u32 s61, s57, s48
	s_mul_i32 s48, s57, s48
	s_add_u32 s58, s59, s58
	s_addc_u32 s23, 0, s23
	s_mul_hi_u32 s60, s57, s4
	s_add_u32 s48, s58, s48
	s_mul_i32 s4, s57, s4
	s_addc_u32 s23, s23, s61
	s_addc_u32 s48, s60, 0
	s_add_u32 s4, s23, s4
	s_addc_u32 s23, 0, s48
	s_mul_hi_u32 s48, s33, s4
	s_mul_i32 s4, s33, s4
	s_mul_i32 s23, s33, s23
	v_sub_co_u32 v2, s4, s56, s4
	s_add_i32 s48, s48, s23
	s_cmp_lg_u32 s4, 0
	s_delay_alu instid0(VALU_DEP_1) | instskip(SKIP_2) | instid1(VALU_DEP_1)
	v_sub_co_u32 v3, s4, v2, s33
	s_subb_u32 s23, s57, s48
	s_cmp_lg_u32 s4, 0
	v_cmp_le_u32_e32 vcc_lo, s33, v3
	v_sub_co_u32 v4, s4, v3, s33
	s_subb_u32 s48, s23, 0
	s_cmp_lg_u32 s4, 0
	v_cndmask_b32_e64 v5, 0, -1, vcc_lo
	s_subb_u32 s4, s48, 0
	s_cmp_eq_u32 s48, 0
	v_mov_b32_e32 v7, s4
	s_cselect_b32 vcc_lo, -1, 0
	s_cmp_eq_u32 s23, 0
	v_cndmask_b32_e32 v5, -1, v5, vcc_lo
	v_cmp_le_u32_e32 vcc_lo, s33, v2
	s_cselect_b32 s4, -1, 0
	v_cndmask_b32_e64 v6, 0, -1, vcc_lo
	s_delay_alu instid0(VALU_DEP_3) | instskip(NEXT) | instid1(VALU_DEP_2)
	v_cmp_ne_u32_e32 vcc_lo, 0, v5
	v_cndmask_b32_e64 v5, -1, v6, s4
	v_cndmask_b32_e32 v3, v3, v4, vcc_lo
	v_cndmask_b32_e32 v6, s48, v7, vcc_lo
	s_delay_alu instid0(VALU_DEP_3) | instskip(NEXT) | instid1(VALU_DEP_3)
	v_cmp_ne_u32_e32 vcc_lo, 0, v5
	v_cndmask_b32_e32 v2, v2, v3, vcc_lo
	s_delay_alu instid0(VALU_DEP_3) | instskip(NEXT) | instid1(VALU_DEP_2)
	v_cndmask_b32_e32 v4, s23, v6, vcc_lo
	v_xor_b32_e32 v2, s22, v2
	s_delay_alu instid0(VALU_DEP_2) | instskip(NEXT) | instid1(VALU_DEP_2)
	v_xor_b32_e32 v3, s22, v4
	v_sub_co_u32 v2, vcc_lo, v2, s22
	s_delay_alu instid0(VALU_DEP_2)
	v_subrev_co_ci_u32_e32 v3, vcc_lo, s22, v3, vcc_lo
	s_cbranch_execnz .LBB68_195
.LBB68_194:                             ;   in Loop: Header=BB68_8 Depth=1
	v_cvt_f32_u32_e32 v2, s33
	s_sub_i32 s4, 0, s33
	s_delay_alu instid0(VALU_DEP_1) | instskip(SKIP_2) | instid1(VALU_DEP_1)
	v_rcp_iflag_f32_e32 v2, v2
	s_waitcnt_depctr 0xfff
	v_mul_f32_e32 v2, 0x4f7ffffe, v2
	v_cvt_u32_f32_e32 v2, v2
	s_delay_alu instid0(VALU_DEP_1) | instskip(NEXT) | instid1(VALU_DEP_1)
	v_mul_lo_u32 v3, s4, v2
	v_mul_hi_u32 v3, v2, v3
	s_delay_alu instid0(VALU_DEP_1) | instskip(NEXT) | instid1(VALU_DEP_1)
	v_add_nc_u32_e32 v2, v2, v3
	v_mul_hi_u32 v2, s13, v2
	s_delay_alu instid0(VALU_DEP_1) | instskip(NEXT) | instid1(VALU_DEP_1)
	v_mul_lo_u32 v2, v2, s33
	v_sub_nc_u32_e32 v2, s13, v2
	s_delay_alu instid0(VALU_DEP_1) | instskip(SKIP_1) | instid1(VALU_DEP_2)
	v_subrev_nc_u32_e32 v3, s33, v2
	v_cmp_le_u32_e32 vcc_lo, s33, v2
	v_cndmask_b32_e32 v2, v2, v3, vcc_lo
	s_delay_alu instid0(VALU_DEP_1) | instskip(SKIP_1) | instid1(VALU_DEP_2)
	v_subrev_nc_u32_e32 v3, s33, v2
	v_cmp_le_u32_e32 vcc_lo, s33, v2
	v_cndmask_b32_e32 v12, v2, v3, vcc_lo
	s_delay_alu instid0(VALU_DEP_1)
	v_dual_mov_b32 v2, v12 :: v_dual_mov_b32 v3, v13
.LBB68_195:                             ;   in Loop: Header=BB68_8 Depth=1
	s_delay_alu instid0(VALU_DEP_1) | instskip(NEXT) | instid1(VALU_DEP_2)
	v_sub_co_u32 v2, vcc_lo, s13, v2
	v_sub_co_ci_u32_e32 v3, vcc_lo, s5, v3, vcc_lo
	s_mov_b32 s4, 0
	s_mov_b32 s5, exec_lo
                                        ; implicit-def: $vgpr41
	s_delay_alu instid0(VALU_DEP_1)
	v_cmpx_gt_i64_e64 v[2:3], v[0:1]
	s_cbranch_execz .LBB68_204
; %bb.196:                              ;   in Loop: Header=BB68_8 Depth=1
	v_dual_mov_b32 v6, v30 :: v_dual_mov_b32 v5, v1
	v_mov_b32_e32 v4, v0
	s_mov_b32 s13, 0
                                        ; implicit-def: $sgpr22
	s_branch .LBB68_198
.LBB68_197:                             ;   in Loop: Header=BB68_198 Depth=2
	s_or_b32 exec_lo, exec_lo, s4
	s_waitcnt lgkmcnt(0)
	s_barrier
	buffer_gl0_inv
	ds_load_b32 v7, v13 offset:3072
	v_add_co_u32 v4, vcc_lo, v4, s33
	v_add_co_ci_u32_e32 v5, vcc_lo, 0, v5, vcc_lo
	v_add_nc_u32_e32 v6, s77, v6
	s_waitcnt lgkmcnt(0)
	s_barrier
	s_delay_alu instid0(VALU_DEP_2) | instskip(SKIP_2) | instid1(VALU_DEP_1)
	v_cmp_ge_i64_e32 vcc_lo, v[4:5], v[2:3]
	buffer_gl0_inv
	v_and_b32_e32 v8, 0x7fff, v7
	v_cmp_ne_u16_e64 s4, 0, v8
	s_delay_alu instid0(VALU_DEP_1) | instskip(NEXT) | instid1(SALU_CYCLE_1)
	s_or_b32 s23, s4, vcc_lo
	s_and_b32 s23, exec_lo, s23
	s_delay_alu instid0(SALU_CYCLE_1) | instskip(SKIP_2) | instid1(SALU_CYCLE_1)
	s_or_b32 s13, s23, s13
	s_and_not1_b32 s22, s22, exec_lo
	s_and_b32 s4, s4, exec_lo
	s_or_b32 s22, s22, s4
	s_and_not1_b32 exec_lo, exec_lo, s13
	s_cbranch_execz .LBB68_203
.LBB68_198:                             ;   Parent Loop BB68_8 Depth=1
                                        ; =>  This Inner Loop Header: Depth=2
	s_delay_alu instid0(VALU_DEP_1)
	v_cmp_gt_i64_e32 vcc_lo, s[10:11], v[4:5]
	v_mov_b32_e32 v7, 0
	s_and_saveexec_b32 s4, vcc_lo
	s_cbranch_execz .LBB68_200
; %bb.199:                              ;   in Loop: Header=BB68_198 Depth=2
	ds_load_u16 v7, v6
.LBB68_200:                             ;   in Loop: Header=BB68_198 Depth=2
	s_or_b32 exec_lo, exec_lo, s4
	s_and_saveexec_b32 s4, vcc_lo
	s_cbranch_execz .LBB68_197
; %bb.201:                              ;   in Loop: Header=BB68_198 Depth=2
	s_waitcnt lgkmcnt(0)
	v_cmp_lt_i16_e32 vcc_lo, -1, v7
	v_and_b32_e32 v8, 0xffff, v7
	v_lshlrev_b32_e32 v12, 16, v7
	v_cndmask_b32_e32 v9, 0xffff, v39, vcc_lo
	s_delay_alu instid0(VALU_DEP_2) | instskip(NEXT) | instid1(VALU_DEP_2)
	v_cmp_o_f32_e32 vcc_lo, v12, v12
	v_xor_b32_e32 v8, v9, v8
	s_delay_alu instid0(VALU_DEP_1) | instskip(NEXT) | instid1(VALU_DEP_1)
	v_cndmask_b32_e32 v8, 0xffff, v8, vcc_lo
	v_and_b32_e32 v8, s88, v8
	s_delay_alu instid0(VALU_DEP_1)
	v_cmp_eq_u32_e32 vcc_lo, s89, v8
	s_and_b32 exec_lo, exec_lo, vcc_lo
	s_cbranch_execz .LBB68_197
; %bb.202:                              ;   in Loop: Header=BB68_198 Depth=2
	v_perm_b32 v7, v7, s78, 0x5040100
	ds_store_b32 v13, v7 offset:3072
	s_branch .LBB68_197
.LBB68_203:                             ;   in Loop: Header=BB68_8 Depth=1
	s_or_b32 exec_lo, exec_lo, s13
	v_lshrrev_b32_e32 v41, 16, v7
	s_and_b32 s4, s22, exec_lo
.LBB68_204:                             ;   in Loop: Header=BB68_8 Depth=1
	s_or_b32 exec_lo, exec_lo, s5
	s_mov_b32 s23, -1
	s_mov_b32 s13, 0
	s_mov_b32 s22, 0
.LBB68_205:                             ;   in Loop: Header=BB68_8 Depth=1
	s_mov_b32 s5, 0
                                        ; implicit-def: $sgpr48
	s_and_saveexec_b32 s10, s4
	s_cbranch_execz .LBB68_267
; %bb.206:                              ;   in Loop: Header=BB68_8 Depth=1
	s_xor_b32 s4, s44, -1
	s_mov_b32 s48, 1
	s_and_not1_b32 vcc_lo, exec_lo, s4
	s_cbranch_vccnz .LBB68_217
; %bb.207:                              ;   in Loop: Header=BB68_8 Depth=1
	v_cmp_gt_i64_e64 s4, s[26:27], s[8:9]
                                        ; implicit-def: $sgpr48
                                        ; implicit-def: $sgpr5
                                        ; implicit-def: $sgpr11
	s_delay_alu instid0(VALU_DEP_1)
	s_and_b32 vcc_lo, exec_lo, s4
	s_mov_b32 s4, -1
	s_cbranch_vccnz .LBB68_213
; %bb.208:                              ;   in Loop: Header=BB68_8 Depth=1
	ds_load_b64 v[2:3], v13 offset:5120
	s_waitcnt lgkmcnt(0)
	v_cmp_ne_u64_e32 vcc_lo, 0, v[2:3]
	s_cbranch_vccnz .LBB68_212
; %bb.209:                              ;   in Loop: Header=BB68_8 Depth=1
	s_and_saveexec_b32 s4, s0
	s_cbranch_execz .LBB68_211
; %bb.210:                              ;   in Loop: Header=BB68_8 Depth=1
	v_dual_mov_b32 v2, s8 :: v_dual_mov_b32 v3, s9
	ds_store_b64 v13, v[2:3] offset:5128
.LBB68_211:                             ;   in Loop: Header=BB68_8 Depth=1
	s_or_b32 exec_lo, exec_lo, s4
	s_waitcnt lgkmcnt(0)
	s_barrier
	buffer_gl0_inv
.LBB68_212:                             ;   in Loop: Header=BB68_8 Depth=1
	s_lshl_b32 s4, 2, s17
	s_and_b32 s5, s89, s18
	s_or_b32 s11, s88, s16
	s_or_b32 s5, s5, s4
	s_mov_b32 s4, 0
	s_mov_b32 s48, 8
.LBB68_213:                             ;   in Loop: Header=BB68_8 Depth=1
	s_and_not1_b32 vcc_lo, exec_lo, s4
	s_cbranch_vccnz .LBB68_215
; %bb.214:                              ;   in Loop: Header=BB68_8 Depth=1
	s_sub_u32 s26, s26, s8
	s_subb_u32 s27, s27, s9
	s_mov_b32 s4, -1
	s_mov_b32 s48, 0
	s_mov_b32 s5, s89
	s_mov_b32 s11, s88
.LBB68_215:                             ;   in Loop: Header=BB68_8 Depth=1
	s_delay_alu instid0(SALU_CYCLE_1)
	s_mov_b32 s88, s11
	s_mov_b32 s89, s5
	s_and_not1_b32 vcc_lo, exec_lo, s4
	s_mov_b32 s9, -1
	s_cbranch_vccz .LBB68_218
.LBB68_216:                             ;   in Loop: Header=BB68_8 Depth=1
                                        ; implicit-def: $sgpr17
                                        ; implicit-def: $sgpr44
                                        ; implicit-def: $sgpr18
	s_branch .LBB68_266
.LBB68_217:                             ;   in Loop: Header=BB68_8 Depth=1
	s_mov_b64 s[26:27], 1
	s_mov_b32 s9, -1
	s_cbranch_execnz .LBB68_216
.LBB68_218:                             ;   in Loop: Header=BB68_8 Depth=1
	s_cmp_eq_u64 s[6:7], 1
	s_mov_b32 s56, -1
	s_cselect_b32 s4, -1, 0
	s_cmp_eq_u64 s[26:27], 1
	s_cselect_b32 s5, -1, 0
	s_delay_alu instid0(SALU_CYCLE_1) | instskip(NEXT) | instid1(SALU_CYCLE_1)
	s_and_b32 s11, s4, s5
	s_and_b32 vcc_lo, exec_lo, s11
	s_cbranch_vccz .LBB68_233
; %bb.219:                              ;   in Loop: Header=BB68_8 Depth=1
	ds_load_b64 v[2:3], v13 offset:5120
	s_waitcnt lgkmcnt(0)
	s_barrier
	buffer_gl0_inv
	v_readfirstlane_b32 s8, v2
	v_readfirstlane_b32 s9, v3
	s_and_saveexec_b32 s4, s2
	s_cbranch_execz .LBB68_221
; %bb.220:                              ;   in Loop: Header=BB68_8 Depth=1
	ds_store_b16 v31, v13
.LBB68_221:                             ;   in Loop: Header=BB68_8 Depth=1
	s_or_b32 exec_lo, exec_lo, s4
	s_delay_alu instid0(VALU_DEP_1)
	v_cmp_gt_i64_e64 s4, s[8:9], 0
	s_or_b32 s89, s89, s16
	s_or_b32 s88, s88, s16
	s_waitcnt lgkmcnt(0)
	s_barrier
	buffer_gl0_inv
	s_and_b32 vcc_lo, exec_lo, s4
	s_cbranch_vccnz .LBB68_236
; %bb.222:                              ;   in Loop: Header=BB68_8 Depth=1
	s_mov_b32 s48, s45
	s_delay_alu instid0(SALU_CYCLE_1)
	s_cmp_lg_u64 s[48:49], 0
	s_cbranch_scc0 .LBB68_272
; %bb.223:                              ;   in Loop: Header=BB68_8 Depth=1
	v_cvt_f32_u32_e32 v2, s33
	s_sub_u32 s17, 0, s33
	s_subb_u32 s18, 0, 0
	s_delay_alu instid0(VALU_DEP_1) | instskip(NEXT) | instid1(VALU_DEP_1)
	v_fmac_f32_e32 v2, 0x4f800000, v40
	v_rcp_f32_e32 v2, v2
	s_waitcnt_depctr 0xfff
	v_mul_f32_e32 v2, 0x5f7ffffc, v2
	s_delay_alu instid0(VALU_DEP_1) | instskip(NEXT) | instid1(VALU_DEP_1)
	v_mul_f32_e32 v3, 0x2f800000, v2
	v_trunc_f32_e32 v3, v3
	s_delay_alu instid0(VALU_DEP_1) | instskip(SKIP_1) | instid1(VALU_DEP_2)
	v_fmac_f32_e32 v2, 0xcf800000, v3
	v_cvt_u32_f32_e32 v3, v3
	v_cvt_u32_f32_e32 v2, v2
	s_delay_alu instid0(VALU_DEP_2) | instskip(NEXT) | instid1(VALU_DEP_2)
	v_readfirstlane_b32 s4, v3
	v_readfirstlane_b32 s5, v2
	s_delay_alu instid0(VALU_DEP_2) | instskip(NEXT) | instid1(VALU_DEP_1)
	s_mul_i32 s44, s17, s4
	s_mul_hi_u32 s56, s17, s5
	s_mul_i32 s48, s18, s5
	s_add_i32 s44, s56, s44
	s_mul_i32 s57, s17, s5
	s_add_i32 s44, s44, s48
	s_mul_hi_u32 s56, s5, s57
	s_mul_hi_u32 s58, s4, s57
	s_mul_i32 s48, s4, s57
	s_mul_hi_u32 s57, s5, s44
	s_mul_i32 s5, s5, s44
	s_mul_hi_u32 s59, s4, s44
	s_add_u32 s5, s56, s5
	s_addc_u32 s56, 0, s57
	s_add_u32 s5, s5, s48
	s_mul_i32 s44, s4, s44
	s_addc_u32 s5, s56, s58
	s_addc_u32 s48, s59, 0
	s_add_u32 s5, s5, s44
	s_addc_u32 s44, 0, s48
	v_add_co_u32 v2, s5, v2, s5
	s_delay_alu instid0(VALU_DEP_1) | instskip(SKIP_1) | instid1(VALU_DEP_1)
	s_cmp_lg_u32 s5, 0
	s_addc_u32 s4, s4, s44
	v_readfirstlane_b32 s5, v2
	s_mul_i32 s44, s17, s4
	s_delay_alu instid0(VALU_DEP_1)
	s_mul_hi_u32 s48, s17, s5
	s_mul_i32 s18, s18, s5
	s_add_i32 s44, s48, s44
	s_mul_i32 s17, s17, s5
	s_add_i32 s44, s44, s18
	s_mul_hi_u32 s48, s4, s17
	s_mul_i32 s56, s4, s17
	s_mul_hi_u32 s17, s5, s17
	s_mul_hi_u32 s57, s5, s44
	s_mul_i32 s5, s5, s44
	s_mul_hi_u32 s18, s4, s44
	s_add_u32 s5, s17, s5
	s_addc_u32 s17, 0, s57
	s_add_u32 s5, s5, s56
	s_mul_i32 s44, s4, s44
	s_addc_u32 s5, s17, s48
	s_addc_u32 s17, s18, 0
	s_add_u32 s5, s5, s44
	s_addc_u32 s17, 0, s17
	v_add_co_u32 v2, s5, v2, s5
	s_delay_alu instid0(VALU_DEP_1) | instskip(SKIP_2) | instid1(VALU_DEP_1)
	s_cmp_lg_u32 s5, 0
	s_addc_u32 s17, s4, s17
	s_ashr_i32 s56, s49, 31
	v_readfirstlane_b32 s18, v2
	s_add_u32 s4, s71, s56
	s_mov_b32 s57, s56
	s_addc_u32 s5, s49, s56
	s_delay_alu instid0(SALU_CYCLE_1) | instskip(NEXT) | instid1(SALU_CYCLE_1)
	s_xor_b64 s[4:5], s[4:5], s[56:57]
	s_mul_i32 s48, s4, s17
	s_mul_hi_u32 s57, s4, s18
	s_mul_hi_u32 s44, s4, s17
	;; [unrolled: 1-line block ×3, first 2 shown]
	s_mul_i32 s18, s5, s18
	s_add_u32 s48, s57, s48
	s_addc_u32 s44, 0, s44
	s_mul_hi_u32 s58, s5, s17
	s_add_u32 s18, s48, s18
	s_mul_i32 s17, s5, s17
	s_addc_u32 s18, s44, s59
	s_addc_u32 s44, s58, 0
	s_add_u32 s17, s18, s17
	s_addc_u32 s18, 0, s44
	s_mul_hi_u32 s44, s33, s17
	s_mul_i32 s17, s33, s17
	s_mul_i32 s18, s33, s18
	v_sub_co_u32 v2, s4, s4, s17
	s_add_i32 s44, s44, s18
	s_cmp_lg_u32 s4, 0
	s_delay_alu instid0(VALU_DEP_1) | instskip(SKIP_2) | instid1(VALU_DEP_1)
	v_sub_co_u32 v3, s4, v2, s33
	s_subb_u32 s5, s5, s44
	s_cmp_lg_u32 s4, 0
	v_cmp_le_u32_e32 vcc_lo, s33, v3
	v_sub_co_u32 v4, s4, v3, s33
	s_subb_u32 s17, s5, 0
	s_cmp_lg_u32 s4, 0
	v_cndmask_b32_e64 v5, 0, -1, vcc_lo
	s_subb_u32 s4, s17, 0
	s_cmp_eq_u32 s17, 0
	v_mov_b32_e32 v7, s4
	s_cselect_b32 vcc_lo, -1, 0
	s_cmp_eq_u32 s5, 0
	v_cndmask_b32_e32 v5, -1, v5, vcc_lo
	v_cmp_le_u32_e32 vcc_lo, s33, v2
	s_cselect_b32 s4, -1, 0
	v_cndmask_b32_e64 v6, 0, -1, vcc_lo
	s_delay_alu instid0(VALU_DEP_3) | instskip(NEXT) | instid1(VALU_DEP_2)
	v_cmp_ne_u32_e32 vcc_lo, 0, v5
	v_cndmask_b32_e64 v5, -1, v6, s4
	v_cndmask_b32_e32 v3, v3, v4, vcc_lo
	v_cndmask_b32_e32 v6, s17, v7, vcc_lo
	s_delay_alu instid0(VALU_DEP_3) | instskip(NEXT) | instid1(VALU_DEP_3)
	v_cmp_ne_u32_e32 vcc_lo, 0, v5
	v_cndmask_b32_e32 v2, v2, v3, vcc_lo
	s_delay_alu instid0(VALU_DEP_3) | instskip(NEXT) | instid1(VALU_DEP_2)
	v_cndmask_b32_e32 v4, s5, v6, vcc_lo
	v_xor_b32_e32 v2, s56, v2
	s_delay_alu instid0(VALU_DEP_2) | instskip(NEXT) | instid1(VALU_DEP_2)
	v_xor_b32_e32 v3, s56, v4
	v_sub_co_u32 v2, vcc_lo, v2, s56
	s_delay_alu instid0(VALU_DEP_2)
	v_subrev_co_ci_u32_e32 v3, vcc_lo, s56, v3, vcc_lo
	s_cbranch_execnz .LBB68_225
.LBB68_224:                             ;   in Loop: Header=BB68_8 Depth=1
	v_cvt_f32_u32_e32 v2, s33
	s_sub_i32 s4, 0, s33
	s_delay_alu instid0(VALU_DEP_1) | instskip(SKIP_2) | instid1(VALU_DEP_1)
	v_rcp_iflag_f32_e32 v2, v2
	s_waitcnt_depctr 0xfff
	v_mul_f32_e32 v2, 0x4f7ffffe, v2
	v_cvt_u32_f32_e32 v2, v2
	s_delay_alu instid0(VALU_DEP_1) | instskip(NEXT) | instid1(VALU_DEP_1)
	v_mul_lo_u32 v3, s4, v2
	v_mul_hi_u32 v3, v2, v3
	s_delay_alu instid0(VALU_DEP_1) | instskip(NEXT) | instid1(VALU_DEP_1)
	v_add_nc_u32_e32 v2, v2, v3
	v_mul_hi_u32 v2, s71, v2
	s_delay_alu instid0(VALU_DEP_1) | instskip(NEXT) | instid1(VALU_DEP_1)
	v_mul_lo_u32 v2, v2, s33
	v_sub_nc_u32_e32 v2, s71, v2
	s_delay_alu instid0(VALU_DEP_1) | instskip(SKIP_1) | instid1(VALU_DEP_2)
	v_subrev_nc_u32_e32 v3, s33, v2
	v_cmp_le_u32_e32 vcc_lo, s33, v2
	v_cndmask_b32_e32 v2, v2, v3, vcc_lo
	s_delay_alu instid0(VALU_DEP_1) | instskip(SKIP_1) | instid1(VALU_DEP_2)
	v_subrev_nc_u32_e32 v3, s33, v2
	v_cmp_le_u32_e32 vcc_lo, s33, v2
	v_cndmask_b32_e32 v12, v2, v3, vcc_lo
	s_delay_alu instid0(VALU_DEP_1)
	v_dual_mov_b32 v2, v12 :: v_dual_mov_b32 v3, v13
.LBB68_225:                             ;   in Loop: Header=BB68_8 Depth=1
	s_delay_alu instid0(VALU_DEP_1) | instskip(NEXT) | instid1(VALU_DEP_2)
	v_sub_co_u32 v2, vcc_lo, s71, v2
	v_sub_co_ci_u32_e32 v3, vcc_lo, s49, v3, vcc_lo
	s_mov_b32 s56, 0
	s_mov_b32 s5, exec_lo
                                        ; implicit-def: $vgpr41
	s_delay_alu instid0(VALU_DEP_1)
	v_cmpx_gt_i64_e64 v[2:3], v[0:1]
	s_cbranch_execz .LBB68_238
; %bb.226:                              ;   in Loop: Header=BB68_8 Depth=1
	v_dual_mov_b32 v4, v10 :: v_dual_mov_b32 v5, v11
	v_dual_mov_b32 v7, v1 :: v_dual_mov_b32 v6, v0
	s_mov_b32 s17, 0
                                        ; implicit-def: $sgpr18
	s_branch .LBB68_228
.LBB68_227:                             ;   in Loop: Header=BB68_228 Depth=2
	s_or_b32 exec_lo, exec_lo, s4
	s_waitcnt vmcnt(0) lgkmcnt(0)
	s_barrier
	buffer_gl0_inv
	ds_load_b32 v8, v13 offset:3072
	v_add_co_u32 v6, vcc_lo, v6, s33
	v_add_co_ci_u32_e32 v7, vcc_lo, 0, v7, vcc_lo
	s_waitcnt lgkmcnt(0)
	s_barrier
	buffer_gl0_inv
	v_cmp_ge_i64_e32 vcc_lo, v[6:7], v[2:3]
	v_and_b32_e32 v9, 0x7fff, v8
	s_delay_alu instid0(VALU_DEP_1) | instskip(NEXT) | instid1(VALU_DEP_1)
	v_cmp_ne_u16_e64 s4, 0, v9
	s_or_b32 s44, s4, vcc_lo
	v_add_co_u32 v4, vcc_lo, v4, s42
	s_and_b32 s44, exec_lo, s44
	v_add_co_ci_u32_e32 v5, vcc_lo, s43, v5, vcc_lo
	s_or_b32 s17, s44, s17
	s_and_not1_b32 s18, s18, exec_lo
	s_and_b32 s4, s4, exec_lo
	s_delay_alu instid0(SALU_CYCLE_1)
	s_or_b32 s18, s18, s4
	s_and_not1_b32 exec_lo, exec_lo, s17
	s_cbranch_execz .LBB68_237
.LBB68_228:                             ;   Parent Loop BB68_8 Depth=1
                                        ; =>  This Inner Loop Header: Depth=2
	s_delay_alu instid0(VALU_DEP_1)
	v_cmp_gt_i64_e32 vcc_lo, s[24:25], v[6:7]
	v_mov_b32_e32 v8, 0
	s_and_saveexec_b32 s4, vcc_lo
	s_cbranch_execz .LBB68_230
; %bb.229:                              ;   in Loop: Header=BB68_228 Depth=2
	global_load_u16 v8, v[4:5], off
.LBB68_230:                             ;   in Loop: Header=BB68_228 Depth=2
	s_or_b32 exec_lo, exec_lo, s4
	s_and_saveexec_b32 s4, vcc_lo
	s_cbranch_execz .LBB68_227
; %bb.231:                              ;   in Loop: Header=BB68_228 Depth=2
	s_waitcnt vmcnt(0)
	v_cmp_lt_i16_e32 vcc_lo, -1, v8
	v_and_b32_e32 v9, 0xffff, v8
	v_dual_cndmask_b32 v12, 0xffff, v39 :: v_dual_lshlrev_b32 v23, 16, v8
	s_delay_alu instid0(VALU_DEP_1) | instskip(NEXT) | instid1(VALU_DEP_2)
	v_cmp_o_f32_e32 vcc_lo, v23, v23
	v_xor_b32_e32 v9, v12, v9
	s_delay_alu instid0(VALU_DEP_1) | instskip(NEXT) | instid1(VALU_DEP_1)
	v_cndmask_b32_e32 v9, 0xffff, v9, vcc_lo
	v_and_b32_e32 v9, s88, v9
	s_delay_alu instid0(VALU_DEP_1)
	v_cmp_eq_u32_e32 vcc_lo, s89, v9
	s_and_b32 exec_lo, exec_lo, vcc_lo
	s_cbranch_execz .LBB68_227
; %bb.232:                              ;   in Loop: Header=BB68_228 Depth=2
	v_perm_b32 v8, v8, s78, 0x5040100
	ds_store_b32 v13, v8 offset:3072
	s_branch .LBB68_227
.LBB68_233:                             ;   in Loop: Header=BB68_8 Depth=1
                                        ; implicit-def: $sgpr17
                                        ; implicit-def: $sgpr44
                                        ; implicit-def: $sgpr18
	s_branch .LBB68_252
.LBB68_234:                             ;   in Loop: Header=BB68_8 Depth=1
                                        ; implicit-def: $vgpr2_vgpr3
	s_branch .LBB68_177
.LBB68_235:                             ;   in Loop: Header=BB68_8 Depth=1
                                        ; implicit-def: $vgpr2_vgpr3
	s_branch .LBB68_194
.LBB68_236:                             ;   in Loop: Header=BB68_8 Depth=1
	s_mov_b32 s17, -1
	s_mov_b32 s56, 0
                                        ; implicit-def: $sgpr18
                                        ; implicit-def: $vgpr41
	s_mov_b32 s44, s17
	s_cbranch_execnz .LBB68_239
	s_branch .LBB68_252
.LBB68_237:                             ;   in Loop: Header=BB68_8 Depth=1
	s_or_b32 exec_lo, exec_lo, s17
	v_lshrrev_b32_e32 v41, 16, v8
	s_and_b32 s56, s18, exec_lo
.LBB68_238:                             ;   in Loop: Header=BB68_8 Depth=1
	s_or_b32 exec_lo, exec_lo, s5
	s_mov_b32 s18, -1
	s_mov_b32 s17, 0
	s_delay_alu instid0(SALU_CYCLE_1)
	s_mov_b32 s44, s17
	s_branch .LBB68_252
.LBB68_239:                             ;   in Loop: Header=BB68_8 Depth=1
	s_add_u32 s17, s69, s8
	s_addc_u32 s5, s70, s9
	s_mov_b32 s4, s45
	s_delay_alu instid0(SALU_CYCLE_1)
	s_cmp_lg_u64 s[4:5], 0
	s_cbranch_scc0 .LBB68_273
; %bb.240:                              ;   in Loop: Header=BB68_8 Depth=1
	v_cvt_f32_u32_e32 v2, s33
	s_sub_u32 s44, 0, s33
	s_subb_u32 s48, 0, 0
	s_delay_alu instid0(VALU_DEP_1) | instskip(NEXT) | instid1(VALU_DEP_1)
	v_fmac_f32_e32 v2, 0x4f800000, v40
	v_rcp_f32_e32 v2, v2
	s_waitcnt_depctr 0xfff
	v_mul_f32_e32 v2, 0x5f7ffffc, v2
	s_delay_alu instid0(VALU_DEP_1) | instskip(NEXT) | instid1(VALU_DEP_1)
	v_mul_f32_e32 v3, 0x2f800000, v2
	v_trunc_f32_e32 v3, v3
	s_delay_alu instid0(VALU_DEP_1) | instskip(SKIP_1) | instid1(VALU_DEP_2)
	v_fmac_f32_e32 v2, 0xcf800000, v3
	v_cvt_u32_f32_e32 v3, v3
	v_cvt_u32_f32_e32 v2, v2
	s_delay_alu instid0(VALU_DEP_2) | instskip(NEXT) | instid1(VALU_DEP_2)
	v_readfirstlane_b32 s4, v3
	v_readfirstlane_b32 s18, v2
	s_delay_alu instid0(VALU_DEP_2) | instskip(NEXT) | instid1(VALU_DEP_1)
	s_mul_i32 s56, s44, s4
	s_mul_hi_u32 s58, s44, s18
	s_mul_i32 s57, s48, s18
	s_add_i32 s56, s58, s56
	s_mul_i32 s59, s44, s18
	s_add_i32 s56, s56, s57
	s_mul_hi_u32 s58, s18, s59
	s_mul_hi_u32 s60, s4, s59
	s_mul_i32 s57, s4, s59
	s_mul_hi_u32 s59, s18, s56
	s_mul_i32 s18, s18, s56
	s_mul_hi_u32 s61, s4, s56
	s_add_u32 s18, s58, s18
	s_addc_u32 s58, 0, s59
	s_add_u32 s18, s18, s57
	s_mul_i32 s56, s4, s56
	s_addc_u32 s18, s58, s60
	s_addc_u32 s57, s61, 0
	s_add_u32 s18, s18, s56
	s_addc_u32 s56, 0, s57
	v_add_co_u32 v2, s18, v2, s18
	s_delay_alu instid0(VALU_DEP_1) | instskip(SKIP_1) | instid1(VALU_DEP_1)
	s_cmp_lg_u32 s18, 0
	s_addc_u32 s4, s4, s56
	v_readfirstlane_b32 s18, v2
	s_mul_i32 s56, s44, s4
	s_delay_alu instid0(VALU_DEP_1)
	s_mul_hi_u32 s57, s44, s18
	s_mul_i32 s48, s48, s18
	s_add_i32 s56, s57, s56
	s_mul_i32 s44, s44, s18
	s_add_i32 s56, s56, s48
	s_mul_hi_u32 s57, s4, s44
	s_mul_i32 s58, s4, s44
	s_mul_hi_u32 s44, s18, s44
	s_mul_hi_u32 s59, s18, s56
	s_mul_i32 s18, s18, s56
	s_mul_hi_u32 s48, s4, s56
	s_add_u32 s18, s44, s18
	s_addc_u32 s44, 0, s59
	s_add_u32 s18, s18, s58
	s_mul_i32 s56, s4, s56
	s_addc_u32 s18, s44, s57
	s_addc_u32 s44, s48, 0
	s_add_u32 s18, s18, s56
	s_addc_u32 s44, 0, s44
	v_add_co_u32 v2, s18, v2, s18
	s_delay_alu instid0(VALU_DEP_1) | instskip(SKIP_2) | instid1(VALU_DEP_1)
	s_cmp_lg_u32 s18, 0
	s_addc_u32 s4, s4, s44
	s_ashr_i32 s56, s5, 31
	v_readfirstlane_b32 s18, v2
	s_add_u32 s58, s17, s56
	s_mov_b32 s57, s56
	s_addc_u32 s59, s5, s56
	s_delay_alu instid0(SALU_CYCLE_1) | instskip(NEXT) | instid1(SALU_CYCLE_1)
	s_xor_b64 s[58:59], s[58:59], s[56:57]
	s_mul_i32 s48, s58, s4
	s_mul_hi_u32 s57, s58, s18
	s_mul_hi_u32 s44, s58, s4
	;; [unrolled: 1-line block ×3, first 2 shown]
	s_mul_i32 s18, s59, s18
	s_add_u32 s48, s57, s48
	s_addc_u32 s44, 0, s44
	s_mul_hi_u32 s60, s59, s4
	s_add_u32 s18, s48, s18
	s_mul_i32 s4, s59, s4
	s_addc_u32 s18, s44, s61
	s_addc_u32 s44, s60, 0
	s_add_u32 s4, s18, s4
	s_addc_u32 s18, 0, s44
	s_mul_hi_u32 s44, s33, s4
	s_mul_i32 s4, s33, s4
	s_mul_i32 s18, s33, s18
	v_sub_co_u32 v2, s4, s58, s4
	s_add_i32 s44, s44, s18
	s_cmp_lg_u32 s4, 0
	s_delay_alu instid0(VALU_DEP_1) | instskip(SKIP_2) | instid1(VALU_DEP_1)
	v_sub_co_u32 v3, s4, v2, s33
	s_subb_u32 s18, s59, s44
	s_cmp_lg_u32 s4, 0
	v_cmp_le_u32_e32 vcc_lo, s33, v3
	v_sub_co_u32 v4, s4, v3, s33
	s_subb_u32 s44, s18, 0
	s_cmp_lg_u32 s4, 0
	v_cndmask_b32_e64 v5, 0, -1, vcc_lo
	s_subb_u32 s4, s44, 0
	s_cmp_eq_u32 s44, 0
	v_mov_b32_e32 v7, s4
	s_cselect_b32 vcc_lo, -1, 0
	s_cmp_eq_u32 s18, 0
	v_cndmask_b32_e32 v5, -1, v5, vcc_lo
	v_cmp_le_u32_e32 vcc_lo, s33, v2
	s_cselect_b32 s4, -1, 0
	v_cndmask_b32_e64 v6, 0, -1, vcc_lo
	s_delay_alu instid0(VALU_DEP_3) | instskip(NEXT) | instid1(VALU_DEP_2)
	v_cmp_ne_u32_e32 vcc_lo, 0, v5
	v_cndmask_b32_e64 v5, -1, v6, s4
	v_cndmask_b32_e32 v3, v3, v4, vcc_lo
	v_cndmask_b32_e32 v6, s44, v7, vcc_lo
	s_delay_alu instid0(VALU_DEP_3) | instskip(NEXT) | instid1(VALU_DEP_3)
	v_cmp_ne_u32_e32 vcc_lo, 0, v5
	v_cndmask_b32_e32 v2, v2, v3, vcc_lo
	s_delay_alu instid0(VALU_DEP_3) | instskip(NEXT) | instid1(VALU_DEP_2)
	v_cndmask_b32_e32 v4, s18, v6, vcc_lo
	v_xor_b32_e32 v2, s56, v2
	s_delay_alu instid0(VALU_DEP_2) | instskip(NEXT) | instid1(VALU_DEP_2)
	v_xor_b32_e32 v3, s56, v4
	v_sub_co_u32 v2, vcc_lo, v2, s56
	s_delay_alu instid0(VALU_DEP_2)
	v_subrev_co_ci_u32_e32 v3, vcc_lo, s56, v3, vcc_lo
	s_cbranch_execnz .LBB68_242
.LBB68_241:                             ;   in Loop: Header=BB68_8 Depth=1
	v_cvt_f32_u32_e32 v2, s33
	s_sub_i32 s4, 0, s33
	s_delay_alu instid0(VALU_DEP_1) | instskip(SKIP_2) | instid1(VALU_DEP_1)
	v_rcp_iflag_f32_e32 v2, v2
	s_waitcnt_depctr 0xfff
	v_mul_f32_e32 v2, 0x4f7ffffe, v2
	v_cvt_u32_f32_e32 v2, v2
	s_delay_alu instid0(VALU_DEP_1) | instskip(NEXT) | instid1(VALU_DEP_1)
	v_mul_lo_u32 v3, s4, v2
	v_mul_hi_u32 v3, v2, v3
	s_delay_alu instid0(VALU_DEP_1) | instskip(NEXT) | instid1(VALU_DEP_1)
	v_add_nc_u32_e32 v2, v2, v3
	v_mul_hi_u32 v2, s17, v2
	s_delay_alu instid0(VALU_DEP_1) | instskip(NEXT) | instid1(VALU_DEP_1)
	v_mul_lo_u32 v2, v2, s33
	v_sub_nc_u32_e32 v2, s17, v2
	s_delay_alu instid0(VALU_DEP_1) | instskip(SKIP_1) | instid1(VALU_DEP_2)
	v_subrev_nc_u32_e32 v3, s33, v2
	v_cmp_le_u32_e32 vcc_lo, s33, v2
	v_cndmask_b32_e32 v2, v2, v3, vcc_lo
	s_delay_alu instid0(VALU_DEP_1) | instskip(SKIP_1) | instid1(VALU_DEP_2)
	v_subrev_nc_u32_e32 v3, s33, v2
	v_cmp_le_u32_e32 vcc_lo, s33, v2
	v_cndmask_b32_e32 v12, v2, v3, vcc_lo
	s_delay_alu instid0(VALU_DEP_1)
	v_dual_mov_b32 v2, v12 :: v_dual_mov_b32 v3, v13
.LBB68_242:                             ;   in Loop: Header=BB68_8 Depth=1
	s_delay_alu instid0(VALU_DEP_1) | instskip(NEXT) | instid1(VALU_DEP_2)
	v_sub_co_u32 v2, vcc_lo, s17, v2
	v_sub_co_ci_u32_e32 v3, vcc_lo, s5, v3, vcc_lo
	s_mov_b32 s56, 0
	s_mov_b32 s5, exec_lo
                                        ; implicit-def: $vgpr41
	s_delay_alu instid0(VALU_DEP_1)
	v_cmpx_gt_i64_e64 v[2:3], v[0:1]
	s_cbranch_execz .LBB68_251
; %bb.243:                              ;   in Loop: Header=BB68_8 Depth=1
	v_dual_mov_b32 v6, v30 :: v_dual_mov_b32 v5, v1
	v_mov_b32_e32 v4, v0
	s_mov_b32 s17, 0
                                        ; implicit-def: $sgpr18
	s_branch .LBB68_245
.LBB68_244:                             ;   in Loop: Header=BB68_245 Depth=2
	s_or_b32 exec_lo, exec_lo, s4
	s_waitcnt lgkmcnt(0)
	s_barrier
	buffer_gl0_inv
	ds_load_b32 v7, v13 offset:3072
	v_add_co_u32 v4, vcc_lo, v4, s33
	v_add_co_ci_u32_e32 v5, vcc_lo, 0, v5, vcc_lo
	v_add_nc_u32_e32 v6, s77, v6
	s_waitcnt lgkmcnt(0)
	s_barrier
	s_delay_alu instid0(VALU_DEP_2) | instskip(SKIP_2) | instid1(VALU_DEP_1)
	v_cmp_ge_i64_e32 vcc_lo, v[4:5], v[2:3]
	buffer_gl0_inv
	v_and_b32_e32 v8, 0x7fff, v7
	v_cmp_ne_u16_e64 s4, 0, v8
	s_delay_alu instid0(VALU_DEP_1) | instskip(NEXT) | instid1(SALU_CYCLE_1)
	s_or_b32 s44, s4, vcc_lo
	s_and_b32 s44, exec_lo, s44
	s_delay_alu instid0(SALU_CYCLE_1) | instskip(SKIP_2) | instid1(SALU_CYCLE_1)
	s_or_b32 s17, s44, s17
	s_and_not1_b32 s18, s18, exec_lo
	s_and_b32 s4, s4, exec_lo
	s_or_b32 s18, s18, s4
	s_and_not1_b32 exec_lo, exec_lo, s17
	s_cbranch_execz .LBB68_250
.LBB68_245:                             ;   Parent Loop BB68_8 Depth=1
                                        ; =>  This Inner Loop Header: Depth=2
	s_delay_alu instid0(VALU_DEP_1)
	v_cmp_gt_i64_e32 vcc_lo, s[8:9], v[4:5]
	v_mov_b32_e32 v7, 0
	s_and_saveexec_b32 s4, vcc_lo
	s_cbranch_execz .LBB68_247
; %bb.246:                              ;   in Loop: Header=BB68_245 Depth=2
	ds_load_u16 v7, v6
.LBB68_247:                             ;   in Loop: Header=BB68_245 Depth=2
	s_or_b32 exec_lo, exec_lo, s4
	s_and_saveexec_b32 s4, vcc_lo
	s_cbranch_execz .LBB68_244
; %bb.248:                              ;   in Loop: Header=BB68_245 Depth=2
	s_waitcnt lgkmcnt(0)
	v_cmp_lt_i16_e32 vcc_lo, -1, v7
	v_and_b32_e32 v8, 0xffff, v7
	v_lshlrev_b32_e32 v12, 16, v7
	v_cndmask_b32_e32 v9, 0xffff, v39, vcc_lo
	s_delay_alu instid0(VALU_DEP_2) | instskip(NEXT) | instid1(VALU_DEP_2)
	v_cmp_o_f32_e32 vcc_lo, v12, v12
	v_xor_b32_e32 v8, v9, v8
	s_delay_alu instid0(VALU_DEP_1) | instskip(NEXT) | instid1(VALU_DEP_1)
	v_cndmask_b32_e32 v8, 0xffff, v8, vcc_lo
	v_and_b32_e32 v8, s88, v8
	s_delay_alu instid0(VALU_DEP_1)
	v_cmp_eq_u32_e32 vcc_lo, s89, v8
	s_and_b32 exec_lo, exec_lo, vcc_lo
	s_cbranch_execz .LBB68_244
; %bb.249:                              ;   in Loop: Header=BB68_245 Depth=2
	v_perm_b32 v7, v7, s78, 0x5040100
	ds_store_b32 v13, v7 offset:3072
	s_branch .LBB68_244
.LBB68_250:                             ;   in Loop: Header=BB68_8 Depth=1
	s_or_b32 exec_lo, exec_lo, s17
	v_lshrrev_b32_e32 v41, 16, v7
	s_and_b32 s56, s18, exec_lo
.LBB68_251:                             ;   in Loop: Header=BB68_8 Depth=1
	s_or_b32 exec_lo, exec_lo, s5
	s_mov_b32 s44, -1
	s_mov_b32 s17, 0
	s_mov_b32 s18, 0
.LBB68_252:                             ;   in Loop: Header=BB68_8 Depth=1
	s_mov_b32 s9, 0
                                        ; implicit-def: $sgpr48
                                        ; implicit-def: $sgpr4_sgpr5
	s_and_saveexec_b32 s8, s56
	s_cbranch_execz .LBB68_265
; %bb.253:                              ;   in Loop: Header=BB68_8 Depth=1
	s_xor_b32 s9, s11, -1
	s_mov_b64 s[4:5], 1
	s_and_not1_b32 vcc_lo, exec_lo, s9
	s_mov_b32 s48, 1
	s_cbranch_vccnz .LBB68_264
; %bb.254:                              ;   in Loop: Header=BB68_8 Depth=1
	v_cmp_gt_i64_e64 s4, s[26:27], s[6:7]
	s_delay_alu instid0(VALU_DEP_1)
	s_and_b32 vcc_lo, exec_lo, s4
	s_cbranch_vccnz .LBB68_260
; %bb.255:                              ;   in Loop: Header=BB68_8 Depth=1
	ds_load_b64 v[2:3], v13 offset:5120
	s_waitcnt lgkmcnt(0)
	v_cmp_ne_u64_e32 vcc_lo, 0, v[2:3]
	s_cbranch_vccnz .LBB68_259
; %bb.256:                              ;   in Loop: Header=BB68_8 Depth=1
	s_and_saveexec_b32 s4, s0
	s_cbranch_execz .LBB68_258
; %bb.257:                              ;   in Loop: Header=BB68_8 Depth=1
	v_dual_mov_b32 v2, s6 :: v_dual_mov_b32 v3, s7
	ds_store_b64 v13, v[2:3] offset:5128
.LBB68_258:                             ;   in Loop: Header=BB68_8 Depth=1
	s_or_b32 exec_lo, exec_lo, s4
	s_waitcnt lgkmcnt(0)
	s_barrier
	buffer_gl0_inv
.LBB68_259:                             ;   in Loop: Header=BB68_8 Depth=1
	s_or_b32 s9, s89, s16
	s_or_b32 s11, s88, s16
	s_mov_b32 s4, 0
	s_mov_b32 s48, 8
	s_branch .LBB68_261
.LBB68_260:                             ;   in Loop: Header=BB68_8 Depth=1
	s_mov_b32 s4, -1
                                        ; implicit-def: $sgpr48
                                        ; implicit-def: $sgpr9
                                        ; implicit-def: $sgpr11
.LBB68_261:                             ;   in Loop: Header=BB68_8 Depth=1
	s_delay_alu instid0(SALU_CYCLE_1)
	s_and_not1_b32 vcc_lo, exec_lo, s4
	s_cbranch_vccnz .LBB68_263
; %bb.262:                              ;   in Loop: Header=BB68_8 Depth=1
	s_sub_u32 s26, s26, s6
	s_subb_u32 s27, s27, s7
	s_mov_b32 s48, 8
	s_mov_b32 s9, s89
	;; [unrolled: 1-line block ×3, first 2 shown]
.LBB68_263:                             ;   in Loop: Header=BB68_8 Depth=1
	s_mov_b64 s[4:5], s[26:27]
	s_mov_b32 s89, s9
	s_mov_b32 s88, s11
.LBB68_264:                             ;   in Loop: Header=BB68_8 Depth=1
	s_mov_b32 s9, exec_lo
.LBB68_265:                             ;   in Loop: Header=BB68_8 Depth=1
	s_or_b32 exec_lo, exec_lo, s8
	s_mov_b64 s[26:27], s[4:5]
.LBB68_266:                             ;   in Loop: Header=BB68_8 Depth=1
	s_and_not1_b32 s4, s13, exec_lo
	s_and_b32 s5, s17, exec_lo
	s_and_not1_b32 s6, s22, exec_lo
	s_or_b32 s13, s4, s5
	s_and_not1_b32 s4, s23, exec_lo
	s_and_b32 s5, s44, exec_lo
	s_and_b32 s7, s18, exec_lo
	s_or_b32 s23, s4, s5
	s_or_b32 s22, s6, s7
	s_and_b32 s5, s9, exec_lo
.LBB68_267:                             ;   in Loop: Header=BB68_8 Depth=1
	s_or_b32 exec_lo, exec_lo, s10
.LBB68_268:                             ;   in Loop: Header=BB68_8 Depth=1
	s_delay_alu instid0(SALU_CYCLE_1)
	s_and_not1_b32 s4, s20, exec_lo
	s_and_b32 s6, s13, exec_lo
	s_and_not1_b32 s7, s19, exec_lo
	s_or_b32 s20, s4, s6
	s_and_not1_b32 s4, s21, exec_lo
	s_and_b32 s6, s23, exec_lo
	s_and_b32 s8, s22, exec_lo
	s_or_b32 s21, s4, s6
	s_or_b32 s19, s7, s8
	s_and_b32 s5, s5, exec_lo
.LBB68_269:                             ;   in Loop: Header=BB68_8 Depth=1
	s_or_b32 exec_lo, exec_lo, s12
	s_and_saveexec_b32 s4, s5
	s_delay_alu instid0(SALU_CYCLE_1)
	s_xor_b32 s4, exec_lo, s4
	s_cbranch_execz .LBB68_6
.LBB68_270:                             ;   in Loop: Header=BB68_8 Depth=1
	s_and_b32 s5, s48, -9
	s_delay_alu instid0(SALU_CYCLE_1)
	s_cmp_eq_u32 s5, 0
	s_cbranch_scc1 .LBB68_4
; %bb.271:                              ;   in Loop: Header=BB68_8 Depth=1
	s_mov_b32 s5, -1
	s_mov_b32 s6, -1
                                        ; implicit-def: $sgpr88
                                        ; implicit-def: $sgpr82
                                        ; implicit-def: $sgpr84
	s_branch .LBB68_5
.LBB68_272:                             ;   in Loop: Header=BB68_8 Depth=1
                                        ; implicit-def: $vgpr2_vgpr3
	s_branch .LBB68_224
.LBB68_273:                             ;   in Loop: Header=BB68_8 Depth=1
                                        ; implicit-def: $vgpr2_vgpr3
	s_branch .LBB68_241
.LBB68_274:
	s_or_b32 exec_lo, exec_lo, s79
	s_xor_b32 s5, s83, -1
	s_xor_b32 s2, s80, -1
	;; [unrolled: 1-line block ×3, first 2 shown]
	s_mov_b32 s3, 0
	s_and_saveexec_b32 s6, s2
	s_delay_alu instid0(SALU_CYCLE_1)
	s_xor_b32 s2, exec_lo, s6
	s_cbranch_execz .LBB68_297
; %bb.275:
	s_and_saveexec_b32 s3, s5
	s_delay_alu instid0(SALU_CYCLE_1)
	s_xor_b32 s3, exec_lo, s3
	s_cbranch_execz .LBB68_295
; %bb.276:
	s_and_saveexec_b32 s5, s4
	s_delay_alu instid0(SALU_CYCLE_1)
	s_xor_b32 s4, exec_lo, s5
; %bb.277:
	v_and_b32_e32 v3, 0x8000, v2
	v_mov_b32_e32 v4, 0xffff
	s_delay_alu instid0(VALU_DEP_2) | instskip(NEXT) | instid1(VALU_DEP_2)
	v_cmp_eq_u32_e32 vcc_lo, 0, v3
	v_cndmask_b32_e32 v3, 0x8000, v4, vcc_lo
	s_delay_alu instid0(VALU_DEP_1)
	v_xor_b32_e32 v41, v3, v2
; %bb.278:
	s_or_b32 exec_lo, exec_lo, s4
	s_and_saveexec_b32 s4, s0
	s_cbranch_execz .LBB68_280
; %bb.279:
	v_dual_mov_b32 v2, 0 :: v_dual_mov_b32 v3, s24
	ds_store_b32 v2, v3 offset:5140
.LBB68_280:
	s_or_b32 exec_lo, exec_lo, s4
	s_waitcnt lgkmcnt(0)
	s_barrier
	buffer_gl0_inv
	s_and_saveexec_b32 s4, s1
	s_cbranch_execz .LBB68_292
; %bb.281:
	v_mov_b32_e32 v2, 0
	v_lshlrev_b32_e32 v6, 16, v41
	s_mov_b32 s5, 0
                                        ; implicit-def: $sgpr7
                                        ; implicit-def: $sgpr8
                                        ; implicit-def: $sgpr9
	ds_load_b32 v4, v2 offset:5140
	v_cmp_u_f32_e32 vcc_lo, v6, v6
	s_xor_b32 s6, vcc_lo, -1
	s_waitcnt lgkmcnt(0)
	v_ashrrev_i32_e32 v5, 31, v4
	s_set_inst_prefetch_distance 0x1
	s_branch .LBB68_284
	.p2align	6
.LBB68_282:                             ;   in Loop: Header=BB68_284 Depth=1
	s_or_b32 exec_lo, exec_lo, s13
	s_delay_alu instid0(SALU_CYCLE_1)
	s_and_not1_b32 s1, s9, exec_lo
	s_and_b32 s9, s11, exec_lo
	s_and_not1_b32 s8, s8, exec_lo
	s_and_b32 s11, s12, exec_lo
	s_or_b32 s9, s1, s9
	s_or_b32 s8, s8, s11
.LBB68_283:                             ;   in Loop: Header=BB68_284 Depth=1
	s_or_b32 exec_lo, exec_lo, s10
	s_delay_alu instid0(SALU_CYCLE_1) | instskip(NEXT) | instid1(SALU_CYCLE_1)
	s_and_b32 s1, exec_lo, s8
	s_or_b32 s5, s1, s5
	s_and_not1_b32 s1, s7, exec_lo
	s_and_b32 s7, s9, exec_lo
	s_delay_alu instid0(SALU_CYCLE_1)
	s_or_b32 s7, s1, s7
	s_and_not1_b32 exec_lo, exec_lo, s5
	s_cbranch_execz .LBB68_287
.LBB68_284:                             ; =>This Inner Loop Header: Depth=1
	v_dual_mov_b32 v3, v1 :: v_dual_mov_b32 v2, v0
	s_or_b32 s9, s9, exec_lo
	s_or_b32 s8, s8, exec_lo
	s_mov_b32 s10, exec_lo
                                        ; implicit-def: $vgpr0_vgpr1
	s_delay_alu instid0(VALU_DEP_1)
	v_cmpx_lt_i64_e64 v[2:3], v[4:5]
	s_cbranch_execz .LBB68_283
; %bb.285:                              ;   in Loop: Header=BB68_284 Depth=1
	global_load_u16 v0, v[10:11], off
	s_mov_b32 s12, -1
	s_waitcnt vmcnt(0)
	v_lshlrev_b32_e32 v0, 16, v0
	s_delay_alu instid0(VALU_DEP_1)
	v_cmp_o_f32_e32 vcc_lo, v0, v0
	v_cmp_neq_f32_e64 s1, v0, v6
                                        ; implicit-def: $vgpr0_vgpr1
	s_or_b32 s11, s6, vcc_lo
	s_delay_alu instid0(VALU_DEP_1) | instid1(SALU_CYCLE_1)
	s_and_b32 s1, s1, s11
	s_mov_b32 s11, 0
	s_and_saveexec_b32 s13, s1
	s_cbranch_execz .LBB68_282
; %bb.286:                              ;   in Loop: Header=BB68_284 Depth=1
	v_add_co_u32 v0, vcc_lo, v2, s33
	v_add_co_ci_u32_e32 v1, vcc_lo, 0, v3, vcc_lo
	v_add_co_u32 v10, s1, v10, s42
	s_mov_b32 s11, exec_lo
	s_delay_alu instid0(VALU_DEP_2)
	v_cmp_le_i64_e32 vcc_lo, s[24:25], v[0:1]
	v_add_co_ci_u32_e64 v11, s1, s43, v11, s1
	s_or_not1_b32 s12, vcc_lo, exec_lo
	s_branch .LBB68_282
.LBB68_287:
	s_set_inst_prefetch_distance 0x2
	s_or_b32 exec_lo, exec_lo, s5
	s_xor_b32 s1, s7, -1
	s_delay_alu instid0(SALU_CYCLE_1) | instskip(NEXT) | instid1(SALU_CYCLE_1)
	s_and_saveexec_b32 s5, s1
	s_xor_b32 s5, exec_lo, s5
	s_cbranch_execz .LBB68_292
; %bb.288:
	s_mov_b32 s5, exec_lo
	s_brev_b32 s1, -2
.LBB68_289:                             ; =>This Inner Loop Header: Depth=1
	s_ctz_i32_b32 s6, s5
	s_delay_alu instid0(SALU_CYCLE_1) | instskip(SKIP_1) | instid1(SALU_CYCLE_1)
	v_readlane_b32 s7, v2, s6
	s_lshl_b32 s6, 1, s6
	s_and_not1_b32 s5, s5, s6
	s_delay_alu instid0(VALU_DEP_1)
	s_min_i32 s1, s1, s7
	s_cmp_lg_u32 s5, 0
	s_cbranch_scc1 .LBB68_289
; %bb.290:
	v_mbcnt_lo_u32_b32 v0, exec_lo, 0
	s_mov_b32 s5, exec_lo
	s_delay_alu instid0(VALU_DEP_1)
	v_cmpx_eq_u32_e32 0, v0
	s_xor_b32 s5, exec_lo, s5
	s_cbranch_execz .LBB68_292
; %bb.291:
	v_dual_mov_b32 v0, 0 :: v_dual_mov_b32 v1, s1
	ds_min_i32 v0, v1 offset:5140
.LBB68_292:
	s_or_b32 exec_lo, exec_lo, s4
	s_waitcnt lgkmcnt(0)
	s_barrier
	buffer_gl0_inv
	s_and_saveexec_b32 s1, s0
	s_cbranch_execz .LBB68_294
; %bb.293:
	v_mov_b32_e32 v2, 0
	s_mul_i32 s0, s41, s34
	s_mul_hi_u32 s5, s40, s34
	s_mul_i32 s4, s40, s34
	s_add_i32 s5, s5, s0
	ds_load_b32 v0, v2 offset:5140
	s_mul_i32 s7, s39, s34
	s_mul_hi_u32 s8, s38, s34
	s_lshl_b64 s[4:5], s[4:5], 1
	s_mul_i32 s6, s38, s34
	s_add_i32 s7, s8, s7
	s_add_u32 s4, s36, s4
	s_addc_u32 s5, s37, s5
	s_lshl_b64 s[6:7], s[6:7], 3
	s_delay_alu instid0(SALU_CYCLE_1)
	s_add_u32 s6, s28, s6
	s_addc_u32 s7, s29, s7
	s_waitcnt lgkmcnt(0)
	v_ashrrev_i32_e32 v1, 31, v0
	s_clause 0x1
	global_store_b64 v2, v[0:1], s[6:7]
	global_store_b16 v2, v41, s[4:5]
.LBB68_294:
	s_or_b32 exec_lo, exec_lo, s1
.LBB68_295:
	s_or_saveexec_b32 s0, s3
	s_mov_b32 s1, 0
	s_xor_b32 exec_lo, exec_lo, s0
	s_cbranch_execnz .LBB68_303
.LBB68_296:
	s_or_b32 exec_lo, exec_lo, s0
	s_delay_alu instid0(SALU_CYCLE_1)
	s_and_b32 s3, s1, exec_lo
.LBB68_297:
	s_and_not1_saveexec_b32 s0, s2
	s_cbranch_execnz .LBB68_301
; %bb.298:
	s_or_b32 exec_lo, exec_lo, s0
	s_and_saveexec_b32 s0, s3
.LBB68_299:
	; divergent unreachable
.LBB68_300:
	s_nop 0
	s_sendmsg sendmsg(MSG_DEALLOC_VGPRS)
	s_endpgm
.LBB68_301:
	s_cbranch_execnz .LBB68_305
; %bb.302:
	s_or_b32 s3, s3, exec_lo
	s_or_b32 exec_lo, exec_lo, s0
	s_and_saveexec_b32 s0, s3
	s_cbranch_execnz .LBB68_299
	s_branch .LBB68_300
.LBB68_303:
	s_cbranch_execnz .LBB68_307
; %bb.304:
	s_mov_b32 s1, exec_lo
	s_branch .LBB68_296
.LBB68_305:
	s_trap 2
	s_sendmsg_rtn_b32 s0, sendmsg(MSG_RTN_GET_DOORBELL)
	s_mov_b32 ttmp2, m0
	s_waitcnt lgkmcnt(0)
	s_and_b32 s0, s0, 0x3ff
	s_delay_alu instid0(SALU_CYCLE_1) | instskip(NEXT) | instid1(SALU_CYCLE_1)
	s_bitset1_b32 s0, 10
	s_mov_b32 m0, s0
	s_sendmsg sendmsg(MSG_INTERRUPT)
	s_mov_b32 m0, ttmp2
.LBB68_306:                             ; =>This Inner Loop Header: Depth=1
	s_sethalt 5
	s_branch .LBB68_306
.LBB68_307:
	s_trap 2
	s_sendmsg_rtn_b32 s0, sendmsg(MSG_RTN_GET_DOORBELL)
	s_mov_b32 ttmp2, m0
	s_waitcnt lgkmcnt(0)
	s_and_b32 s0, s0, 0x3ff
	s_delay_alu instid0(SALU_CYCLE_1) | instskip(NEXT) | instid1(SALU_CYCLE_1)
	s_bitset1_b32 s0, 10
	s_mov_b32 m0, s0
	s_sendmsg sendmsg(MSG_INTERRUPT)
	s_mov_b32 m0, ttmp2
.LBB68_308:                             ; =>This Inner Loop Header: Depth=1
	s_sethalt 5
	s_branch .LBB68_308
	.section	.rodata,"a",@progbits
	.p2align	6, 0x0
	.amdhsa_kernel _ZN2at6native12_GLOBAL__N_114gatherKthValueIN3c108BFloat16ElLi1EEEvNS_4cuda6detail10TensorInfoIKT_T0_EESA_SA_SA_SA_NS7_IS8_SA_EENS7_IlSA_EE
		.amdhsa_group_segment_fixed_size 5144
		.amdhsa_private_segment_fixed_size 0
		.amdhsa_kernarg_size 1536
		.amdhsa_user_sgpr_count 13
		.amdhsa_user_sgpr_dispatch_ptr 0
		.amdhsa_user_sgpr_queue_ptr 0
		.amdhsa_user_sgpr_kernarg_segment_ptr 1
		.amdhsa_user_sgpr_dispatch_id 0
		.amdhsa_user_sgpr_private_segment_size 0
		.amdhsa_wavefront_size32 1
		.amdhsa_uses_dynamic_stack 0
		.amdhsa_enable_private_segment 0
		.amdhsa_system_sgpr_workgroup_id_x 1
		.amdhsa_system_sgpr_workgroup_id_y 1
		.amdhsa_system_sgpr_workgroup_id_z 1
		.amdhsa_system_sgpr_workgroup_info 0
		.amdhsa_system_vgpr_workitem_id 0
		.amdhsa_next_free_vgpr 46
		.amdhsa_next_free_sgpr 94
		.amdhsa_reserve_vcc 1
		.amdhsa_float_round_mode_32 0
		.amdhsa_float_round_mode_16_64 0
		.amdhsa_float_denorm_mode_32 3
		.amdhsa_float_denorm_mode_16_64 3
		.amdhsa_dx10_clamp 1
		.amdhsa_ieee_mode 1
		.amdhsa_fp16_overflow 0
		.amdhsa_workgroup_processor_mode 1
		.amdhsa_memory_ordered 1
		.amdhsa_forward_progress 0
		.amdhsa_shared_vgpr_count 0
		.amdhsa_exception_fp_ieee_invalid_op 0
		.amdhsa_exception_fp_denorm_src 0
		.amdhsa_exception_fp_ieee_div_zero 0
		.amdhsa_exception_fp_ieee_overflow 0
		.amdhsa_exception_fp_ieee_underflow 0
		.amdhsa_exception_fp_ieee_inexact 0
		.amdhsa_exception_int_div_zero 0
	.end_amdhsa_kernel
	.section	.text._ZN2at6native12_GLOBAL__N_114gatherKthValueIN3c108BFloat16ElLi1EEEvNS_4cuda6detail10TensorInfoIKT_T0_EESA_SA_SA_SA_NS7_IS8_SA_EENS7_IlSA_EE,"axG",@progbits,_ZN2at6native12_GLOBAL__N_114gatherKthValueIN3c108BFloat16ElLi1EEEvNS_4cuda6detail10TensorInfoIKT_T0_EESA_SA_SA_SA_NS7_IS8_SA_EENS7_IlSA_EE,comdat
.Lfunc_end68:
	.size	_ZN2at6native12_GLOBAL__N_114gatherKthValueIN3c108BFloat16ElLi1EEEvNS_4cuda6detail10TensorInfoIKT_T0_EESA_SA_SA_SA_NS7_IS8_SA_EENS7_IlSA_EE, .Lfunc_end68-_ZN2at6native12_GLOBAL__N_114gatherKthValueIN3c108BFloat16ElLi1EEEvNS_4cuda6detail10TensorInfoIKT_T0_EESA_SA_SA_SA_NS7_IS8_SA_EENS7_IlSA_EE
                                        ; -- End function
	.section	.AMDGPU.csdata,"",@progbits
; Kernel info:
; codeLenInByte = 17916
; NumSgprs: 96
; NumVgprs: 46
; ScratchSize: 0
; MemoryBound: 0
; FloatMode: 240
; IeeeMode: 1
; LDSByteSize: 5144 bytes/workgroup (compile time only)
; SGPRBlocks: 11
; VGPRBlocks: 5
; NumSGPRsForWavesPerEU: 96
; NumVGPRsForWavesPerEU: 46
; Occupancy: 16
; WaveLimiterHint : 1
; COMPUTE_PGM_RSRC2:SCRATCH_EN: 0
; COMPUTE_PGM_RSRC2:USER_SGPR: 13
; COMPUTE_PGM_RSRC2:TRAP_HANDLER: 0
; COMPUTE_PGM_RSRC2:TGID_X_EN: 1
; COMPUTE_PGM_RSRC2:TGID_Y_EN: 1
; COMPUTE_PGM_RSRC2:TGID_Z_EN: 1
; COMPUTE_PGM_RSRC2:TIDIG_COMP_CNT: 0
	.section	.text._ZN2at6native12_GLOBAL__N_114gatherKthValueIN3c108BFloat16ElLi2EEEvNS_4cuda6detail10TensorInfoIKT_T0_EESA_SA_SA_SA_NS7_IS8_SA_EENS7_IlSA_EE,"axG",@progbits,_ZN2at6native12_GLOBAL__N_114gatherKthValueIN3c108BFloat16ElLi2EEEvNS_4cuda6detail10TensorInfoIKT_T0_EESA_SA_SA_SA_NS7_IS8_SA_EENS7_IlSA_EE,comdat
	.globl	_ZN2at6native12_GLOBAL__N_114gatherKthValueIN3c108BFloat16ElLi2EEEvNS_4cuda6detail10TensorInfoIKT_T0_EESA_SA_SA_SA_NS7_IS8_SA_EENS7_IlSA_EE ; -- Begin function _ZN2at6native12_GLOBAL__N_114gatherKthValueIN3c108BFloat16ElLi2EEEvNS_4cuda6detail10TensorInfoIKT_T0_EESA_SA_SA_SA_NS7_IS8_SA_EENS7_IlSA_EE
	.p2align	8
	.type	_ZN2at6native12_GLOBAL__N_114gatherKthValueIN3c108BFloat16ElLi2EEEvNS_4cuda6detail10TensorInfoIKT_T0_EESA_SA_SA_SA_NS7_IS8_SA_EENS7_IlSA_EE,@function
_ZN2at6native12_GLOBAL__N_114gatherKthValueIN3c108BFloat16ElLi2EEEvNS_4cuda6detail10TensorInfoIKT_T0_EESA_SA_SA_SA_NS7_IS8_SA_EENS7_IlSA_EE: ; @_ZN2at6native12_GLOBAL__N_114gatherKthValueIN3c108BFloat16ElLi2EEEvNS_4cuda6detail10TensorInfoIKT_T0_EESA_SA_SA_SA_NS7_IS8_SA_EENS7_IlSA_EE
; %bb.0:
	s_clause 0x1
	s_load_b64 s[10:11], s[0:1], 0x500
	s_load_b256 s[24:31], s[0:1], 0x1a0
	s_add_u32 s8, s0, 0x500
	s_addc_u32 s9, s1, 0
	s_mov_b32 s35, 0
	s_waitcnt lgkmcnt(0)
	s_mul_i32 s2, s11, s15
	s_delay_alu instid0(SALU_CYCLE_1) | instskip(NEXT) | instid1(SALU_CYCLE_1)
	s_add_i32 s2, s2, s14
	s_mul_i32 s2, s2, s10
	s_delay_alu instid0(SALU_CYCLE_1) | instskip(NEXT) | instid1(SALU_CYCLE_1)
	s_add_i32 s34, s2, s13
	v_cmp_ge_i64_e64 s2, s[34:35], s[28:29]
	s_delay_alu instid0(VALU_DEP_1)
	s_and_b32 vcc_lo, exec_lo, s2
	s_cbranch_vccnz .LBB69_312
; %bb.1:
	s_clause 0x1
	s_load_b64 s[14:15], s[0:1], 0x10
	s_load_b64 s[28:29], s[0:1], 0x1d0
	s_mov_b32 s2, s35
	s_waitcnt lgkmcnt(0)
	s_mov_b32 s3, s15
	s_delay_alu instid0(SALU_CYCLE_1)
	s_cmp_lg_u64 s[2:3], 0
	s_cbranch_scc0 .LBB69_296
; %bb.2:
	s_ashr_i32 s2, s15, 31
	s_delay_alu instid0(SALU_CYCLE_1) | instskip(SKIP_2) | instid1(SALU_CYCLE_1)
	s_add_u32 s4, s14, s2
	s_mov_b32 s3, s2
	s_addc_u32 s5, s15, s2
	s_xor_b64 s[4:5], s[4:5], s[2:3]
	s_delay_alu instid0(SALU_CYCLE_1) | instskip(SKIP_3) | instid1(VALU_DEP_1)
	v_cvt_f32_u32_e32 v1, s4
	v_cvt_f32_u32_e32 v2, s5
	s_sub_u32 s11, 0, s4
	s_subb_u32 s12, 0, s5
	v_fmamk_f32 v1, v2, 0x4f800000, v1
	s_delay_alu instid0(VALU_DEP_1) | instskip(SKIP_2) | instid1(VALU_DEP_1)
	v_rcp_f32_e32 v1, v1
	s_waitcnt_depctr 0xfff
	v_mul_f32_e32 v1, 0x5f7ffffc, v1
	v_mul_f32_e32 v2, 0x2f800000, v1
	s_delay_alu instid0(VALU_DEP_1) | instskip(NEXT) | instid1(VALU_DEP_1)
	v_trunc_f32_e32 v2, v2
	v_fmamk_f32 v1, v2, 0xcf800000, v1
	v_cvt_u32_f32_e32 v2, v2
	s_delay_alu instid0(VALU_DEP_2) | instskip(NEXT) | instid1(VALU_DEP_2)
	v_cvt_u32_f32_e32 v1, v1
	v_readfirstlane_b32 s6, v2
	s_delay_alu instid0(VALU_DEP_2) | instskip(NEXT) | instid1(VALU_DEP_2)
	v_readfirstlane_b32 s7, v1
	s_mul_i32 s16, s11, s6
	s_delay_alu instid0(VALU_DEP_1)
	s_mul_hi_u32 s18, s11, s7
	s_mul_i32 s17, s12, s7
	s_add_i32 s16, s18, s16
	s_mul_i32 s19, s11, s7
	s_add_i32 s16, s16, s17
	s_mul_hi_u32 s18, s7, s19
	s_mul_hi_u32 s20, s6, s19
	s_mul_i32 s17, s6, s19
	s_mul_hi_u32 s19, s7, s16
	s_mul_i32 s7, s7, s16
	s_mul_hi_u32 s21, s6, s16
	s_add_u32 s7, s18, s7
	s_addc_u32 s18, 0, s19
	s_add_u32 s7, s7, s17
	s_mul_i32 s16, s6, s16
	s_addc_u32 s7, s18, s20
	s_addc_u32 s17, s21, 0
	s_add_u32 s7, s7, s16
	s_addc_u32 s16, 0, s17
	v_add_co_u32 v1, s7, v1, s7
	s_delay_alu instid0(VALU_DEP_1) | instskip(SKIP_1) | instid1(VALU_DEP_1)
	s_cmp_lg_u32 s7, 0
	s_addc_u32 s6, s6, s16
	v_readfirstlane_b32 s7, v1
	s_mul_i32 s16, s11, s6
	s_delay_alu instid0(VALU_DEP_1)
	s_mul_hi_u32 s17, s11, s7
	s_mul_i32 s12, s12, s7
	s_add_i32 s16, s17, s16
	s_mul_i32 s11, s11, s7
	s_add_i32 s16, s16, s12
	s_mul_hi_u32 s17, s6, s11
	s_mul_i32 s18, s6, s11
	s_mul_hi_u32 s11, s7, s11
	s_mul_hi_u32 s19, s7, s16
	s_mul_i32 s7, s7, s16
	s_mul_hi_u32 s12, s6, s16
	s_add_u32 s7, s11, s7
	s_addc_u32 s11, 0, s19
	s_add_u32 s7, s7, s18
	s_mul_i32 s16, s6, s16
	s_addc_u32 s7, s11, s17
	s_addc_u32 s11, s12, 0
	s_add_u32 s7, s7, s16
	s_addc_u32 s11, 0, s11
	v_add_co_u32 v1, s7, v1, s7
	s_delay_alu instid0(VALU_DEP_1) | instskip(SKIP_2) | instid1(VALU_DEP_1)
	s_cmp_lg_u32 s7, 0
	s_addc_u32 s11, s6, s11
	s_ashr_i32 s6, 0, 31
	v_readfirstlane_b32 s12, v1
	s_add_u32 s16, s34, s6
	s_mov_b32 s7, s6
	s_addc_u32 s17, 0, s6
	s_delay_alu instid0(SALU_CYCLE_1) | instskip(NEXT) | instid1(SALU_CYCLE_1)
	s_xor_b64 s[16:17], s[16:17], s[6:7]
	s_mul_i32 s19, s16, s11
	s_mul_hi_u32 s20, s16, s12
	s_mul_hi_u32 s18, s16, s11
	;; [unrolled: 1-line block ×3, first 2 shown]
	s_mul_i32 s12, s17, s12
	s_add_u32 s19, s20, s19
	s_addc_u32 s18, 0, s18
	s_mul_hi_u32 s21, s17, s11
	s_add_u32 s12, s19, s12
	s_mul_i32 s11, s17, s11
	s_addc_u32 s12, s18, s22
	s_addc_u32 s18, s21, 0
	s_add_u32 s11, s12, s11
	s_addc_u32 s12, 0, s18
	s_mul_i32 s21, s4, s11
	s_mul_hi_u32 s18, s4, s11
	s_mul_i32 s20, s4, s12
	v_sub_co_u32 v1, s16, s16, s21
	s_mul_i32 s19, s5, s11
	s_add_i32 s18, s18, s20
	s_delay_alu instid0(SALU_CYCLE_1) | instskip(NEXT) | instid1(VALU_DEP_1)
	s_add_i32 s18, s18, s19
	v_sub_co_u32 v2, s20, v1, s4
	s_sub_i32 s19, s17, s18
	s_cmp_lg_u32 s16, 0
	s_subb_u32 s19, s19, s5
	s_cmp_lg_u32 s20, 0
	v_readfirstlane_b32 s20, v2
	s_subb_u32 s19, s19, 0
	s_delay_alu instid0(SALU_CYCLE_1) | instskip(SKIP_1) | instid1(VALU_DEP_1)
	s_cmp_ge_u32 s19, s5
	s_cselect_b32 s21, -1, 0
	s_cmp_ge_u32 s20, s4
	s_cselect_b32 s20, -1, 0
	s_cmp_eq_u32 s19, s5
	s_cselect_b32 s19, s20, s21
	s_add_u32 s20, s11, 1
	s_addc_u32 s21, s12, 0
	s_add_u32 s22, s11, 2
	s_addc_u32 s23, s12, 0
	s_cmp_lg_u32 s19, 0
	s_cselect_b32 s19, s22, s20
	s_cselect_b32 s20, s23, s21
	s_cmp_lg_u32 s16, 0
	v_readfirstlane_b32 s16, v1
	s_subb_u32 s17, s17, s18
	s_delay_alu instid0(SALU_CYCLE_1) | instskip(SKIP_1) | instid1(VALU_DEP_1)
	s_cmp_ge_u32 s17, s5
	s_cselect_b32 s18, -1, 0
	s_cmp_ge_u32 s16, s4
	s_cselect_b32 s4, -1, 0
	s_cmp_eq_u32 s17, s5
	s_cselect_b32 s4, s4, s18
	s_delay_alu instid0(SALU_CYCLE_1) | instskip(SKIP_3) | instid1(SALU_CYCLE_1)
	s_cmp_lg_u32 s4, 0
	s_cselect_b32 s5, s20, s12
	s_cselect_b32 s4, s19, s11
	s_xor_b64 s[6:7], s[6:7], s[2:3]
	s_xor_b64 s[4:5], s[4:5], s[6:7]
	s_delay_alu instid0(SALU_CYCLE_1)
	s_sub_u32 s16, s4, s6
	s_subb_u32 s17, s5, s7
	s_cbranch_execnz .LBB69_4
.LBB69_3:
	v_cvt_f32_u32_e32 v1, s14
	s_sub_i32 s3, 0, s14
	s_mov_b32 s17, 0
	s_delay_alu instid0(VALU_DEP_1) | instskip(SKIP_2) | instid1(VALU_DEP_1)
	v_rcp_iflag_f32_e32 v1, v1
	s_waitcnt_depctr 0xfff
	v_mul_f32_e32 v1, 0x4f7ffffe, v1
	v_cvt_u32_f32_e32 v1, v1
	s_delay_alu instid0(VALU_DEP_1) | instskip(NEXT) | instid1(VALU_DEP_1)
	v_readfirstlane_b32 s2, v1
	s_mul_i32 s3, s3, s2
	s_delay_alu instid0(SALU_CYCLE_1) | instskip(NEXT) | instid1(SALU_CYCLE_1)
	s_mul_hi_u32 s3, s2, s3
	s_add_i32 s2, s2, s3
	s_delay_alu instid0(SALU_CYCLE_1) | instskip(NEXT) | instid1(SALU_CYCLE_1)
	s_mul_hi_u32 s2, s34, s2
	s_mul_i32 s3, s2, s14
	s_add_i32 s4, s2, 1
	s_sub_i32 s3, s34, s3
	s_delay_alu instid0(SALU_CYCLE_1)
	s_sub_i32 s5, s3, s14
	s_cmp_ge_u32 s3, s14
	s_cselect_b32 s2, s4, s2
	s_cselect_b32 s3, s5, s3
	s_add_i32 s4, s2, 1
	s_cmp_ge_u32 s3, s14
	s_cselect_b32 s16, s4, s2
.LBB69_4:
	s_load_b64 s[44:45], s[0:1], 0x370
	s_mov_b32 s2, 0
	s_mov_b32 s3, s29
	s_delay_alu instid0(SALU_CYCLE_1)
	s_cmp_lg_u64 s[2:3], 0
	s_cbranch_scc0 .LBB69_297
; %bb.5:
	s_ashr_i32 s4, s29, 31
	s_delay_alu instid0(SALU_CYCLE_1) | instskip(SKIP_2) | instid1(SALU_CYCLE_1)
	s_add_u32 s6, s28, s4
	s_mov_b32 s5, s4
	s_addc_u32 s7, s29, s4
	s_xor_b64 s[6:7], s[6:7], s[4:5]
	s_delay_alu instid0(SALU_CYCLE_1) | instskip(SKIP_3) | instid1(VALU_DEP_1)
	v_cvt_f32_u32_e32 v1, s6
	v_cvt_f32_u32_e32 v2, s7
	s_sub_u32 s12, 0, s6
	s_subb_u32 s18, 0, s7
	v_fmamk_f32 v1, v2, 0x4f800000, v1
	s_delay_alu instid0(VALU_DEP_1) | instskip(SKIP_2) | instid1(VALU_DEP_1)
	v_rcp_f32_e32 v1, v1
	s_waitcnt_depctr 0xfff
	v_mul_f32_e32 v1, 0x5f7ffffc, v1
	v_mul_f32_e32 v2, 0x2f800000, v1
	s_delay_alu instid0(VALU_DEP_1) | instskip(NEXT) | instid1(VALU_DEP_1)
	v_trunc_f32_e32 v2, v2
	v_fmamk_f32 v1, v2, 0xcf800000, v1
	v_cvt_u32_f32_e32 v2, v2
	s_delay_alu instid0(VALU_DEP_2) | instskip(NEXT) | instid1(VALU_DEP_2)
	v_cvt_u32_f32_e32 v1, v1
	v_readfirstlane_b32 s3, v2
	s_delay_alu instid0(VALU_DEP_2) | instskip(NEXT) | instid1(VALU_DEP_2)
	v_readfirstlane_b32 s11, v1
	s_mul_i32 s19, s12, s3
	s_delay_alu instid0(VALU_DEP_1)
	s_mul_hi_u32 s21, s12, s11
	s_mul_i32 s20, s18, s11
	s_add_i32 s19, s21, s19
	s_mul_i32 s22, s12, s11
	s_add_i32 s19, s19, s20
	s_mul_hi_u32 s21, s11, s22
	s_mul_hi_u32 s23, s3, s22
	s_mul_i32 s20, s3, s22
	s_mul_hi_u32 s22, s11, s19
	s_mul_i32 s11, s11, s19
	s_mul_hi_u32 s33, s3, s19
	s_add_u32 s11, s21, s11
	s_addc_u32 s21, 0, s22
	s_add_u32 s11, s11, s20
	s_mul_i32 s19, s3, s19
	s_addc_u32 s11, s21, s23
	s_addc_u32 s20, s33, 0
	s_add_u32 s11, s11, s19
	s_addc_u32 s19, 0, s20
	v_add_co_u32 v1, s11, v1, s11
	s_delay_alu instid0(VALU_DEP_1) | instskip(SKIP_1) | instid1(VALU_DEP_1)
	s_cmp_lg_u32 s11, 0
	s_addc_u32 s3, s3, s19
	v_readfirstlane_b32 s11, v1
	s_mul_i32 s19, s12, s3
	s_delay_alu instid0(VALU_DEP_1)
	s_mul_hi_u32 s20, s12, s11
	s_mul_i32 s18, s18, s11
	s_add_i32 s19, s20, s19
	s_mul_i32 s12, s12, s11
	s_add_i32 s19, s19, s18
	s_mul_hi_u32 s20, s3, s12
	s_mul_i32 s21, s3, s12
	s_mul_hi_u32 s12, s11, s12
	s_mul_hi_u32 s22, s11, s19
	s_mul_i32 s11, s11, s19
	s_mul_hi_u32 s18, s3, s19
	s_add_u32 s11, s12, s11
	s_addc_u32 s12, 0, s22
	s_add_u32 s11, s11, s21
	s_mul_i32 s19, s3, s19
	s_addc_u32 s11, s12, s20
	s_addc_u32 s12, s18, 0
	s_add_u32 s11, s11, s19
	s_addc_u32 s12, 0, s12
	v_add_co_u32 v1, s11, v1, s11
	s_delay_alu instid0(VALU_DEP_1) | instskip(SKIP_2) | instid1(VALU_DEP_1)
	s_cmp_lg_u32 s11, 0
	s_addc_u32 s3, s3, s12
	s_ashr_i32 s18, 0, 31
	v_readfirstlane_b32 s11, v1
	s_add_u32 s20, s34, s18
	s_mov_b32 s19, s18
	s_addc_u32 s21, 0, s18
	s_delay_alu instid0(SALU_CYCLE_1) | instskip(NEXT) | instid1(SALU_CYCLE_1)
	s_xor_b64 s[20:21], s[20:21], s[18:19]
	s_mul_i32 s22, s20, s3
	s_mul_hi_u32 s23, s20, s11
	s_mul_hi_u32 s12, s20, s3
	;; [unrolled: 1-line block ×3, first 2 shown]
	s_mul_i32 s11, s21, s11
	s_add_u32 s22, s23, s22
	s_addc_u32 s12, 0, s12
	s_mul_hi_u32 s33, s21, s3
	s_add_u32 s11, s22, s11
	s_mul_i32 s3, s21, s3
	s_addc_u32 s11, s12, s35
	s_addc_u32 s12, s33, 0
	s_add_u32 s3, s11, s3
	s_addc_u32 s11, 0, s12
	s_mul_i32 s33, s6, s3
	s_mul_hi_u32 s12, s6, s3
	s_mul_i32 s23, s6, s11
	v_sub_co_u32 v1, s20, s20, s33
	s_mul_i32 s22, s7, s3
	s_add_i32 s12, s12, s23
	s_delay_alu instid0(SALU_CYCLE_1) | instskip(NEXT) | instid1(VALU_DEP_1)
	s_add_i32 s12, s12, s22
	v_sub_co_u32 v2, s23, v1, s6
	s_sub_i32 s22, s21, s12
	s_cmp_lg_u32 s20, 0
	s_subb_u32 s22, s22, s7
	s_cmp_lg_u32 s23, 0
	v_readfirstlane_b32 s23, v2
	s_subb_u32 s22, s22, 0
	s_delay_alu instid0(SALU_CYCLE_1) | instskip(SKIP_1) | instid1(VALU_DEP_1)
	s_cmp_ge_u32 s22, s7
	s_cselect_b32 s33, -1, 0
	s_cmp_ge_u32 s23, s6
	s_cselect_b32 s23, -1, 0
	s_cmp_eq_u32 s22, s7
	s_cselect_b32 s22, s23, s33
	s_add_u32 s23, s3, 1
	s_addc_u32 s33, s11, 0
	s_add_u32 s35, s3, 2
	s_addc_u32 s36, s11, 0
	s_cmp_lg_u32 s22, 0
	s_cselect_b32 s22, s35, s23
	s_cselect_b32 s23, s36, s33
	s_cmp_lg_u32 s20, 0
	v_readfirstlane_b32 s20, v1
	s_subb_u32 s12, s21, s12
	s_delay_alu instid0(SALU_CYCLE_1) | instskip(SKIP_1) | instid1(VALU_DEP_1)
	s_cmp_ge_u32 s12, s7
	s_cselect_b32 s21, -1, 0
	s_cmp_ge_u32 s20, s6
	s_cselect_b32 s6, -1, 0
	s_cmp_eq_u32 s12, s7
	s_cselect_b32 s6, s6, s21
	s_delay_alu instid0(SALU_CYCLE_1) | instskip(SKIP_3) | instid1(SALU_CYCLE_1)
	s_cmp_lg_u32 s6, 0
	s_cselect_b32 s7, s23, s11
	s_cselect_b32 s6, s22, s3
	s_xor_b64 s[4:5], s[18:19], s[4:5]
	s_xor_b64 s[6:7], s[6:7], s[4:5]
	s_delay_alu instid0(SALU_CYCLE_1)
	s_sub_u32 s46, s6, s4
	s_subb_u32 s47, s7, s5
	s_and_not1_b32 vcc_lo, exec_lo, s2
	s_cbranch_vccnz .LBB69_7
.LBB69_6:
	v_cvt_f32_u32_e32 v1, s28
	s_sub_i32 s3, 0, s28
	s_mov_b32 s47, 0
	s_delay_alu instid0(VALU_DEP_1) | instskip(SKIP_2) | instid1(VALU_DEP_1)
	v_rcp_iflag_f32_e32 v1, v1
	s_waitcnt_depctr 0xfff
	v_mul_f32_e32 v1, 0x4f7ffffe, v1
	v_cvt_u32_f32_e32 v1, v1
	s_delay_alu instid0(VALU_DEP_1) | instskip(NEXT) | instid1(VALU_DEP_1)
	v_readfirstlane_b32 s2, v1
	s_mul_i32 s3, s3, s2
	s_delay_alu instid0(SALU_CYCLE_1) | instskip(NEXT) | instid1(SALU_CYCLE_1)
	s_mul_hi_u32 s3, s2, s3
	s_add_i32 s2, s2, s3
	s_delay_alu instid0(SALU_CYCLE_1) | instskip(NEXT) | instid1(SALU_CYCLE_1)
	s_mul_hi_u32 s2, s34, s2
	s_mul_i32 s3, s2, s28
	s_add_i32 s4, s2, 1
	s_sub_i32 s3, s34, s3
	s_delay_alu instid0(SALU_CYCLE_1)
	s_sub_i32 s5, s3, s28
	s_cmp_ge_u32 s3, s28
	s_cselect_b32 s2, s4, s2
	s_cselect_b32 s3, s5, s3
	s_add_i32 s4, s2, 1
	s_cmp_ge_u32 s3, s28
	s_cselect_b32 s46, s4, s2
.LBB69_7:
	s_mov_b32 s2, 0
	s_waitcnt lgkmcnt(0)
	s_mov_b32 s3, s45
	s_delay_alu instid0(SALU_CYCLE_1)
	s_cmp_lg_u64 s[2:3], 0
	s_cbranch_scc0 .LBB69_298
; %bb.8:
	s_ashr_i32 s4, s45, 31
	s_delay_alu instid0(SALU_CYCLE_1) | instskip(SKIP_2) | instid1(SALU_CYCLE_1)
	s_add_u32 s6, s44, s4
	s_mov_b32 s5, s4
	s_addc_u32 s7, s45, s4
	s_xor_b64 s[6:7], s[6:7], s[4:5]
	s_delay_alu instid0(SALU_CYCLE_1) | instskip(SKIP_3) | instid1(VALU_DEP_1)
	v_cvt_f32_u32_e32 v1, s6
	v_cvt_f32_u32_e32 v2, s7
	s_sub_u32 s12, 0, s6
	s_subb_u32 s18, 0, s7
	v_fmamk_f32 v1, v2, 0x4f800000, v1
	s_delay_alu instid0(VALU_DEP_1) | instskip(SKIP_2) | instid1(VALU_DEP_1)
	v_rcp_f32_e32 v1, v1
	s_waitcnt_depctr 0xfff
	v_mul_f32_e32 v1, 0x5f7ffffc, v1
	v_mul_f32_e32 v2, 0x2f800000, v1
	s_delay_alu instid0(VALU_DEP_1) | instskip(NEXT) | instid1(VALU_DEP_1)
	v_trunc_f32_e32 v2, v2
	v_fmamk_f32 v1, v2, 0xcf800000, v1
	v_cvt_u32_f32_e32 v2, v2
	s_delay_alu instid0(VALU_DEP_2) | instskip(NEXT) | instid1(VALU_DEP_2)
	v_cvt_u32_f32_e32 v1, v1
	v_readfirstlane_b32 s3, v2
	s_delay_alu instid0(VALU_DEP_2) | instskip(NEXT) | instid1(VALU_DEP_2)
	v_readfirstlane_b32 s11, v1
	s_mul_i32 s19, s12, s3
	s_delay_alu instid0(VALU_DEP_1)
	s_mul_hi_u32 s21, s12, s11
	s_mul_i32 s20, s18, s11
	s_add_i32 s19, s21, s19
	s_mul_i32 s22, s12, s11
	s_add_i32 s19, s19, s20
	s_mul_hi_u32 s21, s11, s22
	s_mul_hi_u32 s23, s3, s22
	s_mul_i32 s20, s3, s22
	s_mul_hi_u32 s22, s11, s19
	s_mul_i32 s11, s11, s19
	s_mul_hi_u32 s33, s3, s19
	s_add_u32 s11, s21, s11
	s_addc_u32 s21, 0, s22
	s_add_u32 s11, s11, s20
	s_mul_i32 s19, s3, s19
	s_addc_u32 s11, s21, s23
	s_addc_u32 s20, s33, 0
	s_add_u32 s11, s11, s19
	s_addc_u32 s19, 0, s20
	v_add_co_u32 v1, s11, v1, s11
	s_delay_alu instid0(VALU_DEP_1) | instskip(SKIP_1) | instid1(VALU_DEP_1)
	s_cmp_lg_u32 s11, 0
	s_addc_u32 s3, s3, s19
	v_readfirstlane_b32 s11, v1
	s_mul_i32 s19, s12, s3
	s_delay_alu instid0(VALU_DEP_1)
	s_mul_hi_u32 s20, s12, s11
	s_mul_i32 s18, s18, s11
	s_add_i32 s19, s20, s19
	s_mul_i32 s12, s12, s11
	s_add_i32 s19, s19, s18
	s_mul_hi_u32 s20, s3, s12
	s_mul_i32 s21, s3, s12
	s_mul_hi_u32 s12, s11, s12
	s_mul_hi_u32 s22, s11, s19
	s_mul_i32 s11, s11, s19
	s_mul_hi_u32 s18, s3, s19
	s_add_u32 s11, s12, s11
	s_addc_u32 s12, 0, s22
	s_add_u32 s11, s11, s21
	s_mul_i32 s19, s3, s19
	s_addc_u32 s11, s12, s20
	s_addc_u32 s12, s18, 0
	s_add_u32 s11, s11, s19
	s_addc_u32 s12, 0, s12
	v_add_co_u32 v1, s11, v1, s11
	s_delay_alu instid0(VALU_DEP_1) | instskip(SKIP_2) | instid1(VALU_DEP_1)
	s_cmp_lg_u32 s11, 0
	s_addc_u32 s3, s3, s12
	s_ashr_i32 s18, 0, 31
	v_readfirstlane_b32 s11, v1
	s_add_u32 s20, s34, s18
	s_mov_b32 s19, s18
	s_addc_u32 s21, 0, s18
	s_delay_alu instid0(SALU_CYCLE_1) | instskip(NEXT) | instid1(SALU_CYCLE_1)
	s_xor_b64 s[20:21], s[20:21], s[18:19]
	s_mul_i32 s22, s20, s3
	s_mul_hi_u32 s23, s20, s11
	s_mul_hi_u32 s12, s20, s3
	;; [unrolled: 1-line block ×3, first 2 shown]
	s_mul_i32 s11, s21, s11
	s_add_u32 s22, s23, s22
	s_addc_u32 s12, 0, s12
	s_mul_hi_u32 s33, s21, s3
	s_add_u32 s11, s22, s11
	s_mul_i32 s3, s21, s3
	s_addc_u32 s11, s12, s35
	s_addc_u32 s12, s33, 0
	s_add_u32 s3, s11, s3
	s_addc_u32 s11, 0, s12
	s_mul_i32 s33, s6, s3
	s_mul_hi_u32 s12, s6, s3
	s_mul_i32 s23, s6, s11
	v_sub_co_u32 v1, s20, s20, s33
	s_mul_i32 s22, s7, s3
	s_add_i32 s12, s12, s23
	s_delay_alu instid0(SALU_CYCLE_1) | instskip(NEXT) | instid1(VALU_DEP_1)
	s_add_i32 s12, s12, s22
	v_sub_co_u32 v2, s23, v1, s6
	s_sub_i32 s22, s21, s12
	s_cmp_lg_u32 s20, 0
	s_subb_u32 s22, s22, s7
	s_cmp_lg_u32 s23, 0
	v_readfirstlane_b32 s23, v2
	s_subb_u32 s22, s22, 0
	s_delay_alu instid0(SALU_CYCLE_1) | instskip(SKIP_1) | instid1(VALU_DEP_1)
	s_cmp_ge_u32 s22, s7
	s_cselect_b32 s33, -1, 0
	s_cmp_ge_u32 s23, s6
	s_cselect_b32 s23, -1, 0
	s_cmp_eq_u32 s22, s7
	s_cselect_b32 s22, s23, s33
	s_add_u32 s23, s3, 1
	s_addc_u32 s33, s11, 0
	s_add_u32 s35, s3, 2
	s_addc_u32 s36, s11, 0
	s_cmp_lg_u32 s22, 0
	s_cselect_b32 s22, s35, s23
	s_cselect_b32 s23, s36, s33
	s_cmp_lg_u32 s20, 0
	v_readfirstlane_b32 s20, v1
	s_subb_u32 s12, s21, s12
	s_delay_alu instid0(SALU_CYCLE_1) | instskip(SKIP_1) | instid1(VALU_DEP_1)
	s_cmp_ge_u32 s12, s7
	s_cselect_b32 s21, -1, 0
	s_cmp_ge_u32 s20, s6
	s_cselect_b32 s6, -1, 0
	s_cmp_eq_u32 s12, s7
	s_cselect_b32 s6, s6, s21
	s_delay_alu instid0(SALU_CYCLE_1) | instskip(SKIP_3) | instid1(SALU_CYCLE_1)
	s_cmp_lg_u32 s6, 0
	s_cselect_b32 s7, s23, s11
	s_cselect_b32 s6, s22, s3
	s_xor_b64 s[4:5], s[18:19], s[4:5]
	s_xor_b64 s[6:7], s[6:7], s[4:5]
	s_delay_alu instid0(SALU_CYCLE_1)
	s_sub_u32 s48, s6, s4
	s_subb_u32 s49, s7, s5
	s_load_b64 s[18:19], s[0:1], 0x0
	s_and_not1_b32 vcc_lo, exec_lo, s2
	s_cbranch_vccnz .LBB69_10
.LBB69_9:
	v_cvt_f32_u32_e32 v1, s44
	s_sub_i32 s3, 0, s44
	s_mov_b32 s49, 0
	s_delay_alu instid0(VALU_DEP_1) | instskip(SKIP_2) | instid1(VALU_DEP_1)
	v_rcp_iflag_f32_e32 v1, v1
	s_waitcnt_depctr 0xfff
	v_mul_f32_e32 v1, 0x4f7ffffe, v1
	v_cvt_u32_f32_e32 v1, v1
	s_delay_alu instid0(VALU_DEP_1) | instskip(NEXT) | instid1(VALU_DEP_1)
	v_readfirstlane_b32 s2, v1
	s_mul_i32 s3, s3, s2
	s_delay_alu instid0(SALU_CYCLE_1) | instskip(NEXT) | instid1(SALU_CYCLE_1)
	s_mul_hi_u32 s3, s2, s3
	s_add_i32 s2, s2, s3
	s_delay_alu instid0(SALU_CYCLE_1) | instskip(NEXT) | instid1(SALU_CYCLE_1)
	s_mul_hi_u32 s2, s34, s2
	s_mul_i32 s3, s2, s44
	s_add_i32 s4, s2, 1
	s_sub_i32 s3, s34, s3
	s_delay_alu instid0(SALU_CYCLE_1)
	s_sub_i32 s5, s3, s44
	s_cmp_ge_u32 s3, s44
	s_cselect_b32 s2, s4, s2
	s_cselect_b32 s3, s5, s3
	s_add_i32 s4, s2, 1
	s_cmp_ge_u32 s3, s44
	s_cselect_b32 s48, s4, s2
.LBB69_10:
	s_clause 0x2
	s_load_b64 s[50:51], s[0:1], 0x360
	s_load_b64 s[52:53], s[0:1], 0x1c0
	s_load_b128 s[4:7], s[0:1], 0xd0
	v_cmp_eq_u32_e64 s2, 0, v0
	s_mov_b32 s55, 0
	s_delay_alu instid0(VALU_DEP_1)
	s_and_saveexec_b32 s3, s2
	s_cbranch_execz .LBB69_12
; %bb.11:
	v_dual_mov_b32 v1, 0 :: v_dual_mov_b32 v4, s25
	s_delay_alu instid0(VALU_DEP_1)
	v_dual_mov_b32 v3, s24 :: v_dual_mov_b32 v2, v1
	ds_store_b32 v1, v1 offset:5136
	ds_store_b128 v1, v[1:4] offset:5120
.LBB69_12:
	s_or_b32 exec_lo, exec_lo, s3
	v_mad_u64_u32 v[2:3], null, v0, s30, 0
	s_mul_i32 s3, s16, s15
	s_mul_hi_u32 s11, s16, s14
	v_lshlrev_b32_e32 v35, 3, v0
	s_add_i32 s3, s11, s3
	s_mul_i32 s11, s17, s14
	s_mul_i32 s12, s16, s14
	s_add_i32 s3, s3, s11
	s_sub_u32 s11, s34, s12
	v_dual_mov_b32 v1, v3 :: v_dual_lshlrev_b32 v32, 1, v0
	s_waitcnt lgkmcnt(0)
	s_mul_i32 s7, s11, s7
	s_mul_hi_u32 s12, s11, s6
	v_or_b32_e32 v22, 2, v35
	s_subb_u32 s3, 0, s3
	s_add_i32 s7, s12, s7
	s_mul_i32 s5, s16, s5
	s_mul_hi_u32 s12, s16, s4
	s_mul_i32 s3, s3, s6
	s_add_i32 s12, s12, s5
	s_mul_i32 s14, s17, s4
	v_mad_u64_u32 v[3:4], null, v0, s31, v[1:2]
	v_mad_u64_u32 v[20:21], null, s30, v22, 0
	s_add_i32 s5, s7, s3
	s_add_i32 s15, s12, s14
	s_mul_i32 s14, s16, s4
	s_mul_i32 s4, s11, s6
	s_lshl_b64 s[6:7], s[14:15], 1
	s_lshl_b64 s[4:5], s[4:5], 1
	v_mbcnt_lo_u32_b32 v31, -1, 0
	v_dual_mov_b32 v13, 0 :: v_dual_lshlrev_b32 v14, 2, v0
	v_lshrrev_b32_e32 v6, 3, v0
	s_clause 0x1
	s_load_b128 s[36:39], s[0:1], 0x430
	s_load_b128 s[40:43], s[0:1], 0x290
	s_add_u32 s0, s6, s4
	s_waitcnt lgkmcnt(0)
	s_barrier
	buffer_gl0_inv
	s_load_b32 s4, s[8:9], 0xc
	s_addc_u32 s1, s7, s5
	v_lshlrev_b64 v[4:5], 1, v[2:3]
	s_add_u32 s58, s18, s0
	v_cmp_gt_u32_e32 vcc_lo, 32, v0
	v_cmp_gt_i32_e64 s0, 4, v31
	v_dual_mov_b32 v1, v13 :: v_dual_and_b32 v34, 0x7c, v6
	v_mov_b32_e32 v6, v21
	v_or_b32_e32 v9, 6, v35
	v_or_b32_e32 v12, 4, v35
	s_addc_u32 s59, s19, s1
	s_and_b32 s35, vcc_lo, s0
	v_add_co_u32 v10, vcc_lo, s58, v4
	v_mad_u64_u32 v[16:17], null, s30, v9, 0
	v_mad_u64_u32 v[18:19], null, s30, v12, 0
	v_add_co_ci_u32_e32 v11, vcc_lo, s59, v5, vcc_lo
	v_lshlrev_b64 v[4:5], v31, -1
	v_add_nc_u32_e32 v33, 0xc00, v32
	s_waitcnt lgkmcnt(0)
	s_and_b32 s33, s4, 0xffff
	s_bfe_u32 s5, s4, 0xb0005
	s_delay_alu instid0(VALU_DEP_4)
	v_mov_b32_e32 v5, v19
	s_add_u32 s79, s33, -1
	v_not_b32_e32 v36, v4
	v_mov_b32_e32 v4, v17
	s_addc_u32 s80, 0, -1
	s_add_u32 s81, s79, s24
	s_addc_u32 s61, s80, s25
	s_cmp_lt_u32 s13, s10
	v_mad_u64_u32 v[7:8], null, s31, v9, v[4:5]
	s_cselect_b32 s6, 12, 18
	v_mad_u64_u32 v[8:9], null, s31, v12, v[5:6]
	s_add_u32 s62, s8, s6
	s_addc_u32 s63, s9, 0
	s_add_i32 s6, s5, -1
	s_delay_alu instid0(VALU_DEP_2)
	v_mad_u64_u32 v[4:5], null, s31, v22, v[6:7]
	s_bfe_u32 s82, s33, 0x30005
	s_cmp_gt_u32 s6, 6
	v_add_co_u32 v38, s6, s24, v0
	s_cselect_b32 s83, -1, 0
	s_and_b32 s84, s5, 0x7f8
	v_cmp_lt_i64_e64 s78, 0x600, s[24:25]
	v_cmp_gt_i64_e64 s0, s[24:25], v[0:1]
	s_cmp_lg_u32 s82, 0
	v_cmp_gt_u16_e64 s85, s4, 31
	v_lshlrev_b64 v[21:22], 3, v[2:3]
	s_mul_i32 s4, s31, s33
	s_mul_hi_u32 s5, s30, s33
	v_cmp_eq_u32_e64 s1, 0, v31
	v_cmp_gt_u32_e64 s3, 2, v0
	v_mov_b32_e32 v15, v13
	v_mov_b32_e32 v17, v7
	;; [unrolled: 1-line block ×4, first 2 shown]
	v_add_co_ci_u32_e64 v39, null, s25, 0, s6
	v_lshl_or_b32 v40, v31, 3, 0xc00
	v_mov_b32_e32 v41, 0x8000
	v_cvt_f32_ubyte0_e32 v42, 0
	v_mov_b32_e32 v43, 0
	s_cselect_b32 s86, -1, 0
	s_add_i32 s5, s5, s4
	s_mul_i32 s4, s30, s33
	s_lshl_b64 s[64:65], s[30:31], 1
	s_lshl_b64 s[66:67], s[30:31], 3
	;; [unrolled: 1-line block ×3, first 2 shown]
	s_lshl_b32 s87, s33, 1
	s_mov_b32 s92, 14
	s_movk_i32 s88, 0x3f80
	s_mov_b32 s89, 0
	s_mov_b32 s94, 0
	;; [unrolled: 1-line block ×4, first 2 shown]
                                        ; implicit-def: $sgpr90
                                        ; implicit-def: $sgpr93
                                        ; implicit-def: $sgpr91
                                        ; implicit-def: $sgpr96
                                        ; implicit-def: $sgpr97
                                        ; implicit-def: $sgpr95
	s_branch .LBB69_17
.LBB69_13:                              ;   in Loop: Header=BB69_17 Depth=1
	s_xor_b32 s94, s94, 1
	s_add_i32 s7, s92, -2
	s_cmp_eq_u32 s92, 0
	s_mov_b32 s5, 0
	s_cselect_b32 s6, -1, 0
	s_mov_b32 s92, s7
.LBB69_14:                              ;   in Loop: Header=BB69_17 Depth=1
	s_and_not1_b32 s7, s20, exec_lo
	s_and_b32 s5, s5, exec_lo
	s_and_not1_b32 s21, s21, exec_lo
	s_or_b32 s20, s7, s5
	s_and_not1_b32 s19, s19, exec_lo
	s_or_not1_b32 s15, s6, exec_lo
.LBB69_15:                              ;   in Loop: Header=BB69_17 Depth=1
	s_or_b32 exec_lo, exec_lo, s4
	s_delay_alu instid0(SALU_CYCLE_1)
	s_and_not1_b32 s4, s95, exec_lo
	s_and_b32 s5, s20, exec_lo
	s_and_not1_b32 s6, s96, exec_lo
	s_or_b32 s95, s4, s5
	s_and_not1_b32 s4, s97, exec_lo
	s_and_b32 s5, s21, exec_lo
	s_and_b32 s7, s19, exec_lo
	s_or_b32 s97, s4, s5
	s_or_b32 s96, s6, s7
	s_or_not1_b32 s19, s15, exec_lo
.LBB69_16:                              ;   in Loop: Header=BB69_17 Depth=1
	s_or_b32 exec_lo, exec_lo, s14
	s_delay_alu instid0(SALU_CYCLE_1)
	s_and_b32 s4, exec_lo, s19
	v_mov_b32_e32 v2, s99
	s_or_b32 s89, s4, s89
	s_and_not1_b32 s4, s91, exec_lo
	s_and_b32 s5, s95, exec_lo
	s_and_not1_b32 s6, s90, exec_lo
	s_or_b32 s91, s4, s5
	s_and_not1_b32 s4, s93, exec_lo
	s_and_b32 s5, s97, exec_lo
	s_and_b32 s7, s96, exec_lo
	s_or_b32 s93, s4, s5
	s_or_b32 s90, s6, s7
	s_and_not1_b32 exec_lo, exec_lo, s89
	s_cbranch_execz .LBB69_283
.LBB69_17:                              ; =>This Loop Header: Depth=1
                                        ;     Child Loop BB69_22 Depth 2
                                        ;     Child Loop BB69_41 Depth 2
	;; [unrolled: 1-line block ×16, first 2 shown]
	ds_load_b128 v[2:5], v13 offset:5120
	s_waitcnt lgkmcnt(0)
	v_readfirstlane_b32 s69, v3
	v_readfirstlane_b32 s68, v2
	s_delay_alu instid0(VALU_DEP_1) | instskip(NEXT) | instid1(VALU_DEP_1)
	v_cmp_gt_i64_e64 s4, s[68:69], 0
	s_and_b32 vcc_lo, exec_lo, s4
	s_cbranch_vccnz .LBB69_48
; %bb.18:                               ;   in Loop: Header=BB69_17 Depth=1
	s_and_b32 vcc_lo, exec_lo, s78
	s_cbranch_vccz .LBB69_30
; %bb.19:                               ;   in Loop: Header=BB69_17 Depth=1
	v_cmp_gt_i64_e32 vcc_lo, 0x601, v[4:5]
	s_mov_b32 s6, 0
	s_mov_b32 s4, 0
	s_cbranch_vccz .LBB69_35
; %bb.20:                               ;   in Loop: Header=BB69_17 Depth=1
	global_load_u16 v6, v13, s[62:63]
	global_load_u16 v7, v[10:11], off
	s_mov_b32 s8, 0
	s_waitcnt vmcnt(1)
	v_readfirstlane_b32 s4, v6
	v_and_b32_e32 v6, 0xffff, v6
	s_delay_alu instid0(VALU_DEP_2) | instskip(NEXT) | instid1(SALU_CYCLE_1)
	s_and_b32 s4, 0xffff, s4
	v_add_nc_u32_e32 v8, s4, v0
	s_mul_i32 s5, s65, s4
	s_mul_hi_u32 s7, s64, s4
	s_mul_i32 s9, s64, s4
	s_add_i32 s7, s7, s5
	v_mad_u64_u32 v[2:3], null, s64, v8, s[58:59]
	s_delay_alu instid0(VALU_DEP_1) | instskip(NEXT) | instid1(VALU_DEP_1)
	v_mad_u64_u32 v[4:5], null, s65, v8, v[3:4]
	v_mov_b32_e32 v3, v4
	v_dual_mov_b32 v5, v1 :: v_dual_mov_b32 v4, v0
	s_branch .LBB69_22
.LBB69_21:                              ;   in Loop: Header=BB69_22 Depth=2
	s_or_b32 exec_lo, exec_lo, s5
	v_add_co_u32 v2, vcc_lo, v2, s9
	v_add_co_ci_u32_e32 v3, vcc_lo, s7, v3, vcc_lo
	v_mov_b32_e32 v7, v8
	s_and_not1_b32 exec_lo, exec_lo, s8
	s_cbranch_execz .LBB69_31
.LBB69_22:                              ;   Parent Loop BB69_17 Depth=1
                                        ; =>  This Inner Loop Header: Depth=2
	s_delay_alu instid0(VALU_DEP_1) | instskip(NEXT) | instid1(VALU_DEP_2)
	v_add_co_u32 v4, vcc_lo, v4, v6
	v_add_co_ci_u32_e32 v5, vcc_lo, 0, v5, vcc_lo
	s_waitcnt lgkmcnt(0)
	v_dual_mov_b32 v9, 0 :: v_dual_mov_b32 v8, 0
	s_mov_b32 s5, exec_lo
	s_delay_alu instid0(VALU_DEP_2)
	v_cmp_le_i64_e32 vcc_lo, s[24:25], v[4:5]
	v_cmpx_gt_i64_e64 s[24:25], v[4:5]
	s_cbranch_execz .LBB69_24
; %bb.23:                               ;   in Loop: Header=BB69_22 Depth=2
	global_load_u16 v8, v[2:3], off
.LBB69_24:                              ;   in Loop: Header=BB69_22 Depth=2
	s_or_b32 exec_lo, exec_lo, s5
	s_waitcnt vmcnt(0)
	v_cmp_lt_i16_e64 s4, -1, v7
	v_and_b32_e32 v12, 0xffff, v7
	v_lshlrev_b32_e32 v24, 16, v7
	s_delay_alu instid0(VALU_DEP_3) | instskip(NEXT) | instid1(VALU_DEP_2)
	v_cndmask_b32_e64 v23, 0xffff, v41, s4
	v_cmp_o_f32_e64 s4, v24, v24
	s_delay_alu instid0(VALU_DEP_2) | instskip(NEXT) | instid1(VALU_DEP_1)
	v_xor_b32_e32 v12, v23, v12
	v_cndmask_b32_e64 v12, 0xffff, v12, s4
	s_delay_alu instid0(VALU_DEP_1) | instskip(NEXT) | instid1(VALU_DEP_1)
	v_and_b32_e32 v12, s98, v12
	v_cmp_eq_u32_e64 s4, s99, v12
	s_delay_alu instid0(VALU_DEP_1) | instskip(SKIP_1) | instid1(SALU_CYCLE_1)
	s_cmp_lg_u32 s4, 0
	s_cselect_b32 s5, -1, 0
	s_and_b32 s5, s1, s5
	s_delay_alu instid0(SALU_CYCLE_1)
	s_and_saveexec_b32 s10, s5
	s_cbranch_execz .LBB69_28
; %bb.25:                               ;   in Loop: Header=BB69_22 Depth=2
	s_mov_b32 s13, exec_lo
	s_bcnt1_i32_b32 s11, s4
	v_mbcnt_lo_u32_b32 v9, s13, 0
	s_mov_b32 s12, exec_lo
                                        ; implicit-def: $vgpr12
	s_delay_alu instid0(VALU_DEP_1)
	v_cmpx_eq_u32_e32 0, v9
	s_cbranch_execz .LBB69_27
; %bb.26:                               ;   in Loop: Header=BB69_22 Depth=2
	s_bcnt1_i32_b32 s5, s13
	s_delay_alu instid0(SALU_CYCLE_1) | instskip(NEXT) | instid1(SALU_CYCLE_1)
	s_mul_i32 s5, s11, s5
	v_mov_b32_e32 v12, s5
	ds_add_rtn_u32 v12, v13, v12 offset:5136
.LBB69_27:                              ;   in Loop: Header=BB69_22 Depth=2
	s_or_b32 exec_lo, exec_lo, s12
	s_waitcnt lgkmcnt(0)
	v_readfirstlane_b32 s5, v12
	s_delay_alu instid0(VALU_DEP_1)
	v_mad_u32_u24 v9, s11, v9, s5
.LBB69_28:                              ;   in Loop: Header=BB69_22 Depth=2
	s_or_b32 exec_lo, exec_lo, s10
	ds_bpermute_b32 v9, v13, v9
	s_and_b32 s5, exec_lo, vcc_lo
	s_delay_alu instid0(SALU_CYCLE_1)
	s_or_b32 s8, s5, s8
	s_and_saveexec_b32 s5, s4
	s_cbranch_execz .LBB69_21
; %bb.29:                               ;   in Loop: Header=BB69_22 Depth=2
	v_and_b32_e32 v12, s4, v36
	s_delay_alu instid0(VALU_DEP_1) | instskip(NEXT) | instid1(VALU_DEP_1)
	v_bcnt_u32_b32 v12, v12, 0
	v_lshlrev_b32_e32 v12, 1, v12
	s_waitcnt lgkmcnt(0)
	s_delay_alu instid0(VALU_DEP_1)
	v_lshl_add_u32 v9, v9, 1, v12
	ds_store_b16 v9, v7
	s_branch .LBB69_21
.LBB69_30:                              ;   in Loop: Header=BB69_17 Depth=1
	s_mov_b32 s6, -1
	s_mov_b32 s4, 0
	s_branch .LBB69_34
.LBB69_31:                              ;   in Loop: Header=BB69_17 Depth=1
	s_or_b32 exec_lo, exec_lo, s8
	s_waitcnt lgkmcnt(0)
	s_barrier
	buffer_gl0_inv
	s_and_saveexec_b32 s4, s2
	s_cbranch_execz .LBB69_33
; %bb.32:                               ;   in Loop: Header=BB69_17 Depth=1
	ds_load_b32 v2, v13 offset:5136
	s_waitcnt lgkmcnt(0)
	v_ashrrev_i32_e32 v3, 31, v2
	ds_store_b64 v13, v[2:3] offset:5120
.LBB69_33:                              ;   in Loop: Header=BB69_17 Depth=1
	s_or_b32 exec_lo, exec_lo, s4
	s_waitcnt lgkmcnt(0)
	s_mov_b32 s4, -1
	s_barrier
.LBB69_34:                              ;   in Loop: Header=BB69_17 Depth=1
                                        ; implicit-def: $sgpr68_sgpr69
.LBB69_35:                              ;   in Loop: Header=BB69_17 Depth=1
	s_and_b32 vcc_lo, exec_lo, s6
	s_cbranch_vccz .LBB69_46
; %bb.36:                               ;   in Loop: Header=BB69_17 Depth=1
	v_mov_b32_e32 v6, 0
	s_and_saveexec_b32 s4, s0
	s_cbranch_execz .LBB69_38
; %bb.37:                               ;   in Loop: Header=BB69_17 Depth=1
	global_load_u16 v6, v[10:11], off
.LBB69_38:                              ;   in Loop: Header=BB69_17 Depth=1
	s_or_b32 exec_lo, exec_lo, s4
	s_and_saveexec_b32 s5, s0
	s_cbranch_execz .LBB69_43
; %bb.39:                               ;   in Loop: Header=BB69_17 Depth=1
	global_load_u16 v8, v13, s[62:63]
	s_mov_b32 s9, 0
	s_waitcnt vmcnt(0)
	v_readfirstlane_b32 s4, v8
	v_and_b32_e32 v8, 0xffff, v8
	s_delay_alu instid0(VALU_DEP_2) | instskip(NEXT) | instid1(SALU_CYCLE_1)
	s_and_b32 s4, 0xffff, s4
	v_add_nc_u32_e32 v7, s4, v0
	s_mul_i32 s7, s65, s4
	s_mul_hi_u32 s8, s64, s4
	s_lshl_b32 s6, s4, 1
	s_add_i32 s7, s8, s7
	v_mad_u64_u32 v[2:3], null, s64, v7, s[58:59]
	s_mul_i32 s8, s64, s4
	s_delay_alu instid0(VALU_DEP_1) | instskip(SKIP_1) | instid1(VALU_DEP_2)
	v_mad_u64_u32 v[4:5], null, s65, v7, v[3:4]
	v_mov_b32_e32 v7, v32
	v_mov_b32_e32 v3, v4
	v_dual_mov_b32 v5, v1 :: v_dual_mov_b32 v4, v0
	s_branch .LBB69_41
	.p2align	6
.LBB69_40:                              ;   in Loop: Header=BB69_41 Depth=2
	s_or_b32 exec_lo, exec_lo, s10
	s_delay_alu instid0(SALU_CYCLE_1)
	s_and_b32 s4, exec_lo, vcc_lo
	v_add_co_u32 v2, vcc_lo, v2, s8
	ds_store_b16 v7, v6
	s_waitcnt vmcnt(0)
	v_dual_mov_b32 v6, v9 :: v_dual_add_nc_u32 v7, s6, v7
	v_add_co_ci_u32_e32 v3, vcc_lo, s7, v3, vcc_lo
	s_or_b32 s9, s4, s9
	s_delay_alu instid0(SALU_CYCLE_1)
	s_and_not1_b32 exec_lo, exec_lo, s9
	s_cbranch_execz .LBB69_43
.LBB69_41:                              ;   Parent Loop BB69_17 Depth=1
                                        ; =>  This Inner Loop Header: Depth=2
	s_delay_alu instid0(VALU_DEP_1) | instskip(NEXT) | instid1(VALU_DEP_2)
	v_add_co_u32 v4, vcc_lo, v4, v8
	v_add_co_ci_u32_e32 v5, vcc_lo, 0, v5, vcc_lo
	v_mov_b32_e32 v9, 0
	s_mov_b32 s10, exec_lo
	s_delay_alu instid0(VALU_DEP_2)
	v_cmp_le_i64_e32 vcc_lo, s[24:25], v[4:5]
	v_cmpx_gt_i64_e64 s[24:25], v[4:5]
	s_cbranch_execz .LBB69_40
; %bb.42:                               ;   in Loop: Header=BB69_41 Depth=2
	global_load_u16 v9, v[2:3], off
	s_branch .LBB69_40
.LBB69_43:                              ;   in Loop: Header=BB69_17 Depth=1
	s_or_b32 exec_lo, exec_lo, s5
	s_waitcnt vmcnt(0) lgkmcnt(0)
	s_barrier
	buffer_gl0_inv
	s_and_saveexec_b32 s4, s2
	s_cbranch_execz .LBB69_45
; %bb.44:                               ;   in Loop: Header=BB69_17 Depth=1
	v_dual_mov_b32 v2, s24 :: v_dual_mov_b32 v3, s25
	ds_store_b64 v13, v[2:3] offset:5120
.LBB69_45:                              ;   in Loop: Header=BB69_17 Depth=1
	s_or_b32 exec_lo, exec_lo, s4
	s_mov_b32 s4, -1
	s_waitcnt lgkmcnt(0)
	s_barrier
                                        ; implicit-def: $sgpr68_sgpr69
.LBB69_46:                              ;   in Loop: Header=BB69_17 Depth=1
	s_and_b32 vcc_lo, exec_lo, s4
	s_cbranch_vccz .LBB69_48
; %bb.47:                               ;   in Loop: Header=BB69_17 Depth=1
	buffer_gl0_inv
	ds_load_b64 v[2:3], v13 offset:5120
	s_waitcnt lgkmcnt(0)
	v_readfirstlane_b32 s68, v2
.LBB69_48:                              ;   in Loop: Header=BB69_17 Depth=1
	s_delay_alu instid0(VALU_DEP_1)
	s_cmp_lt_i32 s68, 1
	s_cbranch_scc0 .LBB69_63
; %bb.49:                               ;   in Loop: Header=BB69_17 Depth=1
	global_load_u16 v4, v13, s[62:63]
	s_mov_b32 s5, s25
	s_waitcnt vmcnt(0)
	v_readfirstlane_b32 s4, v4
	s_delay_alu instid0(VALU_DEP_1)
	s_and_b32 s6, 0xffff, s4
	s_mov_b32 s4, s55
	s_lshl_b32 s54, s6, 2
	s_cmp_lg_u64 s[4:5], 0
	s_cbranch_scc0 .LBB69_83
; %bb.50:                               ;   in Loop: Header=BB69_17 Depth=1
	v_cvt_f32_u32_e32 v2, s54
	s_sub_u32 s6, 0, s54
	s_subb_u32 s7, 0, 0
	s_delay_alu instid0(VALU_DEP_1) | instskip(NEXT) | instid1(VALU_DEP_1)
	v_fmac_f32_e32 v2, 0x4f800000, v42
	v_rcp_f32_e32 v2, v2
	s_waitcnt_depctr 0xfff
	v_mul_f32_e32 v2, 0x5f7ffffc, v2
	s_delay_alu instid0(VALU_DEP_1) | instskip(NEXT) | instid1(VALU_DEP_1)
	v_mul_f32_e32 v3, 0x2f800000, v2
	v_trunc_f32_e32 v3, v3
	s_delay_alu instid0(VALU_DEP_1) | instskip(SKIP_1) | instid1(VALU_DEP_2)
	v_fmac_f32_e32 v2, 0xcf800000, v3
	v_cvt_u32_f32_e32 v3, v3
	v_cvt_u32_f32_e32 v2, v2
	s_delay_alu instid0(VALU_DEP_2) | instskip(NEXT) | instid1(VALU_DEP_2)
	v_readfirstlane_b32 s4, v3
	v_readfirstlane_b32 s5, v2
	s_delay_alu instid0(VALU_DEP_2) | instskip(NEXT) | instid1(VALU_DEP_1)
	s_mul_i32 s8, s6, s4
	s_mul_hi_u32 s10, s6, s5
	s_mul_i32 s9, s7, s5
	s_add_i32 s8, s10, s8
	s_mul_i32 s11, s6, s5
	s_add_i32 s8, s8, s9
	s_mul_hi_u32 s10, s5, s11
	s_mul_hi_u32 s12, s4, s11
	s_mul_i32 s9, s4, s11
	s_mul_hi_u32 s11, s5, s8
	s_mul_i32 s5, s5, s8
	s_mul_hi_u32 s13, s4, s8
	s_add_u32 s5, s10, s5
	s_addc_u32 s10, 0, s11
	s_add_u32 s5, s5, s9
	s_mul_i32 s8, s4, s8
	s_addc_u32 s5, s10, s12
	s_addc_u32 s9, s13, 0
	s_add_u32 s5, s5, s8
	s_addc_u32 s8, 0, s9
	v_add_co_u32 v2, s5, v2, s5
	s_delay_alu instid0(VALU_DEP_1) | instskip(SKIP_1) | instid1(VALU_DEP_1)
	s_cmp_lg_u32 s5, 0
	s_addc_u32 s4, s4, s8
	v_readfirstlane_b32 s5, v2
	s_mul_i32 s8, s6, s4
	s_delay_alu instid0(VALU_DEP_1)
	s_mul_hi_u32 s9, s6, s5
	s_mul_i32 s7, s7, s5
	s_add_i32 s8, s9, s8
	s_mul_i32 s6, s6, s5
	s_add_i32 s8, s8, s7
	s_mul_hi_u32 s9, s4, s6
	s_mul_i32 s10, s4, s6
	s_mul_hi_u32 s6, s5, s6
	s_mul_hi_u32 s11, s5, s8
	s_mul_i32 s5, s5, s8
	s_mul_hi_u32 s7, s4, s8
	s_add_u32 s5, s6, s5
	s_addc_u32 s6, 0, s11
	s_add_u32 s5, s5, s10
	s_mul_i32 s8, s4, s8
	s_addc_u32 s5, s6, s9
	s_addc_u32 s6, s7, 0
	s_add_u32 s5, s5, s8
	s_addc_u32 s6, 0, s6
	v_add_co_u32 v2, s5, v2, s5
	s_delay_alu instid0(VALU_DEP_1) | instskip(SKIP_2) | instid1(VALU_DEP_1)
	s_cmp_lg_u32 s5, 0
	s_addc_u32 s8, s4, s6
	s_ashr_i32 s6, s25, 31
	v_readfirstlane_b32 s9, v2
	s_add_u32 s4, s24, s6
	s_mov_b32 s7, s6
	s_addc_u32 s5, s25, s6
	s_delay_alu instid0(SALU_CYCLE_1) | instskip(NEXT) | instid1(SALU_CYCLE_1)
	s_xor_b64 s[4:5], s[4:5], s[6:7]
	s_mul_i32 s10, s4, s8
	s_mul_hi_u32 s11, s4, s9
	s_mul_hi_u32 s7, s4, s8
	;; [unrolled: 1-line block ×3, first 2 shown]
	s_mul_i32 s9, s5, s9
	s_add_u32 s10, s11, s10
	s_addc_u32 s7, 0, s7
	s_mul_hi_u32 s12, s5, s8
	s_add_u32 s9, s10, s9
	s_mul_i32 s8, s5, s8
	s_addc_u32 s7, s7, s13
	s_addc_u32 s9, s12, 0
	s_add_u32 s7, s7, s8
	s_addc_u32 s8, 0, s9
	s_mul_hi_u32 s9, s54, s7
	s_mul_i32 s7, s54, s7
	s_mul_i32 s8, s54, s8
	v_sub_co_u32 v2, s4, s4, s7
	s_add_i32 s9, s9, s8
	s_cmp_lg_u32 s4, 0
	s_delay_alu instid0(VALU_DEP_1) | instskip(SKIP_2) | instid1(VALU_DEP_1)
	v_sub_co_u32 v3, s4, v2, s54
	s_subb_u32 s5, s5, s9
	s_cmp_lg_u32 s4, 0
	v_cmp_le_u32_e32 vcc_lo, s54, v3
	v_sub_co_u32 v5, s4, v3, s54
	s_subb_u32 s7, s5, 0
	s_cmp_lg_u32 s4, 0
	v_cndmask_b32_e64 v6, 0, -1, vcc_lo
	s_subb_u32 s4, s7, 0
	s_cmp_eq_u32 s7, 0
	v_mov_b32_e32 v8, s4
	s_cselect_b32 vcc_lo, -1, 0
	s_cmp_eq_u32 s5, 0
	v_cndmask_b32_e32 v6, -1, v6, vcc_lo
	v_cmp_le_u32_e32 vcc_lo, s54, v2
	s_cselect_b32 s4, -1, 0
	v_cndmask_b32_e64 v7, 0, -1, vcc_lo
	s_delay_alu instid0(VALU_DEP_3) | instskip(NEXT) | instid1(VALU_DEP_2)
	v_cmp_ne_u32_e32 vcc_lo, 0, v6
	v_cndmask_b32_e64 v6, -1, v7, s4
	v_cndmask_b32_e32 v7, s7, v8, vcc_lo
	v_cndmask_b32_e32 v3, v3, v5, vcc_lo
	s_delay_alu instid0(VALU_DEP_3) | instskip(NEXT) | instid1(VALU_DEP_2)
	v_cmp_ne_u32_e32 vcc_lo, 0, v6
	v_cndmask_b32_e32 v2, v2, v3, vcc_lo
	s_delay_alu instid0(VALU_DEP_4) | instskip(NEXT) | instid1(VALU_DEP_2)
	v_cndmask_b32_e32 v5, s5, v7, vcc_lo
	v_xor_b32_e32 v2, s6, v2
	s_delay_alu instid0(VALU_DEP_2) | instskip(NEXT) | instid1(VALU_DEP_2)
	v_xor_b32_e32 v3, s6, v5
	v_sub_co_u32 v23, vcc_lo, v2, s6
	s_delay_alu instid0(VALU_DEP_2)
	v_subrev_co_ci_u32_e32 v24, vcc_lo, s6, v3, vcc_lo
	s_cbranch_execnz .LBB69_52
.LBB69_51:                              ;   in Loop: Header=BB69_17 Depth=1
	v_cvt_f32_u32_e32 v2, s54
	s_sub_i32 s4, 0, s54
	s_delay_alu instid0(VALU_DEP_1) | instskip(SKIP_2) | instid1(VALU_DEP_1)
	v_rcp_iflag_f32_e32 v2, v2
	s_waitcnt_depctr 0xfff
	v_mul_f32_e32 v2, 0x4f7ffffe, v2
	v_cvt_u32_f32_e32 v2, v2
	s_delay_alu instid0(VALU_DEP_1) | instskip(NEXT) | instid1(VALU_DEP_1)
	v_mul_lo_u32 v3, s4, v2
	v_mul_hi_u32 v3, v2, v3
	s_delay_alu instid0(VALU_DEP_1) | instskip(NEXT) | instid1(VALU_DEP_1)
	v_add_nc_u32_e32 v2, v2, v3
	v_mul_hi_u32 v2, s24, v2
	s_delay_alu instid0(VALU_DEP_1) | instskip(NEXT) | instid1(VALU_DEP_1)
	v_mul_lo_u32 v2, v2, s54
	v_sub_nc_u32_e32 v2, s24, v2
	s_delay_alu instid0(VALU_DEP_1) | instskip(SKIP_1) | instid1(VALU_DEP_2)
	v_subrev_nc_u32_e32 v3, s54, v2
	v_cmp_le_u32_e32 vcc_lo, s54, v2
	v_cndmask_b32_e32 v2, v2, v3, vcc_lo
	s_delay_alu instid0(VALU_DEP_1) | instskip(SKIP_1) | instid1(VALU_DEP_2)
	v_subrev_nc_u32_e32 v3, s54, v2
	v_cmp_le_u32_e32 vcc_lo, s54, v2
	v_cndmask_b32_e32 v12, v2, v3, vcc_lo
	s_delay_alu instid0(VALU_DEP_1)
	v_dual_mov_b32 v24, v13 :: v_dual_mov_b32 v23, v12
.LBB69_52:                              ;   in Loop: Header=BB69_17 Depth=1
	v_mov_b32_e32 v2, 0
	v_dual_mov_b32 v3, 0 :: v_dual_and_b32 v12, 0xffff, v4
	s_delay_alu instid0(VALU_DEP_3) | instskip(NEXT) | instid1(VALU_DEP_4)
	v_sub_co_u32 v25, vcc_lo, s24, v23
	v_sub_co_ci_u32_e32 v26, vcc_lo, s25, v24, vcc_lo
	s_delay_alu instid0(VALU_DEP_3)
	v_dual_mov_b32 v5, v3 :: v_dual_mov_b32 v4, v2
	v_dual_mov_b32 v7, v3 :: v_dual_mov_b32 v6, v2
	;; [unrolled: 1-line block ×3, first 2 shown]
	s_mov_b64 s[70:71], 0
	s_mov_b32 s60, exec_lo
	v_cmpx_gt_i64_e64 v[25:26], v[14:15]
	s_cbranch_execz .LBB69_56
; %bb.53:                               ;   in Loop: Header=BB69_17 Depth=1
	v_mul_lo_u32 v2, s67, v12
	v_mul_hi_u32 v3, s66, v12
	v_mul_lo_u32 v44, s66, v12
	v_dual_mov_b32 v27, s58 :: v_dual_mov_b32 v28, s59
	v_dual_mov_b32 v30, v15 :: v_dual_mov_b32 v29, v14
	s_and_b32 s69, s92, 0xfe
	s_mov_b32 s100, 0
	s_delay_alu instid0(VALU_DEP_4)
	v_add_nc_u32_e32 v45, v3, v2
	s_mov_b64 s[72:73], 0
	s_mov_b64 s[74:75], 0
	;; [unrolled: 1-line block ×3, first 2 shown]
.LBB69_54:                              ;   Parent Loop BB69_17 Depth=1
                                        ; =>  This Inner Loop Header: Depth=2
	v_add_co_u32 v2, vcc_lo, v27, v21
	v_add_co_ci_u32_e32 v3, vcc_lo, v28, v22, vcc_lo
	v_add_co_u32 v4, vcc_lo, v27, v20
	v_add_co_ci_u32_e32 v5, vcc_lo, v28, v37, vcc_lo
	;; [unrolled: 2-line block ×4, first 2 shown]
	s_clause 0x3
	global_load_u16 v2, v[2:3], off
	global_load_u16 v3, v[4:5], off
	;; [unrolled: 1-line block ×4, first 2 shown]
	v_add_co_u32 v29, vcc_lo, v29, s54
	v_add_co_ci_u32_e32 v30, vcc_lo, 0, v30, vcc_lo
	v_add_co_u32 v27, vcc_lo, v27, v44
	v_add_co_ci_u32_e32 v28, vcc_lo, v28, v45, vcc_lo
	s_delay_alu instid0(VALU_DEP_3)
	v_cmp_ge_i64_e32 vcc_lo, v[29:30], v[25:26]
	s_waitcnt vmcnt(3)
	v_cmp_lt_i16_e64 s4, -1, v2
	v_and_b32_e32 v6, 0xffff, v2
	v_lshlrev_b32_e32 v2, 16, v2
	s_waitcnt vmcnt(2)
	v_and_b32_e32 v8, 0xffff, v3
	s_waitcnt vmcnt(1)
	v_and_b32_e32 v46, 0xffff, v4
	v_cndmask_b32_e64 v7, 0xffff, v41, s4
	v_cmp_lt_i16_e64 s4, -1, v3
	v_lshlrev_b32_e32 v3, 16, v3
	v_cmp_o_f32_e64 s7, v2, v2
	s_waitcnt vmcnt(0)
	v_and_b32_e32 v48, 0xffff, v5
	v_xor_b32_e32 v6, v7, v6
	v_cndmask_b32_e64 v9, 0xffff, v41, s4
	v_cmp_lt_i16_e64 s4, -1, v4
	v_lshlrev_b32_e32 v4, 16, v4
	s_delay_alu instid0(VALU_DEP_4) | instskip(NEXT) | instid1(VALU_DEP_4)
	v_cndmask_b32_e64 v2, 0xffff, v6, s7
	v_xor_b32_e32 v7, v9, v8
	s_delay_alu instid0(VALU_DEP_4)
	v_cndmask_b32_e64 v47, 0xffff, v41, s4
	v_cmp_lt_i16_e64 s4, -1, v5
	v_lshlrev_b32_e32 v5, 16, v5
	v_cmp_o_f32_e64 s5, v4, v4
	v_and_b32_e32 v6, s98, v2
	v_bfe_u32 v2, v2, s69, 2
	v_cndmask_b32_e64 v49, 0xffff, v41, s4
	v_cmp_o_f32_e64 s4, v3, v3
	v_xor_b32_e32 v3, v47, v46
	v_cmp_o_f32_e64 s6, v5, v5
	v_cmp_eq_u32_e64 s8, 0, v2
	v_xor_b32_e32 v4, v49, v48
	v_cndmask_b32_e64 v5, 0xffff, v7, s4
	v_cndmask_b32_e64 v3, 0xffff, v3, s5
	v_cmp_eq_u32_e64 s4, s99, v6
	v_cmp_eq_u32_e64 s12, 1, v2
	v_cndmask_b32_e64 v4, 0xffff, v4, s6
	v_and_b32_e32 v7, s98, v5
	v_bfe_u32 v5, v5, s69, 2
	v_and_b32_e32 v8, s98, v3
	v_bfe_u32 v3, v3, s69, 2
	;; [unrolled: 2-line block ×3, first 2 shown]
	v_cmp_eq_u32_e64 s5, s99, v7
	v_cmp_eq_u32_e64 s9, 0, v5
	;; [unrolled: 1-line block ×4, first 2 shown]
	s_and_b32 s8, s4, s8
	v_cmp_eq_u32_e64 s7, s99, v9
	v_cmp_eq_u32_e64 s11, 0, v4
	;; [unrolled: 1-line block ×4, first 2 shown]
	v_cndmask_b32_e64 v2, 0, 1, s8
	s_and_b32 s8, s5, s9
	v_cmp_eq_u32_e64 s14, 1, v3
	v_cmp_eq_u32_e64 s18, 2, v3
	v_cmp_eq_u32_e64 s22, 3, v3
	v_cndmask_b32_e64 v3, 0, 1, s8
	s_and_b32 s8, s6, s10
	v_cmp_eq_u32_e64 s15, 1, v4
	v_cmp_eq_u32_e64 s19, 2, v4
	v_cmp_eq_u32_e64 s23, 3, v4
	;; [unrolled: 5-line block ×3, first 2 shown]
	v_cndmask_b32_e64 v5, 0, 1, s8
	v_cmp_ne_u32_e64 s8, 0, v2
	v_cmp_ne_u32_e64 s9, 0, v3
	;; [unrolled: 1-line block ×3, first 2 shown]
	s_delay_alu instid0(VALU_DEP_4) | instskip(NEXT) | instid1(VALU_DEP_4)
	v_cmp_ne_u32_e64 s11, 0, v5
	s_bcnt1_i32_b32 s8, s8
	s_delay_alu instid0(VALU_DEP_3) | instskip(NEXT) | instid1(VALU_DEP_2)
	s_bcnt1_i32_b32 s9, s9
	s_bcnt1_i32_b32 s10, s10
	s_add_i32 s8, s9, s8
	s_bcnt1_i32_b32 s11, s11
	s_add_i32 s8, s8, s10
	s_delay_alu instid0(SALU_CYCLE_1) | instskip(NEXT) | instid1(SALU_CYCLE_1)
	s_add_i32 s8, s8, s11
	s_add_u32 s76, s76, s8
	s_addc_u32 s77, s77, 0
	s_and_b32 s8, s4, s12
	s_delay_alu instid0(SALU_CYCLE_1) | instskip(SKIP_1) | instid1(SALU_CYCLE_1)
	v_cndmask_b32_e64 v2, 0, 1, s8
	s_and_b32 s8, s5, s13
	v_cndmask_b32_e64 v3, 0, 1, s8
	s_and_b32 s8, s6, s14
	s_delay_alu instid0(SALU_CYCLE_1) | instskip(SKIP_1) | instid1(VALU_DEP_2)
	v_cndmask_b32_e64 v4, 0, 1, s8
	s_and_b32 s8, s7, s15
	v_cmp_ne_u32_e64 s9, 0, v3
	v_cndmask_b32_e64 v5, 0, 1, s8
	v_cmp_ne_u32_e64 s8, 0, v2
	v_cmp_ne_u32_e64 s10, 0, v4
	s_delay_alu instid0(VALU_DEP_4) | instskip(NEXT) | instid1(VALU_DEP_3)
	s_bcnt1_i32_b32 s9, s9
	v_cmp_ne_u32_e64 s11, 0, v5
	s_delay_alu instid0(VALU_DEP_3) | instskip(NEXT) | instid1(VALU_DEP_2)
	s_bcnt1_i32_b32 s8, s8
	s_bcnt1_i32_b32 s10, s10
	s_add_i32 s8, s9, s8
	s_delay_alu instid0(VALU_DEP_1) | instskip(SKIP_1) | instid1(SALU_CYCLE_1)
	s_bcnt1_i32_b32 s11, s11
	s_add_i32 s8, s8, s10
	s_add_i32 s8, s8, s11
	s_delay_alu instid0(SALU_CYCLE_1) | instskip(SKIP_2) | instid1(SALU_CYCLE_1)
	s_add_u32 s74, s74, s8
	s_addc_u32 s75, s75, 0
	s_and_b32 s8, s4, s16
	v_cndmask_b32_e64 v2, 0, 1, s8
	s_and_b32 s8, s5, s17
	s_delay_alu instid0(SALU_CYCLE_1) | instskip(SKIP_1) | instid1(SALU_CYCLE_1)
	v_cndmask_b32_e64 v3, 0, 1, s8
	s_and_b32 s8, s6, s18
	v_cndmask_b32_e64 v4, 0, 1, s8
	s_and_b32 s8, s7, s19
	s_delay_alu instid0(VALU_DEP_2) | instskip(SKIP_3) | instid1(VALU_DEP_4)
	v_cmp_ne_u32_e64 s9, 0, v3
	v_cndmask_b32_e64 v5, 0, 1, s8
	v_cmp_ne_u32_e64 s8, 0, v2
	v_cmp_ne_u32_e64 s10, 0, v4
	s_bcnt1_i32_b32 s9, s9
	s_delay_alu instid0(VALU_DEP_3) | instskip(NEXT) | instid1(VALU_DEP_3)
	v_cmp_ne_u32_e64 s11, 0, v5
	s_bcnt1_i32_b32 s8, s8
	s_delay_alu instid0(VALU_DEP_2) | instskip(SKIP_1) | instid1(VALU_DEP_1)
	s_bcnt1_i32_b32 s10, s10
	s_add_i32 s8, s9, s8
	s_bcnt1_i32_b32 s11, s11
	s_add_i32 s8, s8, s10
	s_delay_alu instid0(SALU_CYCLE_1) | instskip(NEXT) | instid1(SALU_CYCLE_1)
	s_add_i32 s8, s8, s11
	s_add_u32 s72, s72, s8
	s_addc_u32 s73, s73, 0
	v_mov_b32_e32 v6, s72
	s_and_b32 s4, s4, s20
	v_mov_b32_e32 v7, s73
	v_cndmask_b32_e64 v2, 0, 1, s4
	s_and_b32 s4, s5, s21
	s_delay_alu instid0(SALU_CYCLE_1) | instskip(SKIP_1) | instid1(SALU_CYCLE_1)
	v_cndmask_b32_e64 v3, 0, 1, s4
	s_and_b32 s4, s6, s22
	v_cndmask_b32_e64 v4, 0, 1, s4
	s_and_b32 s4, s7, s23
	s_delay_alu instid0(VALU_DEP_2)
	v_cmp_ne_u32_e64 s5, 0, v3
	v_cndmask_b32_e64 v5, 0, 1, s4
	v_cmp_ne_u32_e64 s4, 0, v2
	v_cmp_ne_u32_e64 s6, 0, v4
	v_mov_b32_e32 v2, s76
	s_bcnt1_i32_b32 s5, s5
	v_cmp_ne_u32_e64 s7, 0, v5
	s_bcnt1_i32_b32 s4, s4
	s_bcnt1_i32_b32 s6, s6
	s_add_i32 s4, s5, s4
	v_mov_b32_e32 v4, s74
	s_bcnt1_i32_b32 s5, s7
	s_add_i32 s4, s4, s6
	v_mov_b32_e32 v3, s77
	s_add_i32 s4, s4, s5
	v_mov_b32_e32 v5, s75
	s_add_u32 s70, s70, s4
	s_addc_u32 s71, s71, 0
	s_delay_alu instid0(SALU_CYCLE_1) | instskip(SKIP_1) | instid1(SALU_CYCLE_1)
	v_dual_mov_b32 v8, s70 :: v_dual_mov_b32 v9, s71
	s_or_b32 s100, vcc_lo, s100
	s_and_not1_b32 exec_lo, exec_lo, s100
	s_cbranch_execnz .LBB69_54
; %bb.55:                               ;   in Loop: Header=BB69_17 Depth=1
	s_or_b32 exec_lo, exec_lo, s100
.LBB69_56:                              ;   in Loop: Header=BB69_17 Depth=1
	s_delay_alu instid0(SALU_CYCLE_1) | instskip(SKIP_3) | instid1(VALU_DEP_2)
	s_or_b32 exec_lo, exec_lo, s60
	v_add_co_u32 v25, vcc_lo, v25, v0
	v_add_co_ci_u32_e32 v26, vcc_lo, 0, v26, vcc_lo
	v_mov_b32_e32 v30, 0
	v_cmp_gt_i64_e32 vcc_lo, s[24:25], v[25:26]
	s_and_saveexec_b32 s5, vcc_lo
	s_cbranch_execz .LBB69_58
; %bb.57:                               ;   in Loop: Header=BB69_17 Depth=1
	v_mul_lo_u32 v29, v26, s30
	v_mul_lo_u32 v30, v25, s31
	v_mad_u64_u32 v[27:28], null, v25, s30, 0
	s_delay_alu instid0(VALU_DEP_1) | instskip(NEXT) | instid1(VALU_DEP_1)
	v_add3_u32 v28, v28, v30, v29
	v_lshlrev_b64 v[27:28], 1, v[27:28]
	s_delay_alu instid0(VALU_DEP_1) | instskip(NEXT) | instid1(VALU_DEP_1)
	v_add_co_u32 v27, s4, s58, v27
	v_add_co_ci_u32_e64 v28, s4, s59, v28, s4
	global_load_u16 v30, v[27:28], off
.LBB69_58:                              ;   in Loop: Header=BB69_17 Depth=1
	s_or_b32 exec_lo, exec_lo, s5
	s_and_saveexec_b32 s8, vcc_lo
	s_cbranch_execz .LBB69_65
; %bb.59:                               ;   in Loop: Header=BB69_17 Depth=1
	v_add_co_u32 v27, vcc_lo, v38, v12
	v_add_co_ci_u32_e32 v28, vcc_lo, 0, v39, vcc_lo
	v_mul_lo_u32 v44, s65, v12
	s_delay_alu instid0(VALU_DEP_3) | instskip(NEXT) | instid1(VALU_DEP_3)
	v_sub_co_u32 v27, vcc_lo, v27, v23
	v_sub_co_ci_u32_e32 v23, vcc_lo, v28, v24, vcc_lo
	v_mul_hi_u32 v45, s64, v12
	s_delay_alu instid0(VALU_DEP_3) | instskip(SKIP_1) | instid1(VALU_DEP_3)
	v_mul_lo_u32 v29, s65, v27
	s_and_b32 s10, s92, 0xfe
	v_mul_lo_u32 v28, s64, v23
	v_mad_u64_u32 v[23:24], null, s64, v27, s[58:59]
	v_mul_lo_u32 v27, s64, v12
	s_mov_b32 s9, 0
	s_delay_alu instid0(VALU_DEP_2)
	v_add3_u32 v24, v29, v24, v28
	v_add_nc_u32_e32 v28, v45, v44
	s_branch .LBB69_61
.LBB69_60:                              ;   in Loop: Header=BB69_61 Depth=2
	s_or_b32 exec_lo, exec_lo, s5
	s_waitcnt vmcnt(0)
	v_cmp_lt_i16_e64 s4, -1, v30
	v_and_b32_e32 v44, 0xffff, v30
	v_lshlrev_b32_e32 v30, 16, v30
	s_and_b32 s6, exec_lo, vcc_lo
	s_delay_alu instid0(SALU_CYCLE_1) | instskip(SKIP_1) | instid1(VALU_DEP_2)
	s_or_b32 s9, s6, s9
	v_cndmask_b32_e64 v45, 0xffff, v41, s4
	v_cmp_o_f32_e64 s4, v30, v30
	s_delay_alu instid0(VALU_DEP_2) | instskip(NEXT) | instid1(VALU_DEP_1)
	v_xor_b32_e32 v44, v45, v44
	v_cndmask_b32_e64 v30, 0xffff, v44, s4
	s_delay_alu instid0(VALU_DEP_1) | instskip(SKIP_1) | instid1(VALU_DEP_2)
	v_and_b32_e32 v44, s98, v30
	v_bfe_u32 v30, v30, s10, 2
	v_cmp_eq_u32_e64 s4, s99, v44
	s_delay_alu instid0(VALU_DEP_2) | instskip(SKIP_2) | instid1(VALU_DEP_3)
	v_cmp_eq_u32_e64 s5, 0, v30
	v_cmp_eq_u32_e32 vcc_lo, 1, v30
	v_cmp_eq_u32_e64 s6, 2, v30
	s_and_b32 s5, s4, s5
	s_delay_alu instid0(SALU_CYCLE_1) | instskip(SKIP_4) | instid1(SALU_CYCLE_1)
	v_cndmask_b32_e64 v44, 0, 1, s5
	s_and_b32 s5, s4, vcc_lo
	v_cmp_eq_u32_e32 vcc_lo, 3, v30
	v_cndmask_b32_e64 v45, 0, 1, s5
	s_and_b32 s5, s4, s6
	v_cndmask_b32_e64 v46, 0, 1, s5
	v_cmp_ne_u32_e64 s5, 0, v44
	s_delay_alu instid0(VALU_DEP_3) | instskip(SKIP_1) | instid1(SALU_CYCLE_1)
	v_cmp_ne_u32_e64 s6, 0, v45
	s_and_b32 s4, s4, vcc_lo
	v_cndmask_b32_e64 v30, 0, 1, s4
	s_delay_alu instid0(VALU_DEP_3)
	s_bcnt1_i32_b32 s4, s5
	v_cmp_ne_u32_e64 s7, 0, v46
	v_add_co_u32 v2, vcc_lo, v2, s4
	s_bcnt1_i32_b32 s5, s6
	v_add_co_ci_u32_e32 v3, vcc_lo, 0, v3, vcc_lo
	v_add_co_u32 v4, vcc_lo, v4, s5
	v_add_co_ci_u32_e32 v5, vcc_lo, 0, v5, vcc_lo
	s_bcnt1_i32_b32 s6, s7
	v_cmp_ne_u32_e32 vcc_lo, 0, v30
	v_add_co_u32 v6, s4, v6, s6
	s_delay_alu instid0(VALU_DEP_1)
	v_add_co_ci_u32_e64 v7, s4, 0, v7, s4
	s_bcnt1_i32_b32 s4, vcc_lo
	v_mov_b32_e32 v30, v29
	v_add_co_u32 v8, vcc_lo, v8, s4
	v_add_co_ci_u32_e32 v9, vcc_lo, 0, v9, vcc_lo
	v_add_co_u32 v23, vcc_lo, v23, v27
	v_add_co_ci_u32_e32 v24, vcc_lo, v24, v28, vcc_lo
	s_and_not1_b32 exec_lo, exec_lo, s9
	s_cbranch_execz .LBB69_64
.LBB69_61:                              ;   Parent Loop BB69_17 Depth=1
                                        ; =>  This Inner Loop Header: Depth=2
	v_add_co_u32 v25, vcc_lo, v25, v12
	v_add_co_ci_u32_e32 v26, vcc_lo, 0, v26, vcc_lo
	v_mov_b32_e32 v29, 0
	s_mov_b32 s5, exec_lo
	s_delay_alu instid0(VALU_DEP_2)
	v_cmp_le_i64_e32 vcc_lo, s[24:25], v[25:26]
	v_cmpx_gt_i64_e64 s[24:25], v[25:26]
	s_cbranch_execz .LBB69_60
; %bb.62:                               ;   in Loop: Header=BB69_61 Depth=2
	global_load_u16 v29, v[23:24], off
	s_branch .LBB69_60
.LBB69_63:                              ;   in Loop: Header=BB69_17 Depth=1
                                        ; implicit-def: $vgpr8_vgpr9
                                        ; implicit-def: $vgpr4_vgpr5
	s_cbranch_execnz .LBB69_66
	s_branch .LBB69_75
.LBB69_64:                              ;   in Loop: Header=BB69_17 Depth=1
	s_or_b32 exec_lo, exec_lo, s9
.LBB69_65:                              ;   in Loop: Header=BB69_17 Depth=1
	s_delay_alu instid0(SALU_CYCLE_1)
	s_or_b32 exec_lo, exec_lo, s8
	s_branch .LBB69_75
.LBB69_66:                              ;   in Loop: Header=BB69_17 Depth=1
	global_load_u16 v8, v13, s[62:63]
	s_mov_b64 s[70:71], 0
	s_mov_b32 s69, exec_lo
	s_waitcnt vmcnt(0)
	v_readfirstlane_b32 s4, v8
	v_and_b32_e32 v25, 0xffff, v8
	s_delay_alu instid0(VALU_DEP_2) | instskip(NEXT) | instid1(SALU_CYCLE_1)
	s_and_b32 s4, 0xffff, s4
	s_lshl_b32 s60, s4, 2
	s_delay_alu instid0(SALU_CYCLE_1) | instskip(SKIP_1) | instid1(VALU_DEP_1)
	v_cvt_f32_u32_e32 v2, s60
	s_sub_i32 s5, 0, s60
	v_rcp_iflag_f32_e32 v2, v2
	s_waitcnt_depctr 0xfff
	v_mul_f32_e32 v2, 0x4f7ffffe, v2
	s_delay_alu instid0(VALU_DEP_1) | instskip(NEXT) | instid1(VALU_DEP_1)
	v_cvt_u32_f32_e32 v2, v2
	v_readfirstlane_b32 s4, v2
	v_mov_b32_e32 v2, 0
	v_mov_b32_e32 v3, 0
	s_delay_alu instid0(VALU_DEP_3) | instskip(NEXT) | instid1(VALU_DEP_1)
	s_mul_i32 s5, s5, s4
	v_dual_mov_b32 v5, v3 :: v_dual_mov_b32 v4, v2
	s_mul_hi_u32 s5, s4, s5
	v_dual_mov_b32 v7, v3 :: v_dual_mov_b32 v6, v2
	s_add_i32 s4, s4, s5
	v_dual_mov_b32 v9, v3 :: v_dual_mov_b32 v8, v2
	s_mul_hi_u32 s4, s68, s4
	s_delay_alu instid0(SALU_CYCLE_1) | instskip(NEXT) | instid1(SALU_CYCLE_1)
	s_mul_i32 s4, s4, s60
	s_sub_i32 s4, s68, s4
	s_delay_alu instid0(SALU_CYCLE_1) | instskip(SKIP_2) | instid1(SALU_CYCLE_1)
	s_sub_i32 s5, s4, s60
	s_cmp_ge_u32 s4, s60
	s_cselect_b32 s4, s5, s4
	s_sub_i32 s5, s4, s60
	s_cmp_ge_u32 s4, s60
	s_cselect_b32 s4, s5, s4
	s_delay_alu instid0(SALU_CYCLE_1) | instskip(NEXT) | instid1(SALU_CYCLE_1)
	s_sub_i32 s54, s68, s4
	v_cmpx_gt_u32_e64 s54, v14
	s_cbranch_execz .LBB69_70
; %bb.67:                               ;   in Loop: Header=BB69_17 Depth=1
	v_mov_b32_e32 v24, v15
	v_dual_mov_b32 v23, v14 :: v_dual_lshlrev_b32 v12, 3, v25
	v_mov_b32_e32 v26, v35
	s_and_b32 s100, s92, 0xfe
	s_mov_b32 s101, 0
	s_mov_b64 s[72:73], 0
	s_mov_b64 s[74:75], 0
	;; [unrolled: 1-line block ×3, first 2 shown]
.LBB69_68:                              ;   Parent Loop BB69_17 Depth=1
                                        ; =>  This Inner Loop Header: Depth=2
	ds_load_b64 v[2:3], v26
	v_add_co_u32 v23, vcc_lo, v23, s60
	v_add_co_ci_u32_e32 v24, vcc_lo, 0, v24, vcc_lo
	s_delay_alu instid0(VALU_DEP_1)
	v_cmp_le_u64_e32 vcc_lo, s[54:55], v[23:24]
	s_waitcnt lgkmcnt(0)
	v_cmp_lt_i16_e64 s4, -1, v2
	v_lshrrev_b32_e32 v4, 16, v2
	v_lshrrev_b32_e32 v5, 16, v3
	v_and_b32_e32 v6, 0xffff, v2
	v_lshlrev_b32_e32 v8, 16, v2
	v_cndmask_b32_e64 v7, 0xffff, v41, s4
	v_cmp_lt_i16_e64 s4, -1, v3
	v_and_b32_e32 v9, 0xffff, v3
	v_cmp_lt_i16_e64 s5, -1, v5
	v_lshlrev_b32_e32 v28, 16, v3
	v_and_b32_e32 v2, 0xffff0000, v2
	v_cndmask_b32_e64 v27, 0xffff, v41, s4
	v_cmp_lt_i16_e64 s4, -1, v4
	v_xor_b32_e32 v6, v7, v6
	v_and_b32_e32 v3, 0xffff0000, v3
	s_delay_alu instid0(VALU_DEP_4) | instskip(NEXT) | instid1(VALU_DEP_4)
	v_xor_b32_e32 v9, v27, v9
	v_cndmask_b32_e64 v7, 0xffff, v41, s4
	v_cndmask_b32_e64 v27, 0xffff, v41, s5
	v_cmp_o_f32_e64 s5, v8, v8
	v_cmp_o_f32_e64 s4, v28, v28
	s_delay_alu instid0(VALU_DEP_4) | instskip(NEXT) | instid1(VALU_DEP_4)
	v_xor_b32_e32 v4, v7, v4
	v_xor_b32_e32 v5, v27, v5
	s_delay_alu instid0(VALU_DEP_4) | instskip(SKIP_3) | instid1(VALU_DEP_4)
	v_cndmask_b32_e64 v6, 0xffff, v6, s5
	v_cmp_o_f32_e64 s5, v2, v2
	v_cndmask_b32_e64 v7, 0xffff, v9, s4
	v_cmp_o_f32_e64 s4, v3, v3
	v_and_b32_e32 v3, s98, v6
	s_delay_alu instid0(VALU_DEP_4) | instskip(SKIP_1) | instid1(VALU_DEP_4)
	v_cndmask_b32_e64 v2, 0xffff, v4, s5
	v_bfe_u32 v6, v6, s100, 2
	v_cndmask_b32_e64 v4, 0xffff, v5, s4
	v_and_b32_e32 v5, s98, v7
	v_bfe_u32 v7, v7, s100, 2
	v_cmp_eq_u32_e64 s4, s99, v3
	v_and_b32_e32 v3, s98, v2
	v_bfe_u32 v2, v2, s100, 2
	v_cmp_eq_u32_e64 s6, 0, v6
	v_cmp_eq_u32_e64 s5, s99, v5
	v_and_b32_e32 v5, s98, v4
	v_bfe_u32 v4, v4, s100, 2
	v_cmp_eq_u32_e64 s7, 0, v7
	v_cmp_eq_u32_e64 s14, s99, v3
	;; [unrolled: 1-line block ×3, first 2 shown]
	s_and_b32 s6, s4, s6
	v_cmp_eq_u32_e64 s15, s99, v5
	v_cmp_eq_u32_e64 s17, 0, v4
	v_cndmask_b32_e64 v3, 0, 1, s6
	s_and_b32 s6, s5, s7
	s_and_b32 s16, s14, s16
	v_cndmask_b32_e64 v5, 0, 1, s6
	v_cmp_eq_u32_e64 s6, 1, v2
	v_cmp_eq_u32_e64 s18, 2, v2
	;; [unrolled: 1-line block ×3, first 2 shown]
	v_cndmask_b32_e64 v2, 0, 1, s16
	s_and_b32 s16, s15, s17
	v_cmp_eq_u32_e64 s7, 1, v4
	v_cmp_eq_u32_e64 s19, 2, v4
	;; [unrolled: 1-line block ×3, first 2 shown]
	v_cndmask_b32_e64 v4, 0, 1, s16
	v_cmp_ne_u32_e64 s16, 0, v3
	v_cmp_ne_u32_e64 s22, 0, v2
	;; [unrolled: 1-line block ×3, first 2 shown]
	v_cmp_eq_u32_e64 s8, 1, v6
	v_cmp_ne_u32_e64 s23, 0, v4
	s_bcnt1_i32_b32 s16, s16
	s_bcnt1_i32_b32 s22, s22
	;; [unrolled: 1-line block ×3, first 2 shown]
	s_add_i32 s16, s22, s16
	s_bcnt1_i32_b32 s23, s23
	s_add_i32 s16, s16, s17
	v_cmp_eq_u32_e64 s9, 1, v7
	s_add_i32 s16, s16, s23
	v_cmp_eq_u32_e64 s10, 2, v6
	s_add_u32 s76, s76, s16
	s_addc_u32 s77, s77, 0
	s_and_b32 s8, s4, s8
	s_and_b32 s6, s14, s6
	v_cndmask_b32_e64 v2, 0, 1, s8
	v_cndmask_b32_e64 v3, 0, 1, s6
	s_and_b32 s6, s5, s9
	v_cmp_eq_u32_e64 s11, 2, v7
	v_cndmask_b32_e64 v4, 0, 1, s6
	s_and_b32 s6, s15, s7
	v_cmp_ne_u32_e64 s7, 0, v3
	v_cndmask_b32_e64 v5, 0, 1, s6
	v_cmp_ne_u32_e64 s6, 0, v2
	v_cmp_ne_u32_e64 s8, 0, v4
	v_cmp_eq_u32_e64 s12, 3, v6
	s_bcnt1_i32_b32 s7, s7
	v_cmp_ne_u32_e64 s9, 0, v5
	s_bcnt1_i32_b32 s6, s6
	s_bcnt1_i32_b32 s8, s8
	s_add_i32 s6, s7, s6
	v_cmp_eq_u32_e64 s13, 3, v7
	s_bcnt1_i32_b32 s9, s9
	s_add_i32 s6, s6, s8
	v_add_nc_u32_e32 v26, v26, v12
	s_add_i32 s6, s6, s9
	s_delay_alu instid0(SALU_CYCLE_1) | instskip(SKIP_2) | instid1(SALU_CYCLE_1)
	s_add_u32 s74, s74, s6
	s_addc_u32 s75, s75, 0
	s_and_b32 s6, s4, s10
	v_cndmask_b32_e64 v2, 0, 1, s6
	s_and_b32 s6, s14, s18
	s_delay_alu instid0(SALU_CYCLE_1) | instskip(SKIP_1) | instid1(SALU_CYCLE_1)
	v_cndmask_b32_e64 v3, 0, 1, s6
	s_and_b32 s6, s5, s11
	v_cndmask_b32_e64 v4, 0, 1, s6
	s_and_b32 s6, s15, s19
	s_delay_alu instid0(VALU_DEP_2) | instskip(SKIP_3) | instid1(VALU_DEP_4)
	v_cmp_ne_u32_e64 s7, 0, v3
	v_cndmask_b32_e64 v5, 0, 1, s6
	v_cmp_ne_u32_e64 s6, 0, v2
	v_cmp_ne_u32_e64 s8, 0, v4
	s_bcnt1_i32_b32 s7, s7
	s_delay_alu instid0(VALU_DEP_3) | instskip(NEXT) | instid1(VALU_DEP_3)
	v_cmp_ne_u32_e64 s9, 0, v5
	s_bcnt1_i32_b32 s6, s6
	s_delay_alu instid0(VALU_DEP_2) | instskip(SKIP_1) | instid1(VALU_DEP_1)
	s_bcnt1_i32_b32 s8, s8
	s_add_i32 s6, s7, s6
	s_bcnt1_i32_b32 s9, s9
	s_add_i32 s6, s6, s8
	s_delay_alu instid0(SALU_CYCLE_1) | instskip(NEXT) | instid1(SALU_CYCLE_1)
	s_add_i32 s6, s6, s9
	s_add_u32 s72, s72, s6
	s_addc_u32 s73, s73, 0
	s_and_b32 s4, s4, s12
	v_mov_b32_e32 v6, s72
	v_cndmask_b32_e64 v2, 0, 1, s4
	s_and_b32 s4, s14, s20
	v_mov_b32_e32 v7, s73
	v_cndmask_b32_e64 v3, 0, 1, s4
	s_and_b32 s4, s5, s13
	s_delay_alu instid0(SALU_CYCLE_1) | instskip(SKIP_1) | instid1(VALU_DEP_2)
	v_cndmask_b32_e64 v4, 0, 1, s4
	s_and_b32 s4, s15, s21
	v_cmp_ne_u32_e64 s5, 0, v3
	v_cndmask_b32_e64 v5, 0, 1, s4
	v_cmp_ne_u32_e64 s4, 0, v2
	v_cmp_ne_u32_e64 s6, 0, v4
	v_dual_mov_b32 v2, s76 :: v_dual_mov_b32 v3, s77
	s_delay_alu instid0(VALU_DEP_4) | instskip(NEXT) | instid1(VALU_DEP_4)
	v_cmp_ne_u32_e64 s7, 0, v5
	s_bcnt1_i32_b32 s4, s4
	s_bcnt1_i32_b32 s5, s5
	;; [unrolled: 1-line block ×3, first 2 shown]
	s_add_i32 s4, s5, s4
	s_bcnt1_i32_b32 s5, s7
	s_add_i32 s4, s4, s6
	v_mov_b32_e32 v4, s74
	s_add_i32 s4, s4, s5
	v_mov_b32_e32 v5, s75
	s_add_u32 s70, s70, s4
	s_addc_u32 s71, s71, 0
	s_delay_alu instid0(SALU_CYCLE_1) | instskip(SKIP_1) | instid1(SALU_CYCLE_1)
	v_dual_mov_b32 v8, s70 :: v_dual_mov_b32 v9, s71
	s_or_b32 s101, vcc_lo, s101
	s_and_not1_b32 exec_lo, exec_lo, s101
	s_cbranch_execnz .LBB69_68
; %bb.69:                               ;   in Loop: Header=BB69_17 Depth=1
	s_or_b32 exec_lo, exec_lo, s101
.LBB69_70:                              ;   in Loop: Header=BB69_17 Depth=1
	s_delay_alu instid0(SALU_CYCLE_1) | instskip(SKIP_2) | instid1(VALU_DEP_1)
	s_or_b32 exec_lo, exec_lo, s69
	v_add_nc_u32_e32 v12, s54, v0
	s_mov_b32 s9, exec_lo
	v_cmpx_gt_u32_e64 s68, v12
	s_cbranch_execz .LBB69_74
; %bb.71:                               ;   in Loop: Header=BB69_17 Depth=1
	v_dual_mov_b32 v24, v13 :: v_dual_lshlrev_b32 v27, 1, v25
	v_dual_mov_b32 v23, v12 :: v_dual_lshlrev_b32 v26, 1, v12
	s_mov_b32 s11, 0
	s_and_b32 s10, s68, 0x7fffffff
	s_and_b32 s13, s92, 0xfe
	s_mov_b32 s12, s11
.LBB69_72:                              ;   Parent Loop BB69_17 Depth=1
                                        ; =>  This Inner Loop Header: Depth=2
	ds_load_u16 v12, v26
	v_add_co_u32 v23, vcc_lo, v23, v25
	v_add_co_ci_u32_e32 v24, vcc_lo, 0, v24, vcc_lo
	v_add_nc_u32_e32 v26, v26, v27
	s_delay_alu instid0(VALU_DEP_2) | instskip(SKIP_4) | instid1(VALU_DEP_3)
	v_cmp_le_u64_e32 vcc_lo, s[10:11], v[23:24]
	s_waitcnt lgkmcnt(0)
	v_cmp_lt_i16_e64 s4, -1, v12
	v_and_b32_e32 v28, 0xffff, v12
	v_lshlrev_b32_e32 v12, 16, v12
	v_cndmask_b32_e64 v29, 0xffff, v41, s4
	s_delay_alu instid0(VALU_DEP_2) | instskip(NEXT) | instid1(VALU_DEP_2)
	v_cmp_o_f32_e64 s4, v12, v12
	v_xor_b32_e32 v28, v29, v28
	s_delay_alu instid0(VALU_DEP_1) | instskip(NEXT) | instid1(VALU_DEP_1)
	v_cndmask_b32_e64 v12, 0xffff, v28, s4
	v_and_b32_e32 v28, s98, v12
	v_bfe_u32 v12, v12, s13, 2
	s_delay_alu instid0(VALU_DEP_2) | instskip(NEXT) | instid1(VALU_DEP_2)
	v_cmp_eq_u32_e64 s4, s99, v28
	v_cmp_eq_u32_e64 s5, 0, v12
	v_cmp_eq_u32_e64 s6, 1, v12
	v_cmp_eq_u32_e64 s7, 2, v12
	v_cmp_eq_u32_e64 s8, 3, v12
	s_delay_alu instid0(VALU_DEP_4) | instskip(NEXT) | instid1(SALU_CYCLE_1)
	s_and_b32 s5, s4, s5
	v_cndmask_b32_e64 v12, 0, 1, s5
	s_and_b32 s5, s4, s6
	s_delay_alu instid0(SALU_CYCLE_1)
	v_cndmask_b32_e64 v28, 0, 1, s5
	s_and_b32 s5, s4, s7
	s_and_b32 s4, s4, s8
	v_cndmask_b32_e64 v29, 0, 1, s5
	v_cndmask_b32_e64 v30, 0, 1, s4
	v_cmp_ne_u32_e64 s4, 0, v12
	v_cmp_ne_u32_e64 s5, 0, v28
	s_delay_alu instid0(VALU_DEP_4) | instskip(NEXT) | instid1(VALU_DEP_4)
	v_cmp_ne_u32_e64 s6, 0, v29
	v_cmp_ne_u32_e64 s7, 0, v30
	s_delay_alu instid0(VALU_DEP_4) | instskip(NEXT) | instid1(VALU_DEP_3)
	s_bcnt1_i32_b32 s4, s4
	s_bcnt1_i32_b32 s5, s5
	v_add_co_u32 v2, s4, v2, s4
	s_delay_alu instid0(VALU_DEP_1)
	v_add_co_ci_u32_e64 v3, s4, 0, v3, s4
	v_add_co_u32 v4, s4, v4, s5
	s_bcnt1_i32_b32 s6, s6
	v_add_co_ci_u32_e64 v5, s4, 0, v5, s4
	v_add_co_u32 v6, s4, v6, s6
	s_bcnt1_i32_b32 s7, s7
	v_add_co_ci_u32_e64 v7, s4, 0, v7, s4
	v_add_co_u32 v8, s4, v8, s7
	s_delay_alu instid0(VALU_DEP_1) | instskip(SKIP_1) | instid1(SALU_CYCLE_1)
	v_add_co_ci_u32_e64 v9, s4, 0, v9, s4
	s_or_b32 s12, vcc_lo, s12
	s_and_not1_b32 exec_lo, exec_lo, s12
	s_cbranch_execnz .LBB69_72
; %bb.73:                               ;   in Loop: Header=BB69_17 Depth=1
	s_or_b32 exec_lo, exec_lo, s12
.LBB69_74:                              ;   in Loop: Header=BB69_17 Depth=1
	s_delay_alu instid0(SALU_CYCLE_1)
	s_or_b32 exec_lo, exec_lo, s9
.LBB69_75:                              ;   in Loop: Header=BB69_17 Depth=1
	s_lshl_b32 s4, s94, 7
	s_and_saveexec_b32 s5, s1
	s_cbranch_execz .LBB69_77
; %bb.76:                               ;   in Loop: Header=BB69_17 Depth=1
	v_or_b32_e32 v12, s4, v34
	s_delay_alu instid0(VALU_DEP_1)
	v_lshlrev_b32_e32 v12, 3, v12
	ds_store_b128 v12, v[2:5] offset:3072
	ds_store_b128 v12, v[6:9] offset:3088
.LBB69_77:                              ;   in Loop: Header=BB69_17 Depth=1
	s_or_b32 exec_lo, exec_lo, s5
	s_waitcnt vmcnt(0) lgkmcnt(0)
	s_barrier
	buffer_gl0_inv
	s_and_saveexec_b32 s5, s35
	s_cbranch_execz .LBB69_88
; %bb.78:                               ;   in Loop: Header=BB69_17 Depth=1
	v_mov_b32_e32 v2, 0
	v_mov_b32_e32 v3, 0
	s_and_not1_b32 vcc_lo, exec_lo, s85
	s_cbranch_vccnz .LBB69_87
; %bb.79:                               ;   in Loop: Header=BB69_17 Depth=1
	v_mov_b32_e32 v2, 0
	v_mov_b32_e32 v3, 0
	s_and_not1_b32 vcc_lo, exec_lo, s83
	s_cbranch_vccnz .LBB69_84
; %bb.80:                               ;   in Loop: Header=BB69_17 Depth=1
	v_lshl_add_u32 v4, s94, 10, v40
	s_mov_b32 s6, 0
	s_set_inst_prefetch_distance 0x1
	.p2align	6
.LBB69_81:                              ;   Parent Loop BB69_17 Depth=1
                                        ; =>  This Inner Loop Header: Depth=2
	ds_load_2addr_b64 v[5:8], v4 offset1:4
	ds_load_2addr_b64 v[23:26], v4 offset0:8 offset1:12
	ds_load_2addr_b64 v[27:30], v4 offset0:16 offset1:20
	s_add_i32 s6, s6, 8
	s_delay_alu instid0(SALU_CYCLE_1) | instskip(SKIP_3) | instid1(VALU_DEP_2)
	s_cmp_eq_u32 s84, s6
	s_waitcnt lgkmcnt(2)
	v_add_co_u32 v2, vcc_lo, v5, v2
	v_add_co_ci_u32_e32 v3, vcc_lo, v6, v3, vcc_lo
	v_add_co_u32 v2, vcc_lo, v7, v2
	s_delay_alu instid0(VALU_DEP_2)
	v_add_co_ci_u32_e32 v3, vcc_lo, v8, v3, vcc_lo
	ds_load_2addr_b64 v[5:8], v4 offset0:24 offset1:28
	s_waitcnt lgkmcnt(2)
	v_add_co_u32 v2, vcc_lo, v23, v2
	v_add_co_ci_u32_e32 v3, vcc_lo, v24, v3, vcc_lo
	v_add_nc_u32_e32 v4, 0x100, v4
	s_delay_alu instid0(VALU_DEP_3) | instskip(NEXT) | instid1(VALU_DEP_3)
	v_add_co_u32 v2, vcc_lo, v25, v2
	v_add_co_ci_u32_e32 v3, vcc_lo, v26, v3, vcc_lo
	s_waitcnt lgkmcnt(1)
	s_delay_alu instid0(VALU_DEP_2) | instskip(NEXT) | instid1(VALU_DEP_2)
	v_add_co_u32 v2, vcc_lo, v27, v2
	v_add_co_ci_u32_e32 v3, vcc_lo, v28, v3, vcc_lo
	s_delay_alu instid0(VALU_DEP_2) | instskip(NEXT) | instid1(VALU_DEP_2)
	v_add_co_u32 v2, vcc_lo, v29, v2
	v_add_co_ci_u32_e32 v3, vcc_lo, v30, v3, vcc_lo
	s_waitcnt lgkmcnt(0)
	s_delay_alu instid0(VALU_DEP_2) | instskip(NEXT) | instid1(VALU_DEP_2)
	v_add_co_u32 v2, vcc_lo, v5, v2
	v_add_co_ci_u32_e32 v3, vcc_lo, v6, v3, vcc_lo
	s_delay_alu instid0(VALU_DEP_2) | instskip(NEXT) | instid1(VALU_DEP_2)
	v_add_co_u32 v2, vcc_lo, v7, v2
	v_add_co_ci_u32_e32 v3, vcc_lo, v8, v3, vcc_lo
	s_cbranch_scc0 .LBB69_81
; %bb.82:                               ;   in Loop: Header=BB69_17 Depth=1
	s_set_inst_prefetch_distance 0x2
	s_mov_b32 s6, s84
	s_and_not1_b32 vcc_lo, exec_lo, s86
	s_cbranch_vccz .LBB69_85
	s_branch .LBB69_87
.LBB69_83:                              ;   in Loop: Header=BB69_17 Depth=1
                                        ; implicit-def: $vgpr23_vgpr24
	s_branch .LBB69_51
.LBB69_84:                              ;   in Loop: Header=BB69_17 Depth=1
	s_mov_b32 s6, 0
	s_and_not1_b32 vcc_lo, exec_lo, s86
	s_cbranch_vccnz .LBB69_87
.LBB69_85:                              ;   in Loop: Header=BB69_17 Depth=1
	s_lshl_b32 s7, s94, 10
	s_lshl_b32 s6, s6, 5
	s_delay_alu instid0(SALU_CYCLE_1)
	v_add3_u32 v4, s7, s6, v40
	s_mov_b32 s6, s82
.LBB69_86:                              ;   Parent Loop BB69_17 Depth=1
                                        ; =>  This Inner Loop Header: Depth=2
	ds_load_b64 v[5:6], v4
	v_add_nc_u32_e32 v4, 32, v4
	s_add_i32 s6, s6, -1
	s_delay_alu instid0(SALU_CYCLE_1)
	s_cmp_lg_u32 s6, 0
	s_waitcnt lgkmcnt(0)
	v_add_co_u32 v2, vcc_lo, v5, v2
	v_add_co_ci_u32_e32 v3, vcc_lo, v6, v3, vcc_lo
	s_cbranch_scc1 .LBB69_86
.LBB69_87:                              ;   in Loop: Header=BB69_17 Depth=1
	v_add_lshl_u32 v4, s4, v31, 3
	ds_store_b64 v4, v[2:3] offset:3072
.LBB69_88:                              ;   in Loop: Header=BB69_17 Depth=1
	s_or_b32 exec_lo, exec_lo, s5
	s_lshl_b32 s4, s4, 3
	s_waitcnt lgkmcnt(0)
	v_mov_b32_e32 v6, s4
	s_barrier
	buffer_gl0_inv
	s_and_b32 s17, s92, 0xfe
	s_mov_b32 s19, -1
	ds_load_b128 v[2:5], v6 offset:3072
	ds_load_b128 v[6:9], v6 offset:3088
	s_lshl_b32 s16, 3, s17
	s_delay_alu instid0(SALU_CYCLE_1)
	s_not_b32 s18, s16
	s_waitcnt lgkmcnt(1)
	v_readfirstlane_b32 s13, v3
	v_readfirstlane_b32 s12, v2
	;; [unrolled: 1-line block ×4, first 2 shown]
	s_waitcnt lgkmcnt(0)
	v_readfirstlane_b32 s8, v6
	v_readfirstlane_b32 s9, v7
	s_cmp_eq_u64 s[12:13], 1
	v_readfirstlane_b32 s6, v8
	s_cselect_b32 s4, -1, 0
	s_cmp_eq_u64 s[26:27], 1
	v_readfirstlane_b32 s7, v9
	s_cselect_b32 s5, -1, 0
	s_delay_alu instid0(SALU_CYCLE_1) | instskip(NEXT) | instid1(SALU_CYCLE_1)
	s_and_b32 s20, s4, s5
	s_and_b32 vcc_lo, exec_lo, s20
	s_cbranch_vccz .LBB69_103
; %bb.89:                               ;   in Loop: Header=BB69_17 Depth=1
	ds_load_b64 v[2:3], v13 offset:5120
	s_waitcnt lgkmcnt(0)
	s_barrier
	buffer_gl0_inv
	v_readfirstlane_b32 s14, v2
	v_readfirstlane_b32 s15, v3
	s_and_saveexec_b32 s4, s3
	s_cbranch_execz .LBB69_91
; %bb.90:                               ;   in Loop: Header=BB69_17 Depth=1
	ds_store_b16 v33, v13
.LBB69_91:                              ;   in Loop: Header=BB69_17 Depth=1
	s_or_b32 exec_lo, exec_lo, s4
	s_delay_alu instid0(VALU_DEP_1)
	v_cmp_lt_i64_e64 s4, s[14:15], 1
	s_and_b32 s99, s99, s18
	s_or_b32 s98, s98, s16
	s_waitcnt lgkmcnt(0)
	s_barrier
	buffer_gl0_inv
	s_and_b32 vcc_lo, exec_lo, s4
	s_cbranch_vccz .LBB69_104
; %bb.92:                               ;   in Loop: Header=BB69_17 Depth=1
	s_mov_b32 s60, s55
	s_delay_alu instid0(SALU_CYCLE_1)
	s_cmp_lg_u64 s[60:61], 0
	s_cbranch_scc0 .LBB69_149
; %bb.93:                               ;   in Loop: Header=BB69_17 Depth=1
	v_cvt_f32_u32_e32 v2, s33
	s_sub_u32 s21, 0, s33
	s_subb_u32 s22, 0, 0
	s_delay_alu instid0(VALU_DEP_1) | instskip(NEXT) | instid1(VALU_DEP_1)
	v_fmac_f32_e32 v2, 0x4f800000, v42
	v_rcp_f32_e32 v2, v2
	s_waitcnt_depctr 0xfff
	v_mul_f32_e32 v2, 0x5f7ffffc, v2
	s_delay_alu instid0(VALU_DEP_1) | instskip(NEXT) | instid1(VALU_DEP_1)
	v_mul_f32_e32 v3, 0x2f800000, v2
	v_trunc_f32_e32 v3, v3
	s_delay_alu instid0(VALU_DEP_1) | instskip(SKIP_1) | instid1(VALU_DEP_2)
	v_fmac_f32_e32 v2, 0xcf800000, v3
	v_cvt_u32_f32_e32 v3, v3
	v_cvt_u32_f32_e32 v2, v2
	s_delay_alu instid0(VALU_DEP_2) | instskip(NEXT) | instid1(VALU_DEP_2)
	v_readfirstlane_b32 s4, v3
	v_readfirstlane_b32 s5, v2
	s_delay_alu instid0(VALU_DEP_2) | instskip(NEXT) | instid1(VALU_DEP_1)
	s_mul_i32 s23, s21, s4
	s_mul_hi_u32 s60, s21, s5
	s_mul_i32 s54, s22, s5
	s_add_i32 s23, s60, s23
	s_mul_i32 s68, s21, s5
	s_add_i32 s23, s23, s54
	s_mul_hi_u32 s60, s5, s68
	s_mul_hi_u32 s69, s4, s68
	s_mul_i32 s54, s4, s68
	s_mul_hi_u32 s68, s5, s23
	s_mul_i32 s5, s5, s23
	s_mul_hi_u32 s70, s4, s23
	s_add_u32 s5, s60, s5
	s_addc_u32 s60, 0, s68
	s_add_u32 s5, s5, s54
	s_mul_i32 s23, s4, s23
	s_addc_u32 s5, s60, s69
	s_addc_u32 s54, s70, 0
	s_add_u32 s5, s5, s23
	s_addc_u32 s23, 0, s54
	v_add_co_u32 v2, s5, v2, s5
	s_delay_alu instid0(VALU_DEP_1) | instskip(SKIP_1) | instid1(VALU_DEP_1)
	s_cmp_lg_u32 s5, 0
	s_addc_u32 s4, s4, s23
	v_readfirstlane_b32 s5, v2
	s_mul_i32 s23, s21, s4
	s_delay_alu instid0(VALU_DEP_1)
	s_mul_hi_u32 s54, s21, s5
	s_mul_i32 s22, s22, s5
	s_add_i32 s23, s54, s23
	s_mul_i32 s21, s21, s5
	s_add_i32 s23, s23, s22
	s_mul_hi_u32 s54, s4, s21
	s_mul_i32 s60, s4, s21
	s_mul_hi_u32 s21, s5, s21
	s_mul_hi_u32 s68, s5, s23
	s_mul_i32 s5, s5, s23
	s_mul_hi_u32 s22, s4, s23
	s_add_u32 s5, s21, s5
	s_addc_u32 s21, 0, s68
	s_add_u32 s5, s5, s60
	s_mul_i32 s23, s4, s23
	s_addc_u32 s5, s21, s54
	s_addc_u32 s21, s22, 0
	s_add_u32 s5, s5, s23
	s_addc_u32 s21, 0, s21
	v_add_co_u32 v2, s5, v2, s5
	s_delay_alu instid0(VALU_DEP_1) | instskip(SKIP_2) | instid1(VALU_DEP_1)
	s_cmp_lg_u32 s5, 0
	s_addc_u32 s21, s4, s21
	s_ashr_i32 s22, s61, 31
	v_readfirstlane_b32 s54, v2
	s_add_u32 s4, s81, s22
	s_mov_b32 s23, s22
	s_addc_u32 s5, s61, s22
	s_delay_alu instid0(SALU_CYCLE_1) | instskip(NEXT) | instid1(SALU_CYCLE_1)
	s_xor_b64 s[4:5], s[4:5], s[22:23]
	s_mul_i32 s60, s4, s21
	s_mul_hi_u32 s68, s4, s54
	s_mul_hi_u32 s23, s4, s21
	;; [unrolled: 1-line block ×3, first 2 shown]
	s_mul_i32 s54, s5, s54
	s_add_u32 s60, s68, s60
	s_addc_u32 s23, 0, s23
	s_mul_hi_u32 s69, s5, s21
	s_add_u32 s54, s60, s54
	s_mul_i32 s21, s5, s21
	s_addc_u32 s23, s23, s70
	s_addc_u32 s54, s69, 0
	s_add_u32 s21, s23, s21
	s_addc_u32 s23, 0, s54
	s_mul_hi_u32 s54, s33, s21
	s_mul_i32 s21, s33, s21
	s_mul_i32 s23, s33, s23
	v_sub_co_u32 v2, s4, s4, s21
	s_add_i32 s54, s54, s23
	s_cmp_lg_u32 s4, 0
	s_delay_alu instid0(VALU_DEP_1) | instskip(SKIP_2) | instid1(VALU_DEP_1)
	v_sub_co_u32 v3, s4, v2, s33
	s_subb_u32 s5, s5, s54
	s_cmp_lg_u32 s4, 0
	v_cmp_le_u32_e32 vcc_lo, s33, v3
	v_sub_co_u32 v4, s4, v3, s33
	s_subb_u32 s21, s5, 0
	s_cmp_lg_u32 s4, 0
	v_cndmask_b32_e64 v5, 0, -1, vcc_lo
	s_subb_u32 s4, s21, 0
	s_cmp_eq_u32 s21, 0
	v_mov_b32_e32 v7, s4
	s_cselect_b32 vcc_lo, -1, 0
	s_cmp_eq_u32 s5, 0
	v_cndmask_b32_e32 v5, -1, v5, vcc_lo
	v_cmp_le_u32_e32 vcc_lo, s33, v2
	s_cselect_b32 s4, -1, 0
	v_cndmask_b32_e64 v6, 0, -1, vcc_lo
	s_delay_alu instid0(VALU_DEP_3) | instskip(NEXT) | instid1(VALU_DEP_2)
	v_cmp_ne_u32_e32 vcc_lo, 0, v5
	v_cndmask_b32_e64 v5, -1, v6, s4
	v_cndmask_b32_e32 v3, v3, v4, vcc_lo
	v_cndmask_b32_e32 v6, s21, v7, vcc_lo
	s_delay_alu instid0(VALU_DEP_3) | instskip(NEXT) | instid1(VALU_DEP_3)
	v_cmp_ne_u32_e32 vcc_lo, 0, v5
	v_cndmask_b32_e32 v2, v2, v3, vcc_lo
	s_delay_alu instid0(VALU_DEP_3) | instskip(NEXT) | instid1(VALU_DEP_2)
	v_cndmask_b32_e32 v4, s5, v6, vcc_lo
	v_xor_b32_e32 v2, s22, v2
	s_delay_alu instid0(VALU_DEP_2) | instskip(NEXT) | instid1(VALU_DEP_2)
	v_xor_b32_e32 v3, s22, v4
	v_sub_co_u32 v2, vcc_lo, v2, s22
	s_delay_alu instid0(VALU_DEP_2)
	v_subrev_co_ci_u32_e32 v3, vcc_lo, s22, v3, vcc_lo
	s_cbranch_execnz .LBB69_95
.LBB69_94:                              ;   in Loop: Header=BB69_17 Depth=1
	v_cvt_f32_u32_e32 v2, s33
	s_sub_i32 s4, 0, s33
	s_delay_alu instid0(VALU_DEP_1) | instskip(SKIP_2) | instid1(VALU_DEP_1)
	v_rcp_iflag_f32_e32 v2, v2
	s_waitcnt_depctr 0xfff
	v_mul_f32_e32 v2, 0x4f7ffffe, v2
	v_cvt_u32_f32_e32 v2, v2
	s_delay_alu instid0(VALU_DEP_1) | instskip(NEXT) | instid1(VALU_DEP_1)
	v_mul_lo_u32 v3, s4, v2
	v_mul_hi_u32 v3, v2, v3
	s_delay_alu instid0(VALU_DEP_1) | instskip(NEXT) | instid1(VALU_DEP_1)
	v_add_nc_u32_e32 v2, v2, v3
	v_mul_hi_u32 v2, s81, v2
	s_delay_alu instid0(VALU_DEP_1) | instskip(NEXT) | instid1(VALU_DEP_1)
	v_mul_lo_u32 v2, v2, s33
	v_sub_nc_u32_e32 v2, s81, v2
	s_delay_alu instid0(VALU_DEP_1) | instskip(SKIP_1) | instid1(VALU_DEP_2)
	v_subrev_nc_u32_e32 v3, s33, v2
	v_cmp_le_u32_e32 vcc_lo, s33, v2
	v_cndmask_b32_e32 v2, v2, v3, vcc_lo
	s_delay_alu instid0(VALU_DEP_1) | instskip(SKIP_1) | instid1(VALU_DEP_2)
	v_subrev_nc_u32_e32 v3, s33, v2
	v_cmp_le_u32_e32 vcc_lo, s33, v2
	v_cndmask_b32_e32 v12, v2, v3, vcc_lo
	s_delay_alu instid0(VALU_DEP_1)
	v_dual_mov_b32 v2, v12 :: v_dual_mov_b32 v3, v13
.LBB69_95:                              ;   in Loop: Header=BB69_17 Depth=1
	s_delay_alu instid0(VALU_DEP_1) | instskip(NEXT) | instid1(VALU_DEP_2)
	v_sub_co_u32 v2, vcc_lo, s81, v2
	v_sub_co_ci_u32_e32 v3, vcc_lo, s61, v3, vcc_lo
	s_mov_b32 s4, 0
	s_mov_b32 s5, exec_lo
                                        ; implicit-def: $vgpr43
	s_delay_alu instid0(VALU_DEP_1)
	v_cmpx_gt_i64_e64 v[2:3], v[0:1]
	s_cbranch_execz .LBB69_106
; %bb.96:                               ;   in Loop: Header=BB69_17 Depth=1
	v_dual_mov_b32 v4, v10 :: v_dual_mov_b32 v5, v11
	v_dual_mov_b32 v7, v1 :: v_dual_mov_b32 v6, v0
	s_mov_b32 s21, 0
                                        ; implicit-def: $sgpr22
	s_branch .LBB69_98
.LBB69_97:                              ;   in Loop: Header=BB69_98 Depth=2
	s_or_b32 exec_lo, exec_lo, s4
	s_waitcnt vmcnt(0) lgkmcnt(0)
	s_barrier
	buffer_gl0_inv
	ds_load_b32 v8, v13 offset:3072
	v_add_co_u32 v6, vcc_lo, v6, s33
	v_add_co_ci_u32_e32 v7, vcc_lo, 0, v7, vcc_lo
	s_waitcnt lgkmcnt(0)
	s_barrier
	buffer_gl0_inv
	v_cmp_ge_i64_e32 vcc_lo, v[6:7], v[2:3]
	v_and_b32_e32 v9, 0x7fff, v8
	s_delay_alu instid0(VALU_DEP_1) | instskip(NEXT) | instid1(VALU_DEP_1)
	v_cmp_ne_u16_e64 s4, 0, v9
	s_or_b32 s23, s4, vcc_lo
	v_add_co_u32 v4, vcc_lo, v4, s56
	s_and_b32 s23, exec_lo, s23
	v_add_co_ci_u32_e32 v5, vcc_lo, s57, v5, vcc_lo
	s_or_b32 s21, s23, s21
	s_and_not1_b32 s22, s22, exec_lo
	s_and_b32 s4, s4, exec_lo
	s_delay_alu instid0(SALU_CYCLE_1)
	s_or_b32 s22, s22, s4
	s_and_not1_b32 exec_lo, exec_lo, s21
	s_cbranch_execz .LBB69_105
.LBB69_98:                              ;   Parent Loop BB69_17 Depth=1
                                        ; =>  This Inner Loop Header: Depth=2
	s_delay_alu instid0(VALU_DEP_1)
	v_cmp_gt_i64_e32 vcc_lo, s[24:25], v[6:7]
	v_mov_b32_e32 v8, 0
	s_and_saveexec_b32 s4, vcc_lo
	s_cbranch_execz .LBB69_100
; %bb.99:                               ;   in Loop: Header=BB69_98 Depth=2
	global_load_u16 v8, v[4:5], off
.LBB69_100:                             ;   in Loop: Header=BB69_98 Depth=2
	s_or_b32 exec_lo, exec_lo, s4
	s_and_saveexec_b32 s4, vcc_lo
	s_cbranch_execz .LBB69_97
; %bb.101:                              ;   in Loop: Header=BB69_98 Depth=2
	s_waitcnt vmcnt(0)
	v_cmp_lt_i16_e32 vcc_lo, -1, v8
	v_and_b32_e32 v9, 0xffff, v8
	v_dual_cndmask_b32 v12, 0xffff, v41 :: v_dual_lshlrev_b32 v23, 16, v8
	s_delay_alu instid0(VALU_DEP_1) | instskip(NEXT) | instid1(VALU_DEP_2)
	v_cmp_o_f32_e32 vcc_lo, v23, v23
	v_xor_b32_e32 v9, v12, v9
	s_delay_alu instid0(VALU_DEP_1) | instskip(NEXT) | instid1(VALU_DEP_1)
	v_cndmask_b32_e32 v9, 0xffff, v9, vcc_lo
	v_and_b32_e32 v9, s98, v9
	s_delay_alu instid0(VALU_DEP_1)
	v_cmp_eq_u32_e32 vcc_lo, s99, v9
	s_and_b32 exec_lo, exec_lo, vcc_lo
	s_cbranch_execz .LBB69_97
; %bb.102:                              ;   in Loop: Header=BB69_98 Depth=2
	v_perm_b32 v8, v8, s88, 0x5040100
	ds_store_b32 v13, v8 offset:3072
	s_branch .LBB69_97
.LBB69_103:                             ;   in Loop: Header=BB69_17 Depth=1
	s_mov_b32 s4, -1
                                        ; implicit-def: $sgpr5
                                        ; implicit-def: $sgpr22
                                        ; implicit-def: $sgpr21
	s_branch .LBB69_120
.LBB69_104:                             ;   in Loop: Header=BB69_17 Depth=1
	s_mov_b32 s5, -1
	s_mov_b32 s4, 0
                                        ; implicit-def: $sgpr21
                                        ; implicit-def: $vgpr43
	s_mov_b32 s22, s5
	s_cbranch_execnz .LBB69_107
	s_branch .LBB69_120
.LBB69_105:                             ;   in Loop: Header=BB69_17 Depth=1
	s_or_b32 exec_lo, exec_lo, s21
	v_lshrrev_b32_e32 v43, 16, v8
	s_and_b32 s4, s22, exec_lo
.LBB69_106:                             ;   in Loop: Header=BB69_17 Depth=1
	s_or_b32 exec_lo, exec_lo, s5
	s_mov_b32 s21, -1
	s_mov_b32 s5, 0
	s_delay_alu instid0(SALU_CYCLE_1)
	s_mov_b32 s22, s5
	s_branch .LBB69_120
.LBB69_107:                             ;   in Loop: Header=BB69_17 Depth=1
	s_add_u32 s21, s79, s14
	s_addc_u32 s5, s80, s15
	s_mov_b32 s4, s55
	s_delay_alu instid0(SALU_CYCLE_1)
	s_cmp_lg_u64 s[4:5], 0
	s_cbranch_scc0 .LBB69_150
; %bb.108:                              ;   in Loop: Header=BB69_17 Depth=1
	v_cvt_f32_u32_e32 v2, s33
	s_sub_u32 s23, 0, s33
	s_subb_u32 s54, 0, 0
	s_delay_alu instid0(VALU_DEP_1) | instskip(NEXT) | instid1(VALU_DEP_1)
	v_fmac_f32_e32 v2, 0x4f800000, v42
	v_rcp_f32_e32 v2, v2
	s_waitcnt_depctr 0xfff
	v_mul_f32_e32 v2, 0x5f7ffffc, v2
	s_delay_alu instid0(VALU_DEP_1) | instskip(NEXT) | instid1(VALU_DEP_1)
	v_mul_f32_e32 v3, 0x2f800000, v2
	v_trunc_f32_e32 v3, v3
	s_delay_alu instid0(VALU_DEP_1) | instskip(SKIP_1) | instid1(VALU_DEP_2)
	v_fmac_f32_e32 v2, 0xcf800000, v3
	v_cvt_u32_f32_e32 v3, v3
	v_cvt_u32_f32_e32 v2, v2
	s_delay_alu instid0(VALU_DEP_2) | instskip(NEXT) | instid1(VALU_DEP_2)
	v_readfirstlane_b32 s4, v3
	v_readfirstlane_b32 s22, v2
	s_delay_alu instid0(VALU_DEP_2) | instskip(NEXT) | instid1(VALU_DEP_1)
	s_mul_i32 s60, s23, s4
	s_mul_hi_u32 s69, s23, s22
	s_mul_i32 s68, s54, s22
	s_add_i32 s60, s69, s60
	s_mul_i32 s70, s23, s22
	s_add_i32 s60, s60, s68
	s_mul_hi_u32 s69, s22, s70
	s_mul_hi_u32 s71, s4, s70
	s_mul_i32 s68, s4, s70
	s_mul_hi_u32 s70, s22, s60
	s_mul_i32 s22, s22, s60
	s_mul_hi_u32 s72, s4, s60
	s_add_u32 s22, s69, s22
	s_addc_u32 s69, 0, s70
	s_add_u32 s22, s22, s68
	s_mul_i32 s60, s4, s60
	s_addc_u32 s22, s69, s71
	s_addc_u32 s68, s72, 0
	s_add_u32 s22, s22, s60
	s_addc_u32 s60, 0, s68
	v_add_co_u32 v2, s22, v2, s22
	s_delay_alu instid0(VALU_DEP_1) | instskip(SKIP_1) | instid1(VALU_DEP_1)
	s_cmp_lg_u32 s22, 0
	s_addc_u32 s4, s4, s60
	v_readfirstlane_b32 s22, v2
	s_mul_i32 s60, s23, s4
	s_delay_alu instid0(VALU_DEP_1)
	s_mul_hi_u32 s68, s23, s22
	s_mul_i32 s54, s54, s22
	s_add_i32 s60, s68, s60
	s_mul_i32 s23, s23, s22
	s_add_i32 s60, s60, s54
	s_mul_hi_u32 s68, s4, s23
	s_mul_i32 s69, s4, s23
	s_mul_hi_u32 s23, s22, s23
	s_mul_hi_u32 s70, s22, s60
	s_mul_i32 s22, s22, s60
	s_mul_hi_u32 s54, s4, s60
	s_add_u32 s22, s23, s22
	s_addc_u32 s23, 0, s70
	s_add_u32 s22, s22, s69
	s_mul_i32 s60, s4, s60
	s_addc_u32 s22, s23, s68
	s_addc_u32 s23, s54, 0
	s_add_u32 s22, s22, s60
	s_addc_u32 s23, 0, s23
	v_add_co_u32 v2, s22, v2, s22
	s_delay_alu instid0(VALU_DEP_1) | instskip(SKIP_2) | instid1(VALU_DEP_1)
	s_cmp_lg_u32 s22, 0
	s_addc_u32 s4, s4, s23
	s_ashr_i32 s22, s5, 31
	v_readfirstlane_b32 s54, v2
	s_add_u32 s68, s21, s22
	s_mov_b32 s23, s22
	s_addc_u32 s69, s5, s22
	s_delay_alu instid0(SALU_CYCLE_1) | instskip(NEXT) | instid1(SALU_CYCLE_1)
	s_xor_b64 s[68:69], s[68:69], s[22:23]
	s_mul_i32 s60, s68, s4
	s_mul_hi_u32 s70, s68, s54
	s_mul_hi_u32 s23, s68, s4
	;; [unrolled: 1-line block ×3, first 2 shown]
	s_mul_i32 s54, s69, s54
	s_add_u32 s60, s70, s60
	s_addc_u32 s23, 0, s23
	s_mul_hi_u32 s71, s69, s4
	s_add_u32 s54, s60, s54
	s_mul_i32 s4, s69, s4
	s_addc_u32 s23, s23, s72
	s_addc_u32 s54, s71, 0
	s_add_u32 s4, s23, s4
	s_addc_u32 s23, 0, s54
	s_mul_hi_u32 s54, s33, s4
	s_mul_i32 s4, s33, s4
	s_mul_i32 s23, s33, s23
	v_sub_co_u32 v2, s4, s68, s4
	s_add_i32 s54, s54, s23
	s_cmp_lg_u32 s4, 0
	s_delay_alu instid0(VALU_DEP_1) | instskip(SKIP_2) | instid1(VALU_DEP_1)
	v_sub_co_u32 v3, s4, v2, s33
	s_subb_u32 s23, s69, s54
	s_cmp_lg_u32 s4, 0
	v_cmp_le_u32_e32 vcc_lo, s33, v3
	v_sub_co_u32 v4, s4, v3, s33
	s_subb_u32 s54, s23, 0
	s_cmp_lg_u32 s4, 0
	v_cndmask_b32_e64 v5, 0, -1, vcc_lo
	s_subb_u32 s4, s54, 0
	s_cmp_eq_u32 s54, 0
	v_mov_b32_e32 v7, s4
	s_cselect_b32 vcc_lo, -1, 0
	s_cmp_eq_u32 s23, 0
	v_cndmask_b32_e32 v5, -1, v5, vcc_lo
	v_cmp_le_u32_e32 vcc_lo, s33, v2
	s_cselect_b32 s4, -1, 0
	v_cndmask_b32_e64 v6, 0, -1, vcc_lo
	s_delay_alu instid0(VALU_DEP_3) | instskip(NEXT) | instid1(VALU_DEP_2)
	v_cmp_ne_u32_e32 vcc_lo, 0, v5
	v_cndmask_b32_e64 v5, -1, v6, s4
	v_cndmask_b32_e32 v3, v3, v4, vcc_lo
	v_cndmask_b32_e32 v6, s54, v7, vcc_lo
	s_delay_alu instid0(VALU_DEP_3) | instskip(NEXT) | instid1(VALU_DEP_3)
	v_cmp_ne_u32_e32 vcc_lo, 0, v5
	v_cndmask_b32_e32 v2, v2, v3, vcc_lo
	s_delay_alu instid0(VALU_DEP_3) | instskip(NEXT) | instid1(VALU_DEP_2)
	v_cndmask_b32_e32 v4, s23, v6, vcc_lo
	v_xor_b32_e32 v2, s22, v2
	s_delay_alu instid0(VALU_DEP_2) | instskip(NEXT) | instid1(VALU_DEP_2)
	v_xor_b32_e32 v3, s22, v4
	v_sub_co_u32 v2, vcc_lo, v2, s22
	s_delay_alu instid0(VALU_DEP_2)
	v_subrev_co_ci_u32_e32 v3, vcc_lo, s22, v3, vcc_lo
	s_cbranch_execnz .LBB69_110
.LBB69_109:                             ;   in Loop: Header=BB69_17 Depth=1
	v_cvt_f32_u32_e32 v2, s33
	s_sub_i32 s4, 0, s33
	s_delay_alu instid0(VALU_DEP_1) | instskip(SKIP_2) | instid1(VALU_DEP_1)
	v_rcp_iflag_f32_e32 v2, v2
	s_waitcnt_depctr 0xfff
	v_mul_f32_e32 v2, 0x4f7ffffe, v2
	v_cvt_u32_f32_e32 v2, v2
	s_delay_alu instid0(VALU_DEP_1) | instskip(NEXT) | instid1(VALU_DEP_1)
	v_mul_lo_u32 v3, s4, v2
	v_mul_hi_u32 v3, v2, v3
	s_delay_alu instid0(VALU_DEP_1) | instskip(NEXT) | instid1(VALU_DEP_1)
	v_add_nc_u32_e32 v2, v2, v3
	v_mul_hi_u32 v2, s21, v2
	s_delay_alu instid0(VALU_DEP_1) | instskip(NEXT) | instid1(VALU_DEP_1)
	v_mul_lo_u32 v2, v2, s33
	v_sub_nc_u32_e32 v2, s21, v2
	s_delay_alu instid0(VALU_DEP_1) | instskip(SKIP_1) | instid1(VALU_DEP_2)
	v_subrev_nc_u32_e32 v3, s33, v2
	v_cmp_le_u32_e32 vcc_lo, s33, v2
	v_cndmask_b32_e32 v2, v2, v3, vcc_lo
	s_delay_alu instid0(VALU_DEP_1) | instskip(SKIP_1) | instid1(VALU_DEP_2)
	v_subrev_nc_u32_e32 v3, s33, v2
	v_cmp_le_u32_e32 vcc_lo, s33, v2
	v_cndmask_b32_e32 v12, v2, v3, vcc_lo
	s_delay_alu instid0(VALU_DEP_1)
	v_dual_mov_b32 v2, v12 :: v_dual_mov_b32 v3, v13
.LBB69_110:                             ;   in Loop: Header=BB69_17 Depth=1
	s_delay_alu instid0(VALU_DEP_1) | instskip(NEXT) | instid1(VALU_DEP_2)
	v_sub_co_u32 v2, vcc_lo, s21, v2
	v_sub_co_ci_u32_e32 v3, vcc_lo, s5, v3, vcc_lo
	s_mov_b32 s4, 0
	s_mov_b32 s5, exec_lo
                                        ; implicit-def: $vgpr43
	s_delay_alu instid0(VALU_DEP_1)
	v_cmpx_gt_i64_e64 v[2:3], v[0:1]
	s_cbranch_execz .LBB69_119
; %bb.111:                              ;   in Loop: Header=BB69_17 Depth=1
	v_dual_mov_b32 v6, v32 :: v_dual_mov_b32 v5, v1
	v_mov_b32_e32 v4, v0
	s_mov_b32 s21, 0
                                        ; implicit-def: $sgpr22
	s_branch .LBB69_113
.LBB69_112:                             ;   in Loop: Header=BB69_113 Depth=2
	s_or_b32 exec_lo, exec_lo, s4
	s_waitcnt lgkmcnt(0)
	s_barrier
	buffer_gl0_inv
	ds_load_b32 v7, v13 offset:3072
	v_add_co_u32 v4, vcc_lo, v4, s33
	v_add_co_ci_u32_e32 v5, vcc_lo, 0, v5, vcc_lo
	v_add_nc_u32_e32 v6, s87, v6
	s_waitcnt lgkmcnt(0)
	s_barrier
	s_delay_alu instid0(VALU_DEP_2) | instskip(SKIP_2) | instid1(VALU_DEP_1)
	v_cmp_ge_i64_e32 vcc_lo, v[4:5], v[2:3]
	buffer_gl0_inv
	v_and_b32_e32 v8, 0x7fff, v7
	v_cmp_ne_u16_e64 s4, 0, v8
	s_delay_alu instid0(VALU_DEP_1) | instskip(NEXT) | instid1(SALU_CYCLE_1)
	s_or_b32 s23, s4, vcc_lo
	s_and_b32 s23, exec_lo, s23
	s_delay_alu instid0(SALU_CYCLE_1) | instskip(SKIP_2) | instid1(SALU_CYCLE_1)
	s_or_b32 s21, s23, s21
	s_and_not1_b32 s22, s22, exec_lo
	s_and_b32 s4, s4, exec_lo
	s_or_b32 s22, s22, s4
	s_and_not1_b32 exec_lo, exec_lo, s21
	s_cbranch_execz .LBB69_118
.LBB69_113:                             ;   Parent Loop BB69_17 Depth=1
                                        ; =>  This Inner Loop Header: Depth=2
	s_delay_alu instid0(VALU_DEP_1)
	v_cmp_gt_i64_e32 vcc_lo, s[14:15], v[4:5]
	v_mov_b32_e32 v7, 0
	s_and_saveexec_b32 s4, vcc_lo
	s_cbranch_execz .LBB69_115
; %bb.114:                              ;   in Loop: Header=BB69_113 Depth=2
	ds_load_u16 v7, v6
.LBB69_115:                             ;   in Loop: Header=BB69_113 Depth=2
	s_or_b32 exec_lo, exec_lo, s4
	s_and_saveexec_b32 s4, vcc_lo
	s_cbranch_execz .LBB69_112
; %bb.116:                              ;   in Loop: Header=BB69_113 Depth=2
	s_waitcnt lgkmcnt(0)
	v_cmp_lt_i16_e32 vcc_lo, -1, v7
	v_and_b32_e32 v8, 0xffff, v7
	v_dual_cndmask_b32 v9, 0xffff, v41 :: v_dual_lshlrev_b32 v12, 16, v7
	s_delay_alu instid0(VALU_DEP_1) | instskip(NEXT) | instid1(VALU_DEP_2)
	v_cmp_o_f32_e32 vcc_lo, v12, v12
	v_xor_b32_e32 v8, v9, v8
	s_delay_alu instid0(VALU_DEP_1) | instskip(NEXT) | instid1(VALU_DEP_1)
	v_cndmask_b32_e32 v8, 0xffff, v8, vcc_lo
	v_and_b32_e32 v8, s98, v8
	s_delay_alu instid0(VALU_DEP_1)
	v_cmp_eq_u32_e32 vcc_lo, s99, v8
	s_and_b32 exec_lo, exec_lo, vcc_lo
	s_cbranch_execz .LBB69_112
; %bb.117:                              ;   in Loop: Header=BB69_113 Depth=2
	v_perm_b32 v7, v7, s88, 0x5040100
	ds_store_b32 v13, v7 offset:3072
	s_branch .LBB69_112
.LBB69_118:                             ;   in Loop: Header=BB69_17 Depth=1
	s_or_b32 exec_lo, exec_lo, s21
	v_lshrrev_b32_e32 v43, 16, v7
	s_and_b32 s4, s22, exec_lo
.LBB69_119:                             ;   in Loop: Header=BB69_17 Depth=1
	s_or_b32 exec_lo, exec_lo, s5
	s_mov_b32 s22, -1
	s_mov_b32 s5, 0
	s_mov_b32 s21, 0
.LBB69_120:                             ;   in Loop: Header=BB69_17 Depth=1
	s_and_not1_b32 s14, s95, exec_lo
	s_and_b32 s5, s5, exec_lo
	s_and_not1_b32 s15, s96, exec_lo
	s_or_b32 s95, s14, s5
	s_and_not1_b32 s5, s97, exec_lo
	s_and_b32 s14, s22, exec_lo
	s_and_b32 s21, s21, exec_lo
	s_or_b32 s97, s5, s14
	s_or_b32 s96, s15, s21
	s_and_saveexec_b32 s14, s4
	s_cbranch_execz .LBB69_16
; %bb.121:                              ;   in Loop: Header=BB69_17 Depth=1
	s_xor_b32 s4, s20, -1
	s_mov_b32 s60, 1
	s_and_not1_b32 vcc_lo, exec_lo, s4
	s_cbranch_vccnz .LBB69_132
; %bb.122:                              ;   in Loop: Header=BB69_17 Depth=1
	v_cmp_gt_i64_e64 s4, s[26:27], s[12:13]
                                        ; implicit-def: $sgpr60
                                        ; implicit-def: $sgpr5
                                        ; implicit-def: $sgpr15
	s_delay_alu instid0(VALU_DEP_1)
	s_and_b32 vcc_lo, exec_lo, s4
	s_mov_b32 s4, -1
	s_cbranch_vccnz .LBB69_128
; %bb.123:                              ;   in Loop: Header=BB69_17 Depth=1
	ds_load_b64 v[2:3], v13 offset:5120
	s_waitcnt lgkmcnt(0)
	v_cmp_ne_u64_e32 vcc_lo, 0, v[2:3]
	s_cbranch_vccnz .LBB69_127
; %bb.124:                              ;   in Loop: Header=BB69_17 Depth=1
	s_and_saveexec_b32 s4, s2
	s_cbranch_execz .LBB69_126
; %bb.125:                              ;   in Loop: Header=BB69_17 Depth=1
	v_dual_mov_b32 v2, s12 :: v_dual_mov_b32 v3, s13
	ds_store_b64 v13, v[2:3] offset:5128
.LBB69_126:                             ;   in Loop: Header=BB69_17 Depth=1
	s_or_b32 exec_lo, exec_lo, s4
	s_waitcnt lgkmcnt(0)
	s_barrier
	buffer_gl0_inv
.LBB69_127:                             ;   in Loop: Header=BB69_17 Depth=1
	s_and_b32 s5, s99, s18
	s_or_b32 s15, s98, s16
	s_mov_b32 s4, 0
	s_mov_b32 s60, 8
.LBB69_128:                             ;   in Loop: Header=BB69_17 Depth=1
	s_and_not1_b32 vcc_lo, exec_lo, s4
	s_cbranch_vccnz .LBB69_130
; %bb.129:                              ;   in Loop: Header=BB69_17 Depth=1
	s_sub_u32 s26, s26, s12
	s_subb_u32 s27, s27, s13
	s_mov_b32 s4, -1
	s_mov_b32 s60, 0
	s_mov_b32 s5, s99
	;; [unrolled: 1-line block ×3, first 2 shown]
.LBB69_130:                             ;   in Loop: Header=BB69_17 Depth=1
	s_delay_alu instid0(SALU_CYCLE_1)
	s_mov_b32 s98, s15
	s_mov_b32 s99, s5
	s_and_b32 vcc_lo, exec_lo, s4
	s_mov_b32 s15, -1
	s_cbranch_vccnz .LBB69_133
.LBB69_131:                             ;   in Loop: Header=BB69_17 Depth=1
	s_mov_b32 s5, -1
                                        ; implicit-def: $sgpr19
                                        ; implicit-def: $sgpr21
                                        ; implicit-def: $sgpr20
	s_delay_alu instid0(SALU_CYCLE_1) | instskip(NEXT) | instid1(SALU_CYCLE_1)
	s_and_saveexec_b32 s4, s5
	s_xor_b32 s4, exec_lo, s4
	s_cbranch_execz .LBB69_15
	s_branch .LBB69_279
.LBB69_132:                             ;   in Loop: Header=BB69_17 Depth=1
	s_mov_b64 s[26:27], 1
	s_mov_b32 s15, -1
	s_branch .LBB69_131
.LBB69_133:                             ;   in Loop: Header=BB69_17 Depth=1
	s_cmp_eq_u64 s[10:11], 1
	s_cselect_b32 s4, -1, 0
	s_cmp_eq_u64 s[26:27], 1
	s_cselect_b32 s5, -1, 0
	s_delay_alu instid0(SALU_CYCLE_1)
	s_and_b32 s22, s4, s5
	s_mov_b32 s4, -1
	s_and_b32 vcc_lo, exec_lo, s22
	s_cbranch_vccz .LBB69_148
; %bb.134:                              ;   in Loop: Header=BB69_17 Depth=1
	ds_load_b64 v[2:3], v13 offset:5120
	s_waitcnt lgkmcnt(0)
	s_barrier
	buffer_gl0_inv
	v_readfirstlane_b32 s12, v2
	v_readfirstlane_b32 s13, v3
	s_and_saveexec_b32 s4, s3
	s_cbranch_execz .LBB69_136
; %bb.135:                              ;   in Loop: Header=BB69_17 Depth=1
	ds_store_b16 v33, v13
.LBB69_136:                             ;   in Loop: Header=BB69_17 Depth=1
	s_or_b32 exec_lo, exec_lo, s4
	s_delay_alu instid0(VALU_DEP_1)
	v_cmp_gt_i64_e64 s19, s[12:13], 0
	s_lshl_b32 s4, 1, s17
	s_and_b32 s5, s99, s18
	s_or_b32 s98, s98, s16
	s_or_b32 s99, s5, s4
	s_waitcnt lgkmcnt(0)
	s_and_b32 vcc_lo, exec_lo, s19
	s_barrier
	buffer_gl0_inv
	s_cbranch_vccnz .LBB69_151
; %bb.137:                              ;   in Loop: Header=BB69_17 Depth=1
	s_mov_b32 s60, s55
	s_delay_alu instid0(SALU_CYCLE_1)
	s_cmp_lg_u64 s[60:61], 0
	s_cbranch_scc0 .LBB69_196
; %bb.138:                              ;   in Loop: Header=BB69_17 Depth=1
	v_cvt_f32_u32_e32 v2, s33
	s_sub_u32 s19, 0, s33
	s_subb_u32 s20, 0, 0
	s_delay_alu instid0(VALU_DEP_1) | instskip(NEXT) | instid1(VALU_DEP_1)
	v_fmac_f32_e32 v2, 0x4f800000, v42
	v_rcp_f32_e32 v2, v2
	s_waitcnt_depctr 0xfff
	v_mul_f32_e32 v2, 0x5f7ffffc, v2
	s_delay_alu instid0(VALU_DEP_1) | instskip(NEXT) | instid1(VALU_DEP_1)
	v_mul_f32_e32 v3, 0x2f800000, v2
	v_trunc_f32_e32 v3, v3
	s_delay_alu instid0(VALU_DEP_1) | instskip(SKIP_1) | instid1(VALU_DEP_2)
	v_fmac_f32_e32 v2, 0xcf800000, v3
	v_cvt_u32_f32_e32 v3, v3
	v_cvt_u32_f32_e32 v2, v2
	s_delay_alu instid0(VALU_DEP_2) | instskip(NEXT) | instid1(VALU_DEP_2)
	v_readfirstlane_b32 s4, v3
	v_readfirstlane_b32 s5, v2
	s_delay_alu instid0(VALU_DEP_2) | instskip(NEXT) | instid1(VALU_DEP_1)
	s_mul_i32 s21, s19, s4
	s_mul_hi_u32 s54, s19, s5
	s_mul_i32 s23, s20, s5
	s_add_i32 s21, s54, s21
	s_mul_i32 s60, s19, s5
	s_add_i32 s21, s21, s23
	s_mul_hi_u32 s54, s5, s60
	s_mul_hi_u32 s68, s4, s60
	s_mul_i32 s23, s4, s60
	s_mul_hi_u32 s60, s5, s21
	s_mul_i32 s5, s5, s21
	s_mul_hi_u32 s69, s4, s21
	s_add_u32 s5, s54, s5
	s_addc_u32 s54, 0, s60
	s_add_u32 s5, s5, s23
	s_mul_i32 s21, s4, s21
	s_addc_u32 s5, s54, s68
	s_addc_u32 s23, s69, 0
	s_add_u32 s5, s5, s21
	s_addc_u32 s21, 0, s23
	v_add_co_u32 v2, s5, v2, s5
	s_delay_alu instid0(VALU_DEP_1) | instskip(SKIP_1) | instid1(VALU_DEP_1)
	s_cmp_lg_u32 s5, 0
	s_addc_u32 s4, s4, s21
	v_readfirstlane_b32 s5, v2
	s_mul_i32 s21, s19, s4
	s_delay_alu instid0(VALU_DEP_1)
	s_mul_hi_u32 s23, s19, s5
	s_mul_i32 s20, s20, s5
	s_add_i32 s21, s23, s21
	s_mul_i32 s19, s19, s5
	s_add_i32 s21, s21, s20
	s_mul_hi_u32 s23, s4, s19
	s_mul_i32 s54, s4, s19
	s_mul_hi_u32 s19, s5, s19
	s_mul_hi_u32 s60, s5, s21
	s_mul_i32 s5, s5, s21
	s_mul_hi_u32 s20, s4, s21
	s_add_u32 s5, s19, s5
	s_addc_u32 s19, 0, s60
	s_add_u32 s5, s5, s54
	s_mul_i32 s21, s4, s21
	s_addc_u32 s5, s19, s23
	s_addc_u32 s19, s20, 0
	s_add_u32 s5, s5, s21
	s_addc_u32 s19, 0, s19
	v_add_co_u32 v2, s5, v2, s5
	s_delay_alu instid0(VALU_DEP_1) | instskip(SKIP_2) | instid1(VALU_DEP_1)
	s_cmp_lg_u32 s5, 0
	s_addc_u32 s19, s4, s19
	s_ashr_i32 s20, s61, 31
	v_readfirstlane_b32 s23, v2
	s_add_u32 s4, s81, s20
	s_mov_b32 s21, s20
	s_addc_u32 s5, s61, s20
	s_delay_alu instid0(SALU_CYCLE_1) | instskip(NEXT) | instid1(SALU_CYCLE_1)
	s_xor_b64 s[4:5], s[4:5], s[20:21]
	s_mul_i32 s54, s4, s19
	s_mul_hi_u32 s60, s4, s23
	s_mul_hi_u32 s21, s4, s19
	;; [unrolled: 1-line block ×3, first 2 shown]
	s_mul_i32 s23, s5, s23
	s_add_u32 s54, s60, s54
	s_addc_u32 s21, 0, s21
	s_mul_hi_u32 s68, s5, s19
	s_add_u32 s23, s54, s23
	s_mul_i32 s19, s5, s19
	s_addc_u32 s21, s21, s69
	s_addc_u32 s23, s68, 0
	s_add_u32 s19, s21, s19
	s_addc_u32 s21, 0, s23
	s_mul_hi_u32 s23, s33, s19
	s_mul_i32 s19, s33, s19
	s_mul_i32 s21, s33, s21
	v_sub_co_u32 v2, s4, s4, s19
	s_add_i32 s23, s23, s21
	s_cmp_lg_u32 s4, 0
	s_delay_alu instid0(VALU_DEP_1) | instskip(SKIP_2) | instid1(VALU_DEP_1)
	v_sub_co_u32 v3, s4, v2, s33
	s_subb_u32 s5, s5, s23
	s_cmp_lg_u32 s4, 0
	v_cmp_le_u32_e32 vcc_lo, s33, v3
	v_sub_co_u32 v4, s4, v3, s33
	s_subb_u32 s19, s5, 0
	s_cmp_lg_u32 s4, 0
	v_cndmask_b32_e64 v5, 0, -1, vcc_lo
	s_subb_u32 s4, s19, 0
	s_cmp_eq_u32 s19, 0
	v_mov_b32_e32 v7, s4
	s_cselect_b32 vcc_lo, -1, 0
	s_cmp_eq_u32 s5, 0
	v_cndmask_b32_e32 v5, -1, v5, vcc_lo
	v_cmp_le_u32_e32 vcc_lo, s33, v2
	s_cselect_b32 s4, -1, 0
	v_cndmask_b32_e64 v6, 0, -1, vcc_lo
	s_delay_alu instid0(VALU_DEP_3) | instskip(NEXT) | instid1(VALU_DEP_2)
	v_cmp_ne_u32_e32 vcc_lo, 0, v5
	v_cndmask_b32_e64 v5, -1, v6, s4
	v_cndmask_b32_e32 v3, v3, v4, vcc_lo
	v_cndmask_b32_e32 v6, s19, v7, vcc_lo
	s_delay_alu instid0(VALU_DEP_3) | instskip(NEXT) | instid1(VALU_DEP_3)
	v_cmp_ne_u32_e32 vcc_lo, 0, v5
	v_cndmask_b32_e32 v2, v2, v3, vcc_lo
	s_delay_alu instid0(VALU_DEP_3) | instskip(NEXT) | instid1(VALU_DEP_2)
	v_cndmask_b32_e32 v4, s5, v6, vcc_lo
	v_xor_b32_e32 v2, s20, v2
	s_delay_alu instid0(VALU_DEP_2) | instskip(NEXT) | instid1(VALU_DEP_2)
	v_xor_b32_e32 v3, s20, v4
	v_sub_co_u32 v2, vcc_lo, v2, s20
	s_delay_alu instid0(VALU_DEP_2)
	v_subrev_co_ci_u32_e32 v3, vcc_lo, s20, v3, vcc_lo
	s_cbranch_execnz .LBB69_140
.LBB69_139:                             ;   in Loop: Header=BB69_17 Depth=1
	v_cvt_f32_u32_e32 v2, s33
	s_sub_i32 s4, 0, s33
	s_delay_alu instid0(VALU_DEP_1) | instskip(SKIP_2) | instid1(VALU_DEP_1)
	v_rcp_iflag_f32_e32 v2, v2
	s_waitcnt_depctr 0xfff
	v_mul_f32_e32 v2, 0x4f7ffffe, v2
	v_cvt_u32_f32_e32 v2, v2
	s_delay_alu instid0(VALU_DEP_1) | instskip(NEXT) | instid1(VALU_DEP_1)
	v_mul_lo_u32 v3, s4, v2
	v_mul_hi_u32 v3, v2, v3
	s_delay_alu instid0(VALU_DEP_1) | instskip(NEXT) | instid1(VALU_DEP_1)
	v_add_nc_u32_e32 v2, v2, v3
	v_mul_hi_u32 v2, s81, v2
	s_delay_alu instid0(VALU_DEP_1) | instskip(NEXT) | instid1(VALU_DEP_1)
	v_mul_lo_u32 v2, v2, s33
	v_sub_nc_u32_e32 v2, s81, v2
	s_delay_alu instid0(VALU_DEP_1) | instskip(SKIP_1) | instid1(VALU_DEP_2)
	v_subrev_nc_u32_e32 v3, s33, v2
	v_cmp_le_u32_e32 vcc_lo, s33, v2
	v_cndmask_b32_e32 v2, v2, v3, vcc_lo
	s_delay_alu instid0(VALU_DEP_1) | instskip(SKIP_1) | instid1(VALU_DEP_2)
	v_subrev_nc_u32_e32 v3, s33, v2
	v_cmp_le_u32_e32 vcc_lo, s33, v2
	v_cndmask_b32_e32 v12, v2, v3, vcc_lo
	s_delay_alu instid0(VALU_DEP_1)
	v_dual_mov_b32 v2, v12 :: v_dual_mov_b32 v3, v13
.LBB69_140:                             ;   in Loop: Header=BB69_17 Depth=1
	s_delay_alu instid0(VALU_DEP_1) | instskip(NEXT) | instid1(VALU_DEP_2)
	v_sub_co_u32 v2, vcc_lo, s81, v2
	v_sub_co_ci_u32_e32 v3, vcc_lo, s61, v3, vcc_lo
	s_mov_b32 s4, 0
	s_mov_b32 s5, exec_lo
                                        ; implicit-def: $vgpr43
	s_delay_alu instid0(VALU_DEP_1)
	v_cmpx_gt_i64_e64 v[2:3], v[0:1]
	s_cbranch_execz .LBB69_153
; %bb.141:                              ;   in Loop: Header=BB69_17 Depth=1
	v_dual_mov_b32 v4, v10 :: v_dual_mov_b32 v5, v11
	v_dual_mov_b32 v7, v1 :: v_dual_mov_b32 v6, v0
	s_mov_b32 s19, 0
                                        ; implicit-def: $sgpr20
	s_branch .LBB69_143
.LBB69_142:                             ;   in Loop: Header=BB69_143 Depth=2
	s_or_b32 exec_lo, exec_lo, s4
	s_waitcnt vmcnt(0) lgkmcnt(0)
	s_barrier
	buffer_gl0_inv
	ds_load_b32 v8, v13 offset:3072
	v_add_co_u32 v6, vcc_lo, v6, s33
	v_add_co_ci_u32_e32 v7, vcc_lo, 0, v7, vcc_lo
	s_waitcnt lgkmcnt(0)
	s_barrier
	buffer_gl0_inv
	v_cmp_ge_i64_e32 vcc_lo, v[6:7], v[2:3]
	v_and_b32_e32 v9, 0x7fff, v8
	s_delay_alu instid0(VALU_DEP_1) | instskip(NEXT) | instid1(VALU_DEP_1)
	v_cmp_ne_u16_e64 s4, 0, v9
	s_or_b32 s21, s4, vcc_lo
	v_add_co_u32 v4, vcc_lo, v4, s56
	s_and_b32 s21, exec_lo, s21
	v_add_co_ci_u32_e32 v5, vcc_lo, s57, v5, vcc_lo
	s_or_b32 s19, s21, s19
	s_and_not1_b32 s20, s20, exec_lo
	s_and_b32 s4, s4, exec_lo
	s_delay_alu instid0(SALU_CYCLE_1)
	s_or_b32 s20, s20, s4
	s_and_not1_b32 exec_lo, exec_lo, s19
	s_cbranch_execz .LBB69_152
.LBB69_143:                             ;   Parent Loop BB69_17 Depth=1
                                        ; =>  This Inner Loop Header: Depth=2
	s_delay_alu instid0(VALU_DEP_1)
	v_cmp_gt_i64_e32 vcc_lo, s[24:25], v[6:7]
	v_mov_b32_e32 v8, 0
	s_and_saveexec_b32 s4, vcc_lo
	s_cbranch_execz .LBB69_145
; %bb.144:                              ;   in Loop: Header=BB69_143 Depth=2
	global_load_u16 v8, v[4:5], off
.LBB69_145:                             ;   in Loop: Header=BB69_143 Depth=2
	s_or_b32 exec_lo, exec_lo, s4
	s_and_saveexec_b32 s4, vcc_lo
	s_cbranch_execz .LBB69_142
; %bb.146:                              ;   in Loop: Header=BB69_143 Depth=2
	s_waitcnt vmcnt(0)
	v_cmp_lt_i16_e32 vcc_lo, -1, v8
	v_and_b32_e32 v9, 0xffff, v8
	v_dual_cndmask_b32 v12, 0xffff, v41 :: v_dual_lshlrev_b32 v23, 16, v8
	s_delay_alu instid0(VALU_DEP_1) | instskip(NEXT) | instid1(VALU_DEP_2)
	v_cmp_o_f32_e32 vcc_lo, v23, v23
	v_xor_b32_e32 v9, v12, v9
	s_delay_alu instid0(VALU_DEP_1) | instskip(NEXT) | instid1(VALU_DEP_1)
	v_cndmask_b32_e32 v9, 0xffff, v9, vcc_lo
	v_and_b32_e32 v9, s98, v9
	s_delay_alu instid0(VALU_DEP_1)
	v_cmp_eq_u32_e32 vcc_lo, s99, v9
	s_and_b32 exec_lo, exec_lo, vcc_lo
	s_cbranch_execz .LBB69_142
; %bb.147:                              ;   in Loop: Header=BB69_143 Depth=2
	v_perm_b32 v8, v8, s88, 0x5040100
	ds_store_b32 v13, v8 offset:3072
	s_branch .LBB69_142
.LBB69_148:                             ;   in Loop: Header=BB69_17 Depth=1
                                        ; implicit-def: $sgpr20
                                        ; implicit-def: $sgpr21
                                        ; implicit-def: $sgpr19
	s_branch .LBB69_167
.LBB69_149:                             ;   in Loop: Header=BB69_17 Depth=1
                                        ; implicit-def: $vgpr2_vgpr3
	s_branch .LBB69_94
.LBB69_150:                             ;   in Loop: Header=BB69_17 Depth=1
                                        ; implicit-def: $vgpr2_vgpr3
	s_branch .LBB69_109
.LBB69_151:                             ;   in Loop: Header=BB69_17 Depth=1
	s_mov_b32 s20, -1
	s_mov_b32 s4, 0
                                        ; implicit-def: $sgpr19
                                        ; implicit-def: $vgpr43
	s_mov_b32 s21, s20
	s_cbranch_execnz .LBB69_154
	s_branch .LBB69_167
.LBB69_152:                             ;   in Loop: Header=BB69_17 Depth=1
	s_or_b32 exec_lo, exec_lo, s19
	v_lshrrev_b32_e32 v43, 16, v8
	s_and_b32 s4, s20, exec_lo
.LBB69_153:                             ;   in Loop: Header=BB69_17 Depth=1
	s_or_b32 exec_lo, exec_lo, s5
	s_mov_b32 s19, -1
	s_mov_b32 s20, 0
	s_delay_alu instid0(SALU_CYCLE_1)
	s_mov_b32 s21, s20
	s_branch .LBB69_167
.LBB69_154:                             ;   in Loop: Header=BB69_17 Depth=1
	s_add_u32 s19, s79, s12
	s_addc_u32 s5, s80, s13
	s_mov_b32 s4, s55
	s_delay_alu instid0(SALU_CYCLE_1)
	s_cmp_lg_u64 s[4:5], 0
	s_cbranch_scc0 .LBB69_197
; %bb.155:                              ;   in Loop: Header=BB69_17 Depth=1
	v_cvt_f32_u32_e32 v2, s33
	s_sub_u32 s21, 0, s33
	s_subb_u32 s23, 0, 0
	s_delay_alu instid0(VALU_DEP_1) | instskip(NEXT) | instid1(VALU_DEP_1)
	v_fmac_f32_e32 v2, 0x4f800000, v42
	v_rcp_f32_e32 v2, v2
	s_waitcnt_depctr 0xfff
	v_mul_f32_e32 v2, 0x5f7ffffc, v2
	s_delay_alu instid0(VALU_DEP_1) | instskip(NEXT) | instid1(VALU_DEP_1)
	v_mul_f32_e32 v3, 0x2f800000, v2
	v_trunc_f32_e32 v3, v3
	s_delay_alu instid0(VALU_DEP_1) | instskip(SKIP_1) | instid1(VALU_DEP_2)
	v_fmac_f32_e32 v2, 0xcf800000, v3
	v_cvt_u32_f32_e32 v3, v3
	v_cvt_u32_f32_e32 v2, v2
	s_delay_alu instid0(VALU_DEP_2) | instskip(NEXT) | instid1(VALU_DEP_2)
	v_readfirstlane_b32 s4, v3
	v_readfirstlane_b32 s20, v2
	s_delay_alu instid0(VALU_DEP_2) | instskip(NEXT) | instid1(VALU_DEP_1)
	s_mul_i32 s54, s21, s4
	s_mul_hi_u32 s68, s21, s20
	s_mul_i32 s60, s23, s20
	s_add_i32 s54, s68, s54
	s_mul_i32 s69, s21, s20
	s_add_i32 s54, s54, s60
	s_mul_hi_u32 s68, s20, s69
	s_mul_hi_u32 s70, s4, s69
	s_mul_i32 s60, s4, s69
	s_mul_hi_u32 s69, s20, s54
	s_mul_i32 s20, s20, s54
	s_mul_hi_u32 s71, s4, s54
	s_add_u32 s20, s68, s20
	s_addc_u32 s68, 0, s69
	s_add_u32 s20, s20, s60
	s_mul_i32 s54, s4, s54
	s_addc_u32 s20, s68, s70
	s_addc_u32 s60, s71, 0
	s_add_u32 s20, s20, s54
	s_addc_u32 s54, 0, s60
	v_add_co_u32 v2, s20, v2, s20
	s_delay_alu instid0(VALU_DEP_1) | instskip(SKIP_1) | instid1(VALU_DEP_1)
	s_cmp_lg_u32 s20, 0
	s_addc_u32 s4, s4, s54
	v_readfirstlane_b32 s20, v2
	s_mul_i32 s54, s21, s4
	s_delay_alu instid0(VALU_DEP_1)
	s_mul_hi_u32 s60, s21, s20
	s_mul_i32 s23, s23, s20
	s_add_i32 s54, s60, s54
	s_mul_i32 s21, s21, s20
	s_add_i32 s54, s54, s23
	s_mul_hi_u32 s60, s4, s21
	s_mul_i32 s68, s4, s21
	s_mul_hi_u32 s21, s20, s21
	s_mul_hi_u32 s69, s20, s54
	s_mul_i32 s20, s20, s54
	s_mul_hi_u32 s23, s4, s54
	s_add_u32 s20, s21, s20
	s_addc_u32 s21, 0, s69
	s_add_u32 s20, s20, s68
	s_mul_i32 s54, s4, s54
	s_addc_u32 s20, s21, s60
	s_addc_u32 s21, s23, 0
	s_add_u32 s20, s20, s54
	s_addc_u32 s21, 0, s21
	v_add_co_u32 v2, s20, v2, s20
	s_delay_alu instid0(VALU_DEP_1) | instskip(SKIP_2) | instid1(VALU_DEP_1)
	s_cmp_lg_u32 s20, 0
	s_addc_u32 s4, s4, s21
	s_ashr_i32 s20, s5, 31
	v_readfirstlane_b32 s23, v2
	s_add_u32 s68, s19, s20
	s_mov_b32 s21, s20
	s_addc_u32 s69, s5, s20
	s_delay_alu instid0(SALU_CYCLE_1) | instskip(NEXT) | instid1(SALU_CYCLE_1)
	s_xor_b64 s[68:69], s[68:69], s[20:21]
	s_mul_i32 s54, s68, s4
	s_mul_hi_u32 s60, s68, s23
	s_mul_hi_u32 s21, s68, s4
	;; [unrolled: 1-line block ×3, first 2 shown]
	s_mul_i32 s23, s69, s23
	s_add_u32 s54, s60, s54
	s_addc_u32 s21, 0, s21
	s_mul_hi_u32 s70, s69, s4
	s_add_u32 s23, s54, s23
	s_mul_i32 s4, s69, s4
	s_addc_u32 s21, s21, s71
	s_addc_u32 s23, s70, 0
	s_add_u32 s4, s21, s4
	s_addc_u32 s21, 0, s23
	s_mul_hi_u32 s23, s33, s4
	s_mul_i32 s4, s33, s4
	s_mul_i32 s21, s33, s21
	v_sub_co_u32 v2, s4, s68, s4
	s_add_i32 s23, s23, s21
	s_cmp_lg_u32 s4, 0
	s_delay_alu instid0(VALU_DEP_1) | instskip(SKIP_2) | instid1(VALU_DEP_1)
	v_sub_co_u32 v3, s4, v2, s33
	s_subb_u32 s21, s69, s23
	s_cmp_lg_u32 s4, 0
	v_cmp_le_u32_e32 vcc_lo, s33, v3
	v_sub_co_u32 v4, s4, v3, s33
	s_subb_u32 s23, s21, 0
	s_cmp_lg_u32 s4, 0
	v_cndmask_b32_e64 v5, 0, -1, vcc_lo
	s_subb_u32 s4, s23, 0
	s_cmp_eq_u32 s23, 0
	v_mov_b32_e32 v7, s4
	s_cselect_b32 vcc_lo, -1, 0
	s_cmp_eq_u32 s21, 0
	v_cndmask_b32_e32 v5, -1, v5, vcc_lo
	v_cmp_le_u32_e32 vcc_lo, s33, v2
	s_cselect_b32 s4, -1, 0
	v_cndmask_b32_e64 v6, 0, -1, vcc_lo
	s_delay_alu instid0(VALU_DEP_3) | instskip(NEXT) | instid1(VALU_DEP_2)
	v_cmp_ne_u32_e32 vcc_lo, 0, v5
	v_cndmask_b32_e64 v5, -1, v6, s4
	v_cndmask_b32_e32 v3, v3, v4, vcc_lo
	v_cndmask_b32_e32 v6, s23, v7, vcc_lo
	s_delay_alu instid0(VALU_DEP_3) | instskip(NEXT) | instid1(VALU_DEP_3)
	v_cmp_ne_u32_e32 vcc_lo, 0, v5
	v_cndmask_b32_e32 v2, v2, v3, vcc_lo
	s_delay_alu instid0(VALU_DEP_3) | instskip(NEXT) | instid1(VALU_DEP_2)
	v_cndmask_b32_e32 v4, s21, v6, vcc_lo
	v_xor_b32_e32 v2, s20, v2
	s_delay_alu instid0(VALU_DEP_2) | instskip(NEXT) | instid1(VALU_DEP_2)
	v_xor_b32_e32 v3, s20, v4
	v_sub_co_u32 v2, vcc_lo, v2, s20
	s_delay_alu instid0(VALU_DEP_2)
	v_subrev_co_ci_u32_e32 v3, vcc_lo, s20, v3, vcc_lo
	s_cbranch_execnz .LBB69_157
.LBB69_156:                             ;   in Loop: Header=BB69_17 Depth=1
	v_cvt_f32_u32_e32 v2, s33
	s_sub_i32 s4, 0, s33
	s_delay_alu instid0(VALU_DEP_1) | instskip(SKIP_2) | instid1(VALU_DEP_1)
	v_rcp_iflag_f32_e32 v2, v2
	s_waitcnt_depctr 0xfff
	v_mul_f32_e32 v2, 0x4f7ffffe, v2
	v_cvt_u32_f32_e32 v2, v2
	s_delay_alu instid0(VALU_DEP_1) | instskip(NEXT) | instid1(VALU_DEP_1)
	v_mul_lo_u32 v3, s4, v2
	v_mul_hi_u32 v3, v2, v3
	s_delay_alu instid0(VALU_DEP_1) | instskip(NEXT) | instid1(VALU_DEP_1)
	v_add_nc_u32_e32 v2, v2, v3
	v_mul_hi_u32 v2, s19, v2
	s_delay_alu instid0(VALU_DEP_1) | instskip(NEXT) | instid1(VALU_DEP_1)
	v_mul_lo_u32 v2, v2, s33
	v_sub_nc_u32_e32 v2, s19, v2
	s_delay_alu instid0(VALU_DEP_1) | instskip(SKIP_1) | instid1(VALU_DEP_2)
	v_subrev_nc_u32_e32 v3, s33, v2
	v_cmp_le_u32_e32 vcc_lo, s33, v2
	v_cndmask_b32_e32 v2, v2, v3, vcc_lo
	s_delay_alu instid0(VALU_DEP_1) | instskip(SKIP_1) | instid1(VALU_DEP_2)
	v_subrev_nc_u32_e32 v3, s33, v2
	v_cmp_le_u32_e32 vcc_lo, s33, v2
	v_cndmask_b32_e32 v12, v2, v3, vcc_lo
	s_delay_alu instid0(VALU_DEP_1)
	v_dual_mov_b32 v2, v12 :: v_dual_mov_b32 v3, v13
.LBB69_157:                             ;   in Loop: Header=BB69_17 Depth=1
	s_delay_alu instid0(VALU_DEP_1) | instskip(NEXT) | instid1(VALU_DEP_2)
	v_sub_co_u32 v2, vcc_lo, s19, v2
	v_sub_co_ci_u32_e32 v3, vcc_lo, s5, v3, vcc_lo
	s_mov_b32 s4, 0
	s_mov_b32 s5, exec_lo
                                        ; implicit-def: $vgpr43
	s_delay_alu instid0(VALU_DEP_1)
	v_cmpx_gt_i64_e64 v[2:3], v[0:1]
	s_cbranch_execz .LBB69_166
; %bb.158:                              ;   in Loop: Header=BB69_17 Depth=1
	v_dual_mov_b32 v6, v32 :: v_dual_mov_b32 v5, v1
	v_mov_b32_e32 v4, v0
	s_mov_b32 s19, 0
                                        ; implicit-def: $sgpr20
	s_branch .LBB69_160
.LBB69_159:                             ;   in Loop: Header=BB69_160 Depth=2
	s_or_b32 exec_lo, exec_lo, s4
	s_waitcnt lgkmcnt(0)
	s_barrier
	buffer_gl0_inv
	ds_load_b32 v7, v13 offset:3072
	v_add_co_u32 v4, vcc_lo, v4, s33
	v_add_co_ci_u32_e32 v5, vcc_lo, 0, v5, vcc_lo
	v_add_nc_u32_e32 v6, s87, v6
	s_waitcnt lgkmcnt(0)
	s_barrier
	s_delay_alu instid0(VALU_DEP_2) | instskip(SKIP_2) | instid1(VALU_DEP_1)
	v_cmp_ge_i64_e32 vcc_lo, v[4:5], v[2:3]
	buffer_gl0_inv
	v_and_b32_e32 v8, 0x7fff, v7
	v_cmp_ne_u16_e64 s4, 0, v8
	s_delay_alu instid0(VALU_DEP_1) | instskip(NEXT) | instid1(SALU_CYCLE_1)
	s_or_b32 s21, s4, vcc_lo
	s_and_b32 s21, exec_lo, s21
	s_delay_alu instid0(SALU_CYCLE_1) | instskip(SKIP_2) | instid1(SALU_CYCLE_1)
	s_or_b32 s19, s21, s19
	s_and_not1_b32 s20, s20, exec_lo
	s_and_b32 s4, s4, exec_lo
	s_or_b32 s20, s20, s4
	s_and_not1_b32 exec_lo, exec_lo, s19
	s_cbranch_execz .LBB69_165
.LBB69_160:                             ;   Parent Loop BB69_17 Depth=1
                                        ; =>  This Inner Loop Header: Depth=2
	s_delay_alu instid0(VALU_DEP_1)
	v_cmp_gt_i64_e32 vcc_lo, s[12:13], v[4:5]
	v_mov_b32_e32 v7, 0
	s_and_saveexec_b32 s4, vcc_lo
	s_cbranch_execz .LBB69_162
; %bb.161:                              ;   in Loop: Header=BB69_160 Depth=2
	ds_load_u16 v7, v6
.LBB69_162:                             ;   in Loop: Header=BB69_160 Depth=2
	s_or_b32 exec_lo, exec_lo, s4
	s_and_saveexec_b32 s4, vcc_lo
	s_cbranch_execz .LBB69_159
; %bb.163:                              ;   in Loop: Header=BB69_160 Depth=2
	s_waitcnt lgkmcnt(0)
	v_cmp_lt_i16_e32 vcc_lo, -1, v7
	v_and_b32_e32 v8, 0xffff, v7
	v_dual_cndmask_b32 v9, 0xffff, v41 :: v_dual_lshlrev_b32 v12, 16, v7
	s_delay_alu instid0(VALU_DEP_1) | instskip(NEXT) | instid1(VALU_DEP_2)
	v_cmp_o_f32_e32 vcc_lo, v12, v12
	v_xor_b32_e32 v8, v9, v8
	s_delay_alu instid0(VALU_DEP_1) | instskip(NEXT) | instid1(VALU_DEP_1)
	v_cndmask_b32_e32 v8, 0xffff, v8, vcc_lo
	v_and_b32_e32 v8, s98, v8
	s_delay_alu instid0(VALU_DEP_1)
	v_cmp_eq_u32_e32 vcc_lo, s99, v8
	s_and_b32 exec_lo, exec_lo, vcc_lo
	s_cbranch_execz .LBB69_159
; %bb.164:                              ;   in Loop: Header=BB69_160 Depth=2
	v_perm_b32 v7, v7, s88, 0x5040100
	ds_store_b32 v13, v7 offset:3072
	s_branch .LBB69_159
.LBB69_165:                             ;   in Loop: Header=BB69_17 Depth=1
	s_or_b32 exec_lo, exec_lo, s19
	v_lshrrev_b32_e32 v43, 16, v7
	s_and_b32 s4, s20, exec_lo
.LBB69_166:                             ;   in Loop: Header=BB69_17 Depth=1
	s_or_b32 exec_lo, exec_lo, s5
	s_mov_b32 s21, -1
	s_mov_b32 s20, 0
	s_mov_b32 s19, 0
.LBB69_167:                             ;   in Loop: Header=BB69_17 Depth=1
	s_mov_b32 s5, 0
                                        ; implicit-def: $sgpr60
	s_and_saveexec_b32 s12, s4
	s_cbranch_execz .LBB69_278
; %bb.168:                              ;   in Loop: Header=BB69_17 Depth=1
	s_xor_b32 s4, s22, -1
	s_mov_b32 s60, 1
	s_and_not1_b32 vcc_lo, exec_lo, s4
	s_cbranch_vccnz .LBB69_179
; %bb.169:                              ;   in Loop: Header=BB69_17 Depth=1
	v_cmp_gt_i64_e64 s4, s[26:27], s[10:11]
                                        ; implicit-def: $sgpr60
                                        ; implicit-def: $sgpr5
                                        ; implicit-def: $sgpr13
	s_delay_alu instid0(VALU_DEP_1)
	s_and_b32 vcc_lo, exec_lo, s4
	s_mov_b32 s4, -1
	s_cbranch_vccnz .LBB69_175
; %bb.170:                              ;   in Loop: Header=BB69_17 Depth=1
	ds_load_b64 v[2:3], v13 offset:5120
	s_waitcnt lgkmcnt(0)
	v_cmp_ne_u64_e32 vcc_lo, 0, v[2:3]
	s_cbranch_vccnz .LBB69_174
; %bb.171:                              ;   in Loop: Header=BB69_17 Depth=1
	s_and_saveexec_b32 s4, s2
	s_cbranch_execz .LBB69_173
; %bb.172:                              ;   in Loop: Header=BB69_17 Depth=1
	v_dual_mov_b32 v2, s10 :: v_dual_mov_b32 v3, s11
	ds_store_b64 v13, v[2:3] offset:5128
.LBB69_173:                             ;   in Loop: Header=BB69_17 Depth=1
	s_or_b32 exec_lo, exec_lo, s4
	s_waitcnt lgkmcnt(0)
	s_barrier
	buffer_gl0_inv
.LBB69_174:                             ;   in Loop: Header=BB69_17 Depth=1
	s_lshl_b32 s4, 1, s17
	s_and_b32 s5, s99, s18
	s_or_b32 s13, s98, s16
	s_or_b32 s5, s5, s4
	s_mov_b32 s4, 0
	s_mov_b32 s60, 8
.LBB69_175:                             ;   in Loop: Header=BB69_17 Depth=1
	s_and_not1_b32 vcc_lo, exec_lo, s4
	s_cbranch_vccnz .LBB69_177
; %bb.176:                              ;   in Loop: Header=BB69_17 Depth=1
	s_sub_u32 s26, s26, s10
	s_subb_u32 s27, s27, s11
	s_mov_b32 s4, -1
	s_mov_b32 s60, 0
	s_mov_b32 s5, s99
	;; [unrolled: 1-line block ×3, first 2 shown]
.LBB69_177:                             ;   in Loop: Header=BB69_17 Depth=1
	s_delay_alu instid0(SALU_CYCLE_1)
	s_mov_b32 s98, s13
	s_mov_b32 s99, s5
	s_and_not1_b32 vcc_lo, exec_lo, s4
	s_mov_b32 s5, -1
	s_cbranch_vccz .LBB69_180
.LBB69_178:                             ;   in Loop: Header=BB69_17 Depth=1
                                        ; implicit-def: $sgpr22
                                        ; implicit-def: $sgpr23
                                        ; implicit-def: $sgpr13
	s_branch .LBB69_277
.LBB69_179:                             ;   in Loop: Header=BB69_17 Depth=1
	s_mov_b64 s[26:27], 1
	s_mov_b32 s5, -1
	s_cbranch_execnz .LBB69_178
.LBB69_180:                             ;   in Loop: Header=BB69_17 Depth=1
	s_cmp_eq_u64 s[8:9], 1
	s_cselect_b32 s4, -1, 0
	s_cmp_eq_u64 s[26:27], 1
	s_cselect_b32 s5, -1, 0
	s_delay_alu instid0(SALU_CYCLE_1)
	s_and_b32 s54, s4, s5
	s_mov_b32 s4, -1
	s_and_b32 vcc_lo, exec_lo, s54
	s_cbranch_vccz .LBB69_195
; %bb.181:                              ;   in Loop: Header=BB69_17 Depth=1
	ds_load_b64 v[2:3], v13 offset:5120
	s_waitcnt lgkmcnt(0)
	s_barrier
	buffer_gl0_inv
	v_readfirstlane_b32 s10, v2
	v_readfirstlane_b32 s11, v3
	s_and_saveexec_b32 s4, s3
	s_cbranch_execz .LBB69_183
; %bb.182:                              ;   in Loop: Header=BB69_17 Depth=1
	ds_store_b16 v33, v13
.LBB69_183:                             ;   in Loop: Header=BB69_17 Depth=1
	s_or_b32 exec_lo, exec_lo, s4
	s_delay_alu instid0(VALU_DEP_1)
	v_cmp_gt_i64_e64 s13, s[10:11], 0
	s_lshl_b32 s4, 2, s17
	s_and_b32 s5, s99, s18
	s_or_b32 s98, s98, s16
	s_or_b32 s99, s5, s4
	s_waitcnt lgkmcnt(0)
	s_and_b32 vcc_lo, exec_lo, s13
	s_barrier
	buffer_gl0_inv
	s_cbranch_vccnz .LBB69_198
; %bb.184:                              ;   in Loop: Header=BB69_17 Depth=1
	s_mov_b32 s60, s55
	s_delay_alu instid0(SALU_CYCLE_1)
	s_cmp_lg_u64 s[60:61], 0
	s_cbranch_scc0 .LBB69_243
; %bb.185:                              ;   in Loop: Header=BB69_17 Depth=1
	v_cvt_f32_u32_e32 v2, s33
	s_sub_u32 s13, 0, s33
	s_subb_u32 s22, 0, 0
	s_delay_alu instid0(VALU_DEP_1) | instskip(NEXT) | instid1(VALU_DEP_1)
	v_fmac_f32_e32 v2, 0x4f800000, v42
	v_rcp_f32_e32 v2, v2
	s_waitcnt_depctr 0xfff
	v_mul_f32_e32 v2, 0x5f7ffffc, v2
	s_delay_alu instid0(VALU_DEP_1) | instskip(NEXT) | instid1(VALU_DEP_1)
	v_mul_f32_e32 v3, 0x2f800000, v2
	v_trunc_f32_e32 v3, v3
	s_delay_alu instid0(VALU_DEP_1) | instskip(SKIP_1) | instid1(VALU_DEP_2)
	v_fmac_f32_e32 v2, 0xcf800000, v3
	v_cvt_u32_f32_e32 v3, v3
	v_cvt_u32_f32_e32 v2, v2
	s_delay_alu instid0(VALU_DEP_2) | instskip(NEXT) | instid1(VALU_DEP_2)
	v_readfirstlane_b32 s4, v3
	v_readfirstlane_b32 s5, v2
	s_delay_alu instid0(VALU_DEP_2) | instskip(NEXT) | instid1(VALU_DEP_1)
	s_mul_i32 s23, s13, s4
	s_mul_hi_u32 s68, s13, s5
	s_mul_i32 s60, s22, s5
	s_add_i32 s23, s68, s23
	s_mul_i32 s69, s13, s5
	s_add_i32 s23, s23, s60
	s_mul_hi_u32 s68, s5, s69
	s_mul_hi_u32 s70, s4, s69
	s_mul_i32 s60, s4, s69
	s_mul_hi_u32 s69, s5, s23
	s_mul_i32 s5, s5, s23
	s_mul_hi_u32 s71, s4, s23
	s_add_u32 s5, s68, s5
	s_addc_u32 s68, 0, s69
	s_add_u32 s5, s5, s60
	s_mul_i32 s23, s4, s23
	s_addc_u32 s5, s68, s70
	s_addc_u32 s60, s71, 0
	s_add_u32 s5, s5, s23
	s_addc_u32 s23, 0, s60
	v_add_co_u32 v2, s5, v2, s5
	s_delay_alu instid0(VALU_DEP_1) | instskip(SKIP_1) | instid1(VALU_DEP_1)
	s_cmp_lg_u32 s5, 0
	s_addc_u32 s4, s4, s23
	v_readfirstlane_b32 s5, v2
	s_mul_i32 s23, s13, s4
	s_delay_alu instid0(VALU_DEP_1)
	s_mul_hi_u32 s60, s13, s5
	s_mul_i32 s22, s22, s5
	s_add_i32 s23, s60, s23
	s_mul_i32 s13, s13, s5
	s_add_i32 s23, s23, s22
	s_mul_hi_u32 s60, s4, s13
	s_mul_i32 s68, s4, s13
	s_mul_hi_u32 s13, s5, s13
	s_mul_hi_u32 s69, s5, s23
	s_mul_i32 s5, s5, s23
	s_mul_hi_u32 s22, s4, s23
	s_add_u32 s5, s13, s5
	s_addc_u32 s13, 0, s69
	s_add_u32 s5, s5, s68
	s_mul_i32 s23, s4, s23
	s_addc_u32 s5, s13, s60
	s_addc_u32 s13, s22, 0
	s_add_u32 s5, s5, s23
	s_addc_u32 s13, 0, s13
	v_add_co_u32 v2, s5, v2, s5
	s_delay_alu instid0(VALU_DEP_1) | instskip(SKIP_2) | instid1(VALU_DEP_1)
	s_cmp_lg_u32 s5, 0
	s_addc_u32 s13, s4, s13
	s_ashr_i32 s22, s61, 31
	v_readfirstlane_b32 s60, v2
	s_add_u32 s4, s81, s22
	s_mov_b32 s23, s22
	s_addc_u32 s5, s61, s22
	s_delay_alu instid0(SALU_CYCLE_1) | instskip(NEXT) | instid1(SALU_CYCLE_1)
	s_xor_b64 s[4:5], s[4:5], s[22:23]
	s_mul_i32 s68, s4, s13
	s_mul_hi_u32 s69, s4, s60
	s_mul_hi_u32 s23, s4, s13
	s_mul_hi_u32 s71, s5, s60
	s_mul_i32 s60, s5, s60
	s_add_u32 s68, s69, s68
	s_addc_u32 s23, 0, s23
	s_mul_hi_u32 s70, s5, s13
	s_add_u32 s60, s68, s60
	s_mul_i32 s13, s5, s13
	s_addc_u32 s23, s23, s71
	s_addc_u32 s60, s70, 0
	s_add_u32 s13, s23, s13
	s_addc_u32 s23, 0, s60
	s_mul_hi_u32 s60, s33, s13
	s_mul_i32 s13, s33, s13
	s_mul_i32 s23, s33, s23
	v_sub_co_u32 v2, s4, s4, s13
	s_add_i32 s60, s60, s23
	s_cmp_lg_u32 s4, 0
	s_delay_alu instid0(VALU_DEP_1) | instskip(SKIP_2) | instid1(VALU_DEP_1)
	v_sub_co_u32 v3, s4, v2, s33
	s_subb_u32 s5, s5, s60
	s_cmp_lg_u32 s4, 0
	v_cmp_le_u32_e32 vcc_lo, s33, v3
	v_sub_co_u32 v4, s4, v3, s33
	s_subb_u32 s13, s5, 0
	s_cmp_lg_u32 s4, 0
	v_cndmask_b32_e64 v5, 0, -1, vcc_lo
	s_subb_u32 s4, s13, 0
	s_cmp_eq_u32 s13, 0
	v_mov_b32_e32 v7, s4
	s_cselect_b32 vcc_lo, -1, 0
	s_cmp_eq_u32 s5, 0
	v_cndmask_b32_e32 v5, -1, v5, vcc_lo
	v_cmp_le_u32_e32 vcc_lo, s33, v2
	s_cselect_b32 s4, -1, 0
	v_cndmask_b32_e64 v6, 0, -1, vcc_lo
	s_delay_alu instid0(VALU_DEP_3) | instskip(NEXT) | instid1(VALU_DEP_2)
	v_cmp_ne_u32_e32 vcc_lo, 0, v5
	v_cndmask_b32_e64 v5, -1, v6, s4
	v_cndmask_b32_e32 v3, v3, v4, vcc_lo
	v_cndmask_b32_e32 v6, s13, v7, vcc_lo
	s_delay_alu instid0(VALU_DEP_3) | instskip(NEXT) | instid1(VALU_DEP_3)
	v_cmp_ne_u32_e32 vcc_lo, 0, v5
	v_cndmask_b32_e32 v2, v2, v3, vcc_lo
	s_delay_alu instid0(VALU_DEP_3) | instskip(NEXT) | instid1(VALU_DEP_2)
	v_cndmask_b32_e32 v4, s5, v6, vcc_lo
	v_xor_b32_e32 v2, s22, v2
	s_delay_alu instid0(VALU_DEP_2) | instskip(NEXT) | instid1(VALU_DEP_2)
	v_xor_b32_e32 v3, s22, v4
	v_sub_co_u32 v2, vcc_lo, v2, s22
	s_delay_alu instid0(VALU_DEP_2)
	v_subrev_co_ci_u32_e32 v3, vcc_lo, s22, v3, vcc_lo
	s_cbranch_execnz .LBB69_187
.LBB69_186:                             ;   in Loop: Header=BB69_17 Depth=1
	v_cvt_f32_u32_e32 v2, s33
	s_sub_i32 s4, 0, s33
	s_delay_alu instid0(VALU_DEP_1) | instskip(SKIP_2) | instid1(VALU_DEP_1)
	v_rcp_iflag_f32_e32 v2, v2
	s_waitcnt_depctr 0xfff
	v_mul_f32_e32 v2, 0x4f7ffffe, v2
	v_cvt_u32_f32_e32 v2, v2
	s_delay_alu instid0(VALU_DEP_1) | instskip(NEXT) | instid1(VALU_DEP_1)
	v_mul_lo_u32 v3, s4, v2
	v_mul_hi_u32 v3, v2, v3
	s_delay_alu instid0(VALU_DEP_1) | instskip(NEXT) | instid1(VALU_DEP_1)
	v_add_nc_u32_e32 v2, v2, v3
	v_mul_hi_u32 v2, s81, v2
	s_delay_alu instid0(VALU_DEP_1) | instskip(NEXT) | instid1(VALU_DEP_1)
	v_mul_lo_u32 v2, v2, s33
	v_sub_nc_u32_e32 v2, s81, v2
	s_delay_alu instid0(VALU_DEP_1) | instskip(SKIP_1) | instid1(VALU_DEP_2)
	v_subrev_nc_u32_e32 v3, s33, v2
	v_cmp_le_u32_e32 vcc_lo, s33, v2
	v_cndmask_b32_e32 v2, v2, v3, vcc_lo
	s_delay_alu instid0(VALU_DEP_1) | instskip(SKIP_1) | instid1(VALU_DEP_2)
	v_subrev_nc_u32_e32 v3, s33, v2
	v_cmp_le_u32_e32 vcc_lo, s33, v2
	v_cndmask_b32_e32 v12, v2, v3, vcc_lo
	s_delay_alu instid0(VALU_DEP_1)
	v_dual_mov_b32 v2, v12 :: v_dual_mov_b32 v3, v13
.LBB69_187:                             ;   in Loop: Header=BB69_17 Depth=1
	s_delay_alu instid0(VALU_DEP_1) | instskip(NEXT) | instid1(VALU_DEP_2)
	v_sub_co_u32 v2, vcc_lo, s81, v2
	v_sub_co_ci_u32_e32 v3, vcc_lo, s61, v3, vcc_lo
	s_mov_b32 s4, 0
	s_mov_b32 s5, exec_lo
                                        ; implicit-def: $vgpr43
	s_delay_alu instid0(VALU_DEP_1)
	v_cmpx_gt_i64_e64 v[2:3], v[0:1]
	s_cbranch_execz .LBB69_200
; %bb.188:                              ;   in Loop: Header=BB69_17 Depth=1
	v_dual_mov_b32 v4, v10 :: v_dual_mov_b32 v5, v11
	v_dual_mov_b32 v7, v1 :: v_dual_mov_b32 v6, v0
	s_mov_b32 s13, 0
                                        ; implicit-def: $sgpr22
	s_branch .LBB69_190
.LBB69_189:                             ;   in Loop: Header=BB69_190 Depth=2
	s_or_b32 exec_lo, exec_lo, s4
	s_waitcnt vmcnt(0) lgkmcnt(0)
	s_barrier
	buffer_gl0_inv
	ds_load_b32 v8, v13 offset:3072
	v_add_co_u32 v6, vcc_lo, v6, s33
	v_add_co_ci_u32_e32 v7, vcc_lo, 0, v7, vcc_lo
	s_waitcnt lgkmcnt(0)
	s_barrier
	buffer_gl0_inv
	v_cmp_ge_i64_e32 vcc_lo, v[6:7], v[2:3]
	v_and_b32_e32 v9, 0x7fff, v8
	s_delay_alu instid0(VALU_DEP_1) | instskip(NEXT) | instid1(VALU_DEP_1)
	v_cmp_ne_u16_e64 s4, 0, v9
	s_or_b32 s23, s4, vcc_lo
	v_add_co_u32 v4, vcc_lo, v4, s56
	s_and_b32 s23, exec_lo, s23
	v_add_co_ci_u32_e32 v5, vcc_lo, s57, v5, vcc_lo
	s_or_b32 s13, s23, s13
	s_and_not1_b32 s22, s22, exec_lo
	s_and_b32 s4, s4, exec_lo
	s_delay_alu instid0(SALU_CYCLE_1)
	s_or_b32 s22, s22, s4
	s_and_not1_b32 exec_lo, exec_lo, s13
	s_cbranch_execz .LBB69_199
.LBB69_190:                             ;   Parent Loop BB69_17 Depth=1
                                        ; =>  This Inner Loop Header: Depth=2
	s_delay_alu instid0(VALU_DEP_1)
	v_cmp_gt_i64_e32 vcc_lo, s[24:25], v[6:7]
	v_mov_b32_e32 v8, 0
	s_and_saveexec_b32 s4, vcc_lo
	s_cbranch_execz .LBB69_192
; %bb.191:                              ;   in Loop: Header=BB69_190 Depth=2
	global_load_u16 v8, v[4:5], off
.LBB69_192:                             ;   in Loop: Header=BB69_190 Depth=2
	s_or_b32 exec_lo, exec_lo, s4
	s_and_saveexec_b32 s4, vcc_lo
	s_cbranch_execz .LBB69_189
; %bb.193:                              ;   in Loop: Header=BB69_190 Depth=2
	s_waitcnt vmcnt(0)
	v_cmp_lt_i16_e32 vcc_lo, -1, v8
	v_and_b32_e32 v9, 0xffff, v8
	v_dual_cndmask_b32 v12, 0xffff, v41 :: v_dual_lshlrev_b32 v23, 16, v8
	s_delay_alu instid0(VALU_DEP_1) | instskip(NEXT) | instid1(VALU_DEP_2)
	v_cmp_o_f32_e32 vcc_lo, v23, v23
	v_xor_b32_e32 v9, v12, v9
	s_delay_alu instid0(VALU_DEP_1) | instskip(NEXT) | instid1(VALU_DEP_1)
	v_cndmask_b32_e32 v9, 0xffff, v9, vcc_lo
	v_and_b32_e32 v9, s98, v9
	s_delay_alu instid0(VALU_DEP_1)
	v_cmp_eq_u32_e32 vcc_lo, s99, v9
	s_and_b32 exec_lo, exec_lo, vcc_lo
	s_cbranch_execz .LBB69_189
; %bb.194:                              ;   in Loop: Header=BB69_190 Depth=2
	v_perm_b32 v8, v8, s88, 0x5040100
	ds_store_b32 v13, v8 offset:3072
	s_branch .LBB69_189
.LBB69_195:                             ;   in Loop: Header=BB69_17 Depth=1
                                        ; implicit-def: $sgpr13
                                        ; implicit-def: $sgpr23
                                        ; implicit-def: $sgpr22
	s_branch .LBB69_214
.LBB69_196:                             ;   in Loop: Header=BB69_17 Depth=1
                                        ; implicit-def: $vgpr2_vgpr3
	s_branch .LBB69_139
.LBB69_197:                             ;   in Loop: Header=BB69_17 Depth=1
                                        ; implicit-def: $vgpr2_vgpr3
	s_branch .LBB69_156
.LBB69_198:                             ;   in Loop: Header=BB69_17 Depth=1
	s_mov_b32 s13, -1
	s_mov_b32 s4, 0
                                        ; implicit-def: $sgpr22
                                        ; implicit-def: $vgpr43
	s_mov_b32 s23, s13
	s_cbranch_execnz .LBB69_201
	s_branch .LBB69_214
.LBB69_199:                             ;   in Loop: Header=BB69_17 Depth=1
	s_or_b32 exec_lo, exec_lo, s13
	v_lshrrev_b32_e32 v43, 16, v8
	s_and_b32 s4, s22, exec_lo
.LBB69_200:                             ;   in Loop: Header=BB69_17 Depth=1
	s_or_b32 exec_lo, exec_lo, s5
	s_mov_b32 s22, -1
	s_mov_b32 s13, 0
	s_delay_alu instid0(SALU_CYCLE_1)
	s_mov_b32 s23, s13
	s_branch .LBB69_214
.LBB69_201:                             ;   in Loop: Header=BB69_17 Depth=1
	s_add_u32 s13, s79, s10
	s_addc_u32 s5, s80, s11
	s_mov_b32 s4, s55
	s_delay_alu instid0(SALU_CYCLE_1)
	s_cmp_lg_u64 s[4:5], 0
	s_cbranch_scc0 .LBB69_244
; %bb.202:                              ;   in Loop: Header=BB69_17 Depth=1
	v_cvt_f32_u32_e32 v2, s33
	s_sub_u32 s23, 0, s33
	s_subb_u32 s60, 0, 0
	s_delay_alu instid0(VALU_DEP_1) | instskip(NEXT) | instid1(VALU_DEP_1)
	v_fmac_f32_e32 v2, 0x4f800000, v42
	v_rcp_f32_e32 v2, v2
	s_waitcnt_depctr 0xfff
	v_mul_f32_e32 v2, 0x5f7ffffc, v2
	s_delay_alu instid0(VALU_DEP_1) | instskip(NEXT) | instid1(VALU_DEP_1)
	v_mul_f32_e32 v3, 0x2f800000, v2
	v_trunc_f32_e32 v3, v3
	s_delay_alu instid0(VALU_DEP_1) | instskip(SKIP_1) | instid1(VALU_DEP_2)
	v_fmac_f32_e32 v2, 0xcf800000, v3
	v_cvt_u32_f32_e32 v3, v3
	v_cvt_u32_f32_e32 v2, v2
	s_delay_alu instid0(VALU_DEP_2) | instskip(NEXT) | instid1(VALU_DEP_2)
	v_readfirstlane_b32 s4, v3
	v_readfirstlane_b32 s22, v2
	s_delay_alu instid0(VALU_DEP_2) | instskip(NEXT) | instid1(VALU_DEP_1)
	s_mul_i32 s68, s23, s4
	s_mul_hi_u32 s70, s23, s22
	s_mul_i32 s69, s60, s22
	s_add_i32 s68, s70, s68
	s_mul_i32 s71, s23, s22
	s_add_i32 s68, s68, s69
	s_mul_hi_u32 s70, s22, s71
	s_mul_hi_u32 s72, s4, s71
	s_mul_i32 s69, s4, s71
	s_mul_hi_u32 s71, s22, s68
	s_mul_i32 s22, s22, s68
	s_mul_hi_u32 s73, s4, s68
	s_add_u32 s22, s70, s22
	s_addc_u32 s70, 0, s71
	s_add_u32 s22, s22, s69
	s_mul_i32 s68, s4, s68
	s_addc_u32 s22, s70, s72
	s_addc_u32 s69, s73, 0
	s_add_u32 s22, s22, s68
	s_addc_u32 s68, 0, s69
	v_add_co_u32 v2, s22, v2, s22
	s_delay_alu instid0(VALU_DEP_1) | instskip(SKIP_1) | instid1(VALU_DEP_1)
	s_cmp_lg_u32 s22, 0
	s_addc_u32 s4, s4, s68
	v_readfirstlane_b32 s22, v2
	s_mul_i32 s68, s23, s4
	s_delay_alu instid0(VALU_DEP_1)
	s_mul_hi_u32 s69, s23, s22
	s_mul_i32 s60, s60, s22
	s_add_i32 s68, s69, s68
	s_mul_i32 s23, s23, s22
	s_add_i32 s68, s68, s60
	s_mul_hi_u32 s69, s4, s23
	s_mul_i32 s70, s4, s23
	s_mul_hi_u32 s23, s22, s23
	s_mul_hi_u32 s71, s22, s68
	s_mul_i32 s22, s22, s68
	s_mul_hi_u32 s60, s4, s68
	s_add_u32 s22, s23, s22
	s_addc_u32 s23, 0, s71
	s_add_u32 s22, s22, s70
	s_mul_i32 s68, s4, s68
	s_addc_u32 s22, s23, s69
	s_addc_u32 s23, s60, 0
	s_add_u32 s22, s22, s68
	s_addc_u32 s23, 0, s23
	v_add_co_u32 v2, s22, v2, s22
	s_delay_alu instid0(VALU_DEP_1) | instskip(SKIP_2) | instid1(VALU_DEP_1)
	s_cmp_lg_u32 s22, 0
	s_addc_u32 s4, s4, s23
	s_ashr_i32 s22, s5, 31
	v_readfirstlane_b32 s60, v2
	s_add_u32 s68, s13, s22
	s_mov_b32 s23, s22
	s_addc_u32 s69, s5, s22
	s_delay_alu instid0(SALU_CYCLE_1) | instskip(NEXT) | instid1(SALU_CYCLE_1)
	s_xor_b64 s[68:69], s[68:69], s[22:23]
	s_mul_i32 s70, s68, s4
	s_mul_hi_u32 s71, s68, s60
	s_mul_hi_u32 s23, s68, s4
	;; [unrolled: 1-line block ×3, first 2 shown]
	s_mul_i32 s60, s69, s60
	s_add_u32 s70, s71, s70
	s_addc_u32 s23, 0, s23
	s_mul_hi_u32 s72, s69, s4
	s_add_u32 s60, s70, s60
	s_mul_i32 s4, s69, s4
	s_addc_u32 s23, s23, s73
	s_addc_u32 s60, s72, 0
	s_add_u32 s4, s23, s4
	s_addc_u32 s23, 0, s60
	s_mul_hi_u32 s60, s33, s4
	s_mul_i32 s4, s33, s4
	s_mul_i32 s23, s33, s23
	v_sub_co_u32 v2, s4, s68, s4
	s_add_i32 s60, s60, s23
	s_cmp_lg_u32 s4, 0
	s_delay_alu instid0(VALU_DEP_1) | instskip(SKIP_2) | instid1(VALU_DEP_1)
	v_sub_co_u32 v3, s4, v2, s33
	s_subb_u32 s23, s69, s60
	s_cmp_lg_u32 s4, 0
	v_cmp_le_u32_e32 vcc_lo, s33, v3
	v_sub_co_u32 v4, s4, v3, s33
	s_subb_u32 s60, s23, 0
	s_cmp_lg_u32 s4, 0
	v_cndmask_b32_e64 v5, 0, -1, vcc_lo
	s_subb_u32 s4, s60, 0
	s_cmp_eq_u32 s60, 0
	v_mov_b32_e32 v7, s4
	s_cselect_b32 vcc_lo, -1, 0
	s_cmp_eq_u32 s23, 0
	v_cndmask_b32_e32 v5, -1, v5, vcc_lo
	v_cmp_le_u32_e32 vcc_lo, s33, v2
	s_cselect_b32 s4, -1, 0
	v_cndmask_b32_e64 v6, 0, -1, vcc_lo
	s_delay_alu instid0(VALU_DEP_3) | instskip(NEXT) | instid1(VALU_DEP_2)
	v_cmp_ne_u32_e32 vcc_lo, 0, v5
	v_cndmask_b32_e64 v5, -1, v6, s4
	v_cndmask_b32_e32 v3, v3, v4, vcc_lo
	v_cndmask_b32_e32 v6, s60, v7, vcc_lo
	s_delay_alu instid0(VALU_DEP_3) | instskip(NEXT) | instid1(VALU_DEP_3)
	v_cmp_ne_u32_e32 vcc_lo, 0, v5
	v_cndmask_b32_e32 v2, v2, v3, vcc_lo
	s_delay_alu instid0(VALU_DEP_3) | instskip(NEXT) | instid1(VALU_DEP_2)
	v_cndmask_b32_e32 v4, s23, v6, vcc_lo
	v_xor_b32_e32 v2, s22, v2
	s_delay_alu instid0(VALU_DEP_2) | instskip(NEXT) | instid1(VALU_DEP_2)
	v_xor_b32_e32 v3, s22, v4
	v_sub_co_u32 v2, vcc_lo, v2, s22
	s_delay_alu instid0(VALU_DEP_2)
	v_subrev_co_ci_u32_e32 v3, vcc_lo, s22, v3, vcc_lo
	s_cbranch_execnz .LBB69_204
.LBB69_203:                             ;   in Loop: Header=BB69_17 Depth=1
	v_cvt_f32_u32_e32 v2, s33
	s_sub_i32 s4, 0, s33
	s_delay_alu instid0(VALU_DEP_1) | instskip(SKIP_2) | instid1(VALU_DEP_1)
	v_rcp_iflag_f32_e32 v2, v2
	s_waitcnt_depctr 0xfff
	v_mul_f32_e32 v2, 0x4f7ffffe, v2
	v_cvt_u32_f32_e32 v2, v2
	s_delay_alu instid0(VALU_DEP_1) | instskip(NEXT) | instid1(VALU_DEP_1)
	v_mul_lo_u32 v3, s4, v2
	v_mul_hi_u32 v3, v2, v3
	s_delay_alu instid0(VALU_DEP_1) | instskip(NEXT) | instid1(VALU_DEP_1)
	v_add_nc_u32_e32 v2, v2, v3
	v_mul_hi_u32 v2, s13, v2
	s_delay_alu instid0(VALU_DEP_1) | instskip(NEXT) | instid1(VALU_DEP_1)
	v_mul_lo_u32 v2, v2, s33
	v_sub_nc_u32_e32 v2, s13, v2
	s_delay_alu instid0(VALU_DEP_1) | instskip(SKIP_1) | instid1(VALU_DEP_2)
	v_subrev_nc_u32_e32 v3, s33, v2
	v_cmp_le_u32_e32 vcc_lo, s33, v2
	v_cndmask_b32_e32 v2, v2, v3, vcc_lo
	s_delay_alu instid0(VALU_DEP_1) | instskip(SKIP_1) | instid1(VALU_DEP_2)
	v_subrev_nc_u32_e32 v3, s33, v2
	v_cmp_le_u32_e32 vcc_lo, s33, v2
	v_cndmask_b32_e32 v12, v2, v3, vcc_lo
	s_delay_alu instid0(VALU_DEP_1)
	v_dual_mov_b32 v2, v12 :: v_dual_mov_b32 v3, v13
.LBB69_204:                             ;   in Loop: Header=BB69_17 Depth=1
	s_delay_alu instid0(VALU_DEP_1) | instskip(NEXT) | instid1(VALU_DEP_2)
	v_sub_co_u32 v2, vcc_lo, s13, v2
	v_sub_co_ci_u32_e32 v3, vcc_lo, s5, v3, vcc_lo
	s_mov_b32 s4, 0
	s_mov_b32 s5, exec_lo
                                        ; implicit-def: $vgpr43
	s_delay_alu instid0(VALU_DEP_1)
	v_cmpx_gt_i64_e64 v[2:3], v[0:1]
	s_cbranch_execz .LBB69_213
; %bb.205:                              ;   in Loop: Header=BB69_17 Depth=1
	v_dual_mov_b32 v6, v32 :: v_dual_mov_b32 v5, v1
	v_mov_b32_e32 v4, v0
	s_mov_b32 s13, 0
                                        ; implicit-def: $sgpr22
	s_branch .LBB69_207
.LBB69_206:                             ;   in Loop: Header=BB69_207 Depth=2
	s_or_b32 exec_lo, exec_lo, s4
	s_waitcnt lgkmcnt(0)
	s_barrier
	buffer_gl0_inv
	ds_load_b32 v7, v13 offset:3072
	v_add_co_u32 v4, vcc_lo, v4, s33
	v_add_co_ci_u32_e32 v5, vcc_lo, 0, v5, vcc_lo
	v_add_nc_u32_e32 v6, s87, v6
	s_waitcnt lgkmcnt(0)
	s_barrier
	s_delay_alu instid0(VALU_DEP_2) | instskip(SKIP_2) | instid1(VALU_DEP_1)
	v_cmp_ge_i64_e32 vcc_lo, v[4:5], v[2:3]
	buffer_gl0_inv
	v_and_b32_e32 v8, 0x7fff, v7
	v_cmp_ne_u16_e64 s4, 0, v8
	s_delay_alu instid0(VALU_DEP_1) | instskip(NEXT) | instid1(SALU_CYCLE_1)
	s_or_b32 s23, s4, vcc_lo
	s_and_b32 s23, exec_lo, s23
	s_delay_alu instid0(SALU_CYCLE_1) | instskip(SKIP_2) | instid1(SALU_CYCLE_1)
	s_or_b32 s13, s23, s13
	s_and_not1_b32 s22, s22, exec_lo
	s_and_b32 s4, s4, exec_lo
	s_or_b32 s22, s22, s4
	s_and_not1_b32 exec_lo, exec_lo, s13
	s_cbranch_execz .LBB69_212
.LBB69_207:                             ;   Parent Loop BB69_17 Depth=1
                                        ; =>  This Inner Loop Header: Depth=2
	s_delay_alu instid0(VALU_DEP_1)
	v_cmp_gt_i64_e32 vcc_lo, s[10:11], v[4:5]
	v_mov_b32_e32 v7, 0
	s_and_saveexec_b32 s4, vcc_lo
	s_cbranch_execz .LBB69_209
; %bb.208:                              ;   in Loop: Header=BB69_207 Depth=2
	ds_load_u16 v7, v6
.LBB69_209:                             ;   in Loop: Header=BB69_207 Depth=2
	s_or_b32 exec_lo, exec_lo, s4
	s_and_saveexec_b32 s4, vcc_lo
	s_cbranch_execz .LBB69_206
; %bb.210:                              ;   in Loop: Header=BB69_207 Depth=2
	s_waitcnt lgkmcnt(0)
	v_cmp_lt_i16_e32 vcc_lo, -1, v7
	v_and_b32_e32 v8, 0xffff, v7
	v_dual_cndmask_b32 v9, 0xffff, v41 :: v_dual_lshlrev_b32 v12, 16, v7
	s_delay_alu instid0(VALU_DEP_1) | instskip(NEXT) | instid1(VALU_DEP_2)
	v_cmp_o_f32_e32 vcc_lo, v12, v12
	v_xor_b32_e32 v8, v9, v8
	s_delay_alu instid0(VALU_DEP_1) | instskip(NEXT) | instid1(VALU_DEP_1)
	v_cndmask_b32_e32 v8, 0xffff, v8, vcc_lo
	v_and_b32_e32 v8, s98, v8
	s_delay_alu instid0(VALU_DEP_1)
	v_cmp_eq_u32_e32 vcc_lo, s99, v8
	s_and_b32 exec_lo, exec_lo, vcc_lo
	s_cbranch_execz .LBB69_206
; %bb.211:                              ;   in Loop: Header=BB69_207 Depth=2
	v_perm_b32 v7, v7, s88, 0x5040100
	ds_store_b32 v13, v7 offset:3072
	s_branch .LBB69_206
.LBB69_212:                             ;   in Loop: Header=BB69_17 Depth=1
	s_or_b32 exec_lo, exec_lo, s13
	v_lshrrev_b32_e32 v43, 16, v7
	s_and_b32 s4, s22, exec_lo
.LBB69_213:                             ;   in Loop: Header=BB69_17 Depth=1
	s_or_b32 exec_lo, exec_lo, s5
	s_mov_b32 s23, -1
	s_mov_b32 s13, 0
	s_mov_b32 s22, 0
.LBB69_214:                             ;   in Loop: Header=BB69_17 Depth=1
	s_mov_b32 s5, 0
                                        ; implicit-def: $sgpr60
	s_and_saveexec_b32 s10, s4
	s_cbranch_execz .LBB69_276
; %bb.215:                              ;   in Loop: Header=BB69_17 Depth=1
	s_xor_b32 s4, s54, -1
	s_mov_b32 s60, 1
	s_and_not1_b32 vcc_lo, exec_lo, s4
	s_cbranch_vccnz .LBB69_226
; %bb.216:                              ;   in Loop: Header=BB69_17 Depth=1
	v_cmp_gt_i64_e64 s4, s[26:27], s[8:9]
                                        ; implicit-def: $sgpr60
                                        ; implicit-def: $sgpr5
                                        ; implicit-def: $sgpr11
	s_delay_alu instid0(VALU_DEP_1)
	s_and_b32 vcc_lo, exec_lo, s4
	s_mov_b32 s4, -1
	s_cbranch_vccnz .LBB69_222
; %bb.217:                              ;   in Loop: Header=BB69_17 Depth=1
	ds_load_b64 v[2:3], v13 offset:5120
	s_waitcnt lgkmcnt(0)
	v_cmp_ne_u64_e32 vcc_lo, 0, v[2:3]
	s_cbranch_vccnz .LBB69_221
; %bb.218:                              ;   in Loop: Header=BB69_17 Depth=1
	s_and_saveexec_b32 s4, s2
	s_cbranch_execz .LBB69_220
; %bb.219:                              ;   in Loop: Header=BB69_17 Depth=1
	v_dual_mov_b32 v2, s8 :: v_dual_mov_b32 v3, s9
	ds_store_b64 v13, v[2:3] offset:5128
.LBB69_220:                             ;   in Loop: Header=BB69_17 Depth=1
	s_or_b32 exec_lo, exec_lo, s4
	s_waitcnt lgkmcnt(0)
	s_barrier
	buffer_gl0_inv
.LBB69_221:                             ;   in Loop: Header=BB69_17 Depth=1
	s_lshl_b32 s4, 2, s17
	s_and_b32 s5, s99, s18
	s_or_b32 s11, s98, s16
	s_or_b32 s5, s5, s4
	s_mov_b32 s4, 0
	s_mov_b32 s60, 8
.LBB69_222:                             ;   in Loop: Header=BB69_17 Depth=1
	s_and_not1_b32 vcc_lo, exec_lo, s4
	s_cbranch_vccnz .LBB69_224
; %bb.223:                              ;   in Loop: Header=BB69_17 Depth=1
	s_sub_u32 s26, s26, s8
	s_subb_u32 s27, s27, s9
	s_mov_b32 s4, -1
	s_mov_b32 s60, 0
	s_mov_b32 s5, s99
	;; [unrolled: 1-line block ×3, first 2 shown]
.LBB69_224:                             ;   in Loop: Header=BB69_17 Depth=1
	s_delay_alu instid0(SALU_CYCLE_1)
	s_mov_b32 s98, s11
	s_mov_b32 s99, s5
	s_and_not1_b32 vcc_lo, exec_lo, s4
	s_mov_b32 s9, -1
	s_cbranch_vccz .LBB69_227
.LBB69_225:                             ;   in Loop: Header=BB69_17 Depth=1
                                        ; implicit-def: $sgpr17
                                        ; implicit-def: $sgpr54
                                        ; implicit-def: $sgpr18
	s_branch .LBB69_275
.LBB69_226:                             ;   in Loop: Header=BB69_17 Depth=1
	s_mov_b64 s[26:27], 1
	s_mov_b32 s9, -1
	s_cbranch_execnz .LBB69_225
.LBB69_227:                             ;   in Loop: Header=BB69_17 Depth=1
	s_cmp_eq_u64 s[6:7], 1
	s_mov_b32 s68, -1
	s_cselect_b32 s4, -1, 0
	s_cmp_eq_u64 s[26:27], 1
	s_cselect_b32 s5, -1, 0
	s_delay_alu instid0(SALU_CYCLE_1) | instskip(NEXT) | instid1(SALU_CYCLE_1)
	s_and_b32 s11, s4, s5
	s_and_b32 vcc_lo, exec_lo, s11
	s_cbranch_vccz .LBB69_242
; %bb.228:                              ;   in Loop: Header=BB69_17 Depth=1
	ds_load_b64 v[2:3], v13 offset:5120
	s_waitcnt lgkmcnt(0)
	s_barrier
	buffer_gl0_inv
	v_readfirstlane_b32 s8, v2
	v_readfirstlane_b32 s9, v3
	s_and_saveexec_b32 s4, s3
	s_cbranch_execz .LBB69_230
; %bb.229:                              ;   in Loop: Header=BB69_17 Depth=1
	ds_store_b16 v33, v13
.LBB69_230:                             ;   in Loop: Header=BB69_17 Depth=1
	s_or_b32 exec_lo, exec_lo, s4
	s_delay_alu instid0(VALU_DEP_1)
	v_cmp_gt_i64_e64 s4, s[8:9], 0
	s_or_b32 s99, s99, s16
	s_or_b32 s98, s98, s16
	s_waitcnt lgkmcnt(0)
	s_barrier
	buffer_gl0_inv
	s_and_b32 vcc_lo, exec_lo, s4
	s_cbranch_vccnz .LBB69_245
; %bb.231:                              ;   in Loop: Header=BB69_17 Depth=1
	s_mov_b32 s60, s55
	s_delay_alu instid0(SALU_CYCLE_1)
	s_cmp_lg_u64 s[60:61], 0
	s_cbranch_scc0 .LBB69_281
; %bb.232:                              ;   in Loop: Header=BB69_17 Depth=1
	v_cvt_f32_u32_e32 v2, s33
	s_sub_u32 s17, 0, s33
	s_subb_u32 s18, 0, 0
	s_delay_alu instid0(VALU_DEP_1) | instskip(NEXT) | instid1(VALU_DEP_1)
	v_fmac_f32_e32 v2, 0x4f800000, v42
	v_rcp_f32_e32 v2, v2
	s_waitcnt_depctr 0xfff
	v_mul_f32_e32 v2, 0x5f7ffffc, v2
	s_delay_alu instid0(VALU_DEP_1) | instskip(NEXT) | instid1(VALU_DEP_1)
	v_mul_f32_e32 v3, 0x2f800000, v2
	v_trunc_f32_e32 v3, v3
	s_delay_alu instid0(VALU_DEP_1) | instskip(SKIP_1) | instid1(VALU_DEP_2)
	v_fmac_f32_e32 v2, 0xcf800000, v3
	v_cvt_u32_f32_e32 v3, v3
	v_cvt_u32_f32_e32 v2, v2
	s_delay_alu instid0(VALU_DEP_2) | instskip(NEXT) | instid1(VALU_DEP_2)
	v_readfirstlane_b32 s4, v3
	v_readfirstlane_b32 s5, v2
	s_delay_alu instid0(VALU_DEP_2) | instskip(NEXT) | instid1(VALU_DEP_1)
	s_mul_i32 s54, s17, s4
	s_mul_hi_u32 s68, s17, s5
	s_mul_i32 s60, s18, s5
	s_add_i32 s54, s68, s54
	s_mul_i32 s69, s17, s5
	s_add_i32 s54, s54, s60
	s_mul_hi_u32 s68, s5, s69
	s_mul_hi_u32 s70, s4, s69
	s_mul_i32 s60, s4, s69
	s_mul_hi_u32 s69, s5, s54
	s_mul_i32 s5, s5, s54
	s_mul_hi_u32 s71, s4, s54
	s_add_u32 s5, s68, s5
	s_addc_u32 s68, 0, s69
	s_add_u32 s5, s5, s60
	s_mul_i32 s54, s4, s54
	s_addc_u32 s5, s68, s70
	s_addc_u32 s60, s71, 0
	s_add_u32 s5, s5, s54
	s_addc_u32 s54, 0, s60
	v_add_co_u32 v2, s5, v2, s5
	s_delay_alu instid0(VALU_DEP_1) | instskip(SKIP_1) | instid1(VALU_DEP_1)
	s_cmp_lg_u32 s5, 0
	s_addc_u32 s4, s4, s54
	v_readfirstlane_b32 s5, v2
	s_mul_i32 s54, s17, s4
	s_delay_alu instid0(VALU_DEP_1)
	s_mul_hi_u32 s60, s17, s5
	s_mul_i32 s18, s18, s5
	s_add_i32 s54, s60, s54
	s_mul_i32 s17, s17, s5
	s_add_i32 s54, s54, s18
	s_mul_hi_u32 s60, s4, s17
	s_mul_i32 s68, s4, s17
	s_mul_hi_u32 s17, s5, s17
	s_mul_hi_u32 s69, s5, s54
	s_mul_i32 s5, s5, s54
	s_mul_hi_u32 s18, s4, s54
	s_add_u32 s5, s17, s5
	s_addc_u32 s17, 0, s69
	s_add_u32 s5, s5, s68
	s_mul_i32 s54, s4, s54
	s_addc_u32 s5, s17, s60
	s_addc_u32 s17, s18, 0
	s_add_u32 s5, s5, s54
	s_addc_u32 s17, 0, s17
	v_add_co_u32 v2, s5, v2, s5
	s_delay_alu instid0(VALU_DEP_1) | instskip(SKIP_2) | instid1(VALU_DEP_1)
	s_cmp_lg_u32 s5, 0
	s_addc_u32 s17, s4, s17
	s_ashr_i32 s68, s61, 31
	v_readfirstlane_b32 s18, v2
	s_add_u32 s4, s81, s68
	s_mov_b32 s69, s68
	s_addc_u32 s5, s61, s68
	s_delay_alu instid0(SALU_CYCLE_1) | instskip(NEXT) | instid1(SALU_CYCLE_1)
	s_xor_b64 s[4:5], s[4:5], s[68:69]
	s_mul_i32 s60, s4, s17
	s_mul_hi_u32 s69, s4, s18
	s_mul_hi_u32 s54, s4, s17
	;; [unrolled: 1-line block ×3, first 2 shown]
	s_mul_i32 s18, s5, s18
	s_add_u32 s60, s69, s60
	s_addc_u32 s54, 0, s54
	s_mul_hi_u32 s70, s5, s17
	s_add_u32 s18, s60, s18
	s_mul_i32 s17, s5, s17
	s_addc_u32 s18, s54, s71
	s_addc_u32 s54, s70, 0
	s_add_u32 s17, s18, s17
	s_addc_u32 s18, 0, s54
	s_mul_hi_u32 s54, s33, s17
	s_mul_i32 s17, s33, s17
	s_mul_i32 s18, s33, s18
	v_sub_co_u32 v2, s4, s4, s17
	s_add_i32 s54, s54, s18
	s_cmp_lg_u32 s4, 0
	s_delay_alu instid0(VALU_DEP_1) | instskip(SKIP_2) | instid1(VALU_DEP_1)
	v_sub_co_u32 v3, s4, v2, s33
	s_subb_u32 s5, s5, s54
	s_cmp_lg_u32 s4, 0
	v_cmp_le_u32_e32 vcc_lo, s33, v3
	v_sub_co_u32 v4, s4, v3, s33
	s_subb_u32 s17, s5, 0
	s_cmp_lg_u32 s4, 0
	v_cndmask_b32_e64 v5, 0, -1, vcc_lo
	s_subb_u32 s4, s17, 0
	s_cmp_eq_u32 s17, 0
	v_mov_b32_e32 v7, s4
	s_cselect_b32 vcc_lo, -1, 0
	s_cmp_eq_u32 s5, 0
	v_cndmask_b32_e32 v5, -1, v5, vcc_lo
	v_cmp_le_u32_e32 vcc_lo, s33, v2
	s_cselect_b32 s4, -1, 0
	v_cndmask_b32_e64 v6, 0, -1, vcc_lo
	s_delay_alu instid0(VALU_DEP_3) | instskip(NEXT) | instid1(VALU_DEP_2)
	v_cmp_ne_u32_e32 vcc_lo, 0, v5
	v_cndmask_b32_e64 v5, -1, v6, s4
	v_cndmask_b32_e32 v3, v3, v4, vcc_lo
	v_cndmask_b32_e32 v6, s17, v7, vcc_lo
	s_delay_alu instid0(VALU_DEP_3) | instskip(NEXT) | instid1(VALU_DEP_3)
	v_cmp_ne_u32_e32 vcc_lo, 0, v5
	v_cndmask_b32_e32 v2, v2, v3, vcc_lo
	s_delay_alu instid0(VALU_DEP_3) | instskip(NEXT) | instid1(VALU_DEP_2)
	v_cndmask_b32_e32 v4, s5, v6, vcc_lo
	v_xor_b32_e32 v2, s68, v2
	s_delay_alu instid0(VALU_DEP_2) | instskip(NEXT) | instid1(VALU_DEP_2)
	v_xor_b32_e32 v3, s68, v4
	v_sub_co_u32 v2, vcc_lo, v2, s68
	s_delay_alu instid0(VALU_DEP_2)
	v_subrev_co_ci_u32_e32 v3, vcc_lo, s68, v3, vcc_lo
	s_cbranch_execnz .LBB69_234
.LBB69_233:                             ;   in Loop: Header=BB69_17 Depth=1
	v_cvt_f32_u32_e32 v2, s33
	s_sub_i32 s4, 0, s33
	s_delay_alu instid0(VALU_DEP_1) | instskip(SKIP_2) | instid1(VALU_DEP_1)
	v_rcp_iflag_f32_e32 v2, v2
	s_waitcnt_depctr 0xfff
	v_mul_f32_e32 v2, 0x4f7ffffe, v2
	v_cvt_u32_f32_e32 v2, v2
	s_delay_alu instid0(VALU_DEP_1) | instskip(NEXT) | instid1(VALU_DEP_1)
	v_mul_lo_u32 v3, s4, v2
	v_mul_hi_u32 v3, v2, v3
	s_delay_alu instid0(VALU_DEP_1) | instskip(NEXT) | instid1(VALU_DEP_1)
	v_add_nc_u32_e32 v2, v2, v3
	v_mul_hi_u32 v2, s81, v2
	s_delay_alu instid0(VALU_DEP_1) | instskip(NEXT) | instid1(VALU_DEP_1)
	v_mul_lo_u32 v2, v2, s33
	v_sub_nc_u32_e32 v2, s81, v2
	s_delay_alu instid0(VALU_DEP_1) | instskip(SKIP_1) | instid1(VALU_DEP_2)
	v_subrev_nc_u32_e32 v3, s33, v2
	v_cmp_le_u32_e32 vcc_lo, s33, v2
	v_cndmask_b32_e32 v2, v2, v3, vcc_lo
	s_delay_alu instid0(VALU_DEP_1) | instskip(SKIP_1) | instid1(VALU_DEP_2)
	v_subrev_nc_u32_e32 v3, s33, v2
	v_cmp_le_u32_e32 vcc_lo, s33, v2
	v_cndmask_b32_e32 v12, v2, v3, vcc_lo
	s_delay_alu instid0(VALU_DEP_1)
	v_dual_mov_b32 v2, v12 :: v_dual_mov_b32 v3, v13
.LBB69_234:                             ;   in Loop: Header=BB69_17 Depth=1
	s_delay_alu instid0(VALU_DEP_1) | instskip(NEXT) | instid1(VALU_DEP_2)
	v_sub_co_u32 v2, vcc_lo, s81, v2
	v_sub_co_ci_u32_e32 v3, vcc_lo, s61, v3, vcc_lo
	s_mov_b32 s68, 0
	s_mov_b32 s5, exec_lo
                                        ; implicit-def: $vgpr43
	s_delay_alu instid0(VALU_DEP_1)
	v_cmpx_gt_i64_e64 v[2:3], v[0:1]
	s_cbranch_execz .LBB69_247
; %bb.235:                              ;   in Loop: Header=BB69_17 Depth=1
	v_dual_mov_b32 v4, v10 :: v_dual_mov_b32 v5, v11
	v_dual_mov_b32 v7, v1 :: v_dual_mov_b32 v6, v0
	s_mov_b32 s17, 0
                                        ; implicit-def: $sgpr18
	s_branch .LBB69_237
.LBB69_236:                             ;   in Loop: Header=BB69_237 Depth=2
	s_or_b32 exec_lo, exec_lo, s4
	s_waitcnt vmcnt(0) lgkmcnt(0)
	s_barrier
	buffer_gl0_inv
	ds_load_b32 v8, v13 offset:3072
	v_add_co_u32 v6, vcc_lo, v6, s33
	v_add_co_ci_u32_e32 v7, vcc_lo, 0, v7, vcc_lo
	s_waitcnt lgkmcnt(0)
	s_barrier
	buffer_gl0_inv
	v_cmp_ge_i64_e32 vcc_lo, v[6:7], v[2:3]
	v_and_b32_e32 v9, 0x7fff, v8
	s_delay_alu instid0(VALU_DEP_1) | instskip(NEXT) | instid1(VALU_DEP_1)
	v_cmp_ne_u16_e64 s4, 0, v9
	s_or_b32 s54, s4, vcc_lo
	v_add_co_u32 v4, vcc_lo, v4, s56
	s_and_b32 s54, exec_lo, s54
	v_add_co_ci_u32_e32 v5, vcc_lo, s57, v5, vcc_lo
	s_or_b32 s17, s54, s17
	s_and_not1_b32 s18, s18, exec_lo
	s_and_b32 s4, s4, exec_lo
	s_delay_alu instid0(SALU_CYCLE_1)
	s_or_b32 s18, s18, s4
	s_and_not1_b32 exec_lo, exec_lo, s17
	s_cbranch_execz .LBB69_246
.LBB69_237:                             ;   Parent Loop BB69_17 Depth=1
                                        ; =>  This Inner Loop Header: Depth=2
	s_delay_alu instid0(VALU_DEP_1)
	v_cmp_gt_i64_e32 vcc_lo, s[24:25], v[6:7]
	v_mov_b32_e32 v8, 0
	s_and_saveexec_b32 s4, vcc_lo
	s_cbranch_execz .LBB69_239
; %bb.238:                              ;   in Loop: Header=BB69_237 Depth=2
	global_load_u16 v8, v[4:5], off
.LBB69_239:                             ;   in Loop: Header=BB69_237 Depth=2
	s_or_b32 exec_lo, exec_lo, s4
	s_and_saveexec_b32 s4, vcc_lo
	s_cbranch_execz .LBB69_236
; %bb.240:                              ;   in Loop: Header=BB69_237 Depth=2
	s_waitcnt vmcnt(0)
	v_cmp_lt_i16_e32 vcc_lo, -1, v8
	v_and_b32_e32 v9, 0xffff, v8
	v_dual_cndmask_b32 v12, 0xffff, v41 :: v_dual_lshlrev_b32 v23, 16, v8
	s_delay_alu instid0(VALU_DEP_1) | instskip(NEXT) | instid1(VALU_DEP_2)
	v_cmp_o_f32_e32 vcc_lo, v23, v23
	v_xor_b32_e32 v9, v12, v9
	s_delay_alu instid0(VALU_DEP_1) | instskip(NEXT) | instid1(VALU_DEP_1)
	v_cndmask_b32_e32 v9, 0xffff, v9, vcc_lo
	v_and_b32_e32 v9, s98, v9
	s_delay_alu instid0(VALU_DEP_1)
	v_cmp_eq_u32_e32 vcc_lo, s99, v9
	s_and_b32 exec_lo, exec_lo, vcc_lo
	s_cbranch_execz .LBB69_236
; %bb.241:                              ;   in Loop: Header=BB69_237 Depth=2
	v_perm_b32 v8, v8, s88, 0x5040100
	ds_store_b32 v13, v8 offset:3072
	s_branch .LBB69_236
.LBB69_242:                             ;   in Loop: Header=BB69_17 Depth=1
                                        ; implicit-def: $sgpr17
                                        ; implicit-def: $sgpr54
                                        ; implicit-def: $sgpr18
	s_branch .LBB69_261
.LBB69_243:                             ;   in Loop: Header=BB69_17 Depth=1
                                        ; implicit-def: $vgpr2_vgpr3
	s_branch .LBB69_186
.LBB69_244:                             ;   in Loop: Header=BB69_17 Depth=1
                                        ; implicit-def: $vgpr2_vgpr3
	s_branch .LBB69_203
.LBB69_245:                             ;   in Loop: Header=BB69_17 Depth=1
	s_mov_b32 s17, -1
	s_mov_b32 s68, 0
                                        ; implicit-def: $sgpr18
                                        ; implicit-def: $vgpr43
	s_mov_b32 s54, s17
	s_cbranch_execnz .LBB69_248
	s_branch .LBB69_261
.LBB69_246:                             ;   in Loop: Header=BB69_17 Depth=1
	s_or_b32 exec_lo, exec_lo, s17
	v_lshrrev_b32_e32 v43, 16, v8
	s_and_b32 s68, s18, exec_lo
.LBB69_247:                             ;   in Loop: Header=BB69_17 Depth=1
	s_or_b32 exec_lo, exec_lo, s5
	s_mov_b32 s18, -1
	s_mov_b32 s17, 0
	s_delay_alu instid0(SALU_CYCLE_1)
	s_mov_b32 s54, s17
	s_branch .LBB69_261
.LBB69_248:                             ;   in Loop: Header=BB69_17 Depth=1
	s_add_u32 s17, s79, s8
	s_addc_u32 s5, s80, s9
	s_mov_b32 s4, s55
	s_delay_alu instid0(SALU_CYCLE_1)
	s_cmp_lg_u64 s[4:5], 0
	s_cbranch_scc0 .LBB69_282
; %bb.249:                              ;   in Loop: Header=BB69_17 Depth=1
	v_cvt_f32_u32_e32 v2, s33
	s_sub_u32 s54, 0, s33
	s_subb_u32 s60, 0, 0
	s_delay_alu instid0(VALU_DEP_1) | instskip(NEXT) | instid1(VALU_DEP_1)
	v_fmac_f32_e32 v2, 0x4f800000, v42
	v_rcp_f32_e32 v2, v2
	s_waitcnt_depctr 0xfff
	v_mul_f32_e32 v2, 0x5f7ffffc, v2
	s_delay_alu instid0(VALU_DEP_1) | instskip(NEXT) | instid1(VALU_DEP_1)
	v_mul_f32_e32 v3, 0x2f800000, v2
	v_trunc_f32_e32 v3, v3
	s_delay_alu instid0(VALU_DEP_1) | instskip(SKIP_1) | instid1(VALU_DEP_2)
	v_fmac_f32_e32 v2, 0xcf800000, v3
	v_cvt_u32_f32_e32 v3, v3
	v_cvt_u32_f32_e32 v2, v2
	s_delay_alu instid0(VALU_DEP_2) | instskip(NEXT) | instid1(VALU_DEP_2)
	v_readfirstlane_b32 s4, v3
	v_readfirstlane_b32 s18, v2
	s_delay_alu instid0(VALU_DEP_2) | instskip(NEXT) | instid1(VALU_DEP_1)
	s_mul_i32 s68, s54, s4
	s_mul_hi_u32 s70, s54, s18
	s_mul_i32 s69, s60, s18
	s_add_i32 s68, s70, s68
	s_mul_i32 s71, s54, s18
	s_add_i32 s68, s68, s69
	s_mul_hi_u32 s70, s18, s71
	s_mul_hi_u32 s72, s4, s71
	s_mul_i32 s69, s4, s71
	s_mul_hi_u32 s71, s18, s68
	s_mul_i32 s18, s18, s68
	s_mul_hi_u32 s73, s4, s68
	s_add_u32 s18, s70, s18
	s_addc_u32 s70, 0, s71
	s_add_u32 s18, s18, s69
	s_mul_i32 s68, s4, s68
	s_addc_u32 s18, s70, s72
	s_addc_u32 s69, s73, 0
	s_add_u32 s18, s18, s68
	s_addc_u32 s68, 0, s69
	v_add_co_u32 v2, s18, v2, s18
	s_delay_alu instid0(VALU_DEP_1) | instskip(SKIP_1) | instid1(VALU_DEP_1)
	s_cmp_lg_u32 s18, 0
	s_addc_u32 s4, s4, s68
	v_readfirstlane_b32 s18, v2
	s_mul_i32 s68, s54, s4
	s_delay_alu instid0(VALU_DEP_1)
	s_mul_hi_u32 s69, s54, s18
	s_mul_i32 s60, s60, s18
	s_add_i32 s68, s69, s68
	s_mul_i32 s54, s54, s18
	s_add_i32 s68, s68, s60
	s_mul_hi_u32 s69, s4, s54
	s_mul_i32 s70, s4, s54
	s_mul_hi_u32 s54, s18, s54
	s_mul_hi_u32 s71, s18, s68
	s_mul_i32 s18, s18, s68
	s_mul_hi_u32 s60, s4, s68
	s_add_u32 s18, s54, s18
	s_addc_u32 s54, 0, s71
	s_add_u32 s18, s18, s70
	s_mul_i32 s68, s4, s68
	s_addc_u32 s18, s54, s69
	s_addc_u32 s54, s60, 0
	s_add_u32 s18, s18, s68
	s_addc_u32 s54, 0, s54
	v_add_co_u32 v2, s18, v2, s18
	s_delay_alu instid0(VALU_DEP_1) | instskip(SKIP_2) | instid1(VALU_DEP_1)
	s_cmp_lg_u32 s18, 0
	s_addc_u32 s4, s4, s54
	s_ashr_i32 s68, s5, 31
	v_readfirstlane_b32 s18, v2
	s_add_u32 s70, s17, s68
	s_mov_b32 s69, s68
	s_addc_u32 s71, s5, s68
	s_delay_alu instid0(SALU_CYCLE_1) | instskip(NEXT) | instid1(SALU_CYCLE_1)
	s_xor_b64 s[70:71], s[70:71], s[68:69]
	s_mul_i32 s60, s70, s4
	s_mul_hi_u32 s69, s70, s18
	s_mul_hi_u32 s54, s70, s4
	;; [unrolled: 1-line block ×3, first 2 shown]
	s_mul_i32 s18, s71, s18
	s_add_u32 s60, s69, s60
	s_addc_u32 s54, 0, s54
	s_mul_hi_u32 s72, s71, s4
	s_add_u32 s18, s60, s18
	s_mul_i32 s4, s71, s4
	s_addc_u32 s18, s54, s73
	s_addc_u32 s54, s72, 0
	s_add_u32 s4, s18, s4
	s_addc_u32 s18, 0, s54
	s_mul_hi_u32 s54, s33, s4
	s_mul_i32 s4, s33, s4
	s_mul_i32 s18, s33, s18
	v_sub_co_u32 v2, s4, s70, s4
	s_add_i32 s54, s54, s18
	s_cmp_lg_u32 s4, 0
	s_delay_alu instid0(VALU_DEP_1) | instskip(SKIP_2) | instid1(VALU_DEP_1)
	v_sub_co_u32 v3, s4, v2, s33
	s_subb_u32 s18, s71, s54
	s_cmp_lg_u32 s4, 0
	v_cmp_le_u32_e32 vcc_lo, s33, v3
	v_sub_co_u32 v4, s4, v3, s33
	s_subb_u32 s54, s18, 0
	s_cmp_lg_u32 s4, 0
	v_cndmask_b32_e64 v5, 0, -1, vcc_lo
	s_subb_u32 s4, s54, 0
	s_cmp_eq_u32 s54, 0
	v_mov_b32_e32 v7, s4
	s_cselect_b32 vcc_lo, -1, 0
	s_cmp_eq_u32 s18, 0
	v_cndmask_b32_e32 v5, -1, v5, vcc_lo
	v_cmp_le_u32_e32 vcc_lo, s33, v2
	s_cselect_b32 s4, -1, 0
	v_cndmask_b32_e64 v6, 0, -1, vcc_lo
	s_delay_alu instid0(VALU_DEP_3) | instskip(NEXT) | instid1(VALU_DEP_2)
	v_cmp_ne_u32_e32 vcc_lo, 0, v5
	v_cndmask_b32_e64 v5, -1, v6, s4
	v_cndmask_b32_e32 v3, v3, v4, vcc_lo
	v_cndmask_b32_e32 v6, s54, v7, vcc_lo
	s_delay_alu instid0(VALU_DEP_3) | instskip(NEXT) | instid1(VALU_DEP_3)
	v_cmp_ne_u32_e32 vcc_lo, 0, v5
	v_cndmask_b32_e32 v2, v2, v3, vcc_lo
	s_delay_alu instid0(VALU_DEP_3) | instskip(NEXT) | instid1(VALU_DEP_2)
	v_cndmask_b32_e32 v4, s18, v6, vcc_lo
	v_xor_b32_e32 v2, s68, v2
	s_delay_alu instid0(VALU_DEP_2) | instskip(NEXT) | instid1(VALU_DEP_2)
	v_xor_b32_e32 v3, s68, v4
	v_sub_co_u32 v2, vcc_lo, v2, s68
	s_delay_alu instid0(VALU_DEP_2)
	v_subrev_co_ci_u32_e32 v3, vcc_lo, s68, v3, vcc_lo
	s_cbranch_execnz .LBB69_251
.LBB69_250:                             ;   in Loop: Header=BB69_17 Depth=1
	v_cvt_f32_u32_e32 v2, s33
	s_sub_i32 s4, 0, s33
	s_delay_alu instid0(VALU_DEP_1) | instskip(SKIP_2) | instid1(VALU_DEP_1)
	v_rcp_iflag_f32_e32 v2, v2
	s_waitcnt_depctr 0xfff
	v_mul_f32_e32 v2, 0x4f7ffffe, v2
	v_cvt_u32_f32_e32 v2, v2
	s_delay_alu instid0(VALU_DEP_1) | instskip(NEXT) | instid1(VALU_DEP_1)
	v_mul_lo_u32 v3, s4, v2
	v_mul_hi_u32 v3, v2, v3
	s_delay_alu instid0(VALU_DEP_1) | instskip(NEXT) | instid1(VALU_DEP_1)
	v_add_nc_u32_e32 v2, v2, v3
	v_mul_hi_u32 v2, s17, v2
	s_delay_alu instid0(VALU_DEP_1) | instskip(NEXT) | instid1(VALU_DEP_1)
	v_mul_lo_u32 v2, v2, s33
	v_sub_nc_u32_e32 v2, s17, v2
	s_delay_alu instid0(VALU_DEP_1) | instskip(SKIP_1) | instid1(VALU_DEP_2)
	v_subrev_nc_u32_e32 v3, s33, v2
	v_cmp_le_u32_e32 vcc_lo, s33, v2
	v_cndmask_b32_e32 v2, v2, v3, vcc_lo
	s_delay_alu instid0(VALU_DEP_1) | instskip(SKIP_1) | instid1(VALU_DEP_2)
	v_subrev_nc_u32_e32 v3, s33, v2
	v_cmp_le_u32_e32 vcc_lo, s33, v2
	v_cndmask_b32_e32 v12, v2, v3, vcc_lo
	s_delay_alu instid0(VALU_DEP_1)
	v_dual_mov_b32 v2, v12 :: v_dual_mov_b32 v3, v13
.LBB69_251:                             ;   in Loop: Header=BB69_17 Depth=1
	s_delay_alu instid0(VALU_DEP_1) | instskip(NEXT) | instid1(VALU_DEP_2)
	v_sub_co_u32 v2, vcc_lo, s17, v2
	v_sub_co_ci_u32_e32 v3, vcc_lo, s5, v3, vcc_lo
	s_mov_b32 s68, 0
	s_mov_b32 s5, exec_lo
                                        ; implicit-def: $vgpr43
	s_delay_alu instid0(VALU_DEP_1)
	v_cmpx_gt_i64_e64 v[2:3], v[0:1]
	s_cbranch_execz .LBB69_260
; %bb.252:                              ;   in Loop: Header=BB69_17 Depth=1
	v_dual_mov_b32 v6, v32 :: v_dual_mov_b32 v5, v1
	v_mov_b32_e32 v4, v0
	s_mov_b32 s17, 0
                                        ; implicit-def: $sgpr18
	s_branch .LBB69_254
.LBB69_253:                             ;   in Loop: Header=BB69_254 Depth=2
	s_or_b32 exec_lo, exec_lo, s4
	s_waitcnt lgkmcnt(0)
	s_barrier
	buffer_gl0_inv
	ds_load_b32 v7, v13 offset:3072
	v_add_co_u32 v4, vcc_lo, v4, s33
	v_add_co_ci_u32_e32 v5, vcc_lo, 0, v5, vcc_lo
	v_add_nc_u32_e32 v6, s87, v6
	s_waitcnt lgkmcnt(0)
	s_barrier
	s_delay_alu instid0(VALU_DEP_2) | instskip(SKIP_2) | instid1(VALU_DEP_1)
	v_cmp_ge_i64_e32 vcc_lo, v[4:5], v[2:3]
	buffer_gl0_inv
	v_and_b32_e32 v8, 0x7fff, v7
	v_cmp_ne_u16_e64 s4, 0, v8
	s_delay_alu instid0(VALU_DEP_1) | instskip(NEXT) | instid1(SALU_CYCLE_1)
	s_or_b32 s54, s4, vcc_lo
	s_and_b32 s54, exec_lo, s54
	s_delay_alu instid0(SALU_CYCLE_1) | instskip(SKIP_2) | instid1(SALU_CYCLE_1)
	s_or_b32 s17, s54, s17
	s_and_not1_b32 s18, s18, exec_lo
	s_and_b32 s4, s4, exec_lo
	s_or_b32 s18, s18, s4
	s_and_not1_b32 exec_lo, exec_lo, s17
	s_cbranch_execz .LBB69_259
.LBB69_254:                             ;   Parent Loop BB69_17 Depth=1
                                        ; =>  This Inner Loop Header: Depth=2
	s_delay_alu instid0(VALU_DEP_1)
	v_cmp_gt_i64_e32 vcc_lo, s[8:9], v[4:5]
	v_mov_b32_e32 v7, 0
	s_and_saveexec_b32 s4, vcc_lo
	s_cbranch_execz .LBB69_256
; %bb.255:                              ;   in Loop: Header=BB69_254 Depth=2
	ds_load_u16 v7, v6
.LBB69_256:                             ;   in Loop: Header=BB69_254 Depth=2
	s_or_b32 exec_lo, exec_lo, s4
	s_and_saveexec_b32 s4, vcc_lo
	s_cbranch_execz .LBB69_253
; %bb.257:                              ;   in Loop: Header=BB69_254 Depth=2
	s_waitcnt lgkmcnt(0)
	v_cmp_lt_i16_e32 vcc_lo, -1, v7
	v_and_b32_e32 v8, 0xffff, v7
	v_dual_cndmask_b32 v9, 0xffff, v41 :: v_dual_lshlrev_b32 v12, 16, v7
	s_delay_alu instid0(VALU_DEP_1) | instskip(NEXT) | instid1(VALU_DEP_2)
	v_cmp_o_f32_e32 vcc_lo, v12, v12
	v_xor_b32_e32 v8, v9, v8
	s_delay_alu instid0(VALU_DEP_1) | instskip(NEXT) | instid1(VALU_DEP_1)
	v_cndmask_b32_e32 v8, 0xffff, v8, vcc_lo
	v_and_b32_e32 v8, s98, v8
	s_delay_alu instid0(VALU_DEP_1)
	v_cmp_eq_u32_e32 vcc_lo, s99, v8
	s_and_b32 exec_lo, exec_lo, vcc_lo
	s_cbranch_execz .LBB69_253
; %bb.258:                              ;   in Loop: Header=BB69_254 Depth=2
	v_perm_b32 v7, v7, s88, 0x5040100
	ds_store_b32 v13, v7 offset:3072
	s_branch .LBB69_253
.LBB69_259:                             ;   in Loop: Header=BB69_17 Depth=1
	s_or_b32 exec_lo, exec_lo, s17
	v_lshrrev_b32_e32 v43, 16, v7
	s_and_b32 s68, s18, exec_lo
.LBB69_260:                             ;   in Loop: Header=BB69_17 Depth=1
	s_or_b32 exec_lo, exec_lo, s5
	s_mov_b32 s54, -1
	s_mov_b32 s17, 0
	s_mov_b32 s18, 0
.LBB69_261:                             ;   in Loop: Header=BB69_17 Depth=1
	s_mov_b32 s9, 0
                                        ; implicit-def: $sgpr60
                                        ; implicit-def: $sgpr4_sgpr5
	s_and_saveexec_b32 s8, s68
	s_cbranch_execz .LBB69_274
; %bb.262:                              ;   in Loop: Header=BB69_17 Depth=1
	s_xor_b32 s9, s11, -1
	s_mov_b64 s[4:5], 1
	s_and_not1_b32 vcc_lo, exec_lo, s9
	s_mov_b32 s60, 1
	s_cbranch_vccnz .LBB69_273
; %bb.263:                              ;   in Loop: Header=BB69_17 Depth=1
	v_cmp_gt_i64_e64 s4, s[26:27], s[6:7]
	s_delay_alu instid0(VALU_DEP_1)
	s_and_b32 vcc_lo, exec_lo, s4
	s_cbranch_vccnz .LBB69_269
; %bb.264:                              ;   in Loop: Header=BB69_17 Depth=1
	ds_load_b64 v[2:3], v13 offset:5120
	s_waitcnt lgkmcnt(0)
	v_cmp_ne_u64_e32 vcc_lo, 0, v[2:3]
	s_cbranch_vccnz .LBB69_268
; %bb.265:                              ;   in Loop: Header=BB69_17 Depth=1
	s_and_saveexec_b32 s4, s2
	s_cbranch_execz .LBB69_267
; %bb.266:                              ;   in Loop: Header=BB69_17 Depth=1
	v_dual_mov_b32 v2, s6 :: v_dual_mov_b32 v3, s7
	ds_store_b64 v13, v[2:3] offset:5128
.LBB69_267:                             ;   in Loop: Header=BB69_17 Depth=1
	s_or_b32 exec_lo, exec_lo, s4
	s_waitcnt lgkmcnt(0)
	s_barrier
	buffer_gl0_inv
.LBB69_268:                             ;   in Loop: Header=BB69_17 Depth=1
	s_or_b32 s9, s99, s16
	s_or_b32 s11, s98, s16
	s_mov_b32 s4, 0
	s_mov_b32 s60, 8
	s_branch .LBB69_270
.LBB69_269:                             ;   in Loop: Header=BB69_17 Depth=1
	s_mov_b32 s4, -1
                                        ; implicit-def: $sgpr60
                                        ; implicit-def: $sgpr9
                                        ; implicit-def: $sgpr11
.LBB69_270:                             ;   in Loop: Header=BB69_17 Depth=1
	s_delay_alu instid0(SALU_CYCLE_1)
	s_and_not1_b32 vcc_lo, exec_lo, s4
	s_cbranch_vccnz .LBB69_272
; %bb.271:                              ;   in Loop: Header=BB69_17 Depth=1
	s_sub_u32 s26, s26, s6
	s_subb_u32 s27, s27, s7
	s_mov_b32 s60, 8
	s_mov_b32 s9, s99
	s_mov_b32 s11, s98
.LBB69_272:                             ;   in Loop: Header=BB69_17 Depth=1
	s_mov_b64 s[4:5], s[26:27]
	s_mov_b32 s99, s9
	s_mov_b32 s98, s11
.LBB69_273:                             ;   in Loop: Header=BB69_17 Depth=1
	s_mov_b32 s9, exec_lo
.LBB69_274:                             ;   in Loop: Header=BB69_17 Depth=1
	s_or_b32 exec_lo, exec_lo, s8
	s_mov_b64 s[26:27], s[4:5]
.LBB69_275:                             ;   in Loop: Header=BB69_17 Depth=1
	s_and_not1_b32 s4, s13, exec_lo
	s_and_b32 s5, s17, exec_lo
	s_and_not1_b32 s6, s22, exec_lo
	s_or_b32 s13, s4, s5
	s_and_not1_b32 s4, s23, exec_lo
	s_and_b32 s5, s54, exec_lo
	s_and_b32 s7, s18, exec_lo
	s_or_b32 s23, s4, s5
	s_or_b32 s22, s6, s7
	s_and_b32 s5, s9, exec_lo
.LBB69_276:                             ;   in Loop: Header=BB69_17 Depth=1
	s_or_b32 exec_lo, exec_lo, s10
.LBB69_277:                             ;   in Loop: Header=BB69_17 Depth=1
	s_delay_alu instid0(SALU_CYCLE_1)
	s_and_not1_b32 s4, s20, exec_lo
	s_and_b32 s6, s13, exec_lo
	s_and_not1_b32 s7, s19, exec_lo
	s_or_b32 s20, s4, s6
	s_and_not1_b32 s4, s21, exec_lo
	s_and_b32 s6, s23, exec_lo
	s_and_b32 s8, s22, exec_lo
	s_or_b32 s21, s4, s6
	s_or_b32 s19, s7, s8
	s_and_b32 s5, s5, exec_lo
.LBB69_278:                             ;   in Loop: Header=BB69_17 Depth=1
	s_or_b32 exec_lo, exec_lo, s12
	s_and_saveexec_b32 s4, s5
	s_delay_alu instid0(SALU_CYCLE_1)
	s_xor_b32 s4, exec_lo, s4
	s_cbranch_execz .LBB69_15
.LBB69_279:                             ;   in Loop: Header=BB69_17 Depth=1
	s_and_b32 s5, s60, -9
	s_delay_alu instid0(SALU_CYCLE_1)
	s_cmp_eq_u32 s5, 0
	s_cbranch_scc1 .LBB69_13
; %bb.280:                              ;   in Loop: Header=BB69_17 Depth=1
	s_mov_b32 s5, -1
	s_mov_b32 s6, -1
                                        ; implicit-def: $sgpr98
                                        ; implicit-def: $sgpr92
                                        ; implicit-def: $sgpr94
	s_branch .LBB69_14
.LBB69_281:                             ;   in Loop: Header=BB69_17 Depth=1
                                        ; implicit-def: $vgpr2_vgpr3
	s_branch .LBB69_233
.LBB69_282:                             ;   in Loop: Header=BB69_17 Depth=1
                                        ; implicit-def: $vgpr2_vgpr3
	s_branch .LBB69_250
.LBB69_283:
	s_or_b32 exec_lo, exec_lo, s89
	s_xor_b32 s5, s93, -1
	s_xor_b32 s1, s90, -1
	;; [unrolled: 1-line block ×3, first 2 shown]
	s_mov_b32 s3, 0
	s_and_saveexec_b32 s6, s1
	s_delay_alu instid0(SALU_CYCLE_1)
	s_xor_b32 s1, exec_lo, s6
	s_cbranch_execz .LBB69_309
; %bb.284:
	s_and_saveexec_b32 s3, s5
	s_delay_alu instid0(SALU_CYCLE_1)
	s_xor_b32 s3, exec_lo, s3
	s_cbranch_execz .LBB69_307
; %bb.285:
	s_and_saveexec_b32 s5, s4
	s_delay_alu instid0(SALU_CYCLE_1)
	s_xor_b32 s4, exec_lo, s5
; %bb.286:
	v_and_b32_e32 v3, 0x8000, v2
	v_mov_b32_e32 v4, 0xffff
	s_delay_alu instid0(VALU_DEP_2) | instskip(NEXT) | instid1(VALU_DEP_2)
	v_cmp_eq_u32_e32 vcc_lo, 0, v3
	v_cndmask_b32_e32 v3, 0x8000, v4, vcc_lo
	s_delay_alu instid0(VALU_DEP_1)
	v_xor_b32_e32 v43, v3, v2
; %bb.287:
	s_or_b32 exec_lo, exec_lo, s4
	s_and_saveexec_b32 s4, s2
	s_cbranch_execz .LBB69_289
; %bb.288:
	v_dual_mov_b32 v2, 0 :: v_dual_mov_b32 v3, s24
	ds_store_b32 v2, v3 offset:5140
.LBB69_289:
	s_or_b32 exec_lo, exec_lo, s4
	s_waitcnt lgkmcnt(0)
	s_barrier
	buffer_gl0_inv
	s_and_saveexec_b32 s4, s0
	s_cbranch_execz .LBB69_304
; %bb.290:
	v_mov_b32_e32 v2, 0
	v_lshlrev_b32_e32 v6, 16, v43
	s_mov_b32 s5, 0
                                        ; implicit-def: $sgpr7
                                        ; implicit-def: $sgpr8
                                        ; implicit-def: $sgpr9
	ds_load_b32 v4, v2 offset:5140
	v_cmp_u_f32_e32 vcc_lo, v6, v6
	s_xor_b32 s6, vcc_lo, -1
	s_waitcnt lgkmcnt(0)
	v_ashrrev_i32_e32 v5, 31, v4
	s_set_inst_prefetch_distance 0x1
	s_branch .LBB69_293
	.p2align	6
.LBB69_291:                             ;   in Loop: Header=BB69_293 Depth=1
	s_or_b32 exec_lo, exec_lo, s13
	s_delay_alu instid0(SALU_CYCLE_1)
	s_and_not1_b32 s0, s9, exec_lo
	s_and_b32 s9, s11, exec_lo
	s_and_not1_b32 s8, s8, exec_lo
	s_and_b32 s11, s12, exec_lo
	s_or_b32 s9, s0, s9
	s_or_b32 s8, s8, s11
.LBB69_292:                             ;   in Loop: Header=BB69_293 Depth=1
	s_or_b32 exec_lo, exec_lo, s10
	s_delay_alu instid0(SALU_CYCLE_1) | instskip(NEXT) | instid1(SALU_CYCLE_1)
	s_and_b32 s0, exec_lo, s8
	s_or_b32 s5, s0, s5
	s_and_not1_b32 s0, s7, exec_lo
	s_and_b32 s7, s9, exec_lo
	s_delay_alu instid0(SALU_CYCLE_1)
	s_or_b32 s7, s0, s7
	s_and_not1_b32 exec_lo, exec_lo, s5
	s_cbranch_execz .LBB69_299
.LBB69_293:                             ; =>This Inner Loop Header: Depth=1
	v_dual_mov_b32 v3, v1 :: v_dual_mov_b32 v2, v0
	s_or_b32 s9, s9, exec_lo
	s_or_b32 s8, s8, exec_lo
	s_mov_b32 s10, exec_lo
                                        ; implicit-def: $vgpr0_vgpr1
	s_delay_alu instid0(VALU_DEP_1)
	v_cmpx_lt_i64_e64 v[2:3], v[4:5]
	s_cbranch_execz .LBB69_292
; %bb.294:                              ;   in Loop: Header=BB69_293 Depth=1
	global_load_u16 v0, v[10:11], off
	s_mov_b32 s12, -1
	s_waitcnt vmcnt(0)
	v_lshlrev_b32_e32 v0, 16, v0
	s_delay_alu instid0(VALU_DEP_1)
	v_cmp_o_f32_e32 vcc_lo, v0, v0
	v_cmp_neq_f32_e64 s0, v0, v6
                                        ; implicit-def: $vgpr0_vgpr1
	s_or_b32 s11, s6, vcc_lo
	s_delay_alu instid0(VALU_DEP_1) | instid1(SALU_CYCLE_1)
	s_and_b32 s0, s0, s11
	s_mov_b32 s11, 0
	s_and_saveexec_b32 s13, s0
	s_cbranch_execz .LBB69_291
; %bb.295:                              ;   in Loop: Header=BB69_293 Depth=1
	v_add_co_u32 v0, vcc_lo, v2, s33
	v_add_co_ci_u32_e32 v1, vcc_lo, 0, v3, vcc_lo
	v_add_co_u32 v10, s0, v10, s56
	s_mov_b32 s11, exec_lo
	s_delay_alu instid0(VALU_DEP_2)
	v_cmp_le_i64_e32 vcc_lo, s[24:25], v[0:1]
	v_add_co_ci_u32_e64 v11, s0, s57, v11, s0
	s_or_not1_b32 s12, vcc_lo, exec_lo
	s_branch .LBB69_291
.LBB69_296:
                                        ; implicit-def: $sgpr16_sgpr17
	s_branch .LBB69_3
.LBB69_297:
                                        ; implicit-def: $sgpr46_sgpr47
	s_branch .LBB69_6
.LBB69_298:
                                        ; implicit-def: $sgpr48_sgpr49
	s_load_b64 s[18:19], s[0:1], 0x0
	s_branch .LBB69_9
.LBB69_299:
	s_set_inst_prefetch_distance 0x2
	s_or_b32 exec_lo, exec_lo, s5
	s_xor_b32 s0, s7, -1
	s_delay_alu instid0(SALU_CYCLE_1) | instskip(NEXT) | instid1(SALU_CYCLE_1)
	s_and_saveexec_b32 s5, s0
	s_xor_b32 s5, exec_lo, s5
	s_cbranch_execz .LBB69_304
; %bb.300:
	s_mov_b32 s5, exec_lo
	s_brev_b32 s0, -2
.LBB69_301:                             ; =>This Inner Loop Header: Depth=1
	s_ctz_i32_b32 s6, s5
	s_delay_alu instid0(SALU_CYCLE_1) | instskip(SKIP_1) | instid1(SALU_CYCLE_1)
	v_readlane_b32 s7, v2, s6
	s_lshl_b32 s6, 1, s6
	s_and_not1_b32 s5, s5, s6
	s_delay_alu instid0(VALU_DEP_1)
	s_min_i32 s0, s0, s7
	s_cmp_lg_u32 s5, 0
	s_cbranch_scc1 .LBB69_301
; %bb.302:
	v_mbcnt_lo_u32_b32 v0, exec_lo, 0
	s_mov_b32 s5, exec_lo
	s_delay_alu instid0(VALU_DEP_1)
	v_cmpx_eq_u32_e32 0, v0
	s_xor_b32 s5, exec_lo, s5
	s_cbranch_execz .LBB69_304
; %bb.303:
	v_dual_mov_b32 v0, 0 :: v_dual_mov_b32 v1, s0
	ds_min_i32 v0, v1 offset:5140
.LBB69_304:
	s_or_b32 exec_lo, exec_lo, s4
	s_waitcnt lgkmcnt(0)
	s_barrier
	buffer_gl0_inv
	s_and_saveexec_b32 s0, s2
	s_cbranch_execz .LBB69_306
; %bb.305:
	s_mul_i32 s2, s46, s29
	s_mul_hi_u32 s4, s46, s28
	s_mul_i32 s5, s46, s28
	s_add_i32 s2, s4, s2
	s_mul_i32 s4, s47, s28
	s_mul_hi_u32 s7, s46, s40
	s_add_i32 s2, s2, s4
	s_sub_u32 s4, s34, s5
	s_subb_u32 s2, 0, s2
	s_mul_i32 s5, s4, s43
	s_mul_hi_u32 s6, s4, s42
	s_mul_i32 s2, s2, s42
	s_add_i32 s5, s6, s5
	s_mul_i32 s6, s46, s41
	v_mov_b32_e32 v2, 0
	s_add_i32 s5, s5, s2
	s_add_i32 s2, s7, s6
	s_mul_i32 s6, s47, s40
	s_mul_hi_u32 s8, s48, s44
	s_add_i32 s7, s2, s6
	s_mul_i32 s2, s48, s45
	ds_load_b32 v0, v2 offset:5140
	s_add_i32 s2, s8, s2
	s_mul_i32 s8, s49, s44
	s_mul_i32 s9, s48, s44
	s_add_i32 s2, s2, s8
	s_sub_u32 s8, s34, s9
	s_subb_u32 s2, 0, s2
	s_mul_i32 s9, s8, s39
	s_mul_hi_u32 s10, s8, s38
	s_mul_i32 s2, s2, s38
	s_add_i32 s9, s10, s9
	s_mul_i32 s10, s48, s37
	s_mul_hi_u32 s11, s48, s36
	s_mul_i32 s6, s46, s40
	s_add_i32 s9, s9, s2
	s_add_i32 s2, s11, s10
	s_mul_i32 s10, s49, s36
	s_lshl_b64 s[6:7], s[6:7], 1
	s_mul_i32 s4, s4, s42
	s_add_i32 s11, s2, s10
	s_add_u32 s2, s52, s6
	s_addc_u32 s6, s53, s7
	s_lshl_b64 s[4:5], s[4:5], 1
	s_mul_i32 s10, s48, s36
	s_add_u32 s4, s2, s4
	s_addc_u32 s5, s6, s5
	s_lshl_b64 s[6:7], s[10:11], 3
	s_mul_i32 s8, s8, s38
	s_add_u32 s2, s50, s6
	s_addc_u32 s10, s51, s7
	s_lshl_b64 s[6:7], s[8:9], 3
	s_waitcnt lgkmcnt(0)
	v_ashrrev_i32_e32 v1, 31, v0
	s_add_u32 s6, s2, s6
	s_addc_u32 s7, s10, s7
	s_clause 0x1
	global_store_b64 v2, v[0:1], s[6:7]
	global_store_b16 v2, v43, s[4:5]
.LBB69_306:
	s_or_b32 exec_lo, exec_lo, s0
.LBB69_307:
	s_or_saveexec_b32 s0, s3
	s_mov_b32 s2, 0
	s_xor_b32 exec_lo, exec_lo, s0
	s_cbranch_execnz .LBB69_315
.LBB69_308:
	s_or_b32 exec_lo, exec_lo, s0
	s_delay_alu instid0(SALU_CYCLE_1)
	s_and_b32 s3, s2, exec_lo
.LBB69_309:
	s_and_not1_saveexec_b32 s0, s1
	s_cbranch_execnz .LBB69_313
; %bb.310:
	s_or_b32 exec_lo, exec_lo, s0
	s_and_saveexec_b32 s0, s3
.LBB69_311:
	; divergent unreachable
.LBB69_312:
	s_nop 0
	s_sendmsg sendmsg(MSG_DEALLOC_VGPRS)
	s_endpgm
.LBB69_313:
	s_cbranch_execnz .LBB69_317
; %bb.314:
	s_or_b32 s3, s3, exec_lo
	s_or_b32 exec_lo, exec_lo, s0
	s_and_saveexec_b32 s0, s3
	s_cbranch_execnz .LBB69_311
	s_branch .LBB69_312
.LBB69_315:
	s_cbranch_execnz .LBB69_319
; %bb.316:
	s_mov_b32 s2, exec_lo
	s_branch .LBB69_308
.LBB69_317:
	s_trap 2
	s_sendmsg_rtn_b32 s0, sendmsg(MSG_RTN_GET_DOORBELL)
	s_mov_b32 ttmp2, m0
	s_waitcnt lgkmcnt(0)
	s_and_b32 s0, s0, 0x3ff
	s_delay_alu instid0(SALU_CYCLE_1) | instskip(NEXT) | instid1(SALU_CYCLE_1)
	s_bitset1_b32 s0, 10
	s_mov_b32 m0, s0
	s_sendmsg sendmsg(MSG_INTERRUPT)
	s_mov_b32 m0, ttmp2
.LBB69_318:                             ; =>This Inner Loop Header: Depth=1
	s_sethalt 5
	s_branch .LBB69_318
.LBB69_319:
	s_trap 2
	s_sendmsg_rtn_b32 s0, sendmsg(MSG_RTN_GET_DOORBELL)
	s_mov_b32 ttmp2, m0
	s_waitcnt lgkmcnt(0)
	s_and_b32 s0, s0, 0x3ff
	s_delay_alu instid0(SALU_CYCLE_1) | instskip(NEXT) | instid1(SALU_CYCLE_1)
	s_bitset1_b32 s0, 10
	s_mov_b32 m0, s0
	s_sendmsg sendmsg(MSG_INTERRUPT)
	s_mov_b32 m0, ttmp2
.LBB69_320:                             ; =>This Inner Loop Header: Depth=1
	s_sethalt 5
	s_branch .LBB69_320
	.section	.rodata,"a",@progbits
	.p2align	6, 0x0
	.amdhsa_kernel _ZN2at6native12_GLOBAL__N_114gatherKthValueIN3c108BFloat16ElLi2EEEvNS_4cuda6detail10TensorInfoIKT_T0_EESA_SA_SA_SA_NS7_IS8_SA_EENS7_IlSA_EE
		.amdhsa_group_segment_fixed_size 5144
		.amdhsa_private_segment_fixed_size 0
		.amdhsa_kernarg_size 1536
		.amdhsa_user_sgpr_count 13
		.amdhsa_user_sgpr_dispatch_ptr 0
		.amdhsa_user_sgpr_queue_ptr 0
		.amdhsa_user_sgpr_kernarg_segment_ptr 1
		.amdhsa_user_sgpr_dispatch_id 0
		.amdhsa_user_sgpr_private_segment_size 0
		.amdhsa_wavefront_size32 1
		.amdhsa_uses_dynamic_stack 0
		.amdhsa_enable_private_segment 0
		.amdhsa_system_sgpr_workgroup_id_x 1
		.amdhsa_system_sgpr_workgroup_id_y 1
		.amdhsa_system_sgpr_workgroup_id_z 1
		.amdhsa_system_sgpr_workgroup_info 0
		.amdhsa_system_vgpr_workitem_id 0
		.amdhsa_next_free_vgpr 50
		.amdhsa_next_free_sgpr 102
		.amdhsa_reserve_vcc 1
		.amdhsa_float_round_mode_32 0
		.amdhsa_float_round_mode_16_64 0
		.amdhsa_float_denorm_mode_32 3
		.amdhsa_float_denorm_mode_16_64 3
		.amdhsa_dx10_clamp 1
		.amdhsa_ieee_mode 1
		.amdhsa_fp16_overflow 0
		.amdhsa_workgroup_processor_mode 1
		.amdhsa_memory_ordered 1
		.amdhsa_forward_progress 0
		.amdhsa_shared_vgpr_count 0
		.amdhsa_exception_fp_ieee_invalid_op 0
		.amdhsa_exception_fp_denorm_src 0
		.amdhsa_exception_fp_ieee_div_zero 0
		.amdhsa_exception_fp_ieee_overflow 0
		.amdhsa_exception_fp_ieee_underflow 0
		.amdhsa_exception_fp_ieee_inexact 0
		.amdhsa_exception_int_div_zero 0
	.end_amdhsa_kernel
	.section	.text._ZN2at6native12_GLOBAL__N_114gatherKthValueIN3c108BFloat16ElLi2EEEvNS_4cuda6detail10TensorInfoIKT_T0_EESA_SA_SA_SA_NS7_IS8_SA_EENS7_IlSA_EE,"axG",@progbits,_ZN2at6native12_GLOBAL__N_114gatherKthValueIN3c108BFloat16ElLi2EEEvNS_4cuda6detail10TensorInfoIKT_T0_EESA_SA_SA_SA_NS7_IS8_SA_EENS7_IlSA_EE,comdat
.Lfunc_end69:
	.size	_ZN2at6native12_GLOBAL__N_114gatherKthValueIN3c108BFloat16ElLi2EEEvNS_4cuda6detail10TensorInfoIKT_T0_EESA_SA_SA_SA_NS7_IS8_SA_EENS7_IlSA_EE, .Lfunc_end69-_ZN2at6native12_GLOBAL__N_114gatherKthValueIN3c108BFloat16ElLi2EEEvNS_4cuda6detail10TensorInfoIKT_T0_EESA_SA_SA_SA_NS7_IS8_SA_EENS7_IlSA_EE
                                        ; -- End function
	.section	.AMDGPU.csdata,"",@progbits
; Kernel info:
; codeLenInByte = 20512
; NumSgprs: 104
; NumVgprs: 50
; ScratchSize: 0
; MemoryBound: 0
; FloatMode: 240
; IeeeMode: 1
; LDSByteSize: 5144 bytes/workgroup (compile time only)
; SGPRBlocks: 12
; VGPRBlocks: 6
; NumSGPRsForWavesPerEU: 104
; NumVGPRsForWavesPerEU: 50
; Occupancy: 16
; WaveLimiterHint : 1
; COMPUTE_PGM_RSRC2:SCRATCH_EN: 0
; COMPUTE_PGM_RSRC2:USER_SGPR: 13
; COMPUTE_PGM_RSRC2:TRAP_HANDLER: 0
; COMPUTE_PGM_RSRC2:TGID_X_EN: 1
; COMPUTE_PGM_RSRC2:TGID_Y_EN: 1
; COMPUTE_PGM_RSRC2:TGID_Z_EN: 1
; COMPUTE_PGM_RSRC2:TIDIG_COMP_CNT: 0
	.section	.text._ZN2at6native12_GLOBAL__N_114gatherKthValueIN3c108BFloat16ElLi3EEEvNS_4cuda6detail10TensorInfoIKT_T0_EESA_SA_SA_SA_NS7_IS8_SA_EENS7_IlSA_EE,"axG",@progbits,_ZN2at6native12_GLOBAL__N_114gatherKthValueIN3c108BFloat16ElLi3EEEvNS_4cuda6detail10TensorInfoIKT_T0_EESA_SA_SA_SA_NS7_IS8_SA_EENS7_IlSA_EE,comdat
	.globl	_ZN2at6native12_GLOBAL__N_114gatherKthValueIN3c108BFloat16ElLi3EEEvNS_4cuda6detail10TensorInfoIKT_T0_EESA_SA_SA_SA_NS7_IS8_SA_EENS7_IlSA_EE ; -- Begin function _ZN2at6native12_GLOBAL__N_114gatherKthValueIN3c108BFloat16ElLi3EEEvNS_4cuda6detail10TensorInfoIKT_T0_EESA_SA_SA_SA_NS7_IS8_SA_EENS7_IlSA_EE
	.p2align	8
	.type	_ZN2at6native12_GLOBAL__N_114gatherKthValueIN3c108BFloat16ElLi3EEEvNS_4cuda6detail10TensorInfoIKT_T0_EESA_SA_SA_SA_NS7_IS8_SA_EENS7_IlSA_EE,@function
_ZN2at6native12_GLOBAL__N_114gatherKthValueIN3c108BFloat16ElLi3EEEvNS_4cuda6detail10TensorInfoIKT_T0_EESA_SA_SA_SA_NS7_IS8_SA_EENS7_IlSA_EE: ; @_ZN2at6native12_GLOBAL__N_114gatherKthValueIN3c108BFloat16ElLi3EEEvNS_4cuda6detail10TensorInfoIKT_T0_EESA_SA_SA_SA_NS7_IS8_SA_EENS7_IlSA_EE
; %bb.0:
	s_clause 0x1
	s_load_b64 s[18:19], s[0:1], 0x500
	s_load_b256 s[24:31], s[0:1], 0x1a0
	s_add_u32 s16, s0, 0x500
	s_addc_u32 s17, s1, 0
	s_mov_b32 s35, 0
	s_waitcnt lgkmcnt(0)
	s_mul_i32 s2, s19, s15
	s_delay_alu instid0(SALU_CYCLE_1) | instskip(NEXT) | instid1(SALU_CYCLE_1)
	s_add_i32 s2, s2, s14
	s_mul_i32 s2, s2, s18
	s_delay_alu instid0(SALU_CYCLE_1) | instskip(NEXT) | instid1(SALU_CYCLE_1)
	s_add_i32 s34, s2, s13
	v_cmp_ge_i64_e64 s2, s[34:35], s[28:29]
	s_delay_alu instid0(VALU_DEP_1)
	s_and_b32 vcc_lo, exec_lo, s2
	s_cbranch_vccnz .LBB70_325
; %bb.1:
	s_load_b128 s[4:7], s[0:1], 0x10
	s_mov_b32 s2, s35
	s_waitcnt lgkmcnt(0)
	s_mov_b32 s3, s7
	s_delay_alu instid0(SALU_CYCLE_1)
	s_cmp_lg_u64 s[2:3], 0
	s_cbranch_scc0 .LBB70_18
; %bb.2:
	s_ashr_i32 s2, s7, 31
	s_delay_alu instid0(SALU_CYCLE_1) | instskip(SKIP_2) | instid1(SALU_CYCLE_1)
	s_add_u32 s8, s6, s2
	s_mov_b32 s3, s2
	s_addc_u32 s9, s7, s2
	s_xor_b64 s[8:9], s[8:9], s[2:3]
	s_delay_alu instid0(SALU_CYCLE_1) | instskip(SKIP_3) | instid1(VALU_DEP_1)
	v_cvt_f32_u32_e32 v1, s8
	v_cvt_f32_u32_e32 v2, s9
	s_sub_u32 s12, 0, s8
	s_subb_u32 s14, 0, s9
	v_fmamk_f32 v1, v2, 0x4f800000, v1
	s_delay_alu instid0(VALU_DEP_1) | instskip(SKIP_2) | instid1(VALU_DEP_1)
	v_rcp_f32_e32 v1, v1
	s_waitcnt_depctr 0xfff
	v_mul_f32_e32 v1, 0x5f7ffffc, v1
	v_mul_f32_e32 v2, 0x2f800000, v1
	s_delay_alu instid0(VALU_DEP_1) | instskip(NEXT) | instid1(VALU_DEP_1)
	v_trunc_f32_e32 v2, v2
	v_fmamk_f32 v1, v2, 0xcf800000, v1
	v_cvt_u32_f32_e32 v2, v2
	s_delay_alu instid0(VALU_DEP_2) | instskip(NEXT) | instid1(VALU_DEP_2)
	v_cvt_u32_f32_e32 v1, v1
	v_readfirstlane_b32 s10, v2
	s_delay_alu instid0(VALU_DEP_2) | instskip(NEXT) | instid1(VALU_DEP_2)
	v_readfirstlane_b32 s11, v1
	s_mul_i32 s15, s12, s10
	s_delay_alu instid0(VALU_DEP_1)
	s_mul_hi_u32 s20, s12, s11
	s_mul_i32 s19, s14, s11
	s_add_i32 s15, s20, s15
	s_mul_i32 s21, s12, s11
	s_add_i32 s15, s15, s19
	s_mul_hi_u32 s20, s11, s21
	s_mul_hi_u32 s22, s10, s21
	s_mul_i32 s19, s10, s21
	s_mul_hi_u32 s21, s11, s15
	s_mul_i32 s11, s11, s15
	s_mul_hi_u32 s23, s10, s15
	s_add_u32 s11, s20, s11
	s_addc_u32 s20, 0, s21
	s_add_u32 s11, s11, s19
	s_mul_i32 s15, s10, s15
	s_addc_u32 s11, s20, s22
	s_addc_u32 s19, s23, 0
	s_add_u32 s11, s11, s15
	s_addc_u32 s15, 0, s19
	v_add_co_u32 v1, s11, v1, s11
	s_delay_alu instid0(VALU_DEP_1) | instskip(SKIP_1) | instid1(VALU_DEP_1)
	s_cmp_lg_u32 s11, 0
	s_addc_u32 s10, s10, s15
	v_readfirstlane_b32 s11, v1
	s_mul_i32 s15, s12, s10
	s_delay_alu instid0(VALU_DEP_1)
	s_mul_hi_u32 s19, s12, s11
	s_mul_i32 s14, s14, s11
	s_add_i32 s15, s19, s15
	s_mul_i32 s12, s12, s11
	s_add_i32 s15, s15, s14
	s_mul_hi_u32 s19, s10, s12
	s_mul_i32 s20, s10, s12
	s_mul_hi_u32 s12, s11, s12
	s_mul_hi_u32 s21, s11, s15
	s_mul_i32 s11, s11, s15
	s_mul_hi_u32 s14, s10, s15
	s_add_u32 s11, s12, s11
	s_addc_u32 s12, 0, s21
	s_add_u32 s11, s11, s20
	s_mul_i32 s15, s10, s15
	s_addc_u32 s11, s12, s19
	s_addc_u32 s12, s14, 0
	s_add_u32 s11, s11, s15
	s_addc_u32 s12, 0, s12
	v_add_co_u32 v1, s11, v1, s11
	s_delay_alu instid0(VALU_DEP_1) | instskip(SKIP_2) | instid1(VALU_DEP_1)
	s_cmp_lg_u32 s11, 0
	s_addc_u32 s12, s10, s12
	s_ashr_i32 s10, 0, 31
	v_readfirstlane_b32 s19, v1
	s_add_u32 s14, s34, s10
	s_mov_b32 s11, s10
	s_addc_u32 s15, 0, s10
	s_delay_alu instid0(SALU_CYCLE_1) | instskip(NEXT) | instid1(SALU_CYCLE_1)
	s_xor_b64 s[14:15], s[14:15], s[10:11]
	s_mul_i32 s21, s14, s12
	s_mul_hi_u32 s22, s14, s19
	s_mul_hi_u32 s20, s14, s12
	s_mul_hi_u32 s28, s15, s19
	s_mul_i32 s19, s15, s19
	s_add_u32 s21, s22, s21
	s_addc_u32 s20, 0, s20
	s_mul_hi_u32 s23, s15, s12
	s_add_u32 s19, s21, s19
	s_mul_i32 s12, s15, s12
	s_addc_u32 s19, s20, s28
	s_addc_u32 s20, s23, 0
	s_add_u32 s12, s19, s12
	s_addc_u32 s19, 0, s20
	s_mul_i32 s23, s8, s12
	s_mul_hi_u32 s20, s8, s12
	s_mul_i32 s22, s8, s19
	v_sub_co_u32 v1, s14, s14, s23
	s_mul_i32 s21, s9, s12
	s_add_i32 s20, s20, s22
	s_delay_alu instid0(SALU_CYCLE_1) | instskip(NEXT) | instid1(VALU_DEP_1)
	s_add_i32 s20, s20, s21
	v_sub_co_u32 v2, s22, v1, s8
	s_sub_i32 s21, s15, s20
	s_cmp_lg_u32 s14, 0
	s_subb_u32 s21, s21, s9
	s_cmp_lg_u32 s22, 0
	v_readfirstlane_b32 s22, v2
	s_subb_u32 s21, s21, 0
	s_delay_alu instid0(SALU_CYCLE_1) | instskip(SKIP_1) | instid1(VALU_DEP_1)
	s_cmp_ge_u32 s21, s9
	s_cselect_b32 s23, -1, 0
	s_cmp_ge_u32 s22, s8
	s_cselect_b32 s22, -1, 0
	s_cmp_eq_u32 s21, s9
	s_cselect_b32 s21, s22, s23
	s_add_u32 s22, s12, 1
	s_addc_u32 s23, s19, 0
	s_add_u32 s28, s12, 2
	s_addc_u32 s29, s19, 0
	s_cmp_lg_u32 s21, 0
	s_cselect_b32 s21, s28, s22
	s_cselect_b32 s22, s29, s23
	s_cmp_lg_u32 s14, 0
	v_readfirstlane_b32 s14, v1
	s_subb_u32 s15, s15, s20
	s_delay_alu instid0(SALU_CYCLE_1) | instskip(SKIP_1) | instid1(VALU_DEP_1)
	s_cmp_ge_u32 s15, s9
	s_cselect_b32 s20, -1, 0
	s_cmp_ge_u32 s14, s8
	s_cselect_b32 s8, -1, 0
	s_cmp_eq_u32 s15, s9
	s_cselect_b32 s8, s8, s20
	s_delay_alu instid0(SALU_CYCLE_1) | instskip(SKIP_3) | instid1(SALU_CYCLE_1)
	s_cmp_lg_u32 s8, 0
	s_cselect_b32 s9, s22, s19
	s_cselect_b32 s8, s21, s12
	s_xor_b64 s[2:3], s[10:11], s[2:3]
	s_xor_b64 s[10:11], s[8:9], s[2:3]
	s_delay_alu instid0(SALU_CYCLE_1)
	s_sub_u32 s2, s10, s2
	s_subb_u32 s3, s11, s3
	s_cbranch_execnz .LBB70_4
.LBB70_3:
	v_cvt_f32_u32_e32 v1, s6
	s_sub_i32 s3, 0, s6
	s_delay_alu instid0(VALU_DEP_1) | instskip(SKIP_2) | instid1(VALU_DEP_1)
	v_rcp_iflag_f32_e32 v1, v1
	s_waitcnt_depctr 0xfff
	v_mul_f32_e32 v1, 0x4f7ffffe, v1
	v_cvt_u32_f32_e32 v1, v1
	s_delay_alu instid0(VALU_DEP_1) | instskip(NEXT) | instid1(VALU_DEP_1)
	v_readfirstlane_b32 s2, v1
	s_mul_i32 s3, s3, s2
	s_delay_alu instid0(SALU_CYCLE_1) | instskip(NEXT) | instid1(SALU_CYCLE_1)
	s_mul_hi_u32 s3, s2, s3
	s_add_i32 s2, s2, s3
	s_delay_alu instid0(SALU_CYCLE_1) | instskip(NEXT) | instid1(SALU_CYCLE_1)
	s_mul_hi_u32 s2, s34, s2
	s_mul_i32 s3, s2, s6
	s_add_i32 s8, s2, 1
	s_sub_i32 s3, s34, s3
	s_delay_alu instid0(SALU_CYCLE_1)
	s_sub_i32 s9, s3, s6
	s_cmp_ge_u32 s3, s6
	s_cselect_b32 s2, s8, s2
	s_cselect_b32 s3, s9, s3
	s_add_i32 s8, s2, 1
	s_cmp_ge_u32 s3, s6
	s_mov_b32 s3, 0
	s_cselect_b32 s2, s8, s2
.LBB70_4:
	s_delay_alu instid0(SALU_CYCLE_1) | instskip(SKIP_1) | instid1(SALU_CYCLE_1)
	s_or_b64 s[8:9], s[2:3], s[4:5]
	s_mov_b32 s8, 0
	s_cmp_lg_u64 s[8:9], 0
	s_cbranch_scc0 .LBB70_19
; %bb.5:
	s_ashr_i32 s10, s5, 31
	s_delay_alu instid0(SALU_CYCLE_1) | instskip(SKIP_2) | instid1(SALU_CYCLE_1)
	s_add_u32 s14, s4, s10
	s_mov_b32 s11, s10
	s_addc_u32 s15, s5, s10
	s_xor_b64 s[14:15], s[14:15], s[10:11]
	s_delay_alu instid0(SALU_CYCLE_1) | instskip(SKIP_3) | instid1(VALU_DEP_1)
	v_cvt_f32_u32_e32 v1, s14
	v_cvt_f32_u32_e32 v2, s15
	s_sub_u32 s19, 0, s14
	s_subb_u32 s20, 0, s15
	v_fmamk_f32 v1, v2, 0x4f800000, v1
	s_delay_alu instid0(VALU_DEP_1) | instskip(SKIP_2) | instid1(VALU_DEP_1)
	v_rcp_f32_e32 v1, v1
	s_waitcnt_depctr 0xfff
	v_mul_f32_e32 v1, 0x5f7ffffc, v1
	v_mul_f32_e32 v2, 0x2f800000, v1
	s_delay_alu instid0(VALU_DEP_1) | instskip(NEXT) | instid1(VALU_DEP_1)
	v_trunc_f32_e32 v2, v2
	v_fmamk_f32 v1, v2, 0xcf800000, v1
	v_cvt_u32_f32_e32 v2, v2
	s_delay_alu instid0(VALU_DEP_2) | instskip(NEXT) | instid1(VALU_DEP_2)
	v_cvt_u32_f32_e32 v1, v1
	v_readfirstlane_b32 s9, v2
	s_delay_alu instid0(VALU_DEP_2) | instskip(NEXT) | instid1(VALU_DEP_2)
	v_readfirstlane_b32 s12, v1
	s_mul_i32 s21, s19, s9
	s_delay_alu instid0(VALU_DEP_1)
	s_mul_hi_u32 s23, s19, s12
	s_mul_i32 s22, s20, s12
	s_add_i32 s21, s23, s21
	s_mul_i32 s28, s19, s12
	s_add_i32 s21, s21, s22
	s_mul_hi_u32 s23, s12, s28
	s_mul_hi_u32 s29, s9, s28
	s_mul_i32 s22, s9, s28
	s_mul_hi_u32 s28, s12, s21
	s_mul_i32 s12, s12, s21
	s_mul_hi_u32 s33, s9, s21
	s_add_u32 s12, s23, s12
	s_addc_u32 s23, 0, s28
	s_add_u32 s12, s12, s22
	s_mul_i32 s21, s9, s21
	s_addc_u32 s12, s23, s29
	s_addc_u32 s22, s33, 0
	s_add_u32 s12, s12, s21
	s_addc_u32 s21, 0, s22
	v_add_co_u32 v1, s12, v1, s12
	s_delay_alu instid0(VALU_DEP_1) | instskip(SKIP_1) | instid1(VALU_DEP_1)
	s_cmp_lg_u32 s12, 0
	s_addc_u32 s9, s9, s21
	v_readfirstlane_b32 s12, v1
	s_mul_i32 s21, s19, s9
	s_delay_alu instid0(VALU_DEP_1)
	s_mul_hi_u32 s22, s19, s12
	s_mul_i32 s20, s20, s12
	s_add_i32 s21, s22, s21
	s_mul_i32 s19, s19, s12
	s_add_i32 s21, s21, s20
	s_mul_hi_u32 s22, s9, s19
	s_mul_i32 s23, s9, s19
	s_mul_hi_u32 s19, s12, s19
	s_mul_hi_u32 s28, s12, s21
	s_mul_i32 s12, s12, s21
	s_mul_hi_u32 s20, s9, s21
	s_add_u32 s12, s19, s12
	s_addc_u32 s19, 0, s28
	s_add_u32 s12, s12, s23
	s_mul_i32 s21, s9, s21
	s_addc_u32 s12, s19, s22
	s_addc_u32 s19, s20, 0
	s_add_u32 s12, s12, s21
	s_addc_u32 s19, 0, s19
	v_add_co_u32 v1, s12, v1, s12
	s_delay_alu instid0(VALU_DEP_1) | instskip(SKIP_2) | instid1(VALU_DEP_1)
	s_cmp_lg_u32 s12, 0
	s_addc_u32 s9, s9, s19
	s_ashr_i32 s20, s3, 31
	v_readfirstlane_b32 s12, v1
	s_add_u32 s22, s2, s20
	s_mov_b32 s21, s20
	s_addc_u32 s23, s3, s20
	s_delay_alu instid0(SALU_CYCLE_1) | instskip(NEXT) | instid1(SALU_CYCLE_1)
	s_xor_b64 s[22:23], s[22:23], s[20:21]
	s_mul_i32 s28, s22, s9
	s_mul_hi_u32 s29, s22, s12
	s_mul_hi_u32 s19, s22, s9
	;; [unrolled: 1-line block ×3, first 2 shown]
	s_mul_i32 s12, s23, s12
	s_add_u32 s28, s29, s28
	s_addc_u32 s19, 0, s19
	s_mul_hi_u32 s33, s23, s9
	s_add_u32 s12, s28, s12
	s_mul_i32 s9, s23, s9
	s_addc_u32 s12, s19, s35
	s_addc_u32 s19, s33, 0
	s_add_u32 s9, s12, s9
	s_addc_u32 s12, 0, s19
	s_mul_i32 s33, s14, s9
	s_mul_hi_u32 s19, s14, s9
	s_mul_i32 s29, s14, s12
	v_sub_co_u32 v1, s22, s22, s33
	s_mul_i32 s28, s15, s9
	s_add_i32 s19, s19, s29
	s_delay_alu instid0(SALU_CYCLE_1) | instskip(NEXT) | instid1(VALU_DEP_1)
	s_add_i32 s19, s19, s28
	v_sub_co_u32 v2, s29, v1, s14
	s_sub_i32 s28, s23, s19
	s_cmp_lg_u32 s22, 0
	s_subb_u32 s28, s28, s15
	s_cmp_lg_u32 s29, 0
	v_readfirstlane_b32 s29, v2
	s_subb_u32 s28, s28, 0
	s_delay_alu instid0(SALU_CYCLE_1) | instskip(SKIP_1) | instid1(VALU_DEP_1)
	s_cmp_ge_u32 s28, s15
	s_cselect_b32 s33, -1, 0
	s_cmp_ge_u32 s29, s14
	s_cselect_b32 s29, -1, 0
	s_cmp_eq_u32 s28, s15
	s_cselect_b32 s28, s29, s33
	s_add_u32 s29, s9, 1
	s_addc_u32 s33, s12, 0
	s_add_u32 s35, s9, 2
	s_addc_u32 s36, s12, 0
	s_cmp_lg_u32 s28, 0
	s_cselect_b32 s28, s35, s29
	s_cselect_b32 s29, s36, s33
	s_cmp_lg_u32 s22, 0
	v_readfirstlane_b32 s22, v1
	s_subb_u32 s19, s23, s19
	s_delay_alu instid0(SALU_CYCLE_1) | instskip(SKIP_1) | instid1(VALU_DEP_1)
	s_cmp_ge_u32 s19, s15
	s_cselect_b32 s23, -1, 0
	s_cmp_ge_u32 s22, s14
	s_cselect_b32 s14, -1, 0
	s_cmp_eq_u32 s19, s15
	s_cselect_b32 s14, s14, s23
	s_delay_alu instid0(SALU_CYCLE_1) | instskip(SKIP_3) | instid1(SALU_CYCLE_1)
	s_cmp_lg_u32 s14, 0
	s_cselect_b32 s15, s29, s12
	s_cselect_b32 s14, s28, s9
	s_xor_b64 s[10:11], s[20:21], s[10:11]
	s_xor_b64 s[14:15], s[14:15], s[10:11]
	s_delay_alu instid0(SALU_CYCLE_1)
	s_sub_u32 s14, s14, s10
	s_subb_u32 s15, s15, s11
	s_load_b128 s[36:39], s[0:1], 0x1d0
	s_and_not1_b32 vcc_lo, exec_lo, s8
	s_cbranch_vccnz .LBB70_7
.LBB70_6:
	v_cvt_f32_u32_e32 v1, s4
	s_sub_i32 s9, 0, s4
	s_mov_b32 s15, 0
	s_delay_alu instid0(VALU_DEP_1) | instskip(SKIP_2) | instid1(VALU_DEP_1)
	v_rcp_iflag_f32_e32 v1, v1
	s_waitcnt_depctr 0xfff
	v_mul_f32_e32 v1, 0x4f7ffffe, v1
	v_cvt_u32_f32_e32 v1, v1
	s_delay_alu instid0(VALU_DEP_1) | instskip(NEXT) | instid1(VALU_DEP_1)
	v_readfirstlane_b32 s8, v1
	s_mul_i32 s9, s9, s8
	s_delay_alu instid0(SALU_CYCLE_1) | instskip(NEXT) | instid1(SALU_CYCLE_1)
	s_mul_hi_u32 s9, s8, s9
	s_add_i32 s8, s8, s9
	s_delay_alu instid0(SALU_CYCLE_1) | instskip(NEXT) | instid1(SALU_CYCLE_1)
	s_mul_hi_u32 s8, s2, s8
	s_mul_i32 s9, s8, s4
	s_add_i32 s10, s8, 1
	s_sub_i32 s9, s2, s9
	s_delay_alu instid0(SALU_CYCLE_1)
	s_sub_i32 s11, s9, s4
	s_cmp_ge_u32 s9, s4
	s_cselect_b32 s8, s10, s8
	s_cselect_b32 s9, s11, s9
	s_add_i32 s10, s8, 1
	s_cmp_ge_u32 s9, s4
	s_cselect_b32 s14, s10, s8
.LBB70_7:
	s_mov_b32 s8, 0
	s_waitcnt lgkmcnt(0)
	s_mov_b32 s9, s39
	s_delay_alu instid0(SALU_CYCLE_1)
	s_cmp_lg_u64 s[8:9], 0
	s_cbranch_scc0 .LBB70_20
; %bb.8:
	s_ashr_i32 s10, s39, 31
	s_delay_alu instid0(SALU_CYCLE_1) | instskip(SKIP_2) | instid1(SALU_CYCLE_1)
	s_add_u32 s20, s38, s10
	s_mov_b32 s11, s10
	s_addc_u32 s21, s39, s10
	s_xor_b64 s[20:21], s[20:21], s[10:11]
	s_delay_alu instid0(SALU_CYCLE_1) | instskip(SKIP_3) | instid1(VALU_DEP_1)
	v_cvt_f32_u32_e32 v1, s20
	v_cvt_f32_u32_e32 v2, s21
	s_sub_u32 s19, 0, s20
	s_subb_u32 s22, 0, s21
	v_fmamk_f32 v1, v2, 0x4f800000, v1
	s_delay_alu instid0(VALU_DEP_1) | instskip(SKIP_2) | instid1(VALU_DEP_1)
	v_rcp_f32_e32 v1, v1
	s_waitcnt_depctr 0xfff
	v_mul_f32_e32 v1, 0x5f7ffffc, v1
	v_mul_f32_e32 v2, 0x2f800000, v1
	s_delay_alu instid0(VALU_DEP_1) | instskip(NEXT) | instid1(VALU_DEP_1)
	v_trunc_f32_e32 v2, v2
	v_fmamk_f32 v1, v2, 0xcf800000, v1
	v_cvt_u32_f32_e32 v2, v2
	s_delay_alu instid0(VALU_DEP_2) | instskip(NEXT) | instid1(VALU_DEP_2)
	v_cvt_u32_f32_e32 v1, v1
	v_readfirstlane_b32 s9, v2
	s_delay_alu instid0(VALU_DEP_2) | instskip(NEXT) | instid1(VALU_DEP_2)
	v_readfirstlane_b32 s12, v1
	s_mul_i32 s23, s19, s9
	s_delay_alu instid0(VALU_DEP_1)
	s_mul_hi_u32 s29, s19, s12
	s_mul_i32 s28, s22, s12
	s_add_i32 s23, s29, s23
	s_mul_i32 s33, s19, s12
	s_add_i32 s23, s23, s28
	s_mul_hi_u32 s29, s12, s33
	s_mul_hi_u32 s35, s9, s33
	s_mul_i32 s28, s9, s33
	s_mul_hi_u32 s33, s12, s23
	s_mul_i32 s12, s12, s23
	s_mul_hi_u32 s40, s9, s23
	s_add_u32 s12, s29, s12
	s_addc_u32 s29, 0, s33
	s_add_u32 s12, s12, s28
	s_mul_i32 s23, s9, s23
	s_addc_u32 s12, s29, s35
	s_addc_u32 s28, s40, 0
	s_add_u32 s12, s12, s23
	s_addc_u32 s23, 0, s28
	v_add_co_u32 v1, s12, v1, s12
	s_delay_alu instid0(VALU_DEP_1) | instskip(SKIP_1) | instid1(VALU_DEP_1)
	s_cmp_lg_u32 s12, 0
	s_addc_u32 s9, s9, s23
	v_readfirstlane_b32 s12, v1
	s_mul_i32 s23, s19, s9
	s_delay_alu instid0(VALU_DEP_1)
	s_mul_hi_u32 s28, s19, s12
	s_mul_i32 s22, s22, s12
	s_add_i32 s23, s28, s23
	s_mul_i32 s19, s19, s12
	s_add_i32 s23, s23, s22
	s_mul_hi_u32 s28, s9, s19
	s_mul_i32 s29, s9, s19
	s_mul_hi_u32 s19, s12, s19
	s_mul_hi_u32 s33, s12, s23
	s_mul_i32 s12, s12, s23
	s_mul_hi_u32 s22, s9, s23
	s_add_u32 s12, s19, s12
	s_addc_u32 s19, 0, s33
	s_add_u32 s12, s12, s29
	s_mul_i32 s23, s9, s23
	s_addc_u32 s12, s19, s28
	s_addc_u32 s19, s22, 0
	s_add_u32 s12, s12, s23
	s_addc_u32 s19, 0, s19
	v_add_co_u32 v1, s12, v1, s12
	s_delay_alu instid0(VALU_DEP_1) | instskip(SKIP_2) | instid1(VALU_DEP_1)
	s_cmp_lg_u32 s12, 0
	s_addc_u32 s9, s9, s19
	s_ashr_i32 s22, 0, 31
	v_readfirstlane_b32 s12, v1
	s_add_u32 s28, s34, s22
	s_mov_b32 s23, s22
	s_addc_u32 s29, 0, s22
	s_delay_alu instid0(SALU_CYCLE_1) | instskip(NEXT) | instid1(SALU_CYCLE_1)
	s_xor_b64 s[28:29], s[28:29], s[22:23]
	s_mul_i32 s33, s28, s9
	s_mul_hi_u32 s35, s28, s12
	s_mul_hi_u32 s19, s28, s9
	;; [unrolled: 1-line block ×3, first 2 shown]
	s_mul_i32 s12, s29, s12
	s_add_u32 s33, s35, s33
	s_addc_u32 s19, 0, s19
	s_mul_hi_u32 s40, s29, s9
	s_add_u32 s12, s33, s12
	s_mul_i32 s9, s29, s9
	s_addc_u32 s12, s19, s41
	s_addc_u32 s19, s40, 0
	s_add_u32 s9, s12, s9
	s_addc_u32 s12, 0, s19
	s_mul_i32 s40, s20, s9
	s_mul_hi_u32 s19, s20, s9
	s_mul_i32 s35, s20, s12
	v_sub_co_u32 v1, s28, s28, s40
	s_mul_i32 s33, s21, s9
	s_add_i32 s19, s19, s35
	s_delay_alu instid0(SALU_CYCLE_1) | instskip(NEXT) | instid1(VALU_DEP_1)
	s_add_i32 s19, s19, s33
	v_sub_co_u32 v2, s35, v1, s20
	s_sub_i32 s33, s29, s19
	s_cmp_lg_u32 s28, 0
	s_subb_u32 s33, s33, s21
	s_cmp_lg_u32 s35, 0
	v_readfirstlane_b32 s35, v2
	s_subb_u32 s33, s33, 0
	s_delay_alu instid0(SALU_CYCLE_1) | instskip(SKIP_1) | instid1(VALU_DEP_1)
	s_cmp_ge_u32 s33, s21
	s_cselect_b32 s40, -1, 0
	s_cmp_ge_u32 s35, s20
	s_cselect_b32 s35, -1, 0
	s_cmp_eq_u32 s33, s21
	s_cselect_b32 s33, s35, s40
	s_add_u32 s35, s9, 1
	s_addc_u32 s40, s12, 0
	s_add_u32 s41, s9, 2
	s_addc_u32 s42, s12, 0
	s_cmp_lg_u32 s33, 0
	s_cselect_b32 s33, s41, s35
	s_cselect_b32 s35, s42, s40
	s_cmp_lg_u32 s28, 0
	v_readfirstlane_b32 s28, v1
	s_subb_u32 s19, s29, s19
	s_delay_alu instid0(SALU_CYCLE_1) | instskip(SKIP_1) | instid1(VALU_DEP_1)
	s_cmp_ge_u32 s19, s21
	s_cselect_b32 s29, -1, 0
	s_cmp_ge_u32 s28, s20
	s_cselect_b32 s20, -1, 0
	s_cmp_eq_u32 s19, s21
	s_cselect_b32 s19, s20, s29
	s_delay_alu instid0(SALU_CYCLE_1) | instskip(SKIP_3) | instid1(SALU_CYCLE_1)
	s_cmp_lg_u32 s19, 0
	s_cselect_b32 s21, s35, s12
	s_cselect_b32 s20, s33, s9
	s_xor_b64 s[10:11], s[22:23], s[10:11]
	s_xor_b64 s[20:21], s[20:21], s[10:11]
	s_delay_alu instid0(SALU_CYCLE_1)
	s_sub_u32 s28, s20, s10
	s_subb_u32 s29, s21, s11
	s_and_not1_b32 vcc_lo, exec_lo, s8
	s_cbranch_vccnz .LBB70_10
.LBB70_9:
	v_cvt_f32_u32_e32 v1, s38
	s_sub_i32 s9, 0, s38
	s_mov_b32 s29, 0
	s_delay_alu instid0(VALU_DEP_1) | instskip(SKIP_2) | instid1(VALU_DEP_1)
	v_rcp_iflag_f32_e32 v1, v1
	s_waitcnt_depctr 0xfff
	v_mul_f32_e32 v1, 0x4f7ffffe, v1
	v_cvt_u32_f32_e32 v1, v1
	s_delay_alu instid0(VALU_DEP_1) | instskip(NEXT) | instid1(VALU_DEP_1)
	v_readfirstlane_b32 s8, v1
	s_mul_i32 s9, s9, s8
	s_delay_alu instid0(SALU_CYCLE_1) | instskip(NEXT) | instid1(SALU_CYCLE_1)
	s_mul_hi_u32 s9, s8, s9
	s_add_i32 s8, s8, s9
	s_delay_alu instid0(SALU_CYCLE_1) | instskip(NEXT) | instid1(SALU_CYCLE_1)
	s_mul_hi_u32 s8, s34, s8
	s_mul_i32 s9, s8, s38
	s_add_i32 s10, s8, 1
	s_sub_i32 s9, s34, s9
	s_delay_alu instid0(SALU_CYCLE_1)
	s_sub_i32 s11, s9, s38
	s_cmp_ge_u32 s9, s38
	s_cselect_b32 s8, s10, s8
	s_cselect_b32 s9, s11, s9
	s_add_i32 s10, s8, 1
	s_cmp_ge_u32 s9, s38
	s_cselect_b32 s28, s10, s8
.LBB70_10:
	s_delay_alu instid0(SALU_CYCLE_1) | instskip(SKIP_1) | instid1(SALU_CYCLE_1)
	s_or_b64 s[8:9], s[28:29], s[36:37]
	s_mov_b32 s8, 0
	s_cmp_lg_u64 s[8:9], 0
	s_cbranch_scc0 .LBB70_21
; %bb.11:
	s_ashr_i32 s10, s37, 31
	s_delay_alu instid0(SALU_CYCLE_1) | instskip(SKIP_2) | instid1(SALU_CYCLE_1)
	s_add_u32 s20, s36, s10
	s_mov_b32 s11, s10
	s_addc_u32 s21, s37, s10
	s_xor_b64 s[20:21], s[20:21], s[10:11]
	s_delay_alu instid0(SALU_CYCLE_1) | instskip(SKIP_3) | instid1(VALU_DEP_1)
	v_cvt_f32_u32_e32 v1, s20
	v_cvt_f32_u32_e32 v2, s21
	s_sub_u32 s19, 0, s20
	s_subb_u32 s22, 0, s21
	v_fmamk_f32 v1, v2, 0x4f800000, v1
	s_delay_alu instid0(VALU_DEP_1) | instskip(SKIP_2) | instid1(VALU_DEP_1)
	v_rcp_f32_e32 v1, v1
	s_waitcnt_depctr 0xfff
	v_mul_f32_e32 v1, 0x5f7ffffc, v1
	v_mul_f32_e32 v2, 0x2f800000, v1
	s_delay_alu instid0(VALU_DEP_1) | instskip(NEXT) | instid1(VALU_DEP_1)
	v_trunc_f32_e32 v2, v2
	v_fmamk_f32 v1, v2, 0xcf800000, v1
	v_cvt_u32_f32_e32 v2, v2
	s_delay_alu instid0(VALU_DEP_2) | instskip(NEXT) | instid1(VALU_DEP_2)
	v_cvt_u32_f32_e32 v1, v1
	v_readfirstlane_b32 s9, v2
	s_delay_alu instid0(VALU_DEP_2) | instskip(NEXT) | instid1(VALU_DEP_2)
	v_readfirstlane_b32 s12, v1
	s_mul_i32 s23, s19, s9
	s_delay_alu instid0(VALU_DEP_1)
	s_mul_hi_u32 s35, s19, s12
	s_mul_i32 s33, s22, s12
	s_add_i32 s23, s35, s23
	s_mul_i32 s40, s19, s12
	s_add_i32 s23, s23, s33
	s_mul_hi_u32 s35, s12, s40
	s_mul_hi_u32 s41, s9, s40
	s_mul_i32 s33, s9, s40
	s_mul_hi_u32 s40, s12, s23
	s_mul_i32 s12, s12, s23
	s_mul_hi_u32 s42, s9, s23
	s_add_u32 s12, s35, s12
	s_addc_u32 s35, 0, s40
	s_add_u32 s12, s12, s33
	s_mul_i32 s23, s9, s23
	s_addc_u32 s12, s35, s41
	s_addc_u32 s33, s42, 0
	s_add_u32 s12, s12, s23
	s_addc_u32 s23, 0, s33
	v_add_co_u32 v1, s12, v1, s12
	s_delay_alu instid0(VALU_DEP_1) | instskip(SKIP_1) | instid1(VALU_DEP_1)
	s_cmp_lg_u32 s12, 0
	s_addc_u32 s9, s9, s23
	v_readfirstlane_b32 s12, v1
	s_mul_i32 s23, s19, s9
	s_delay_alu instid0(VALU_DEP_1)
	s_mul_hi_u32 s33, s19, s12
	s_mul_i32 s22, s22, s12
	s_add_i32 s23, s33, s23
	s_mul_i32 s19, s19, s12
	s_add_i32 s23, s23, s22
	s_mul_hi_u32 s33, s9, s19
	s_mul_i32 s35, s9, s19
	s_mul_hi_u32 s19, s12, s19
	s_mul_hi_u32 s40, s12, s23
	s_mul_i32 s12, s12, s23
	s_mul_hi_u32 s22, s9, s23
	s_add_u32 s12, s19, s12
	s_addc_u32 s19, 0, s40
	s_add_u32 s12, s12, s35
	s_mul_i32 s23, s9, s23
	s_addc_u32 s12, s19, s33
	s_addc_u32 s19, s22, 0
	s_add_u32 s12, s12, s23
	s_addc_u32 s19, 0, s19
	v_add_co_u32 v1, s12, v1, s12
	s_delay_alu instid0(VALU_DEP_1) | instskip(SKIP_2) | instid1(VALU_DEP_1)
	s_cmp_lg_u32 s12, 0
	s_addc_u32 s9, s9, s19
	s_ashr_i32 s22, s29, 31
	v_readfirstlane_b32 s12, v1
	s_add_u32 s40, s28, s22
	s_mov_b32 s23, s22
	s_addc_u32 s41, s29, s22
	s_delay_alu instid0(SALU_CYCLE_1) | instskip(NEXT) | instid1(SALU_CYCLE_1)
	s_xor_b64 s[40:41], s[40:41], s[22:23]
	s_mul_i32 s33, s40, s9
	s_mul_hi_u32 s35, s40, s12
	s_mul_hi_u32 s19, s40, s9
	s_mul_hi_u32 s43, s41, s12
	s_mul_i32 s12, s41, s12
	s_add_u32 s33, s35, s33
	s_addc_u32 s19, 0, s19
	s_mul_hi_u32 s42, s41, s9
	s_add_u32 s12, s33, s12
	s_mul_i32 s9, s41, s9
	s_addc_u32 s12, s19, s43
	s_addc_u32 s19, s42, 0
	s_add_u32 s9, s12, s9
	s_addc_u32 s12, 0, s19
	s_mul_hi_u32 s19, s20, s9
	s_mul_i32 s35, s20, s12
	s_mul_i32 s42, s20, s9
	s_add_i32 s19, s19, s35
	v_sub_co_u32 v1, s35, s40, s42
	s_mul_i32 s33, s21, s9
	s_delay_alu instid0(SALU_CYCLE_1) | instskip(NEXT) | instid1(VALU_DEP_1)
	s_add_i32 s19, s19, s33
	v_sub_co_u32 v2, s40, v1, s20
	s_sub_i32 s33, s41, s19
	s_cmp_lg_u32 s35, 0
	s_subb_u32 s33, s33, s21
	s_cmp_lg_u32 s40, 0
	v_readfirstlane_b32 s40, v2
	s_subb_u32 s33, s33, 0
	s_delay_alu instid0(SALU_CYCLE_1) | instskip(SKIP_1) | instid1(VALU_DEP_1)
	s_cmp_ge_u32 s33, s21
	s_cselect_b32 s42, -1, 0
	s_cmp_ge_u32 s40, s20
	s_cselect_b32 s40, -1, 0
	s_cmp_eq_u32 s33, s21
	s_cselect_b32 s33, s40, s42
	s_add_u32 s40, s9, 1
	s_addc_u32 s42, s12, 0
	s_add_u32 s43, s9, 2
	s_addc_u32 s44, s12, 0
	s_cmp_lg_u32 s33, 0
	s_cselect_b32 s33, s43, s40
	s_cselect_b32 s40, s44, s42
	s_cmp_lg_u32 s35, 0
	v_readfirstlane_b32 s35, v1
	s_subb_u32 s19, s41, s19
	s_delay_alu instid0(SALU_CYCLE_1) | instskip(SKIP_1) | instid1(VALU_DEP_1)
	s_cmp_ge_u32 s19, s21
	s_cselect_b32 s41, -1, 0
	s_cmp_ge_u32 s35, s20
	s_cselect_b32 s20, -1, 0
	s_cmp_eq_u32 s19, s21
	s_cselect_b32 s19, s20, s41
	s_delay_alu instid0(SALU_CYCLE_1) | instskip(SKIP_3) | instid1(SALU_CYCLE_1)
	s_cmp_lg_u32 s19, 0
	s_cselect_b32 s21, s40, s12
	s_cselect_b32 s20, s33, s9
	s_xor_b64 s[10:11], s[22:23], s[10:11]
	s_xor_b64 s[20:21], s[20:21], s[10:11]
	s_delay_alu instid0(SALU_CYCLE_1)
	s_sub_u32 s52, s20, s10
	s_subb_u32 s53, s21, s11
	s_load_b128 s[40:43], s[0:1], 0x370
	s_and_not1_b32 vcc_lo, exec_lo, s8
	s_cbranch_vccnz .LBB70_13
.LBB70_12:
	v_cvt_f32_u32_e32 v1, s36
	s_sub_i32 s9, 0, s36
	s_mov_b32 s53, 0
	s_delay_alu instid0(VALU_DEP_1) | instskip(SKIP_2) | instid1(VALU_DEP_1)
	v_rcp_iflag_f32_e32 v1, v1
	s_waitcnt_depctr 0xfff
	v_mul_f32_e32 v1, 0x4f7ffffe, v1
	v_cvt_u32_f32_e32 v1, v1
	s_delay_alu instid0(VALU_DEP_1) | instskip(NEXT) | instid1(VALU_DEP_1)
	v_readfirstlane_b32 s8, v1
	s_mul_i32 s9, s9, s8
	s_delay_alu instid0(SALU_CYCLE_1) | instskip(NEXT) | instid1(SALU_CYCLE_1)
	s_mul_hi_u32 s9, s8, s9
	s_add_i32 s8, s8, s9
	s_delay_alu instid0(SALU_CYCLE_1) | instskip(NEXT) | instid1(SALU_CYCLE_1)
	s_mul_hi_u32 s8, s28, s8
	s_mul_i32 s9, s8, s36
	s_add_i32 s10, s8, 1
	s_sub_i32 s9, s28, s9
	s_delay_alu instid0(SALU_CYCLE_1)
	s_sub_i32 s11, s9, s36
	s_cmp_ge_u32 s9, s36
	s_cselect_b32 s8, s10, s8
	s_cselect_b32 s9, s11, s9
	s_add_i32 s10, s8, 1
	s_cmp_ge_u32 s9, s36
	s_cselect_b32 s52, s10, s8
.LBB70_13:
	s_mov_b32 s8, 0
	s_waitcnt lgkmcnt(0)
	s_mov_b32 s9, s43
	s_delay_alu instid0(SALU_CYCLE_1)
	s_cmp_lg_u64 s[8:9], 0
	s_cbranch_scc0 .LBB70_22
; %bb.14:
	s_ashr_i32 s10, s43, 31
	s_delay_alu instid0(SALU_CYCLE_1) | instskip(SKIP_2) | instid1(SALU_CYCLE_1)
	s_add_u32 s20, s42, s10
	s_mov_b32 s11, s10
	s_addc_u32 s21, s43, s10
	s_xor_b64 s[20:21], s[20:21], s[10:11]
	s_delay_alu instid0(SALU_CYCLE_1) | instskip(SKIP_3) | instid1(VALU_DEP_1)
	v_cvt_f32_u32_e32 v1, s20
	v_cvt_f32_u32_e32 v2, s21
	s_sub_u32 s19, 0, s20
	s_subb_u32 s22, 0, s21
	v_fmamk_f32 v1, v2, 0x4f800000, v1
	s_delay_alu instid0(VALU_DEP_1) | instskip(SKIP_2) | instid1(VALU_DEP_1)
	v_rcp_f32_e32 v1, v1
	s_waitcnt_depctr 0xfff
	v_mul_f32_e32 v1, 0x5f7ffffc, v1
	v_mul_f32_e32 v2, 0x2f800000, v1
	s_delay_alu instid0(VALU_DEP_1) | instskip(NEXT) | instid1(VALU_DEP_1)
	v_trunc_f32_e32 v2, v2
	v_fmamk_f32 v1, v2, 0xcf800000, v1
	v_cvt_u32_f32_e32 v2, v2
	s_delay_alu instid0(VALU_DEP_2) | instskip(NEXT) | instid1(VALU_DEP_2)
	v_cvt_u32_f32_e32 v1, v1
	v_readfirstlane_b32 s9, v2
	s_delay_alu instid0(VALU_DEP_2) | instskip(NEXT) | instid1(VALU_DEP_2)
	v_readfirstlane_b32 s12, v1
	s_mul_i32 s23, s19, s9
	s_delay_alu instid0(VALU_DEP_1)
	s_mul_hi_u32 s35, s19, s12
	s_mul_i32 s33, s22, s12
	s_add_i32 s23, s35, s23
	s_mul_i32 s44, s19, s12
	s_add_i32 s23, s23, s33
	s_mul_hi_u32 s35, s12, s44
	s_mul_hi_u32 s45, s9, s44
	s_mul_i32 s33, s9, s44
	s_mul_hi_u32 s44, s12, s23
	s_mul_i32 s12, s12, s23
	s_mul_hi_u32 s46, s9, s23
	s_add_u32 s12, s35, s12
	s_addc_u32 s35, 0, s44
	s_add_u32 s12, s12, s33
	s_mul_i32 s23, s9, s23
	s_addc_u32 s12, s35, s45
	s_addc_u32 s33, s46, 0
	s_add_u32 s12, s12, s23
	s_addc_u32 s23, 0, s33
	v_add_co_u32 v1, s12, v1, s12
	s_delay_alu instid0(VALU_DEP_1) | instskip(SKIP_1) | instid1(VALU_DEP_1)
	s_cmp_lg_u32 s12, 0
	s_addc_u32 s9, s9, s23
	v_readfirstlane_b32 s12, v1
	s_mul_i32 s23, s19, s9
	s_delay_alu instid0(VALU_DEP_1)
	s_mul_hi_u32 s33, s19, s12
	s_mul_i32 s22, s22, s12
	s_add_i32 s23, s33, s23
	s_mul_i32 s19, s19, s12
	s_add_i32 s23, s23, s22
	s_mul_hi_u32 s33, s9, s19
	s_mul_i32 s35, s9, s19
	s_mul_hi_u32 s19, s12, s19
	s_mul_hi_u32 s44, s12, s23
	s_mul_i32 s12, s12, s23
	s_mul_hi_u32 s22, s9, s23
	s_add_u32 s12, s19, s12
	s_addc_u32 s19, 0, s44
	s_add_u32 s12, s12, s35
	s_mul_i32 s23, s9, s23
	s_addc_u32 s12, s19, s33
	s_addc_u32 s19, s22, 0
	s_add_u32 s12, s12, s23
	s_addc_u32 s19, 0, s19
	v_add_co_u32 v1, s12, v1, s12
	s_delay_alu instid0(VALU_DEP_1) | instskip(SKIP_2) | instid1(VALU_DEP_1)
	s_cmp_lg_u32 s12, 0
	s_addc_u32 s9, s9, s19
	s_ashr_i32 s22, 0, 31
	v_readfirstlane_b32 s12, v1
	s_add_u32 s44, s34, s22
	s_mov_b32 s23, s22
	s_addc_u32 s45, 0, s22
	s_delay_alu instid0(SALU_CYCLE_1) | instskip(NEXT) | instid1(SALU_CYCLE_1)
	s_xor_b64 s[44:45], s[44:45], s[22:23]
	s_mul_i32 s33, s44, s9
	s_mul_hi_u32 s35, s44, s12
	s_mul_hi_u32 s19, s44, s9
	;; [unrolled: 1-line block ×3, first 2 shown]
	s_mul_i32 s12, s45, s12
	s_add_u32 s33, s35, s33
	s_addc_u32 s19, 0, s19
	s_mul_hi_u32 s46, s45, s9
	s_add_u32 s12, s33, s12
	s_mul_i32 s9, s45, s9
	s_addc_u32 s12, s19, s47
	s_addc_u32 s19, s46, 0
	s_add_u32 s9, s12, s9
	s_addc_u32 s12, 0, s19
	s_mul_hi_u32 s19, s20, s9
	s_mul_i32 s35, s20, s12
	s_mul_i32 s46, s20, s9
	s_add_i32 s19, s19, s35
	v_sub_co_u32 v1, s35, s44, s46
	s_mul_i32 s33, s21, s9
	s_delay_alu instid0(SALU_CYCLE_1) | instskip(NEXT) | instid1(VALU_DEP_1)
	s_add_i32 s19, s19, s33
	v_sub_co_u32 v2, s44, v1, s20
	s_sub_i32 s33, s45, s19
	s_cmp_lg_u32 s35, 0
	s_subb_u32 s33, s33, s21
	s_cmp_lg_u32 s44, 0
	v_readfirstlane_b32 s44, v2
	s_subb_u32 s33, s33, 0
	s_delay_alu instid0(SALU_CYCLE_1) | instskip(SKIP_1) | instid1(VALU_DEP_1)
	s_cmp_ge_u32 s33, s21
	s_cselect_b32 s46, -1, 0
	s_cmp_ge_u32 s44, s20
	s_cselect_b32 s44, -1, 0
	s_cmp_eq_u32 s33, s21
	s_cselect_b32 s33, s44, s46
	s_add_u32 s44, s9, 1
	s_addc_u32 s46, s12, 0
	s_add_u32 s47, s9, 2
	s_addc_u32 s48, s12, 0
	s_cmp_lg_u32 s33, 0
	s_cselect_b32 s33, s47, s44
	s_cselect_b32 s44, s48, s46
	s_cmp_lg_u32 s35, 0
	v_readfirstlane_b32 s35, v1
	s_subb_u32 s19, s45, s19
	s_delay_alu instid0(SALU_CYCLE_1) | instskip(SKIP_1) | instid1(VALU_DEP_1)
	s_cmp_ge_u32 s19, s21
	s_cselect_b32 s45, -1, 0
	s_cmp_ge_u32 s35, s20
	s_cselect_b32 s20, -1, 0
	s_cmp_eq_u32 s19, s21
	s_cselect_b32 s19, s20, s45
	s_delay_alu instid0(SALU_CYCLE_1) | instskip(SKIP_3) | instid1(SALU_CYCLE_1)
	s_cmp_lg_u32 s19, 0
	s_cselect_b32 s21, s44, s12
	s_cselect_b32 s20, s33, s9
	s_xor_b64 s[10:11], s[22:23], s[10:11]
	s_xor_b64 s[20:21], s[20:21], s[10:11]
	s_delay_alu instid0(SALU_CYCLE_1)
	s_sub_u32 s54, s20, s10
	s_subb_u32 s55, s21, s11
	s_and_not1_b32 vcc_lo, exec_lo, s8
	s_cbranch_vccnz .LBB70_16
.LBB70_15:
	v_cvt_f32_u32_e32 v1, s42
	s_sub_i32 s9, 0, s42
	s_mov_b32 s55, 0
	s_delay_alu instid0(VALU_DEP_1) | instskip(SKIP_2) | instid1(VALU_DEP_1)
	v_rcp_iflag_f32_e32 v1, v1
	s_waitcnt_depctr 0xfff
	v_mul_f32_e32 v1, 0x4f7ffffe, v1
	v_cvt_u32_f32_e32 v1, v1
	s_delay_alu instid0(VALU_DEP_1) | instskip(NEXT) | instid1(VALU_DEP_1)
	v_readfirstlane_b32 s8, v1
	s_mul_i32 s9, s9, s8
	s_delay_alu instid0(SALU_CYCLE_1) | instskip(NEXT) | instid1(SALU_CYCLE_1)
	s_mul_hi_u32 s9, s8, s9
	s_add_i32 s8, s8, s9
	s_delay_alu instid0(SALU_CYCLE_1) | instskip(NEXT) | instid1(SALU_CYCLE_1)
	s_mul_hi_u32 s8, s34, s8
	s_mul_i32 s9, s8, s42
	s_add_i32 s10, s8, 1
	s_sub_i32 s9, s34, s9
	s_delay_alu instid0(SALU_CYCLE_1)
	s_sub_i32 s11, s9, s42
	s_cmp_ge_u32 s9, s42
	s_cselect_b32 s8, s10, s8
	s_cselect_b32 s9, s11, s9
	s_add_i32 s10, s8, 1
	s_cmp_ge_u32 s9, s42
	s_cselect_b32 s54, s10, s8
.LBB70_16:
	s_clause 0x1
	s_load_b64 s[20:21], s[0:1], 0xe0
	s_load_b128 s[8:11], s[0:1], 0xd0
	s_or_b64 s[62:63], s[54:55], s[40:41]
	s_mov_b32 s62, 0
	s_delay_alu instid0(SALU_CYCLE_1)
	s_cmp_lg_u64 s[62:63], 0
	s_cbranch_scc0 .LBB70_23
; %bb.17:
	s_ashr_i32 s22, s41, 31
	s_delay_alu instid0(SALU_CYCLE_1) | instskip(SKIP_2) | instid1(SALU_CYCLE_1)
	s_add_u32 s44, s40, s22
	s_mov_b32 s23, s22
	s_addc_u32 s45, s41, s22
	s_xor_b64 s[44:45], s[44:45], s[22:23]
	s_delay_alu instid0(SALU_CYCLE_1) | instskip(SKIP_3) | instid1(VALU_DEP_1)
	v_cvt_f32_u32_e32 v1, s44
	v_cvt_f32_u32_e32 v2, s45
	s_sub_u32 s33, 0, s44
	s_subb_u32 s35, 0, s45
	v_fmamk_f32 v1, v2, 0x4f800000, v1
	s_delay_alu instid0(VALU_DEP_1) | instskip(SKIP_2) | instid1(VALU_DEP_1)
	v_rcp_f32_e32 v1, v1
	s_waitcnt_depctr 0xfff
	v_mul_f32_e32 v1, 0x5f7ffffc, v1
	v_mul_f32_e32 v2, 0x2f800000, v1
	s_delay_alu instid0(VALU_DEP_1) | instskip(NEXT) | instid1(VALU_DEP_1)
	v_trunc_f32_e32 v2, v2
	v_fmamk_f32 v1, v2, 0xcf800000, v1
	v_cvt_u32_f32_e32 v2, v2
	s_delay_alu instid0(VALU_DEP_2) | instskip(NEXT) | instid1(VALU_DEP_2)
	v_cvt_u32_f32_e32 v1, v1
	v_readfirstlane_b32 s12, v2
	s_delay_alu instid0(VALU_DEP_2) | instskip(NEXT) | instid1(VALU_DEP_2)
	v_readfirstlane_b32 s19, v1
	s_mul_i32 s46, s33, s12
	s_delay_alu instid0(VALU_DEP_1)
	s_mul_hi_u32 s48, s33, s19
	s_mul_i32 s47, s35, s19
	s_add_i32 s46, s48, s46
	s_mul_i32 s49, s33, s19
	s_add_i32 s46, s46, s47
	s_mul_hi_u32 s48, s19, s49
	s_mul_hi_u32 s50, s12, s49
	s_mul_i32 s47, s12, s49
	s_mul_hi_u32 s49, s19, s46
	s_mul_i32 s19, s19, s46
	s_mul_hi_u32 s51, s12, s46
	s_add_u32 s19, s48, s19
	s_addc_u32 s48, 0, s49
	s_add_u32 s19, s19, s47
	s_mul_i32 s46, s12, s46
	s_addc_u32 s19, s48, s50
	s_addc_u32 s47, s51, 0
	s_add_u32 s19, s19, s46
	s_addc_u32 s46, 0, s47
	v_add_co_u32 v1, s19, v1, s19
	s_delay_alu instid0(VALU_DEP_1) | instskip(SKIP_1) | instid1(VALU_DEP_1)
	s_cmp_lg_u32 s19, 0
	s_addc_u32 s12, s12, s46
	v_readfirstlane_b32 s19, v1
	s_mul_i32 s46, s33, s12
	s_delay_alu instid0(VALU_DEP_1)
	s_mul_hi_u32 s47, s33, s19
	s_mul_i32 s35, s35, s19
	s_add_i32 s46, s47, s46
	s_mul_i32 s33, s33, s19
	s_add_i32 s46, s46, s35
	s_mul_hi_u32 s47, s12, s33
	s_mul_i32 s48, s12, s33
	s_mul_hi_u32 s33, s19, s33
	s_mul_hi_u32 s49, s19, s46
	s_mul_i32 s19, s19, s46
	s_mul_hi_u32 s35, s12, s46
	s_add_u32 s19, s33, s19
	s_addc_u32 s33, 0, s49
	s_add_u32 s19, s19, s48
	s_mul_i32 s46, s12, s46
	s_addc_u32 s19, s33, s47
	s_addc_u32 s33, s35, 0
	s_add_u32 s19, s19, s46
	s_addc_u32 s33, 0, s33
	v_add_co_u32 v1, s19, v1, s19
	s_delay_alu instid0(VALU_DEP_1) | instskip(SKIP_2) | instid1(VALU_DEP_1)
	s_cmp_lg_u32 s19, 0
	s_addc_u32 s12, s12, s33
	s_ashr_i32 s46, s55, 31
	v_readfirstlane_b32 s19, v1
	s_add_u32 s48, s54, s46
	s_mov_b32 s47, s46
	s_addc_u32 s49, s55, s46
	s_delay_alu instid0(SALU_CYCLE_1) | instskip(NEXT) | instid1(SALU_CYCLE_1)
	s_xor_b64 s[48:49], s[48:49], s[46:47]
	s_mul_i32 s35, s48, s12
	s_mul_hi_u32 s50, s48, s19
	s_mul_hi_u32 s33, s48, s12
	;; [unrolled: 1-line block ×3, first 2 shown]
	s_mul_i32 s19, s49, s19
	s_add_u32 s35, s50, s35
	s_addc_u32 s33, 0, s33
	s_mul_hi_u32 s51, s49, s12
	s_add_u32 s19, s35, s19
	s_mul_i32 s12, s49, s12
	s_addc_u32 s19, s33, s56
	s_addc_u32 s33, s51, 0
	s_add_u32 s12, s19, s12
	s_addc_u32 s19, 0, s33
	s_mul_i32 s51, s44, s12
	s_mul_hi_u32 s33, s44, s12
	s_mul_i32 s50, s44, s19
	v_sub_co_u32 v1, s48, s48, s51
	s_mul_i32 s35, s45, s12
	s_add_i32 s33, s33, s50
	s_delay_alu instid0(SALU_CYCLE_1) | instskip(NEXT) | instid1(VALU_DEP_1)
	s_add_i32 s33, s33, s35
	v_sub_co_u32 v2, s50, v1, s44
	s_sub_i32 s35, s49, s33
	s_cmp_lg_u32 s48, 0
	s_subb_u32 s35, s35, s45
	s_cmp_lg_u32 s50, 0
	v_readfirstlane_b32 s50, v2
	s_subb_u32 s35, s35, 0
	s_delay_alu instid0(SALU_CYCLE_1) | instskip(SKIP_1) | instid1(VALU_DEP_1)
	s_cmp_ge_u32 s35, s45
	s_cselect_b32 s51, -1, 0
	s_cmp_ge_u32 s50, s44
	s_cselect_b32 s50, -1, 0
	s_cmp_eq_u32 s35, s45
	s_cselect_b32 s35, s50, s51
	s_add_u32 s50, s12, 1
	s_addc_u32 s51, s19, 0
	s_add_u32 s56, s12, 2
	s_addc_u32 s57, s19, 0
	s_cmp_lg_u32 s35, 0
	s_cselect_b32 s35, s56, s50
	s_cselect_b32 s50, s57, s51
	s_cmp_lg_u32 s48, 0
	v_readfirstlane_b32 s48, v1
	s_subb_u32 s33, s49, s33
	s_delay_alu instid0(SALU_CYCLE_1) | instskip(SKIP_1) | instid1(VALU_DEP_1)
	s_cmp_ge_u32 s33, s45
	s_cselect_b32 s49, -1, 0
	s_cmp_ge_u32 s48, s44
	s_cselect_b32 s44, -1, 0
	s_cmp_eq_u32 s33, s45
	s_cselect_b32 s33, s44, s49
	s_delay_alu instid0(SALU_CYCLE_1) | instskip(SKIP_3) | instid1(SALU_CYCLE_1)
	s_cmp_lg_u32 s33, 0
	s_cselect_b32 s45, s50, s19
	s_cselect_b32 s44, s35, s12
	s_xor_b64 s[22:23], s[46:47], s[22:23]
	s_xor_b64 s[44:45], s[44:45], s[22:23]
	s_delay_alu instid0(SALU_CYCLE_1)
	s_sub_u32 s60, s44, s22
	s_subb_u32 s61, s45, s23
	s_branch .LBB70_24
.LBB70_18:
                                        ; implicit-def: $sgpr2_sgpr3
	s_branch .LBB70_3
.LBB70_19:
                                        ; implicit-def: $sgpr14_sgpr15
	s_load_b128 s[36:39], s[0:1], 0x1d0
	s_branch .LBB70_6
.LBB70_20:
                                        ; implicit-def: $sgpr28_sgpr29
	s_branch .LBB70_9
.LBB70_21:
                                        ; implicit-def: $sgpr52_sgpr53
	s_load_b128 s[40:43], s[0:1], 0x370
	s_branch .LBB70_12
.LBB70_22:
                                        ; implicit-def: $sgpr54_sgpr55
	s_branch .LBB70_15
.LBB70_23:
	s_mov_b32 s62, -1
                                        ; implicit-def: $sgpr60_sgpr61
.LBB70_24:
	s_clause 0x1
	s_load_b64 s[22:23], s[0:1], 0x440
	s_load_b128 s[44:47], s[0:1], 0x430
                                        ; implicit-def: $vgpr49 : SGPR spill to VGPR lane
	s_and_not1_b32 vcc_lo, exec_lo, s62
	s_waitcnt lgkmcnt(0)
	v_writelane_b32 v49, s22, 0
	v_writelane_b32 v49, s23, 1
	s_load_b64 s[22:23], s[0:1], 0x2a0
	v_writelane_b32 v49, s44, 2
	v_writelane_b32 v49, s45, 3
	;; [unrolled: 1-line block ×4, first 2 shown]
	s_waitcnt lgkmcnt(0)
	v_writelane_b32 v49, s22, 6
	v_writelane_b32 v49, s23, 7
	s_clause 0x1
	s_load_b128 s[48:51], s[0:1], 0x290
	s_load_b64 s[22:23], s[0:1], 0x0
	s_cbranch_vccnz .LBB70_26
; %bb.25:
	v_cvt_f32_u32_e32 v1, s40
	s_sub_i32 s19, 0, s40
	s_mov_b32 s61, 0
	s_delay_alu instid0(VALU_DEP_1) | instskip(SKIP_2) | instid1(VALU_DEP_1)
	v_rcp_iflag_f32_e32 v1, v1
	s_waitcnt_depctr 0xfff
	v_mul_f32_e32 v1, 0x4f7ffffe, v1
	v_cvt_u32_f32_e32 v1, v1
	s_delay_alu instid0(VALU_DEP_1) | instskip(NEXT) | instid1(VALU_DEP_1)
	v_readfirstlane_b32 s12, v1
	s_mul_i32 s19, s19, s12
	s_delay_alu instid0(SALU_CYCLE_1) | instskip(NEXT) | instid1(SALU_CYCLE_1)
	s_mul_hi_u32 s19, s12, s19
	s_add_i32 s12, s12, s19
	s_delay_alu instid0(SALU_CYCLE_1) | instskip(NEXT) | instid1(SALU_CYCLE_1)
	s_mul_hi_u32 s12, s54, s12
	s_mul_i32 s19, s12, s40
	s_add_i32 s33, s12, 1
	s_sub_i32 s19, s54, s19
	s_delay_alu instid0(SALU_CYCLE_1)
	s_sub_i32 s35, s19, s40
	s_cmp_ge_u32 s19, s40
	s_cselect_b32 s12, s33, s12
	s_cselect_b32 s19, s35, s19
	s_add_i32 s33, s12, 1
	s_cmp_ge_u32 s19, s40
	s_cselect_b32 s60, s33, s12
.LBB70_26:
	s_clause 0x1
	s_load_b64 s[44:45], s[0:1], 0x360
	s_load_b64 s[0:1], s[0:1], 0x1c0
	s_mov_b32 s67, 0
	s_waitcnt lgkmcnt(0)
	v_writelane_b32 v49, s44, 8
	v_writelane_b32 v49, s45, 9
	;; [unrolled: 1-line block ×4, first 2 shown]
	v_cmp_eq_u32_e64 s0, 0, v0
	s_delay_alu instid0(VALU_DEP_1)
	s_and_saveexec_b32 s1, s0
	s_cbranch_execz .LBB70_28
; %bb.27:
	v_dual_mov_b32 v1, 0 :: v_dual_mov_b32 v4, s25
	s_delay_alu instid0(VALU_DEP_1)
	v_dual_mov_b32 v3, s24 :: v_dual_mov_b32 v2, v1
	ds_store_b32 v1, v1 offset:5136
	ds_store_b128 v1, v[1:4] offset:5120
.LBB70_28:
	s_or_b32 exec_lo, exec_lo, s1
	s_mul_i32 s1, s14, s5
	s_mul_hi_u32 s5, s14, s4
	s_mul_i32 s9, s14, s9
	s_add_i32 s1, s5, s1
	s_mul_i32 s5, s15, s4
	s_mul_i32 s4, s14, s4
	s_add_i32 s1, s1, s5
	s_sub_u32 s4, s2, s4
	s_subb_u32 s1, s3, s1
	s_mul_i32 s5, s4, s11
	s_mul_hi_u32 s11, s4, s10
	s_mul_i32 s1, s1, s10
	s_add_i32 s5, s11, s5
	s_mul_hi_u32 s12, s14, s8
	s_add_i32 s11, s5, s1
	s_add_i32 s1, s12, s9
	s_mul_i32 s5, s15, s8
	s_mul_i32 s7, s2, s7
	s_mul_hi_u32 s9, s2, s6
	s_add_i32 s5, s1, s5
	s_add_i32 s1, s9, s7
	s_mul_i32 s3, s3, s6
	s_mul_i32 s2, s2, s6
	s_add_i32 s1, s1, s3
	s_sub_u32 s2, s34, s2
	s_mul_i32 s10, s4, s10
	s_mul_i32 s3, s2, s21
	s_mul_hi_u32 s4, s2, s20
	s_subb_u32 s1, 0, s1
	s_add_i32 s3, s4, s3
	s_mul_i32 s4, s14, s8
	s_mul_i32 s1, s1, s20
	s_lshl_b64 s[4:5], s[4:5], 1
	s_add_i32 s3, s3, s1
	s_add_u32 s1, s22, s4
	s_addc_u32 s8, s23, s5
	s_lshl_b64 s[6:7], s[10:11], 1
	s_mul_i32 s2, s2, s20
	s_add_u32 s1, s1, s6
	s_addc_u32 s10, s8, s7
	s_lshl_b64 s[8:9], s[2:3], 1
	s_waitcnt lgkmcnt(0)
	s_add_u32 s70, s1, s8
	s_addc_u32 s71, s10, s9
	s_barrier
	buffer_gl0_inv
	s_load_b32 s10, s[16:17], 0xc
	v_mad_u64_u32 v[2:3], null, v0, s30, 0
	v_lshlrev_b32_e32 v37, 3, v0
	v_mbcnt_lo_u32_b32 v33, -1, 0
	v_dual_mov_b32 v13, 0 :: v_dual_lshlrev_b32 v16, 2, v0
	v_lshrrev_b32_e32 v6, 3, v0
	s_delay_alu instid0(VALU_DEP_4)
	v_or_b32_e32 v11, 6, v37
	v_or_b32_e32 v12, 4, v37
	v_dual_mov_b32 v1, v3 :: v_dual_lshlrev_b32 v34, 1, v0
	v_cmp_gt_u32_e32 vcc_lo, 32, v0
	v_cmp_gt_i32_e64 s1, 4, v33
	v_mad_u64_u32 v[18:19], null, s30, v11, 0
	v_mad_u64_u32 v[20:21], null, s30, v12, 0
	v_or_b32_e32 v24, 2, v37
	v_mad_u64_u32 v[3:4], null, v0, s31, v[1:2]
	v_dual_mov_b32 v1, v13 :: v_dual_and_b32 v36, 0x7c, v6
	v_lshlrev_b64 v[6:7], v33, -1
	s_waitcnt lgkmcnt(0)
	s_and_b32 s33, s10, 0xffff
	s_and_b32 s35, vcc_lo, s1
	s_bfe_u32 s11, s10, 0xb0005
	s_add_u32 s93, s33, -1
	s_addc_u32 s94, 0, -1
	v_mad_u64_u32 v[22:23], null, s30, v24, 0
	s_add_u32 s95, s93, s24
	v_add_nc_u32_e32 v35, 0xc00, v34
	s_addc_u32 s73, s94, s25
	v_not_b32_e32 v38, v6
	v_dual_mov_b32 v6, v19 :: v_dual_mov_b32 v7, v21
	s_cmp_lt_u32 s13, s18
	s_delay_alu instid0(VALU_DEP_4) | instskip(SKIP_1) | instid1(VALU_DEP_2)
	v_dual_mov_b32 v17, v13 :: v_dual_mov_b32 v8, v23
	s_cselect_b32 s12, 12, 18
	v_mad_u64_u32 v[9:10], null, s31, v11, v[6:7]
	s_add_u32 s74, s16, s12
	s_addc_u32 s75, s17, 0
	s_add_i32 s12, s11, -1
	s_bfe_u32 s96, s33, 0x30005
	s_cmp_gt_u32 s12, 6
	v_lshlrev_b64 v[4:5], 1, v[2:3]
	s_cselect_b32 s97, -1, 0
	s_and_b32 s98, s11, 0x7f8
	s_cmp_lg_u32 s96, 0
	v_mad_u64_u32 v[10:11], null, s31, v12, v[7:8]
	s_cselect_b32 s100, -1, 0
	s_add_u32 s4, s4, s8
	v_mad_u64_u32 v[6:7], null, s31, v24, v[8:9]
	s_addc_u32 s5, s5, s9
	s_add_u32 s4, s4, s6
	v_add_co_u32 v14, vcc_lo, s70, v4
	s_addc_u32 s5, s5, s7
	s_add_u32 s76, s22, s4
	v_add_co_ci_u32_e32 v15, vcc_lo, s71, v5, vcc_lo
	v_add_co_u32 v40, s4, s24, v0
	s_addc_u32 s77, s23, s5
	v_mov_b32_e32 v21, v10
	v_add_co_u32 v10, vcc_lo, s76, v4
	v_cmp_lt_i64_e64 s92, 0x600, s[24:25]
	v_cmp_gt_i64_e64 s1, s[24:25], v[0:1]
	v_lshlrev_b64 v[23:24], 3, v[2:3]
	v_add_co_ci_u32_e64 v41, null, s25, 0, s4
	s_mul_i32 s4, s31, s33
	s_mul_hi_u32 s5, s30, s33
	v_cmp_eq_u32_e64 s2, 0, v33
	v_cmp_gt_u32_e64 s3, 2, v0
	v_cmp_gt_u16_e64 s99, s10, 31
	v_mov_b32_e32 v19, v9
	v_mov_b32_e32 v39, v6
	v_lshl_or_b32 v42, v33, 3, 0xc00
	v_add_co_ci_u32_e32 v11, vcc_lo, s77, v5, vcc_lo
	v_mov_b32_e32 v43, 0x8000
	v_cvt_f32_ubyte0_e32 v44, 0
	v_mov_b32_e32 v45, 0
	s_add_i32 s5, s5, s4
	s_mul_i32 s4, s30, s33
	s_lshl_b64 s[78:79], s[30:31], 1
	s_lshl_b64 s[80:81], s[30:31], 3
	;; [unrolled: 1-line block ×3, first 2 shown]
	s_lshl_b32 s101, s33, 1
	s_mov_b32 s62, 14
	s_movk_i32 s102, 0x3f80
	s_mov_b32 s103, 0
	s_mov_b32 s64, 0
	;; [unrolled: 1-line block ×4, first 2 shown]
                                        ; implicit-def: $sgpr104
                                        ; implicit-def: $sgpr63
                                        ; implicit-def: $vcc_hi
                                        ; implicit-def: $sgpr56
                                        ; implicit-def: $sgpr57
                                        ; implicit-def: $sgpr65
	s_branch .LBB70_33
.LBB70_29:                              ;   in Loop: Header=BB70_33 Depth=1
	s_xor_b32 s64, s64, 1
	s_add_i32 s7, s62, -2
	s_cmp_eq_u32 s62, 0
	s_mov_b32 s5, 0
	s_cselect_b32 s6, -1, 0
	s_mov_b32 s62, s7
.LBB70_30:                              ;   in Loop: Header=BB70_33 Depth=1
	s_and_not1_b32 s7, s20, exec_lo
	s_and_b32 s5, s5, exec_lo
	s_and_not1_b32 s21, s21, exec_lo
	s_or_b32 s20, s7, s5
	s_and_not1_b32 s19, s19, exec_lo
	s_or_not1_b32 s15, s6, exec_lo
.LBB70_31:                              ;   in Loop: Header=BB70_33 Depth=1
	s_or_b32 exec_lo, exec_lo, s4
	s_delay_alu instid0(SALU_CYCLE_1)
	s_and_not1_b32 s4, s65, exec_lo
	s_and_b32 s5, s20, exec_lo
	s_and_not1_b32 s6, s56, exec_lo
	s_or_b32 s65, s4, s5
	s_and_not1_b32 s4, s57, exec_lo
	s_and_b32 s5, s21, exec_lo
	s_and_b32 s7, s19, exec_lo
	s_or_b32 s57, s4, s5
	s_or_b32 s56, s6, s7
	s_or_not1_b32 s19, s15, exec_lo
.LBB70_32:                              ;   in Loop: Header=BB70_33 Depth=1
	s_or_b32 exec_lo, exec_lo, s14
	s_delay_alu instid0(SALU_CYCLE_1)
	s_and_b32 s4, exec_lo, s19
	v_mov_b32_e32 v2, s59
	s_or_b32 s103, s4, s103
	s_and_not1_b32 s4, vcc_hi, exec_lo
	s_and_b32 s5, s65, exec_lo
	s_and_not1_b32 s6, s104, exec_lo
	s_or_b32 vcc_hi, s4, s5
	s_and_not1_b32 s4, s63, exec_lo
	s_and_b32 s5, s57, exec_lo
	s_and_b32 s7, s56, exec_lo
	s_or_b32 s63, s4, s5
	s_or_b32 s104, s6, s7
	s_and_not1_b32 exec_lo, exec_lo, s103
	s_cbranch_execz .LBB70_299
.LBB70_33:                              ; =>This Loop Header: Depth=1
                                        ;     Child Loop BB70_38 Depth 2
                                        ;     Child Loop BB70_57 Depth 2
	;; [unrolled: 1-line block ×16, first 2 shown]
	ds_load_b128 v[2:5], v13 offset:5120
	s_waitcnt lgkmcnt(0)
	v_readfirstlane_b32 s83, v3
	v_readfirstlane_b32 s82, v2
	s_delay_alu instid0(VALU_DEP_1) | instskip(NEXT) | instid1(VALU_DEP_1)
	v_cmp_gt_i64_e64 s4, s[82:83], 0
	s_and_b32 vcc_lo, exec_lo, s4
	s_cbranch_vccnz .LBB70_64
; %bb.34:                               ;   in Loop: Header=BB70_33 Depth=1
	s_and_b32 vcc_lo, exec_lo, s92
	s_cbranch_vccz .LBB70_46
; %bb.35:                               ;   in Loop: Header=BB70_33 Depth=1
	v_cmp_gt_i64_e32 vcc_lo, 0x601, v[4:5]
	s_mov_b32 s6, 0
	s_mov_b32 s4, 0
	s_cbranch_vccz .LBB70_51
; %bb.36:                               ;   in Loop: Header=BB70_33 Depth=1
	global_load_u16 v6, v13, s[74:75]
	global_load_u16 v7, v[14:15], off
	s_mov_b32 s8, 0
	s_waitcnt vmcnt(1)
	v_readfirstlane_b32 s4, v6
	v_and_b32_e32 v6, 0xffff, v6
	s_delay_alu instid0(VALU_DEP_2) | instskip(NEXT) | instid1(SALU_CYCLE_1)
	s_and_b32 s4, 0xffff, s4
	v_add_nc_u32_e32 v8, s4, v0
	s_mul_i32 s5, s79, s4
	s_mul_hi_u32 s7, s78, s4
	s_mul_i32 s9, s78, s4
	s_add_i32 s7, s7, s5
	v_mad_u64_u32 v[2:3], null, s78, v8, s[76:77]
	s_delay_alu instid0(VALU_DEP_1) | instskip(NEXT) | instid1(VALU_DEP_1)
	v_mad_u64_u32 v[4:5], null, s79, v8, v[3:4]
	v_mov_b32_e32 v3, v4
	v_dual_mov_b32 v5, v1 :: v_dual_mov_b32 v4, v0
	s_branch .LBB70_38
.LBB70_37:                              ;   in Loop: Header=BB70_38 Depth=2
	s_or_b32 exec_lo, exec_lo, s5
	v_add_co_u32 v2, vcc_lo, v2, s9
	v_add_co_ci_u32_e32 v3, vcc_lo, s7, v3, vcc_lo
	v_mov_b32_e32 v7, v8
	s_and_not1_b32 exec_lo, exec_lo, s8
	s_cbranch_execz .LBB70_47
.LBB70_38:                              ;   Parent Loop BB70_33 Depth=1
                                        ; =>  This Inner Loop Header: Depth=2
	s_delay_alu instid0(VALU_DEP_1) | instskip(NEXT) | instid1(VALU_DEP_2)
	v_add_co_u32 v4, vcc_lo, v4, v6
	v_add_co_ci_u32_e32 v5, vcc_lo, 0, v5, vcc_lo
	s_waitcnt lgkmcnt(0)
	v_dual_mov_b32 v9, 0 :: v_dual_mov_b32 v8, 0
	s_mov_b32 s5, exec_lo
	s_delay_alu instid0(VALU_DEP_2)
	v_cmp_le_i64_e32 vcc_lo, s[24:25], v[4:5]
	v_cmpx_gt_i64_e64 s[24:25], v[4:5]
	s_cbranch_execz .LBB70_40
; %bb.39:                               ;   in Loop: Header=BB70_38 Depth=2
	global_load_u16 v8, v[2:3], off
.LBB70_40:                              ;   in Loop: Header=BB70_38 Depth=2
	s_or_b32 exec_lo, exec_lo, s5
	s_waitcnt vmcnt(0)
	v_cmp_lt_i16_e64 s4, -1, v7
	v_and_b32_e32 v12, 0xffff, v7
	v_lshlrev_b32_e32 v26, 16, v7
	s_delay_alu instid0(VALU_DEP_3) | instskip(NEXT) | instid1(VALU_DEP_2)
	v_cndmask_b32_e64 v25, 0xffff, v43, s4
	v_cmp_o_f32_e64 s4, v26, v26
	s_delay_alu instid0(VALU_DEP_2) | instskip(NEXT) | instid1(VALU_DEP_1)
	v_xor_b32_e32 v12, v25, v12
	v_cndmask_b32_e64 v12, 0xffff, v12, s4
	s_delay_alu instid0(VALU_DEP_1) | instskip(NEXT) | instid1(VALU_DEP_1)
	v_and_b32_e32 v12, s58, v12
	v_cmp_eq_u32_e64 s4, s59, v12
	s_delay_alu instid0(VALU_DEP_1) | instskip(SKIP_1) | instid1(SALU_CYCLE_1)
	s_cmp_lg_u32 s4, 0
	s_cselect_b32 s5, -1, 0
	s_and_b32 s5, s2, s5
	s_delay_alu instid0(SALU_CYCLE_1)
	s_and_saveexec_b32 s10, s5
	s_cbranch_execz .LBB70_44
; %bb.41:                               ;   in Loop: Header=BB70_38 Depth=2
	s_mov_b32 s13, exec_lo
	s_bcnt1_i32_b32 s11, s4
	v_mbcnt_lo_u32_b32 v9, s13, 0
	s_mov_b32 s12, exec_lo
                                        ; implicit-def: $vgpr12
	s_delay_alu instid0(VALU_DEP_1)
	v_cmpx_eq_u32_e32 0, v9
	s_cbranch_execz .LBB70_43
; %bb.42:                               ;   in Loop: Header=BB70_38 Depth=2
	s_bcnt1_i32_b32 s5, s13
	s_delay_alu instid0(SALU_CYCLE_1) | instskip(NEXT) | instid1(SALU_CYCLE_1)
	s_mul_i32 s5, s11, s5
	v_mov_b32_e32 v12, s5
	ds_add_rtn_u32 v12, v13, v12 offset:5136
.LBB70_43:                              ;   in Loop: Header=BB70_38 Depth=2
	s_or_b32 exec_lo, exec_lo, s12
	s_waitcnt lgkmcnt(0)
	v_readfirstlane_b32 s5, v12
	s_delay_alu instid0(VALU_DEP_1)
	v_mad_u32_u24 v9, s11, v9, s5
.LBB70_44:                              ;   in Loop: Header=BB70_38 Depth=2
	s_or_b32 exec_lo, exec_lo, s10
	ds_bpermute_b32 v9, v13, v9
	s_and_b32 s5, exec_lo, vcc_lo
	s_delay_alu instid0(SALU_CYCLE_1)
	s_or_b32 s8, s5, s8
	s_and_saveexec_b32 s5, s4
	s_cbranch_execz .LBB70_37
; %bb.45:                               ;   in Loop: Header=BB70_38 Depth=2
	v_and_b32_e32 v12, s4, v38
	s_delay_alu instid0(VALU_DEP_1) | instskip(NEXT) | instid1(VALU_DEP_1)
	v_bcnt_u32_b32 v12, v12, 0
	v_lshlrev_b32_e32 v12, 1, v12
	s_waitcnt lgkmcnt(0)
	s_delay_alu instid0(VALU_DEP_1)
	v_lshl_add_u32 v9, v9, 1, v12
	ds_store_b16 v9, v7
	s_branch .LBB70_37
.LBB70_46:                              ;   in Loop: Header=BB70_33 Depth=1
	s_mov_b32 s6, -1
	s_mov_b32 s4, 0
	s_branch .LBB70_50
.LBB70_47:                              ;   in Loop: Header=BB70_33 Depth=1
	s_or_b32 exec_lo, exec_lo, s8
	s_waitcnt lgkmcnt(0)
	s_barrier
	buffer_gl0_inv
	s_and_saveexec_b32 s4, s0
	s_cbranch_execz .LBB70_49
; %bb.48:                               ;   in Loop: Header=BB70_33 Depth=1
	ds_load_b32 v2, v13 offset:5136
	s_waitcnt lgkmcnt(0)
	v_ashrrev_i32_e32 v3, 31, v2
	ds_store_b64 v13, v[2:3] offset:5120
.LBB70_49:                              ;   in Loop: Header=BB70_33 Depth=1
	s_or_b32 exec_lo, exec_lo, s4
	s_waitcnt lgkmcnt(0)
	s_mov_b32 s4, -1
	s_barrier
.LBB70_50:                              ;   in Loop: Header=BB70_33 Depth=1
                                        ; implicit-def: $sgpr82_sgpr83
.LBB70_51:                              ;   in Loop: Header=BB70_33 Depth=1
	s_and_b32 vcc_lo, exec_lo, s6
	s_cbranch_vccz .LBB70_62
; %bb.52:                               ;   in Loop: Header=BB70_33 Depth=1
	v_mov_b32_e32 v6, 0
	s_and_saveexec_b32 s4, s1
	s_cbranch_execz .LBB70_54
; %bb.53:                               ;   in Loop: Header=BB70_33 Depth=1
	global_load_u16 v6, v[14:15], off
.LBB70_54:                              ;   in Loop: Header=BB70_33 Depth=1
	s_or_b32 exec_lo, exec_lo, s4
	s_and_saveexec_b32 s5, s1
	s_cbranch_execz .LBB70_59
; %bb.55:                               ;   in Loop: Header=BB70_33 Depth=1
	global_load_u16 v8, v13, s[74:75]
	s_mov_b32 s9, 0
	s_waitcnt vmcnt(0)
	v_readfirstlane_b32 s4, v8
	v_and_b32_e32 v8, 0xffff, v8
	s_delay_alu instid0(VALU_DEP_2) | instskip(NEXT) | instid1(SALU_CYCLE_1)
	s_and_b32 s4, 0xffff, s4
	v_add_nc_u32_e32 v7, s4, v0
	s_mul_i32 s7, s79, s4
	s_mul_hi_u32 s8, s78, s4
	s_lshl_b32 s6, s4, 1
	s_add_i32 s7, s8, s7
	v_mad_u64_u32 v[2:3], null, s78, v7, s[76:77]
	s_mul_i32 s8, s78, s4
	s_delay_alu instid0(VALU_DEP_1) | instskip(SKIP_1) | instid1(VALU_DEP_2)
	v_mad_u64_u32 v[4:5], null, s79, v7, v[3:4]
	v_mov_b32_e32 v7, v34
	v_mov_b32_e32 v3, v4
	v_dual_mov_b32 v5, v1 :: v_dual_mov_b32 v4, v0
	s_branch .LBB70_57
	.p2align	6
.LBB70_56:                              ;   in Loop: Header=BB70_57 Depth=2
	s_or_b32 exec_lo, exec_lo, s10
	s_delay_alu instid0(SALU_CYCLE_1)
	s_and_b32 s4, exec_lo, vcc_lo
	v_add_co_u32 v2, vcc_lo, v2, s8
	ds_store_b16 v7, v6
	s_waitcnt vmcnt(0)
	v_dual_mov_b32 v6, v9 :: v_dual_add_nc_u32 v7, s6, v7
	v_add_co_ci_u32_e32 v3, vcc_lo, s7, v3, vcc_lo
	s_or_b32 s9, s4, s9
	s_delay_alu instid0(SALU_CYCLE_1)
	s_and_not1_b32 exec_lo, exec_lo, s9
	s_cbranch_execz .LBB70_59
.LBB70_57:                              ;   Parent Loop BB70_33 Depth=1
                                        ; =>  This Inner Loop Header: Depth=2
	s_delay_alu instid0(VALU_DEP_1) | instskip(NEXT) | instid1(VALU_DEP_2)
	v_add_co_u32 v4, vcc_lo, v4, v8
	v_add_co_ci_u32_e32 v5, vcc_lo, 0, v5, vcc_lo
	v_mov_b32_e32 v9, 0
	s_mov_b32 s10, exec_lo
	s_delay_alu instid0(VALU_DEP_2)
	v_cmp_le_i64_e32 vcc_lo, s[24:25], v[4:5]
	v_cmpx_gt_i64_e64 s[24:25], v[4:5]
	s_cbranch_execz .LBB70_56
; %bb.58:                               ;   in Loop: Header=BB70_57 Depth=2
	global_load_u16 v9, v[2:3], off
	s_branch .LBB70_56
.LBB70_59:                              ;   in Loop: Header=BB70_33 Depth=1
	s_or_b32 exec_lo, exec_lo, s5
	s_waitcnt vmcnt(0) lgkmcnt(0)
	s_barrier
	buffer_gl0_inv
	s_and_saveexec_b32 s4, s0
	s_cbranch_execz .LBB70_61
; %bb.60:                               ;   in Loop: Header=BB70_33 Depth=1
	v_dual_mov_b32 v2, s24 :: v_dual_mov_b32 v3, s25
	ds_store_b64 v13, v[2:3] offset:5120
.LBB70_61:                              ;   in Loop: Header=BB70_33 Depth=1
	s_or_b32 exec_lo, exec_lo, s4
	s_mov_b32 s4, -1
	s_waitcnt lgkmcnt(0)
	s_barrier
                                        ; implicit-def: $sgpr82_sgpr83
.LBB70_62:                              ;   in Loop: Header=BB70_33 Depth=1
	s_and_b32 vcc_lo, exec_lo, s4
	s_cbranch_vccz .LBB70_64
; %bb.63:                               ;   in Loop: Header=BB70_33 Depth=1
	buffer_gl0_inv
	ds_load_b64 v[2:3], v13 offset:5120
	s_waitcnt lgkmcnt(0)
	v_readfirstlane_b32 s82, v2
.LBB70_64:                              ;   in Loop: Header=BB70_33 Depth=1
	s_delay_alu instid0(VALU_DEP_1)
	s_cmp_lt_i32 s82, 1
	s_cbranch_scc0 .LBB70_79
; %bb.65:                               ;   in Loop: Header=BB70_33 Depth=1
	global_load_u16 v4, v13, s[74:75]
	s_mov_b32 s5, s25
	s_waitcnt vmcnt(0)
	v_readfirstlane_b32 s4, v4
	s_delay_alu instid0(VALU_DEP_1)
	s_and_b32 s6, 0xffff, s4
	s_mov_b32 s4, s67
	s_lshl_b32 s23, s6, 2
	s_cmp_lg_u64 s[4:5], 0
	s_cbranch_scc0 .LBB70_99
; %bb.66:                               ;   in Loop: Header=BB70_33 Depth=1
	v_cvt_f32_u32_e32 v2, s23
	s_sub_u32 s6, 0, s23
	s_subb_u32 s7, 0, 0
	s_delay_alu instid0(VALU_DEP_1) | instskip(NEXT) | instid1(VALU_DEP_1)
	v_fmac_f32_e32 v2, 0x4f800000, v44
	v_rcp_f32_e32 v2, v2
	s_waitcnt_depctr 0xfff
	v_mul_f32_e32 v2, 0x5f7ffffc, v2
	s_delay_alu instid0(VALU_DEP_1) | instskip(NEXT) | instid1(VALU_DEP_1)
	v_mul_f32_e32 v3, 0x2f800000, v2
	v_trunc_f32_e32 v3, v3
	s_delay_alu instid0(VALU_DEP_1) | instskip(SKIP_1) | instid1(VALU_DEP_2)
	v_fmac_f32_e32 v2, 0xcf800000, v3
	v_cvt_u32_f32_e32 v3, v3
	v_cvt_u32_f32_e32 v2, v2
	s_delay_alu instid0(VALU_DEP_2) | instskip(NEXT) | instid1(VALU_DEP_2)
	v_readfirstlane_b32 s4, v3
	v_readfirstlane_b32 s5, v2
	s_delay_alu instid0(VALU_DEP_2) | instskip(NEXT) | instid1(VALU_DEP_1)
	s_mul_i32 s8, s6, s4
	s_mul_hi_u32 s10, s6, s5
	s_mul_i32 s9, s7, s5
	s_add_i32 s8, s10, s8
	s_mul_i32 s11, s6, s5
	s_add_i32 s8, s8, s9
	s_mul_hi_u32 s10, s5, s11
	s_mul_hi_u32 s12, s4, s11
	s_mul_i32 s9, s4, s11
	s_mul_hi_u32 s11, s5, s8
	s_mul_i32 s5, s5, s8
	s_mul_hi_u32 s13, s4, s8
	s_add_u32 s5, s10, s5
	s_addc_u32 s10, 0, s11
	s_add_u32 s5, s5, s9
	s_mul_i32 s8, s4, s8
	s_addc_u32 s5, s10, s12
	s_addc_u32 s9, s13, 0
	s_add_u32 s5, s5, s8
	s_addc_u32 s8, 0, s9
	v_add_co_u32 v2, s5, v2, s5
	s_delay_alu instid0(VALU_DEP_1) | instskip(SKIP_1) | instid1(VALU_DEP_1)
	s_cmp_lg_u32 s5, 0
	s_addc_u32 s4, s4, s8
	v_readfirstlane_b32 s5, v2
	s_mul_i32 s8, s6, s4
	s_delay_alu instid0(VALU_DEP_1)
	s_mul_hi_u32 s9, s6, s5
	s_mul_i32 s7, s7, s5
	s_add_i32 s8, s9, s8
	s_mul_i32 s6, s6, s5
	s_add_i32 s8, s8, s7
	s_mul_hi_u32 s9, s4, s6
	s_mul_i32 s10, s4, s6
	s_mul_hi_u32 s6, s5, s6
	s_mul_hi_u32 s11, s5, s8
	s_mul_i32 s5, s5, s8
	s_mul_hi_u32 s7, s4, s8
	s_add_u32 s5, s6, s5
	s_addc_u32 s6, 0, s11
	s_add_u32 s5, s5, s10
	s_mul_i32 s8, s4, s8
	s_addc_u32 s5, s6, s9
	s_addc_u32 s6, s7, 0
	s_add_u32 s5, s5, s8
	s_addc_u32 s6, 0, s6
	v_add_co_u32 v2, s5, v2, s5
	s_delay_alu instid0(VALU_DEP_1) | instskip(SKIP_2) | instid1(VALU_DEP_1)
	s_cmp_lg_u32 s5, 0
	s_addc_u32 s8, s4, s6
	s_ashr_i32 s6, s25, 31
	v_readfirstlane_b32 s9, v2
	s_add_u32 s4, s24, s6
	s_mov_b32 s7, s6
	s_addc_u32 s5, s25, s6
	s_delay_alu instid0(SALU_CYCLE_1) | instskip(NEXT) | instid1(SALU_CYCLE_1)
	s_xor_b64 s[4:5], s[4:5], s[6:7]
	s_mul_i32 s10, s4, s8
	s_mul_hi_u32 s11, s4, s9
	s_mul_hi_u32 s7, s4, s8
	;; [unrolled: 1-line block ×3, first 2 shown]
	s_mul_i32 s9, s5, s9
	s_add_u32 s10, s11, s10
	s_addc_u32 s7, 0, s7
	s_mul_hi_u32 s12, s5, s8
	s_add_u32 s9, s10, s9
	s_mul_i32 s8, s5, s8
	s_addc_u32 s7, s7, s13
	s_addc_u32 s9, s12, 0
	s_add_u32 s7, s7, s8
	s_addc_u32 s8, 0, s9
	s_mul_hi_u32 s9, s23, s7
	s_mul_i32 s7, s23, s7
	s_mul_i32 s8, s23, s8
	v_sub_co_u32 v2, s4, s4, s7
	s_add_i32 s9, s9, s8
	s_cmp_lg_u32 s4, 0
	s_delay_alu instid0(VALU_DEP_1) | instskip(SKIP_2) | instid1(VALU_DEP_1)
	v_sub_co_u32 v3, s4, v2, s23
	s_subb_u32 s5, s5, s9
	s_cmp_lg_u32 s4, 0
	v_cmp_le_u32_e32 vcc_lo, s23, v3
	v_sub_co_u32 v5, s4, v3, s23
	s_subb_u32 s7, s5, 0
	s_cmp_lg_u32 s4, 0
	v_cndmask_b32_e64 v6, 0, -1, vcc_lo
	s_subb_u32 s4, s7, 0
	s_cmp_eq_u32 s7, 0
	v_mov_b32_e32 v8, s4
	s_cselect_b32 vcc_lo, -1, 0
	s_cmp_eq_u32 s5, 0
	v_cndmask_b32_e32 v6, -1, v6, vcc_lo
	v_cmp_le_u32_e32 vcc_lo, s23, v2
	s_cselect_b32 s4, -1, 0
	v_cndmask_b32_e64 v7, 0, -1, vcc_lo
	s_delay_alu instid0(VALU_DEP_3) | instskip(NEXT) | instid1(VALU_DEP_2)
	v_cmp_ne_u32_e32 vcc_lo, 0, v6
	v_cndmask_b32_e64 v6, -1, v7, s4
	v_cndmask_b32_e32 v7, s7, v8, vcc_lo
	v_cndmask_b32_e32 v3, v3, v5, vcc_lo
	s_delay_alu instid0(VALU_DEP_3) | instskip(NEXT) | instid1(VALU_DEP_2)
	v_cmp_ne_u32_e32 vcc_lo, 0, v6
	v_cndmask_b32_e32 v2, v2, v3, vcc_lo
	s_delay_alu instid0(VALU_DEP_4) | instskip(NEXT) | instid1(VALU_DEP_2)
	v_cndmask_b32_e32 v5, s5, v7, vcc_lo
	v_xor_b32_e32 v2, s6, v2
	s_delay_alu instid0(VALU_DEP_2) | instskip(NEXT) | instid1(VALU_DEP_2)
	v_xor_b32_e32 v3, s6, v5
	v_sub_co_u32 v25, vcc_lo, v2, s6
	s_delay_alu instid0(VALU_DEP_2)
	v_subrev_co_ci_u32_e32 v26, vcc_lo, s6, v3, vcc_lo
	s_cbranch_execnz .LBB70_68
.LBB70_67:                              ;   in Loop: Header=BB70_33 Depth=1
	v_cvt_f32_u32_e32 v2, s23
	s_sub_i32 s4, 0, s23
	s_delay_alu instid0(VALU_DEP_1) | instskip(SKIP_2) | instid1(VALU_DEP_1)
	v_rcp_iflag_f32_e32 v2, v2
	s_waitcnt_depctr 0xfff
	v_mul_f32_e32 v2, 0x4f7ffffe, v2
	v_cvt_u32_f32_e32 v2, v2
	s_delay_alu instid0(VALU_DEP_1) | instskip(NEXT) | instid1(VALU_DEP_1)
	v_mul_lo_u32 v3, s4, v2
	v_mul_hi_u32 v3, v2, v3
	s_delay_alu instid0(VALU_DEP_1) | instskip(NEXT) | instid1(VALU_DEP_1)
	v_add_nc_u32_e32 v2, v2, v3
	v_mul_hi_u32 v2, s24, v2
	s_delay_alu instid0(VALU_DEP_1) | instskip(NEXT) | instid1(VALU_DEP_1)
	v_mul_lo_u32 v2, v2, s23
	v_sub_nc_u32_e32 v2, s24, v2
	s_delay_alu instid0(VALU_DEP_1) | instskip(SKIP_1) | instid1(VALU_DEP_2)
	v_subrev_nc_u32_e32 v3, s23, v2
	v_cmp_le_u32_e32 vcc_lo, s23, v2
	v_cndmask_b32_e32 v2, v2, v3, vcc_lo
	s_delay_alu instid0(VALU_DEP_1) | instskip(SKIP_1) | instid1(VALU_DEP_2)
	v_subrev_nc_u32_e32 v3, s23, v2
	v_cmp_le_u32_e32 vcc_lo, s23, v2
	v_cndmask_b32_e32 v12, v2, v3, vcc_lo
	s_delay_alu instid0(VALU_DEP_1)
	v_dual_mov_b32 v26, v13 :: v_dual_mov_b32 v25, v12
.LBB70_68:                              ;   in Loop: Header=BB70_33 Depth=1
	v_mov_b32_e32 v2, 0
	v_dual_mov_b32 v3, 0 :: v_dual_and_b32 v12, 0xffff, v4
	s_delay_alu instid0(VALU_DEP_3) | instskip(NEXT) | instid1(VALU_DEP_4)
	v_sub_co_u32 v27, vcc_lo, s24, v25
	v_sub_co_ci_u32_e32 v28, vcc_lo, s25, v26, vcc_lo
	s_delay_alu instid0(VALU_DEP_3)
	v_dual_mov_b32 v5, v3 :: v_dual_mov_b32 v4, v2
	v_dual_mov_b32 v7, v3 :: v_dual_mov_b32 v6, v2
	;; [unrolled: 1-line block ×3, first 2 shown]
	s_mov_b64 s[84:85], 0
	s_mov_b32 s66, exec_lo
	v_cmpx_gt_i64_e64 v[27:28], v[16:17]
	s_cbranch_execz .LBB70_72
; %bb.69:                               ;   in Loop: Header=BB70_33 Depth=1
	v_mul_lo_u32 v2, s81, v12
	v_mul_hi_u32 v3, s80, v12
	v_mul_lo_u32 v46, s80, v12
	v_dual_mov_b32 v29, s70 :: v_dual_mov_b32 v30, s71
	s_and_b32 s72, s62, 0xfe
	s_mov_b32 s83, 0
	s_mov_b64 s[86:87], 0
	s_delay_alu instid0(VALU_DEP_3)
	v_dual_mov_b32 v32, v17 :: v_dual_add_nc_u32 v47, v3, v2
	v_mov_b32_e32 v31, v16
	s_mov_b64 s[88:89], 0
	s_mov_b64 s[90:91], 0
.LBB70_70:                              ;   Parent Loop BB70_33 Depth=1
                                        ; =>  This Inner Loop Header: Depth=2
	v_add_co_u32 v2, vcc_lo, v29, v23
	v_add_co_ci_u32_e32 v3, vcc_lo, v30, v24, vcc_lo
	global_load_u16 v4, v[2:3], off
	v_add_co_u32 v2, vcc_lo, v29, v22
	v_add_co_ci_u32_e32 v3, vcc_lo, v30, v39, vcc_lo
	global_load_u16 v5, v[2:3], off
	;; [unrolled: 3-line block ×4, first 2 shown]
	s_waitcnt vmcnt(3)
	v_cmp_lt_i16_e64 s7, -1, v4
	s_waitcnt vmcnt(2)
	v_lshlrev_b32_e32 v3, 16, v5
	s_delay_alu instid0(VALU_DEP_1) | instskip(SKIP_2) | instid1(VALU_DEP_1)
	v_cmp_o_f32_e32 vcc_lo, v3, v3
	s_waitcnt vmcnt(1)
	v_lshlrev_b32_e32 v3, 16, v6
	v_cmp_o_f32_e64 s4, v3, v3
	s_waitcnt vmcnt(0)
	v_lshlrev_b32_e32 v3, 16, v2
	s_delay_alu instid0(VALU_DEP_1) | instskip(SKIP_1) | instid1(VALU_DEP_1)
	v_cmp_o_f32_e64 s5, v3, v3
	v_lshlrev_b32_e32 v3, 16, v4
	v_cmp_o_f32_e64 s6, v3, v3
	v_and_b32_e32 v3, 0xffff, v4
	v_cndmask_b32_e64 v4, 0xffff, v43, s7
	v_cmp_lt_i16_e64 s7, -1, v5
	s_delay_alu instid0(VALU_DEP_2) | instskip(SKIP_1) | instid1(VALU_DEP_3)
	v_xor_b32_e32 v3, v4, v3
	v_and_b32_e32 v4, 0xffff, v5
	v_cndmask_b32_e64 v5, 0xffff, v43, s7
	v_cmp_lt_i16_e64 s7, -1, v6
	s_delay_alu instid0(VALU_DEP_4) | instskip(NEXT) | instid1(VALU_DEP_3)
	v_cndmask_b32_e64 v3, 0xffff, v3, s6
	v_xor_b32_e32 v4, v5, v4
	v_and_b32_e32 v5, 0xffff, v6
	s_delay_alu instid0(VALU_DEP_4) | instskip(SKIP_3) | instid1(VALU_DEP_4)
	v_cndmask_b32_e64 v6, 0xffff, v43, s7
	v_cmp_lt_i16_e64 s7, -1, v2
	v_and_b32_e32 v2, 0xffff, v2
	v_cndmask_b32_e32 v4, 0xffff, v4, vcc_lo
	v_xor_b32_e32 v5, v6, v5
	s_delay_alu instid0(VALU_DEP_4) | instskip(NEXT) | instid1(VALU_DEP_2)
	v_cndmask_b32_e64 v6, 0xffff, v43, s7
	v_cndmask_b32_e64 v5, 0xffff, v5, s4
	s_delay_alu instid0(VALU_DEP_2) | instskip(SKIP_2) | instid1(VALU_DEP_3)
	v_xor_b32_e32 v2, v6, v2
	v_and_b32_e32 v6, s58, v3
	v_bfe_u32 v3, v3, s72, 2
	v_cndmask_b32_e64 v2, 0xffff, v2, s5
	s_delay_alu instid0(VALU_DEP_3) | instskip(SKIP_1) | instid1(VALU_DEP_4)
	v_cmp_eq_u32_e64 s6, s59, v6
	v_and_b32_e32 v6, s58, v4
	v_cmp_eq_u32_e64 s7, 0, v3
	v_cmp_eq_u32_e64 s8, 1, v3
	;; [unrolled: 1-line block ×4, first 2 shown]
	v_cmp_eq_u32_e32 vcc_lo, s59, v6
	v_and_b32_e32 v6, s58, v5
	v_bfe_u32 v3, v4, s72, 2
	s_and_b32 s7, s6, s7
	s_delay_alu instid0(VALU_DEP_2)
	v_cmp_eq_u32_e64 s4, s59, v6
	v_and_b32_e32 v6, s58, v2
	v_bfe_u32 v2, v2, s72, 2
	v_cmp_eq_u32_e64 s11, 0, v3
	v_cmp_eq_u32_e64 s12, 1, v3
	v_cmp_eq_u32_e64 s13, 2, v3
	v_cmp_eq_u32_e64 s14, 3, v3
	v_bfe_u32 v3, v5, s72, 2
	v_cmp_eq_u32_e64 s19, 0, v2
	v_cmp_eq_u32_e64 s20, 1, v2
	v_cmp_eq_u32_e64 s21, 2, v2
	v_cmp_eq_u32_e64 s22, 3, v2
	v_cndmask_b32_e64 v2, 0, 1, s7
	v_cmp_eq_u32_e64 s15, 0, v3
	s_and_b32 s11, vcc_lo, s11
	v_cmp_eq_u32_e64 s5, s59, v6
	v_cmp_eq_u32_e64 s16, 1, v3
	v_cmp_ne_u32_e64 s7, 0, v2
	v_cndmask_b32_e64 v2, 0, 1, s11
	s_and_b32 s15, s4, s15
	s_and_b32 s19, s5, s19
	v_cmp_eq_u32_e64 s17, 2, v3
	s_bcnt1_i32_b32 s7, s7
	v_cmp_ne_u32_e64 s11, 0, v2
	v_cndmask_b32_e64 v2, 0, 1, s15
	v_cmp_eq_u32_e64 s18, 3, v3
	s_delay_alu instid0(VALU_DEP_3) | instskip(NEXT) | instid1(VALU_DEP_2)
	s_bcnt1_i32_b32 s11, s11
	v_cmp_ne_u32_e64 s15, 0, v2
	v_cndmask_b32_e64 v2, 0, 1, s19
	s_add_i32 s7, s11, s7
	s_delay_alu instid0(VALU_DEP_2) | instskip(NEXT) | instid1(VALU_DEP_1)
	s_bcnt1_i32_b32 s15, s15
	v_cmp_ne_u32_e64 s19, 0, v2
	s_add_i32 s7, s7, s15
	s_delay_alu instid0(VALU_DEP_1) | instskip(NEXT) | instid1(SALU_CYCLE_1)
	s_bcnt1_i32_b32 s19, s19
	s_add_i32 s7, s7, s19
	s_delay_alu instid0(SALU_CYCLE_1)
	s_add_u32 s90, s90, s7
	s_addc_u32 s91, s91, 0
	s_and_b32 s7, s6, s8
	s_and_b32 s8, vcc_lo, s12
	v_cndmask_b32_e64 v2, 0, 1, s7
	s_and_b32 s11, s4, s16
	s_and_b32 s12, s5, s20
	s_delay_alu instid0(VALU_DEP_1) | instskip(SKIP_1) | instid1(VALU_DEP_2)
	v_cmp_ne_u32_e64 s7, 0, v2
	v_cndmask_b32_e64 v2, 0, 1, s8
	s_bcnt1_i32_b32 s7, s7
	s_delay_alu instid0(VALU_DEP_1) | instskip(SKIP_1) | instid1(VALU_DEP_2)
	v_cmp_ne_u32_e64 s8, 0, v2
	v_cndmask_b32_e64 v2, 0, 1, s11
	s_bcnt1_i32_b32 s8, s8
	s_delay_alu instid0(VALU_DEP_1) | instskip(SKIP_2) | instid1(VALU_DEP_2)
	v_cmp_ne_u32_e64 s11, 0, v2
	v_cndmask_b32_e64 v2, 0, 1, s12
	s_add_i32 s7, s8, s7
	s_bcnt1_i32_b32 s11, s11
	s_delay_alu instid0(VALU_DEP_1) | instskip(SKIP_1) | instid1(VALU_DEP_1)
	v_cmp_ne_u32_e64 s12, 0, v2
	s_add_i32 s7, s7, s11
	s_bcnt1_i32_b32 s12, s12
	s_delay_alu instid0(SALU_CYCLE_1) | instskip(NEXT) | instid1(SALU_CYCLE_1)
	s_add_i32 s7, s7, s12
	s_add_u32 s88, s88, s7
	s_addc_u32 s89, s89, 0
	s_and_b32 s7, s6, s9
	s_and_b32 s8, vcc_lo, s13
	v_cndmask_b32_e64 v2, 0, 1, s7
	s_and_b32 s9, s4, s17
	s_and_b32 s11, s5, s21
	v_dual_mov_b32 v4, s88 :: v_dual_mov_b32 v5, s89
	s_delay_alu instid0(VALU_DEP_2) | instskip(SKIP_1) | instid1(VALU_DEP_2)
	v_cmp_ne_u32_e64 s7, 0, v2
	v_cndmask_b32_e64 v2, 0, 1, s8
	s_bcnt1_i32_b32 s7, s7
	s_delay_alu instid0(VALU_DEP_1) | instskip(SKIP_1) | instid1(VALU_DEP_2)
	v_cmp_ne_u32_e64 s8, 0, v2
	v_cndmask_b32_e64 v2, 0, 1, s9
	s_bcnt1_i32_b32 s8, s8
	s_delay_alu instid0(VALU_DEP_1) | instskip(SKIP_3) | instid1(VALU_DEP_3)
	v_cmp_ne_u32_e64 s9, 0, v2
	v_cndmask_b32_e64 v2, 0, 1, s11
	s_add_i32 s7, s8, s7
	v_add_co_u32 v29, s8, v29, v46
	s_bcnt1_i32_b32 s9, s9
	s_delay_alu instid0(VALU_DEP_2) | instskip(SKIP_1) | instid1(VALU_DEP_1)
	v_cmp_ne_u32_e64 s11, 0, v2
	s_add_i32 s7, s7, s9
	s_bcnt1_i32_b32 s11, s11
	s_delay_alu instid0(SALU_CYCLE_1) | instskip(NEXT) | instid1(SALU_CYCLE_1)
	s_add_i32 s7, s7, s11
	s_add_u32 s86, s86, s7
	s_addc_u32 s87, s87, 0
	s_and_b32 s6, s6, s10
	s_and_b32 s7, vcc_lo, s14
	v_cndmask_b32_e64 v2, 0, 1, s6
	s_and_b32 s4, s4, s18
	s_and_b32 s5, s5, s22
	v_dual_mov_b32 v6, s86 :: v_dual_mov_b32 v7, s87
	s_delay_alu instid0(VALU_DEP_2) | instskip(SKIP_2) | instid1(VALU_DEP_1)
	v_cmp_ne_u32_e64 s6, 0, v2
	v_cndmask_b32_e64 v2, 0, 1, s7
	v_add_co_u32 v31, s7, v31, s23
	v_add_co_ci_u32_e64 v32, s7, 0, v32, s7
	s_delay_alu instid0(VALU_DEP_3) | instskip(SKIP_4) | instid1(VALU_DEP_2)
	v_cmp_ne_u32_e32 vcc_lo, 0, v2
	v_cndmask_b32_e64 v2, 0, 1, s4
	v_add_co_ci_u32_e64 v30, s7, v30, v47, s8
	s_bcnt1_i32_b32 s6, s6
	s_bcnt1_i32_b32 s8, vcc_lo
	v_cmp_ne_u32_e64 s4, 0, v2
	v_cndmask_b32_e64 v2, 0, 1, s5
	s_add_i32 s6, s8, s6
	v_cmp_ge_i64_e64 s7, v[31:32], v[27:28]
	s_delay_alu instid0(VALU_DEP_3) | instskip(NEXT) | instid1(VALU_DEP_2)
	s_bcnt1_i32_b32 s4, s4
	v_cmp_ne_u32_e64 s5, 0, v2
	s_add_i32 s4, s6, s4
	v_dual_mov_b32 v2, s90 :: v_dual_mov_b32 v3, s91
	s_delay_alu instid0(VALU_DEP_2) | instskip(NEXT) | instid1(SALU_CYCLE_1)
	s_bcnt1_i32_b32 s5, s5
	s_add_i32 s4, s4, s5
	s_delay_alu instid0(SALU_CYCLE_1) | instskip(SKIP_1) | instid1(SALU_CYCLE_1)
	s_add_u32 s84, s84, s4
	s_addc_u32 s85, s85, 0
	v_dual_mov_b32 v8, s84 :: v_dual_mov_b32 v9, s85
	s_or_b32 s83, s7, s83
	s_delay_alu instid0(SALU_CYCLE_1)
	s_and_not1_b32 exec_lo, exec_lo, s83
	s_cbranch_execnz .LBB70_70
; %bb.71:                               ;   in Loop: Header=BB70_33 Depth=1
	s_or_b32 exec_lo, exec_lo, s83
.LBB70_72:                              ;   in Loop: Header=BB70_33 Depth=1
	s_delay_alu instid0(SALU_CYCLE_1) | instskip(SKIP_3) | instid1(VALU_DEP_2)
	s_or_b32 exec_lo, exec_lo, s66
	v_add_co_u32 v27, vcc_lo, v27, v0
	v_add_co_ci_u32_e32 v28, vcc_lo, 0, v28, vcc_lo
	v_mov_b32_e32 v32, 0
	v_cmp_gt_i64_e32 vcc_lo, s[24:25], v[27:28]
	s_and_saveexec_b32 s5, vcc_lo
	s_cbranch_execz .LBB70_74
; %bb.73:                               ;   in Loop: Header=BB70_33 Depth=1
	v_mul_lo_u32 v31, v28, s30
	v_mul_lo_u32 v32, v27, s31
	v_mad_u64_u32 v[29:30], null, v27, s30, 0
	s_delay_alu instid0(VALU_DEP_1) | instskip(NEXT) | instid1(VALU_DEP_1)
	v_add3_u32 v30, v30, v32, v31
	v_lshlrev_b64 v[29:30], 1, v[29:30]
	s_delay_alu instid0(VALU_DEP_1) | instskip(NEXT) | instid1(VALU_DEP_1)
	v_add_co_u32 v29, s4, s70, v29
	v_add_co_ci_u32_e64 v30, s4, s71, v30, s4
	global_load_u16 v32, v[29:30], off
.LBB70_74:                              ;   in Loop: Header=BB70_33 Depth=1
	s_or_b32 exec_lo, exec_lo, s5
	s_and_saveexec_b32 s8, vcc_lo
	s_cbranch_execz .LBB70_81
; %bb.75:                               ;   in Loop: Header=BB70_33 Depth=1
	v_add_co_u32 v29, vcc_lo, v40, v12
	v_add_co_ci_u32_e32 v30, vcc_lo, 0, v41, vcc_lo
	v_mul_lo_u32 v46, s79, v12
	s_delay_alu instid0(VALU_DEP_3) | instskip(NEXT) | instid1(VALU_DEP_3)
	v_sub_co_u32 v29, vcc_lo, v29, v25
	v_sub_co_ci_u32_e32 v25, vcc_lo, v30, v26, vcc_lo
	v_mul_hi_u32 v47, s78, v12
	s_delay_alu instid0(VALU_DEP_3) | instskip(SKIP_1) | instid1(VALU_DEP_3)
	v_mul_lo_u32 v31, s79, v29
	s_and_b32 s10, s62, 0xfe
	v_mul_lo_u32 v30, s78, v25
	v_mad_u64_u32 v[25:26], null, s78, v29, s[76:77]
	v_mul_lo_u32 v29, s78, v12
	s_mov_b32 s9, 0
	s_delay_alu instid0(VALU_DEP_2)
	v_add3_u32 v26, v31, v26, v30
	v_add_nc_u32_e32 v30, v47, v46
	s_branch .LBB70_77
.LBB70_76:                              ;   in Loop: Header=BB70_77 Depth=2
	s_or_b32 exec_lo, exec_lo, s5
	s_waitcnt vmcnt(0)
	v_cmp_lt_i16_e64 s4, -1, v32
	v_and_b32_e32 v46, 0xffff, v32
	v_lshlrev_b32_e32 v32, 16, v32
	s_and_b32 s6, exec_lo, vcc_lo
	s_delay_alu instid0(SALU_CYCLE_1) | instskip(SKIP_1) | instid1(VALU_DEP_2)
	s_or_b32 s9, s6, s9
	v_cndmask_b32_e64 v47, 0xffff, v43, s4
	v_cmp_o_f32_e64 s4, v32, v32
	s_delay_alu instid0(VALU_DEP_2) | instskip(NEXT) | instid1(VALU_DEP_1)
	v_xor_b32_e32 v46, v47, v46
	v_cndmask_b32_e64 v32, 0xffff, v46, s4
	s_delay_alu instid0(VALU_DEP_1) | instskip(SKIP_1) | instid1(VALU_DEP_2)
	v_and_b32_e32 v46, s58, v32
	v_bfe_u32 v32, v32, s10, 2
	v_cmp_eq_u32_e64 s4, s59, v46
	s_delay_alu instid0(VALU_DEP_2) | instskip(SKIP_2) | instid1(VALU_DEP_3)
	v_cmp_eq_u32_e64 s5, 0, v32
	v_cmp_eq_u32_e32 vcc_lo, 1, v32
	v_cmp_eq_u32_e64 s6, 2, v32
	s_and_b32 s5, s4, s5
	s_delay_alu instid0(SALU_CYCLE_1) | instskip(SKIP_4) | instid1(SALU_CYCLE_1)
	v_cndmask_b32_e64 v46, 0, 1, s5
	s_and_b32 s5, s4, vcc_lo
	v_cmp_eq_u32_e32 vcc_lo, 3, v32
	v_cndmask_b32_e64 v47, 0, 1, s5
	s_and_b32 s5, s4, s6
	v_cndmask_b32_e64 v48, 0, 1, s5
	v_cmp_ne_u32_e64 s5, 0, v46
	s_delay_alu instid0(VALU_DEP_3) | instskip(SKIP_1) | instid1(SALU_CYCLE_1)
	v_cmp_ne_u32_e64 s6, 0, v47
	s_and_b32 s4, s4, vcc_lo
	v_cndmask_b32_e64 v32, 0, 1, s4
	s_delay_alu instid0(VALU_DEP_3)
	s_bcnt1_i32_b32 s4, s5
	v_cmp_ne_u32_e64 s7, 0, v48
	v_add_co_u32 v2, vcc_lo, v2, s4
	s_bcnt1_i32_b32 s5, s6
	v_add_co_ci_u32_e32 v3, vcc_lo, 0, v3, vcc_lo
	v_add_co_u32 v4, vcc_lo, v4, s5
	v_add_co_ci_u32_e32 v5, vcc_lo, 0, v5, vcc_lo
	s_bcnt1_i32_b32 s6, s7
	v_cmp_ne_u32_e32 vcc_lo, 0, v32
	v_add_co_u32 v6, s4, v6, s6
	s_delay_alu instid0(VALU_DEP_1)
	v_add_co_ci_u32_e64 v7, s4, 0, v7, s4
	s_bcnt1_i32_b32 s4, vcc_lo
	v_mov_b32_e32 v32, v31
	v_add_co_u32 v8, vcc_lo, v8, s4
	v_add_co_ci_u32_e32 v9, vcc_lo, 0, v9, vcc_lo
	v_add_co_u32 v25, vcc_lo, v25, v29
	v_add_co_ci_u32_e32 v26, vcc_lo, v26, v30, vcc_lo
	s_and_not1_b32 exec_lo, exec_lo, s9
	s_cbranch_execz .LBB70_80
.LBB70_77:                              ;   Parent Loop BB70_33 Depth=1
                                        ; =>  This Inner Loop Header: Depth=2
	v_add_co_u32 v27, vcc_lo, v27, v12
	v_add_co_ci_u32_e32 v28, vcc_lo, 0, v28, vcc_lo
	v_mov_b32_e32 v31, 0
	s_mov_b32 s5, exec_lo
	s_delay_alu instid0(VALU_DEP_2)
	v_cmp_le_i64_e32 vcc_lo, s[24:25], v[27:28]
	v_cmpx_gt_i64_e64 s[24:25], v[27:28]
	s_cbranch_execz .LBB70_76
; %bb.78:                               ;   in Loop: Header=BB70_77 Depth=2
	global_load_u16 v31, v[25:26], off
	s_branch .LBB70_76
.LBB70_79:                              ;   in Loop: Header=BB70_33 Depth=1
                                        ; implicit-def: $vgpr8_vgpr9
                                        ; implicit-def: $vgpr4_vgpr5
	s_cbranch_execnz .LBB70_82
	s_branch .LBB70_91
.LBB70_80:                              ;   in Loop: Header=BB70_33 Depth=1
	s_or_b32 exec_lo, exec_lo, s9
.LBB70_81:                              ;   in Loop: Header=BB70_33 Depth=1
	s_delay_alu instid0(SALU_CYCLE_1)
	s_or_b32 exec_lo, exec_lo, s8
	s_branch .LBB70_91
.LBB70_82:                              ;   in Loop: Header=BB70_33 Depth=1
	global_load_u16 v8, v13, s[74:75]
	s_mov_b64 s[84:85], 0
	s_mov_b32 s83, exec_lo
	s_waitcnt vmcnt(0)
	v_readfirstlane_b32 s4, v8
	v_and_b32_e32 v27, 0xffff, v8
	s_delay_alu instid0(VALU_DEP_2) | instskip(NEXT) | instid1(SALU_CYCLE_1)
	s_and_b32 s4, 0xffff, s4
	s_lshl_b32 s72, s4, 2
	s_delay_alu instid0(SALU_CYCLE_1) | instskip(SKIP_1) | instid1(VALU_DEP_1)
	v_cvt_f32_u32_e32 v2, s72
	s_sub_i32 s5, 0, s72
	v_rcp_iflag_f32_e32 v2, v2
	s_waitcnt_depctr 0xfff
	v_mul_f32_e32 v2, 0x4f7ffffe, v2
	s_delay_alu instid0(VALU_DEP_1) | instskip(NEXT) | instid1(VALU_DEP_1)
	v_cvt_u32_f32_e32 v2, v2
	v_readfirstlane_b32 s4, v2
	v_mov_b32_e32 v2, 0
	v_mov_b32_e32 v3, 0
	s_delay_alu instid0(VALU_DEP_3) | instskip(NEXT) | instid1(VALU_DEP_1)
	s_mul_i32 s5, s5, s4
	v_dual_mov_b32 v5, v3 :: v_dual_mov_b32 v4, v2
	s_mul_hi_u32 s5, s4, s5
	v_dual_mov_b32 v7, v3 :: v_dual_mov_b32 v6, v2
	s_add_i32 s4, s4, s5
	v_dual_mov_b32 v9, v3 :: v_dual_mov_b32 v8, v2
	s_mul_hi_u32 s4, s82, s4
	s_delay_alu instid0(SALU_CYCLE_1) | instskip(NEXT) | instid1(SALU_CYCLE_1)
	s_mul_i32 s4, s4, s72
	s_sub_i32 s4, s82, s4
	s_delay_alu instid0(SALU_CYCLE_1) | instskip(SKIP_2) | instid1(SALU_CYCLE_1)
	s_sub_i32 s5, s4, s72
	s_cmp_ge_u32 s4, s72
	s_cselect_b32 s4, s5, s4
	s_sub_i32 s5, s4, s72
	s_cmp_ge_u32 s4, s72
	s_cselect_b32 s4, s5, s4
	s_delay_alu instid0(SALU_CYCLE_1) | instskip(NEXT) | instid1(SALU_CYCLE_1)
	s_sub_i32 s66, s82, s4
	v_cmpx_gt_u32_e64 s66, v16
	s_cbranch_execz .LBB70_86
; %bb.83:                               ;   in Loop: Header=BB70_33 Depth=1
	v_mov_b32_e32 v26, v17
	v_dual_mov_b32 v25, v16 :: v_dual_lshlrev_b32 v12, 3, v27
	v_mov_b32_e32 v28, v37
	s_and_b32 s44, s62, 0xfe
	s_mov_b32 s45, 0
	s_mov_b64 s[86:87], 0
	s_mov_b64 s[88:89], 0
	;; [unrolled: 1-line block ×3, first 2 shown]
.LBB70_84:                              ;   Parent Loop BB70_33 Depth=1
                                        ; =>  This Inner Loop Header: Depth=2
	ds_load_b64 v[2:3], v28
	v_add_co_u32 v25, s5, v25, s72
	s_delay_alu instid0(VALU_DEP_1) | instskip(NEXT) | instid1(VALU_DEP_1)
	v_add_co_ci_u32_e64 v26, s5, 0, v26, s5
	v_cmp_le_u64_e64 s5, s[66:67], v[25:26]
	s_waitcnt lgkmcnt(0)
	v_lshrrev_b32_e32 v4, 16, v2
	v_cmp_lt_i16_e32 vcc_lo, -1, v2
	v_lshlrev_b32_e32 v9, 16, v3
	v_lshrrev_b32_e32 v5, 16, v3
	v_and_b32_e32 v6, 0xffff, v2
	v_cmp_lt_i16_e64 s4, -1, v3
	v_and_b32_e32 v8, 0xffff, v3
	v_cmp_o_f32_e64 s6, v9, v9
	v_cndmask_b32_e32 v9, 0xffff, v43, vcc_lo
	v_cmp_lt_i16_e32 vcc_lo, -1, v4
	v_lshlrev_b32_e32 v7, 16, v2
	v_and_b32_e32 v2, 0xffff0000, v2
	v_and_b32_e32 v3, 0xffff0000, v3
	s_delay_alu instid0(VALU_DEP_2)
	v_cmp_o_f32_e64 s9, v2, v2
	v_cndmask_b32_e32 v2, 0xffff, v43, vcc_lo
	v_cmp_o_f32_e64 s7, v7, v7
	v_cndmask_b32_e64 v7, 0xffff, v43, s4
	v_cmp_lt_i16_e64 s4, -1, v5
	v_cmp_o_f32_e64 s8, v3, v3
	v_xor_b32_e32 v3, v9, v6
	v_xor_b32_e32 v2, v2, v4
	;; [unrolled: 1-line block ×3, first 2 shown]
	v_cndmask_b32_e64 v6, 0xffff, v43, s4
	s_delay_alu instid0(VALU_DEP_4) | instskip(NEXT) | instid1(VALU_DEP_4)
	v_cndmask_b32_e64 v3, 0xffff, v3, s7
	v_cndmask_b32_e64 v2, 0xffff, v2, s9
	s_delay_alu instid0(VALU_DEP_3) | instskip(SKIP_1) | instid1(VALU_DEP_4)
	v_xor_b32_e32 v4, v6, v5
	v_cndmask_b32_e64 v5, 0xffff, v7, s6
	v_and_b32_e32 v6, s58, v3
	v_bfe_u32 v3, v3, s44, 2
	s_delay_alu instid0(VALU_DEP_4) | instskip(NEXT) | instid1(VALU_DEP_4)
	v_cndmask_b32_e64 v4, 0xffff, v4, s8
	v_and_b32_e32 v7, s58, v5
	s_delay_alu instid0(VALU_DEP_4)
	v_cmp_eq_u32_e32 vcc_lo, s59, v6
	v_and_b32_e32 v6, s58, v2
	v_bfe_u32 v2, v2, s44, 2
	v_bfe_u32 v5, v5, s44, 2
	v_cmp_eq_u32_e64 s4, s59, v7
	v_and_b32_e32 v7, s58, v4
	v_bfe_u32 v4, v4, s44, 2
	v_cmp_eq_u32_e64 s6, 0, v3
	v_cmp_eq_u32_e64 s14, s59, v6
	;; [unrolled: 1-line block ×6, first 2 shown]
	s_and_b32 s22, vcc_lo, s6
	s_and_b32 s16, s14, s16
	s_and_b32 s23, s4, s7
	v_cmp_eq_u32_e64 s6, 1, v2
	v_cmp_eq_u32_e64 s7, 1, v4
	;; [unrolled: 1-line block ×6, first 2 shown]
	v_cndmask_b32_e64 v2, 0, 1, s22
	v_cndmask_b32_e64 v4, 0, 1, s16
	v_cmp_eq_u32_e64 s8, 1, v3
	v_cmp_eq_u32_e64 s10, 2, v3
	;; [unrolled: 1-line block ×3, first 2 shown]
	v_cndmask_b32_e64 v3, 0, 1, s23
	s_and_b32 s17, s15, s17
	v_cmp_eq_u32_e64 s9, 1, v5
	v_cmp_eq_u32_e64 s11, 2, v5
	;; [unrolled: 1-line block ×3, first 2 shown]
	v_cndmask_b32_e64 v5, 0, 1, s17
	v_cmp_ne_u32_e64 s16, 0, v2
	v_cmp_ne_u32_e64 s22, 0, v4
	;; [unrolled: 1-line block ×3, first 2 shown]
	s_delay_alu instid0(VALU_DEP_4) | instskip(NEXT) | instid1(VALU_DEP_4)
	v_cmp_ne_u32_e64 s23, 0, v5
	s_bcnt1_i32_b32 s16, s16
	s_delay_alu instid0(VALU_DEP_3) | instskip(NEXT) | instid1(VALU_DEP_2)
	s_bcnt1_i32_b32 s22, s22
	s_bcnt1_i32_b32 s17, s17
	s_add_i32 s16, s22, s16
	s_bcnt1_i32_b32 s23, s23
	s_add_i32 s16, s16, s17
	s_delay_alu instid0(SALU_CYCLE_1) | instskip(NEXT) | instid1(SALU_CYCLE_1)
	s_add_i32 s16, s16, s23
	s_add_u32 s90, s90, s16
	s_addc_u32 s91, s91, 0
	s_and_b32 s8, vcc_lo, s8
	s_and_b32 s6, s14, s6
	s_and_b32 s9, s4, s9
	v_cndmask_b32_e64 v2, 0, 1, s8
	v_cndmask_b32_e64 v3, 0, 1, s6
	s_and_b32 s7, s15, s7
	v_cndmask_b32_e64 v4, 0, 1, s9
	v_cndmask_b32_e64 v5, 0, 1, s7
	v_cmp_ne_u32_e64 s6, 0, v2
	v_cmp_ne_u32_e64 s7, 0, v3
	s_delay_alu instid0(VALU_DEP_4) | instskip(NEXT) | instid1(VALU_DEP_4)
	v_cmp_ne_u32_e64 s8, 0, v4
	v_cmp_ne_u32_e64 s9, 0, v5
	s_delay_alu instid0(VALU_DEP_4) | instskip(NEXT) | instid1(VALU_DEP_3)
	s_bcnt1_i32_b32 s6, s6
	s_bcnt1_i32_b32 s7, s7
	s_delay_alu instid0(VALU_DEP_2) | instskip(SKIP_3) | instid1(SALU_CYCLE_1)
	s_bcnt1_i32_b32 s8, s8
	s_add_i32 s6, s7, s6
	s_bcnt1_i32_b32 s9, s9
	s_add_i32 s6, s6, s8
	s_add_i32 s6, s6, s9
	s_delay_alu instid0(SALU_CYCLE_1)
	s_add_u32 s88, s88, s6
	s_addc_u32 s89, s89, 0
	s_and_b32 s6, vcc_lo, s10
	s_and_b32 s7, s14, s18
	s_and_b32 s8, s4, s11
	v_cndmask_b32_e64 v2, 0, 1, s6
	v_cndmask_b32_e64 v3, 0, 1, s7
	s_and_b32 s9, s15, s19
	v_cndmask_b32_e64 v4, 0, 1, s8
	v_cndmask_b32_e64 v5, 0, 1, s9
	v_cmp_ne_u32_e64 s6, 0, v2
	v_cmp_ne_u32_e64 s7, 0, v3
	s_delay_alu instid0(VALU_DEP_4) | instskip(NEXT) | instid1(VALU_DEP_4)
	v_cmp_ne_u32_e64 s8, 0, v4
	v_cmp_ne_u32_e64 s9, 0, v5
	s_delay_alu instid0(VALU_DEP_4) | instskip(NEXT) | instid1(VALU_DEP_3)
	s_bcnt1_i32_b32 s6, s6
	s_bcnt1_i32_b32 s7, s7
	s_delay_alu instid0(VALU_DEP_2) | instskip(SKIP_3) | instid1(SALU_CYCLE_1)
	s_bcnt1_i32_b32 s8, s8
	s_add_i32 s6, s7, s6
	s_bcnt1_i32_b32 s9, s9
	s_add_i32 s6, s6, s8
	s_add_i32 s6, s6, s9
	s_delay_alu instid0(SALU_CYCLE_1)
	s_add_u32 s86, s86, s6
	s_addc_u32 s87, s87, 0
	s_and_b32 s6, vcc_lo, s12
	s_and_b32 s7, s14, s20
	s_and_b32 s4, s4, s13
	v_cndmask_b32_e64 v2, 0, 1, s6
	v_cndmask_b32_e64 v3, 0, 1, s7
	s_and_b32 s8, s15, s21
	v_cndmask_b32_e64 v4, 0, 1, s4
	v_cndmask_b32_e64 v5, 0, 1, s8
	v_cmp_ne_u32_e32 vcc_lo, 0, v2
	v_cmp_ne_u32_e64 s4, 0, v3
	v_mov_b32_e32 v2, s90
	v_cmp_ne_u32_e64 s6, 0, v4
	v_cmp_ne_u32_e64 s7, 0, v5
	s_bcnt1_i32_b32 s8, vcc_lo
	s_bcnt1_i32_b32 s4, s4
	v_mov_b32_e32 v4, s88
	s_bcnt1_i32_b32 s6, s6
	s_add_i32 s4, s4, s8
	s_bcnt1_i32_b32 s7, s7
	s_add_i32 s4, s4, s6
	v_mov_b32_e32 v6, s86
	s_add_i32 s4, s4, s7
	v_dual_mov_b32 v7, s87 :: v_dual_add_nc_u32 v28, v28, v12
	s_add_u32 s84, s84, s4
	s_addc_u32 s85, s85, 0
	v_dual_mov_b32 v8, s84 :: v_dual_mov_b32 v3, s91
	v_mov_b32_e32 v5, s89
	v_mov_b32_e32 v9, s85
	s_or_b32 s45, s5, s45
	s_delay_alu instid0(SALU_CYCLE_1)
	s_and_not1_b32 exec_lo, exec_lo, s45
	s_cbranch_execnz .LBB70_84
; %bb.85:                               ;   in Loop: Header=BB70_33 Depth=1
	s_or_b32 exec_lo, exec_lo, s45
.LBB70_86:                              ;   in Loop: Header=BB70_33 Depth=1
	s_delay_alu instid0(SALU_CYCLE_1) | instskip(SKIP_2) | instid1(VALU_DEP_1)
	s_or_b32 exec_lo, exec_lo, s83
	v_add_nc_u32_e32 v12, s66, v0
	s_mov_b32 s9, exec_lo
	v_cmpx_gt_u32_e64 s82, v12
	s_cbranch_execz .LBB70_90
; %bb.87:                               ;   in Loop: Header=BB70_33 Depth=1
	v_dual_mov_b32 v26, v13 :: v_dual_lshlrev_b32 v29, 1, v27
	v_dual_mov_b32 v25, v12 :: v_dual_lshlrev_b32 v28, 1, v12
	s_mov_b32 s11, 0
	s_and_b32 s10, s82, 0x7fffffff
	s_and_b32 s13, s62, 0xfe
	s_mov_b32 s12, s11
.LBB70_88:                              ;   Parent Loop BB70_33 Depth=1
                                        ; =>  This Inner Loop Header: Depth=2
	ds_load_u16 v12, v28
	v_add_co_u32 v25, vcc_lo, v25, v27
	v_add_co_ci_u32_e32 v26, vcc_lo, 0, v26, vcc_lo
	v_add_nc_u32_e32 v28, v28, v29
	s_delay_alu instid0(VALU_DEP_2) | instskip(SKIP_4) | instid1(VALU_DEP_3)
	v_cmp_le_u64_e32 vcc_lo, s[10:11], v[25:26]
	s_waitcnt lgkmcnt(0)
	v_cmp_lt_i16_e64 s4, -1, v12
	v_and_b32_e32 v30, 0xffff, v12
	v_lshlrev_b32_e32 v12, 16, v12
	v_cndmask_b32_e64 v31, 0xffff, v43, s4
	s_delay_alu instid0(VALU_DEP_2) | instskip(NEXT) | instid1(VALU_DEP_2)
	v_cmp_o_f32_e64 s4, v12, v12
	v_xor_b32_e32 v30, v31, v30
	s_delay_alu instid0(VALU_DEP_1) | instskip(NEXT) | instid1(VALU_DEP_1)
	v_cndmask_b32_e64 v12, 0xffff, v30, s4
	v_and_b32_e32 v30, s58, v12
	v_bfe_u32 v12, v12, s13, 2
	s_delay_alu instid0(VALU_DEP_2) | instskip(NEXT) | instid1(VALU_DEP_2)
	v_cmp_eq_u32_e64 s4, s59, v30
	v_cmp_eq_u32_e64 s5, 0, v12
	;; [unrolled: 1-line block ×5, first 2 shown]
	s_delay_alu instid0(VALU_DEP_4) | instskip(NEXT) | instid1(SALU_CYCLE_1)
	s_and_b32 s5, s4, s5
	v_cndmask_b32_e64 v12, 0, 1, s5
	s_and_b32 s5, s4, s6
	s_delay_alu instid0(SALU_CYCLE_1)
	v_cndmask_b32_e64 v30, 0, 1, s5
	s_and_b32 s5, s4, s7
	s_and_b32 s4, s4, s8
	v_cndmask_b32_e64 v31, 0, 1, s5
	v_cndmask_b32_e64 v32, 0, 1, s4
	v_cmp_ne_u32_e64 s4, 0, v12
	v_cmp_ne_u32_e64 s5, 0, v30
	s_delay_alu instid0(VALU_DEP_4) | instskip(NEXT) | instid1(VALU_DEP_4)
	v_cmp_ne_u32_e64 s6, 0, v31
	v_cmp_ne_u32_e64 s7, 0, v32
	s_delay_alu instid0(VALU_DEP_4) | instskip(NEXT) | instid1(VALU_DEP_3)
	s_bcnt1_i32_b32 s4, s4
	s_bcnt1_i32_b32 s5, s5
	v_add_co_u32 v2, s4, v2, s4
	s_delay_alu instid0(VALU_DEP_1)
	v_add_co_ci_u32_e64 v3, s4, 0, v3, s4
	v_add_co_u32 v4, s4, v4, s5
	s_bcnt1_i32_b32 s6, s6
	v_add_co_ci_u32_e64 v5, s4, 0, v5, s4
	v_add_co_u32 v6, s4, v6, s6
	s_bcnt1_i32_b32 s7, s7
	v_add_co_ci_u32_e64 v7, s4, 0, v7, s4
	v_add_co_u32 v8, s4, v8, s7
	s_delay_alu instid0(VALU_DEP_1) | instskip(SKIP_1) | instid1(SALU_CYCLE_1)
	v_add_co_ci_u32_e64 v9, s4, 0, v9, s4
	s_or_b32 s12, vcc_lo, s12
	s_and_not1_b32 exec_lo, exec_lo, s12
	s_cbranch_execnz .LBB70_88
; %bb.89:                               ;   in Loop: Header=BB70_33 Depth=1
	s_or_b32 exec_lo, exec_lo, s12
.LBB70_90:                              ;   in Loop: Header=BB70_33 Depth=1
	s_delay_alu instid0(SALU_CYCLE_1)
	s_or_b32 exec_lo, exec_lo, s9
.LBB70_91:                              ;   in Loop: Header=BB70_33 Depth=1
	s_lshl_b32 s4, s64, 7
	s_and_saveexec_b32 s5, s2
	s_cbranch_execz .LBB70_93
; %bb.92:                               ;   in Loop: Header=BB70_33 Depth=1
	v_or_b32_e32 v12, s4, v36
	s_delay_alu instid0(VALU_DEP_1)
	v_lshlrev_b32_e32 v12, 3, v12
	ds_store_b128 v12, v[2:5] offset:3072
	ds_store_b128 v12, v[6:9] offset:3088
.LBB70_93:                              ;   in Loop: Header=BB70_33 Depth=1
	s_or_b32 exec_lo, exec_lo, s5
	s_waitcnt vmcnt(0) lgkmcnt(0)
	s_barrier
	buffer_gl0_inv
	s_and_saveexec_b32 s5, s35
	s_cbranch_execz .LBB70_104
; %bb.94:                               ;   in Loop: Header=BB70_33 Depth=1
	v_mov_b32_e32 v2, 0
	v_mov_b32_e32 v3, 0
	s_and_not1_b32 vcc_lo, exec_lo, s99
	s_cbranch_vccnz .LBB70_103
; %bb.95:                               ;   in Loop: Header=BB70_33 Depth=1
	v_mov_b32_e32 v2, 0
	v_mov_b32_e32 v3, 0
	s_and_not1_b32 vcc_lo, exec_lo, s97
	s_cbranch_vccnz .LBB70_100
; %bb.96:                               ;   in Loop: Header=BB70_33 Depth=1
	v_lshl_add_u32 v4, s64, 10, v42
	s_mov_b32 s6, 0
	s_set_inst_prefetch_distance 0x1
	.p2align	6
.LBB70_97:                              ;   Parent Loop BB70_33 Depth=1
                                        ; =>  This Inner Loop Header: Depth=2
	ds_load_2addr_b64 v[5:8], v4 offset1:4
	ds_load_2addr_b64 v[25:28], v4 offset0:8 offset1:12
	ds_load_2addr_b64 v[29:32], v4 offset0:16 offset1:20
	s_add_i32 s6, s6, 8
	s_delay_alu instid0(SALU_CYCLE_1) | instskip(SKIP_3) | instid1(VALU_DEP_2)
	s_cmp_eq_u32 s98, s6
	s_waitcnt lgkmcnt(2)
	v_add_co_u32 v2, vcc_lo, v5, v2
	v_add_co_ci_u32_e32 v3, vcc_lo, v6, v3, vcc_lo
	v_add_co_u32 v2, vcc_lo, v7, v2
	s_delay_alu instid0(VALU_DEP_2)
	v_add_co_ci_u32_e32 v3, vcc_lo, v8, v3, vcc_lo
	ds_load_2addr_b64 v[5:8], v4 offset0:24 offset1:28
	s_waitcnt lgkmcnt(2)
	v_add_co_u32 v2, vcc_lo, v25, v2
	v_add_co_ci_u32_e32 v3, vcc_lo, v26, v3, vcc_lo
	v_add_nc_u32_e32 v4, 0x100, v4
	s_delay_alu instid0(VALU_DEP_3) | instskip(NEXT) | instid1(VALU_DEP_3)
	v_add_co_u32 v2, vcc_lo, v27, v2
	v_add_co_ci_u32_e32 v3, vcc_lo, v28, v3, vcc_lo
	s_waitcnt lgkmcnt(1)
	s_delay_alu instid0(VALU_DEP_2) | instskip(NEXT) | instid1(VALU_DEP_2)
	v_add_co_u32 v2, vcc_lo, v29, v2
	v_add_co_ci_u32_e32 v3, vcc_lo, v30, v3, vcc_lo
	s_delay_alu instid0(VALU_DEP_2) | instskip(NEXT) | instid1(VALU_DEP_2)
	v_add_co_u32 v2, vcc_lo, v31, v2
	v_add_co_ci_u32_e32 v3, vcc_lo, v32, v3, vcc_lo
	s_waitcnt lgkmcnt(0)
	s_delay_alu instid0(VALU_DEP_2) | instskip(NEXT) | instid1(VALU_DEP_2)
	v_add_co_u32 v2, vcc_lo, v5, v2
	v_add_co_ci_u32_e32 v3, vcc_lo, v6, v3, vcc_lo
	s_delay_alu instid0(VALU_DEP_2) | instskip(NEXT) | instid1(VALU_DEP_2)
	v_add_co_u32 v2, vcc_lo, v7, v2
	v_add_co_ci_u32_e32 v3, vcc_lo, v8, v3, vcc_lo
	s_cbranch_scc0 .LBB70_97
; %bb.98:                               ;   in Loop: Header=BB70_33 Depth=1
	s_set_inst_prefetch_distance 0x2
	s_mov_b32 s6, s98
	s_and_not1_b32 vcc_lo, exec_lo, s100
	s_cbranch_vccz .LBB70_101
	s_branch .LBB70_103
.LBB70_99:                              ;   in Loop: Header=BB70_33 Depth=1
                                        ; implicit-def: $vgpr25_vgpr26
	s_branch .LBB70_67
.LBB70_100:                             ;   in Loop: Header=BB70_33 Depth=1
	s_mov_b32 s6, 0
	s_and_not1_b32 vcc_lo, exec_lo, s100
	s_cbranch_vccnz .LBB70_103
.LBB70_101:                             ;   in Loop: Header=BB70_33 Depth=1
	s_lshl_b32 s7, s64, 10
	s_lshl_b32 s6, s6, 5
	s_delay_alu instid0(SALU_CYCLE_1)
	v_add3_u32 v4, s7, s6, v42
	s_mov_b32 s6, s96
.LBB70_102:                             ;   Parent Loop BB70_33 Depth=1
                                        ; =>  This Inner Loop Header: Depth=2
	ds_load_b64 v[5:6], v4
	v_add_nc_u32_e32 v4, 32, v4
	s_add_i32 s6, s6, -1
	s_delay_alu instid0(SALU_CYCLE_1)
	s_cmp_lg_u32 s6, 0
	s_waitcnt lgkmcnt(0)
	v_add_co_u32 v2, vcc_lo, v5, v2
	v_add_co_ci_u32_e32 v3, vcc_lo, v6, v3, vcc_lo
	s_cbranch_scc1 .LBB70_102
.LBB70_103:                             ;   in Loop: Header=BB70_33 Depth=1
	v_add_lshl_u32 v4, s4, v33, 3
	ds_store_b64 v4, v[2:3] offset:3072
.LBB70_104:                             ;   in Loop: Header=BB70_33 Depth=1
	s_or_b32 exec_lo, exec_lo, s5
	s_lshl_b32 s4, s4, 3
	s_waitcnt lgkmcnt(0)
	v_mov_b32_e32 v6, s4
	s_barrier
	buffer_gl0_inv
	s_and_b32 s17, s62, 0xfe
	s_mov_b32 s19, -1
	ds_load_b128 v[2:5], v6 offset:3072
	ds_load_b128 v[6:9], v6 offset:3088
	s_lshl_b32 s16, 3, s17
	s_delay_alu instid0(SALU_CYCLE_1)
	s_not_b32 s18, s16
	s_waitcnt lgkmcnt(1)
	v_readfirstlane_b32 s13, v3
	v_readfirstlane_b32 s12, v2
	;; [unrolled: 1-line block ×4, first 2 shown]
	s_waitcnt lgkmcnt(0)
	v_readfirstlane_b32 s8, v6
	v_readfirstlane_b32 s9, v7
	s_cmp_eq_u64 s[12:13], 1
	v_readfirstlane_b32 s6, v8
	s_cselect_b32 s4, -1, 0
	s_cmp_eq_u64 s[26:27], 1
	v_readfirstlane_b32 s7, v9
	s_cselect_b32 s5, -1, 0
	s_delay_alu instid0(SALU_CYCLE_1) | instskip(NEXT) | instid1(SALU_CYCLE_1)
	s_and_b32 s20, s4, s5
	s_and_b32 vcc_lo, exec_lo, s20
	s_cbranch_vccz .LBB70_119
; %bb.105:                              ;   in Loop: Header=BB70_33 Depth=1
	ds_load_b64 v[2:3], v13 offset:5120
	s_waitcnt lgkmcnt(0)
	s_barrier
	buffer_gl0_inv
	v_readfirstlane_b32 s14, v2
	v_readfirstlane_b32 s15, v3
	s_and_saveexec_b32 s4, s3
	s_cbranch_execz .LBB70_107
; %bb.106:                              ;   in Loop: Header=BB70_33 Depth=1
	ds_store_b16 v35, v13
.LBB70_107:                             ;   in Loop: Header=BB70_33 Depth=1
	s_or_b32 exec_lo, exec_lo, s4
	s_delay_alu instid0(VALU_DEP_1)
	v_cmp_lt_i64_e64 s4, s[14:15], 1
	s_and_b32 s59, s59, s18
	s_or_b32 s58, s58, s16
	s_waitcnt lgkmcnt(0)
	s_barrier
	buffer_gl0_inv
	s_and_b32 vcc_lo, exec_lo, s4
	s_cbranch_vccz .LBB70_120
; %bb.108:                              ;   in Loop: Header=BB70_33 Depth=1
	s_mov_b32 s72, s67
	s_delay_alu instid0(SALU_CYCLE_1)
	s_cmp_lg_u64 s[72:73], 0
	s_cbranch_scc0 .LBB70_165
; %bb.109:                              ;   in Loop: Header=BB70_33 Depth=1
	v_cvt_f32_u32_e32 v2, s33
	s_sub_u32 s21, 0, s33
	s_subb_u32 s22, 0, 0
	s_delay_alu instid0(VALU_DEP_1) | instskip(NEXT) | instid1(VALU_DEP_1)
	v_fmac_f32_e32 v2, 0x4f800000, v44
	v_rcp_f32_e32 v2, v2
	s_waitcnt_depctr 0xfff
	v_mul_f32_e32 v2, 0x5f7ffffc, v2
	s_delay_alu instid0(VALU_DEP_1) | instskip(NEXT) | instid1(VALU_DEP_1)
	v_mul_f32_e32 v3, 0x2f800000, v2
	v_trunc_f32_e32 v3, v3
	s_delay_alu instid0(VALU_DEP_1) | instskip(SKIP_1) | instid1(VALU_DEP_2)
	v_fmac_f32_e32 v2, 0xcf800000, v3
	v_cvt_u32_f32_e32 v3, v3
	v_cvt_u32_f32_e32 v2, v2
	s_delay_alu instid0(VALU_DEP_2) | instskip(NEXT) | instid1(VALU_DEP_2)
	v_readfirstlane_b32 s4, v3
	v_readfirstlane_b32 s5, v2
	s_delay_alu instid0(VALU_DEP_2) | instskip(NEXT) | instid1(VALU_DEP_1)
	s_mul_i32 s23, s21, s4
	s_mul_hi_u32 s45, s21, s5
	s_mul_i32 s44, s22, s5
	s_add_i32 s23, s45, s23
	s_mul_i32 s46, s21, s5
	s_add_i32 s23, s23, s44
	s_mul_hi_u32 s45, s5, s46
	s_mul_hi_u32 s47, s4, s46
	s_mul_i32 s44, s4, s46
	s_mul_hi_u32 s46, s5, s23
	s_mul_i32 s5, s5, s23
	s_mul_hi_u32 s66, s4, s23
	s_add_u32 s5, s45, s5
	s_addc_u32 s45, 0, s46
	s_add_u32 s5, s5, s44
	s_mul_i32 s23, s4, s23
	s_addc_u32 s5, s45, s47
	s_addc_u32 s44, s66, 0
	s_add_u32 s5, s5, s23
	s_addc_u32 s23, 0, s44
	v_add_co_u32 v2, s5, v2, s5
	s_delay_alu instid0(VALU_DEP_1) | instskip(SKIP_1) | instid1(VALU_DEP_1)
	s_cmp_lg_u32 s5, 0
	s_addc_u32 s4, s4, s23
	v_readfirstlane_b32 s5, v2
	s_mul_i32 s23, s21, s4
	s_delay_alu instid0(VALU_DEP_1)
	s_mul_hi_u32 s44, s21, s5
	s_mul_i32 s22, s22, s5
	s_add_i32 s23, s44, s23
	s_mul_i32 s21, s21, s5
	s_add_i32 s23, s23, s22
	s_mul_hi_u32 s44, s4, s21
	s_mul_i32 s45, s4, s21
	s_mul_hi_u32 s21, s5, s21
	s_mul_hi_u32 s46, s5, s23
	s_mul_i32 s5, s5, s23
	s_mul_hi_u32 s22, s4, s23
	s_add_u32 s5, s21, s5
	s_addc_u32 s21, 0, s46
	s_add_u32 s5, s5, s45
	s_mul_i32 s23, s4, s23
	s_addc_u32 s5, s21, s44
	s_addc_u32 s21, s22, 0
	s_add_u32 s5, s5, s23
	s_addc_u32 s21, 0, s21
	v_add_co_u32 v2, s5, v2, s5
	s_delay_alu instid0(VALU_DEP_1) | instskip(SKIP_2) | instid1(VALU_DEP_1)
	s_cmp_lg_u32 s5, 0
	s_addc_u32 s21, s4, s21
	s_ashr_i32 s22, s73, 31
	v_readfirstlane_b32 s44, v2
	s_add_u32 s4, s95, s22
	s_mov_b32 s23, s22
	s_addc_u32 s5, s73, s22
	s_delay_alu instid0(SALU_CYCLE_1) | instskip(NEXT) | instid1(SALU_CYCLE_1)
	s_xor_b64 s[4:5], s[4:5], s[22:23]
	s_mul_i32 s45, s4, s21
	s_mul_hi_u32 s46, s4, s44
	s_mul_hi_u32 s23, s4, s21
	;; [unrolled: 1-line block ×3, first 2 shown]
	s_mul_i32 s44, s5, s44
	s_add_u32 s45, s46, s45
	s_addc_u32 s23, 0, s23
	s_mul_hi_u32 s47, s5, s21
	s_add_u32 s44, s45, s44
	s_mul_i32 s21, s5, s21
	s_addc_u32 s23, s23, s66
	s_addc_u32 s44, s47, 0
	s_add_u32 s21, s23, s21
	s_addc_u32 s23, 0, s44
	s_mul_hi_u32 s44, s33, s21
	s_mul_i32 s21, s33, s21
	s_mul_i32 s23, s33, s23
	v_sub_co_u32 v2, s4, s4, s21
	s_add_i32 s44, s44, s23
	s_cmp_lg_u32 s4, 0
	s_delay_alu instid0(VALU_DEP_1) | instskip(SKIP_2) | instid1(VALU_DEP_1)
	v_sub_co_u32 v3, s4, v2, s33
	s_subb_u32 s5, s5, s44
	s_cmp_lg_u32 s4, 0
	v_cmp_le_u32_e32 vcc_lo, s33, v3
	v_sub_co_u32 v4, s4, v3, s33
	s_subb_u32 s21, s5, 0
	s_cmp_lg_u32 s4, 0
	v_cmp_le_u32_e64 s4, s33, v2
	s_subb_u32 s23, s21, 0
	v_cndmask_b32_e64 v5, 0, -1, vcc_lo
	s_cmp_eq_u32 s21, 0
	s_cselect_b32 vcc_lo, -1, 0
	v_cndmask_b32_e64 v6, 0, -1, s4
	s_delay_alu instid0(VALU_DEP_2) | instskip(SKIP_2) | instid1(VALU_DEP_1)
	v_cndmask_b32_e32 v5, -1, v5, vcc_lo
	s_cmp_eq_u32 s5, 0
	s_cselect_b32 vcc_lo, -1, 0
	v_cmp_ne_u32_e64 s4, 0, v5
	v_dual_cndmask_b32 v5, -1, v6 :: v_dual_mov_b32 v6, s23
	s_delay_alu instid0(VALU_DEP_2) | instskip(NEXT) | instid1(VALU_DEP_2)
	v_cndmask_b32_e64 v3, v3, v4, s4
	v_cmp_ne_u32_e32 vcc_lo, 0, v5
	s_delay_alu instid0(VALU_DEP_3) | instskip(NEXT) | instid1(VALU_DEP_3)
	v_cndmask_b32_e64 v4, s21, v6, s4
	v_cndmask_b32_e32 v2, v2, v3, vcc_lo
	s_delay_alu instid0(VALU_DEP_2) | instskip(NEXT) | instid1(VALU_DEP_2)
	v_cndmask_b32_e32 v3, s5, v4, vcc_lo
	v_xor_b32_e32 v2, s22, v2
	s_delay_alu instid0(VALU_DEP_2) | instskip(NEXT) | instid1(VALU_DEP_2)
	v_xor_b32_e32 v3, s22, v3
	v_sub_co_u32 v2, vcc_lo, v2, s22
	s_delay_alu instid0(VALU_DEP_2)
	v_subrev_co_ci_u32_e32 v3, vcc_lo, s22, v3, vcc_lo
	s_cbranch_execnz .LBB70_111
.LBB70_110:                             ;   in Loop: Header=BB70_33 Depth=1
	v_cvt_f32_u32_e32 v2, s33
	s_sub_i32 s4, 0, s33
	s_delay_alu instid0(VALU_DEP_1) | instskip(SKIP_2) | instid1(VALU_DEP_1)
	v_rcp_iflag_f32_e32 v2, v2
	s_waitcnt_depctr 0xfff
	v_mul_f32_e32 v2, 0x4f7ffffe, v2
	v_cvt_u32_f32_e32 v2, v2
	s_delay_alu instid0(VALU_DEP_1) | instskip(NEXT) | instid1(VALU_DEP_1)
	v_mul_lo_u32 v3, s4, v2
	v_mul_hi_u32 v3, v2, v3
	s_delay_alu instid0(VALU_DEP_1) | instskip(NEXT) | instid1(VALU_DEP_1)
	v_add_nc_u32_e32 v2, v2, v3
	v_mul_hi_u32 v2, s95, v2
	s_delay_alu instid0(VALU_DEP_1) | instskip(NEXT) | instid1(VALU_DEP_1)
	v_mul_lo_u32 v2, v2, s33
	v_sub_nc_u32_e32 v2, s95, v2
	s_delay_alu instid0(VALU_DEP_1) | instskip(SKIP_1) | instid1(VALU_DEP_2)
	v_subrev_nc_u32_e32 v3, s33, v2
	v_cmp_le_u32_e32 vcc_lo, s33, v2
	v_cndmask_b32_e32 v2, v2, v3, vcc_lo
	s_delay_alu instid0(VALU_DEP_1) | instskip(SKIP_1) | instid1(VALU_DEP_2)
	v_subrev_nc_u32_e32 v3, s33, v2
	v_cmp_le_u32_e32 vcc_lo, s33, v2
	v_cndmask_b32_e32 v12, v2, v3, vcc_lo
	s_delay_alu instid0(VALU_DEP_1)
	v_dual_mov_b32 v2, v12 :: v_dual_mov_b32 v3, v13
.LBB70_111:                             ;   in Loop: Header=BB70_33 Depth=1
	s_delay_alu instid0(VALU_DEP_1) | instskip(NEXT) | instid1(VALU_DEP_2)
	v_sub_co_u32 v2, vcc_lo, s95, v2
	v_sub_co_ci_u32_e32 v3, vcc_lo, s73, v3, vcc_lo
	s_mov_b32 s4, 0
	s_mov_b32 s5, exec_lo
                                        ; implicit-def: $vgpr45
	s_delay_alu instid0(VALU_DEP_1)
	v_cmpx_gt_i64_e64 v[2:3], v[0:1]
	s_cbranch_execz .LBB70_122
; %bb.112:                              ;   in Loop: Header=BB70_33 Depth=1
	v_dual_mov_b32 v4, v10 :: v_dual_mov_b32 v5, v11
	v_dual_mov_b32 v7, v1 :: v_dual_mov_b32 v6, v0
	s_mov_b32 s21, 0
                                        ; implicit-def: $sgpr22
	s_branch .LBB70_114
.LBB70_113:                             ;   in Loop: Header=BB70_114 Depth=2
	s_or_b32 exec_lo, exec_lo, s4
	s_waitcnt vmcnt(0) lgkmcnt(0)
	s_barrier
	buffer_gl0_inv
	ds_load_b32 v8, v13 offset:3072
	v_add_co_u32 v6, vcc_lo, v6, s33
	v_add_co_ci_u32_e32 v7, vcc_lo, 0, v7, vcc_lo
	s_waitcnt lgkmcnt(0)
	s_barrier
	buffer_gl0_inv
	v_cmp_ge_i64_e32 vcc_lo, v[6:7], v[2:3]
	v_and_b32_e32 v9, 0x7fff, v8
	s_delay_alu instid0(VALU_DEP_1) | instskip(NEXT) | instid1(VALU_DEP_1)
	v_cmp_ne_u16_e64 s4, 0, v9
	s_or_b32 s23, s4, vcc_lo
	v_add_co_u32 v4, vcc_lo, v4, s68
	s_and_b32 s23, exec_lo, s23
	v_add_co_ci_u32_e32 v5, vcc_lo, s69, v5, vcc_lo
	s_or_b32 s21, s23, s21
	s_and_not1_b32 s22, s22, exec_lo
	s_and_b32 s4, s4, exec_lo
	s_delay_alu instid0(SALU_CYCLE_1)
	s_or_b32 s22, s22, s4
	s_and_not1_b32 exec_lo, exec_lo, s21
	s_cbranch_execz .LBB70_121
.LBB70_114:                             ;   Parent Loop BB70_33 Depth=1
                                        ; =>  This Inner Loop Header: Depth=2
	s_delay_alu instid0(VALU_DEP_1)
	v_cmp_gt_i64_e32 vcc_lo, s[24:25], v[6:7]
	v_mov_b32_e32 v8, 0
	s_and_saveexec_b32 s4, vcc_lo
	s_cbranch_execz .LBB70_116
; %bb.115:                              ;   in Loop: Header=BB70_114 Depth=2
	global_load_u16 v8, v[4:5], off
.LBB70_116:                             ;   in Loop: Header=BB70_114 Depth=2
	s_or_b32 exec_lo, exec_lo, s4
	s_and_saveexec_b32 s4, vcc_lo
	s_cbranch_execz .LBB70_113
; %bb.117:                              ;   in Loop: Header=BB70_114 Depth=2
	s_waitcnt vmcnt(0)
	v_cmp_lt_i16_e32 vcc_lo, -1, v8
	v_and_b32_e32 v9, 0xffff, v8
	v_dual_cndmask_b32 v12, 0xffff, v43 :: v_dual_lshlrev_b32 v25, 16, v8
	s_delay_alu instid0(VALU_DEP_1) | instskip(NEXT) | instid1(VALU_DEP_2)
	v_cmp_o_f32_e32 vcc_lo, v25, v25
	v_xor_b32_e32 v9, v12, v9
	s_delay_alu instid0(VALU_DEP_1) | instskip(NEXT) | instid1(VALU_DEP_1)
	v_cndmask_b32_e32 v9, 0xffff, v9, vcc_lo
	v_and_b32_e32 v9, s58, v9
	s_delay_alu instid0(VALU_DEP_1)
	v_cmp_eq_u32_e32 vcc_lo, s59, v9
	s_and_b32 exec_lo, exec_lo, vcc_lo
	s_cbranch_execz .LBB70_113
; %bb.118:                              ;   in Loop: Header=BB70_114 Depth=2
	v_perm_b32 v8, v8, s102, 0x5040100
	ds_store_b32 v13, v8 offset:3072
	s_branch .LBB70_113
.LBB70_119:                             ;   in Loop: Header=BB70_33 Depth=1
	s_mov_b32 s4, -1
                                        ; implicit-def: $sgpr5
                                        ; implicit-def: $sgpr22
                                        ; implicit-def: $sgpr21
	s_branch .LBB70_136
.LBB70_120:                             ;   in Loop: Header=BB70_33 Depth=1
	s_mov_b32 s5, -1
	s_mov_b32 s4, 0
                                        ; implicit-def: $sgpr21
                                        ; implicit-def: $vgpr45
	s_mov_b32 s22, s5
	s_cbranch_execnz .LBB70_123
	s_branch .LBB70_136
.LBB70_121:                             ;   in Loop: Header=BB70_33 Depth=1
	s_or_b32 exec_lo, exec_lo, s21
	v_lshrrev_b32_e32 v45, 16, v8
	s_and_b32 s4, s22, exec_lo
.LBB70_122:                             ;   in Loop: Header=BB70_33 Depth=1
	s_or_b32 exec_lo, exec_lo, s5
	s_mov_b32 s21, -1
	s_mov_b32 s5, 0
	s_delay_alu instid0(SALU_CYCLE_1)
	s_mov_b32 s22, s5
	s_branch .LBB70_136
.LBB70_123:                             ;   in Loop: Header=BB70_33 Depth=1
	s_add_u32 s21, s93, s14
	s_addc_u32 s5, s94, s15
	s_mov_b32 s4, s67
	s_delay_alu instid0(SALU_CYCLE_1)
	s_cmp_lg_u64 s[4:5], 0
	s_cbranch_scc0 .LBB70_166
; %bb.124:                              ;   in Loop: Header=BB70_33 Depth=1
	v_cvt_f32_u32_e32 v2, s33
	s_sub_u32 s23, 0, s33
	s_subb_u32 s44, 0, 0
	s_delay_alu instid0(VALU_DEP_1) | instskip(NEXT) | instid1(VALU_DEP_1)
	v_fmac_f32_e32 v2, 0x4f800000, v44
	v_rcp_f32_e32 v2, v2
	s_waitcnt_depctr 0xfff
	v_mul_f32_e32 v2, 0x5f7ffffc, v2
	s_delay_alu instid0(VALU_DEP_1) | instskip(NEXT) | instid1(VALU_DEP_1)
	v_mul_f32_e32 v3, 0x2f800000, v2
	v_trunc_f32_e32 v3, v3
	s_delay_alu instid0(VALU_DEP_1) | instskip(SKIP_1) | instid1(VALU_DEP_2)
	v_fmac_f32_e32 v2, 0xcf800000, v3
	v_cvt_u32_f32_e32 v3, v3
	v_cvt_u32_f32_e32 v2, v2
	s_delay_alu instid0(VALU_DEP_2) | instskip(NEXT) | instid1(VALU_DEP_2)
	v_readfirstlane_b32 s4, v3
	v_readfirstlane_b32 s22, v2
	s_delay_alu instid0(VALU_DEP_2) | instskip(NEXT) | instid1(VALU_DEP_1)
	s_mul_i32 s45, s23, s4
	s_mul_hi_u32 s47, s23, s22
	s_mul_i32 s46, s44, s22
	s_add_i32 s45, s47, s45
	s_mul_i32 s66, s23, s22
	s_add_i32 s45, s45, s46
	s_mul_hi_u32 s47, s22, s66
	s_mul_hi_u32 s72, s4, s66
	s_mul_i32 s46, s4, s66
	s_mul_hi_u32 s66, s22, s45
	s_mul_i32 s22, s22, s45
	s_mul_hi_u32 s82, s4, s45
	s_add_u32 s22, s47, s22
	s_addc_u32 s47, 0, s66
	s_add_u32 s22, s22, s46
	s_mul_i32 s45, s4, s45
	s_addc_u32 s22, s47, s72
	s_addc_u32 s46, s82, 0
	s_add_u32 s22, s22, s45
	s_addc_u32 s45, 0, s46
	v_add_co_u32 v2, s22, v2, s22
	s_delay_alu instid0(VALU_DEP_1) | instskip(SKIP_1) | instid1(VALU_DEP_1)
	s_cmp_lg_u32 s22, 0
	s_addc_u32 s4, s4, s45
	v_readfirstlane_b32 s22, v2
	s_mul_i32 s45, s23, s4
	s_delay_alu instid0(VALU_DEP_1)
	s_mul_hi_u32 s46, s23, s22
	s_mul_i32 s44, s44, s22
	s_add_i32 s45, s46, s45
	s_mul_i32 s23, s23, s22
	s_add_i32 s45, s45, s44
	s_mul_hi_u32 s46, s4, s23
	s_mul_i32 s47, s4, s23
	s_mul_hi_u32 s23, s22, s23
	s_mul_hi_u32 s66, s22, s45
	s_mul_i32 s22, s22, s45
	s_mul_hi_u32 s44, s4, s45
	s_add_u32 s22, s23, s22
	s_addc_u32 s23, 0, s66
	s_add_u32 s22, s22, s47
	s_mul_i32 s45, s4, s45
	s_addc_u32 s22, s23, s46
	s_addc_u32 s23, s44, 0
	s_add_u32 s22, s22, s45
	s_addc_u32 s23, 0, s23
	v_add_co_u32 v2, s22, v2, s22
	s_delay_alu instid0(VALU_DEP_1) | instskip(SKIP_2) | instid1(VALU_DEP_1)
	s_cmp_lg_u32 s22, 0
	s_addc_u32 s4, s4, s23
	s_ashr_i32 s22, s5, 31
	v_readfirstlane_b32 s46, v2
	s_add_u32 s44, s21, s22
	s_mov_b32 s23, s22
	s_addc_u32 s45, s5, s22
	s_delay_alu instid0(SALU_CYCLE_1) | instskip(NEXT) | instid1(SALU_CYCLE_1)
	s_xor_b64 s[44:45], s[44:45], s[22:23]
	s_mul_i32 s47, s44, s4
	s_mul_hi_u32 s66, s44, s46
	s_mul_hi_u32 s23, s44, s4
	;; [unrolled: 1-line block ×3, first 2 shown]
	s_mul_i32 s46, s45, s46
	s_add_u32 s47, s66, s47
	s_addc_u32 s23, 0, s23
	s_mul_hi_u32 s72, s45, s4
	s_add_u32 s46, s47, s46
	s_mul_i32 s4, s45, s4
	s_addc_u32 s23, s23, s82
	s_addc_u32 s46, s72, 0
	s_add_u32 s4, s23, s4
	s_addc_u32 s23, 0, s46
	s_mul_hi_u32 s46, s33, s4
	s_mul_i32 s4, s33, s4
	s_mul_i32 s23, s33, s23
	v_sub_co_u32 v2, s4, s44, s4
	s_add_i32 s46, s46, s23
	s_cmp_lg_u32 s4, 0
	s_delay_alu instid0(VALU_DEP_1) | instskip(SKIP_2) | instid1(VALU_DEP_1)
	v_sub_co_u32 v3, s4, v2, s33
	s_subb_u32 s23, s45, s46
	s_cmp_lg_u32 s4, 0
	v_cmp_le_u32_e32 vcc_lo, s33, v3
	v_sub_co_u32 v4, s4, v3, s33
	s_subb_u32 s44, s23, 0
	s_cmp_lg_u32 s4, 0
	v_cmp_le_u32_e64 s4, s33, v2
	s_subb_u32 s45, s44, 0
	v_cndmask_b32_e64 v5, 0, -1, vcc_lo
	s_cmp_eq_u32 s44, 0
	s_cselect_b32 vcc_lo, -1, 0
	v_cndmask_b32_e64 v6, 0, -1, s4
	s_delay_alu instid0(VALU_DEP_2) | instskip(SKIP_2) | instid1(VALU_DEP_1)
	v_cndmask_b32_e32 v5, -1, v5, vcc_lo
	s_cmp_eq_u32 s23, 0
	s_cselect_b32 vcc_lo, -1, 0
	v_cmp_ne_u32_e64 s4, 0, v5
	v_dual_cndmask_b32 v5, -1, v6 :: v_dual_mov_b32 v6, s45
	s_delay_alu instid0(VALU_DEP_2) | instskip(NEXT) | instid1(VALU_DEP_2)
	v_cndmask_b32_e64 v3, v3, v4, s4
	v_cmp_ne_u32_e32 vcc_lo, 0, v5
	s_delay_alu instid0(VALU_DEP_3) | instskip(NEXT) | instid1(VALU_DEP_3)
	v_cndmask_b32_e64 v4, s44, v6, s4
	v_cndmask_b32_e32 v2, v2, v3, vcc_lo
	s_delay_alu instid0(VALU_DEP_2) | instskip(NEXT) | instid1(VALU_DEP_2)
	v_cndmask_b32_e32 v3, s23, v4, vcc_lo
	v_xor_b32_e32 v2, s22, v2
	s_delay_alu instid0(VALU_DEP_2) | instskip(NEXT) | instid1(VALU_DEP_2)
	v_xor_b32_e32 v3, s22, v3
	v_sub_co_u32 v2, vcc_lo, v2, s22
	s_delay_alu instid0(VALU_DEP_2)
	v_subrev_co_ci_u32_e32 v3, vcc_lo, s22, v3, vcc_lo
	s_cbranch_execnz .LBB70_126
.LBB70_125:                             ;   in Loop: Header=BB70_33 Depth=1
	v_cvt_f32_u32_e32 v2, s33
	s_sub_i32 s4, 0, s33
	s_delay_alu instid0(VALU_DEP_1) | instskip(SKIP_2) | instid1(VALU_DEP_1)
	v_rcp_iflag_f32_e32 v2, v2
	s_waitcnt_depctr 0xfff
	v_mul_f32_e32 v2, 0x4f7ffffe, v2
	v_cvt_u32_f32_e32 v2, v2
	s_delay_alu instid0(VALU_DEP_1) | instskip(NEXT) | instid1(VALU_DEP_1)
	v_mul_lo_u32 v3, s4, v2
	v_mul_hi_u32 v3, v2, v3
	s_delay_alu instid0(VALU_DEP_1) | instskip(NEXT) | instid1(VALU_DEP_1)
	v_add_nc_u32_e32 v2, v2, v3
	v_mul_hi_u32 v2, s21, v2
	s_delay_alu instid0(VALU_DEP_1) | instskip(NEXT) | instid1(VALU_DEP_1)
	v_mul_lo_u32 v2, v2, s33
	v_sub_nc_u32_e32 v2, s21, v2
	s_delay_alu instid0(VALU_DEP_1) | instskip(SKIP_1) | instid1(VALU_DEP_2)
	v_subrev_nc_u32_e32 v3, s33, v2
	v_cmp_le_u32_e32 vcc_lo, s33, v2
	v_cndmask_b32_e32 v2, v2, v3, vcc_lo
	s_delay_alu instid0(VALU_DEP_1) | instskip(SKIP_1) | instid1(VALU_DEP_2)
	v_subrev_nc_u32_e32 v3, s33, v2
	v_cmp_le_u32_e32 vcc_lo, s33, v2
	v_cndmask_b32_e32 v12, v2, v3, vcc_lo
	s_delay_alu instid0(VALU_DEP_1)
	v_dual_mov_b32 v2, v12 :: v_dual_mov_b32 v3, v13
.LBB70_126:                             ;   in Loop: Header=BB70_33 Depth=1
	s_delay_alu instid0(VALU_DEP_1) | instskip(NEXT) | instid1(VALU_DEP_2)
	v_sub_co_u32 v2, vcc_lo, s21, v2
	v_sub_co_ci_u32_e32 v3, vcc_lo, s5, v3, vcc_lo
	s_mov_b32 s4, 0
	s_mov_b32 s5, exec_lo
                                        ; implicit-def: $vgpr45
	s_delay_alu instid0(VALU_DEP_1)
	v_cmpx_gt_i64_e64 v[2:3], v[0:1]
	s_cbranch_execz .LBB70_135
; %bb.127:                              ;   in Loop: Header=BB70_33 Depth=1
	v_dual_mov_b32 v6, v34 :: v_dual_mov_b32 v5, v1
	v_mov_b32_e32 v4, v0
	s_mov_b32 s21, 0
                                        ; implicit-def: $sgpr22
	s_branch .LBB70_129
.LBB70_128:                             ;   in Loop: Header=BB70_129 Depth=2
	s_or_b32 exec_lo, exec_lo, s4
	s_waitcnt lgkmcnt(0)
	s_barrier
	buffer_gl0_inv
	ds_load_b32 v7, v13 offset:3072
	v_add_co_u32 v4, vcc_lo, v4, s33
	v_add_co_ci_u32_e32 v5, vcc_lo, 0, v5, vcc_lo
	v_add_nc_u32_e32 v6, s101, v6
	s_waitcnt lgkmcnt(0)
	s_barrier
	s_delay_alu instid0(VALU_DEP_2) | instskip(SKIP_2) | instid1(VALU_DEP_1)
	v_cmp_ge_i64_e32 vcc_lo, v[4:5], v[2:3]
	buffer_gl0_inv
	v_and_b32_e32 v8, 0x7fff, v7
	v_cmp_ne_u16_e64 s4, 0, v8
	s_delay_alu instid0(VALU_DEP_1) | instskip(NEXT) | instid1(SALU_CYCLE_1)
	s_or_b32 s23, s4, vcc_lo
	s_and_b32 s23, exec_lo, s23
	s_delay_alu instid0(SALU_CYCLE_1) | instskip(SKIP_2) | instid1(SALU_CYCLE_1)
	s_or_b32 s21, s23, s21
	s_and_not1_b32 s22, s22, exec_lo
	s_and_b32 s4, s4, exec_lo
	s_or_b32 s22, s22, s4
	s_and_not1_b32 exec_lo, exec_lo, s21
	s_cbranch_execz .LBB70_134
.LBB70_129:                             ;   Parent Loop BB70_33 Depth=1
                                        ; =>  This Inner Loop Header: Depth=2
	s_delay_alu instid0(VALU_DEP_1)
	v_cmp_gt_i64_e32 vcc_lo, s[14:15], v[4:5]
	v_mov_b32_e32 v7, 0
	s_and_saveexec_b32 s4, vcc_lo
	s_cbranch_execz .LBB70_131
; %bb.130:                              ;   in Loop: Header=BB70_129 Depth=2
	ds_load_u16 v7, v6
.LBB70_131:                             ;   in Loop: Header=BB70_129 Depth=2
	s_or_b32 exec_lo, exec_lo, s4
	s_and_saveexec_b32 s4, vcc_lo
	s_cbranch_execz .LBB70_128
; %bb.132:                              ;   in Loop: Header=BB70_129 Depth=2
	s_waitcnt lgkmcnt(0)
	v_cmp_lt_i16_e32 vcc_lo, -1, v7
	v_and_b32_e32 v8, 0xffff, v7
	v_lshlrev_b32_e32 v12, 16, v7
	v_cndmask_b32_e32 v9, 0xffff, v43, vcc_lo
	s_delay_alu instid0(VALU_DEP_2) | instskip(NEXT) | instid1(VALU_DEP_2)
	v_cmp_o_f32_e32 vcc_lo, v12, v12
	v_xor_b32_e32 v8, v9, v8
	s_delay_alu instid0(VALU_DEP_1) | instskip(NEXT) | instid1(VALU_DEP_1)
	v_cndmask_b32_e32 v8, 0xffff, v8, vcc_lo
	v_and_b32_e32 v8, s58, v8
	s_delay_alu instid0(VALU_DEP_1)
	v_cmp_eq_u32_e32 vcc_lo, s59, v8
	s_and_b32 exec_lo, exec_lo, vcc_lo
	s_cbranch_execz .LBB70_128
; %bb.133:                              ;   in Loop: Header=BB70_129 Depth=2
	v_perm_b32 v7, v7, s102, 0x5040100
	ds_store_b32 v13, v7 offset:3072
	s_branch .LBB70_128
.LBB70_134:                             ;   in Loop: Header=BB70_33 Depth=1
	s_or_b32 exec_lo, exec_lo, s21
	v_lshrrev_b32_e32 v45, 16, v7
	s_and_b32 s4, s22, exec_lo
.LBB70_135:                             ;   in Loop: Header=BB70_33 Depth=1
	s_or_b32 exec_lo, exec_lo, s5
	s_mov_b32 s22, -1
	s_mov_b32 s5, 0
	s_mov_b32 s21, 0
.LBB70_136:                             ;   in Loop: Header=BB70_33 Depth=1
	s_and_not1_b32 s14, s65, exec_lo
	s_and_b32 s5, s5, exec_lo
	s_and_not1_b32 s15, s56, exec_lo
	s_or_b32 s65, s14, s5
	s_and_not1_b32 s5, s57, exec_lo
	s_and_b32 s14, s22, exec_lo
	s_and_b32 s21, s21, exec_lo
	s_or_b32 s57, s5, s14
	s_or_b32 s56, s15, s21
	s_and_saveexec_b32 s14, s4
	s_cbranch_execz .LBB70_32
; %bb.137:                              ;   in Loop: Header=BB70_33 Depth=1
	s_xor_b32 s4, s20, -1
	s_mov_b32 s72, 1
	s_and_not1_b32 vcc_lo, exec_lo, s4
	s_cbranch_vccnz .LBB70_148
; %bb.138:                              ;   in Loop: Header=BB70_33 Depth=1
	v_cmp_gt_i64_e64 s4, s[26:27], s[12:13]
                                        ; implicit-def: $sgpr72
                                        ; implicit-def: $sgpr5
                                        ; implicit-def: $sgpr15
	s_delay_alu instid0(VALU_DEP_1)
	s_and_b32 vcc_lo, exec_lo, s4
	s_mov_b32 s4, -1
	s_cbranch_vccnz .LBB70_144
; %bb.139:                              ;   in Loop: Header=BB70_33 Depth=1
	ds_load_b64 v[2:3], v13 offset:5120
	s_waitcnt lgkmcnt(0)
	v_cmp_ne_u64_e32 vcc_lo, 0, v[2:3]
	s_cbranch_vccnz .LBB70_143
; %bb.140:                              ;   in Loop: Header=BB70_33 Depth=1
	s_and_saveexec_b32 s4, s0
	s_cbranch_execz .LBB70_142
; %bb.141:                              ;   in Loop: Header=BB70_33 Depth=1
	v_dual_mov_b32 v2, s12 :: v_dual_mov_b32 v3, s13
	ds_store_b64 v13, v[2:3] offset:5128
.LBB70_142:                             ;   in Loop: Header=BB70_33 Depth=1
	s_or_b32 exec_lo, exec_lo, s4
	s_waitcnt lgkmcnt(0)
	s_barrier
	buffer_gl0_inv
.LBB70_143:                             ;   in Loop: Header=BB70_33 Depth=1
	s_and_b32 s5, s59, s18
	s_or_b32 s15, s58, s16
	s_mov_b32 s4, 0
	s_mov_b32 s72, 8
.LBB70_144:                             ;   in Loop: Header=BB70_33 Depth=1
	s_and_not1_b32 vcc_lo, exec_lo, s4
	s_cbranch_vccnz .LBB70_146
; %bb.145:                              ;   in Loop: Header=BB70_33 Depth=1
	s_sub_u32 s26, s26, s12
	s_subb_u32 s27, s27, s13
	s_mov_b32 s4, -1
	s_mov_b32 s72, 0
	s_mov_b32 s5, s59
	;; [unrolled: 1-line block ×3, first 2 shown]
.LBB70_146:                             ;   in Loop: Header=BB70_33 Depth=1
	s_delay_alu instid0(SALU_CYCLE_1)
	s_mov_b32 s58, s15
	s_mov_b32 s59, s5
	s_and_b32 vcc_lo, exec_lo, s4
	s_mov_b32 s15, -1
	s_cbranch_vccnz .LBB70_149
.LBB70_147:                             ;   in Loop: Header=BB70_33 Depth=1
	s_mov_b32 s5, -1
                                        ; implicit-def: $sgpr19
                                        ; implicit-def: $sgpr21
                                        ; implicit-def: $sgpr20
	s_delay_alu instid0(SALU_CYCLE_1) | instskip(NEXT) | instid1(SALU_CYCLE_1)
	s_and_saveexec_b32 s4, s5
	s_xor_b32 s4, exec_lo, s4
	s_cbranch_execz .LBB70_31
	s_branch .LBB70_295
.LBB70_148:                             ;   in Loop: Header=BB70_33 Depth=1
	s_mov_b64 s[26:27], 1
	s_mov_b32 s15, -1
	s_branch .LBB70_147
.LBB70_149:                             ;   in Loop: Header=BB70_33 Depth=1
	s_cmp_eq_u64 s[10:11], 1
	s_cselect_b32 s4, -1, 0
	s_cmp_eq_u64 s[26:27], 1
	s_cselect_b32 s5, -1, 0
	s_delay_alu instid0(SALU_CYCLE_1)
	s_and_b32 s22, s4, s5
	s_mov_b32 s4, -1
	s_and_b32 vcc_lo, exec_lo, s22
	s_cbranch_vccz .LBB70_164
; %bb.150:                              ;   in Loop: Header=BB70_33 Depth=1
	ds_load_b64 v[2:3], v13 offset:5120
	s_waitcnt lgkmcnt(0)
	s_barrier
	buffer_gl0_inv
	v_readfirstlane_b32 s12, v2
	v_readfirstlane_b32 s13, v3
	s_and_saveexec_b32 s4, s3
	s_cbranch_execz .LBB70_152
; %bb.151:                              ;   in Loop: Header=BB70_33 Depth=1
	ds_store_b16 v35, v13
.LBB70_152:                             ;   in Loop: Header=BB70_33 Depth=1
	s_or_b32 exec_lo, exec_lo, s4
	s_delay_alu instid0(VALU_DEP_1)
	v_cmp_gt_i64_e64 s19, s[12:13], 0
	s_lshl_b32 s4, 1, s17
	s_and_b32 s5, s59, s18
	s_or_b32 s58, s58, s16
	s_or_b32 s59, s5, s4
	s_waitcnt lgkmcnt(0)
	s_and_b32 vcc_lo, exec_lo, s19
	s_barrier
	buffer_gl0_inv
	s_cbranch_vccnz .LBB70_167
; %bb.153:                              ;   in Loop: Header=BB70_33 Depth=1
	s_mov_b32 s72, s67
	s_delay_alu instid0(SALU_CYCLE_1)
	s_cmp_lg_u64 s[72:73], 0
	s_cbranch_scc0 .LBB70_212
; %bb.154:                              ;   in Loop: Header=BB70_33 Depth=1
	v_cvt_f32_u32_e32 v2, s33
	s_sub_u32 s19, 0, s33
	s_subb_u32 s20, 0, 0
	s_delay_alu instid0(VALU_DEP_1) | instskip(NEXT) | instid1(VALU_DEP_1)
	v_fmac_f32_e32 v2, 0x4f800000, v44
	v_rcp_f32_e32 v2, v2
	s_waitcnt_depctr 0xfff
	v_mul_f32_e32 v2, 0x5f7ffffc, v2
	s_delay_alu instid0(VALU_DEP_1) | instskip(NEXT) | instid1(VALU_DEP_1)
	v_mul_f32_e32 v3, 0x2f800000, v2
	v_trunc_f32_e32 v3, v3
	s_delay_alu instid0(VALU_DEP_1) | instskip(SKIP_1) | instid1(VALU_DEP_2)
	v_fmac_f32_e32 v2, 0xcf800000, v3
	v_cvt_u32_f32_e32 v3, v3
	v_cvt_u32_f32_e32 v2, v2
	s_delay_alu instid0(VALU_DEP_2) | instskip(NEXT) | instid1(VALU_DEP_2)
	v_readfirstlane_b32 s4, v3
	v_readfirstlane_b32 s5, v2
	s_delay_alu instid0(VALU_DEP_2) | instskip(NEXT) | instid1(VALU_DEP_1)
	s_mul_i32 s21, s19, s4
	s_mul_hi_u32 s44, s19, s5
	s_mul_i32 s23, s20, s5
	s_add_i32 s21, s44, s21
	s_mul_i32 s45, s19, s5
	s_add_i32 s21, s21, s23
	s_mul_hi_u32 s44, s5, s45
	s_mul_hi_u32 s46, s4, s45
	s_mul_i32 s23, s4, s45
	s_mul_hi_u32 s45, s5, s21
	s_mul_i32 s5, s5, s21
	s_mul_hi_u32 s47, s4, s21
	s_add_u32 s5, s44, s5
	s_addc_u32 s44, 0, s45
	s_add_u32 s5, s5, s23
	s_mul_i32 s21, s4, s21
	s_addc_u32 s5, s44, s46
	s_addc_u32 s23, s47, 0
	s_add_u32 s5, s5, s21
	s_addc_u32 s21, 0, s23
	v_add_co_u32 v2, s5, v2, s5
	s_delay_alu instid0(VALU_DEP_1) | instskip(SKIP_1) | instid1(VALU_DEP_1)
	s_cmp_lg_u32 s5, 0
	s_addc_u32 s4, s4, s21
	v_readfirstlane_b32 s5, v2
	s_mul_i32 s21, s19, s4
	s_delay_alu instid0(VALU_DEP_1)
	s_mul_hi_u32 s23, s19, s5
	s_mul_i32 s20, s20, s5
	s_add_i32 s21, s23, s21
	s_mul_i32 s19, s19, s5
	s_add_i32 s21, s21, s20
	s_mul_hi_u32 s23, s4, s19
	s_mul_i32 s44, s4, s19
	s_mul_hi_u32 s19, s5, s19
	s_mul_hi_u32 s45, s5, s21
	s_mul_i32 s5, s5, s21
	s_mul_hi_u32 s20, s4, s21
	s_add_u32 s5, s19, s5
	s_addc_u32 s19, 0, s45
	s_add_u32 s5, s5, s44
	s_mul_i32 s21, s4, s21
	s_addc_u32 s5, s19, s23
	s_addc_u32 s19, s20, 0
	s_add_u32 s5, s5, s21
	s_addc_u32 s19, 0, s19
	v_add_co_u32 v2, s5, v2, s5
	s_delay_alu instid0(VALU_DEP_1) | instskip(SKIP_2) | instid1(VALU_DEP_1)
	s_cmp_lg_u32 s5, 0
	s_addc_u32 s19, s4, s19
	s_ashr_i32 s20, s73, 31
	v_readfirstlane_b32 s23, v2
	s_add_u32 s4, s95, s20
	s_mov_b32 s21, s20
	s_addc_u32 s5, s73, s20
	s_delay_alu instid0(SALU_CYCLE_1) | instskip(NEXT) | instid1(SALU_CYCLE_1)
	s_xor_b64 s[4:5], s[4:5], s[20:21]
	s_mul_i32 s44, s4, s19
	s_mul_hi_u32 s45, s4, s23
	s_mul_hi_u32 s21, s4, s19
	;; [unrolled: 1-line block ×3, first 2 shown]
	s_mul_i32 s23, s5, s23
	s_add_u32 s44, s45, s44
	s_addc_u32 s21, 0, s21
	s_mul_hi_u32 s46, s5, s19
	s_add_u32 s23, s44, s23
	s_mul_i32 s19, s5, s19
	s_addc_u32 s21, s21, s47
	s_addc_u32 s23, s46, 0
	s_add_u32 s19, s21, s19
	s_addc_u32 s21, 0, s23
	s_mul_hi_u32 s23, s33, s19
	s_mul_i32 s19, s33, s19
	s_mul_i32 s21, s33, s21
	v_sub_co_u32 v2, s4, s4, s19
	s_add_i32 s23, s23, s21
	s_cmp_lg_u32 s4, 0
	s_delay_alu instid0(VALU_DEP_1) | instskip(SKIP_2) | instid1(VALU_DEP_1)
	v_sub_co_u32 v3, s4, v2, s33
	s_subb_u32 s5, s5, s23
	s_cmp_lg_u32 s4, 0
	v_cmp_le_u32_e32 vcc_lo, s33, v3
	v_sub_co_u32 v4, s4, v3, s33
	s_subb_u32 s19, s5, 0
	s_cmp_lg_u32 s4, 0
	v_cndmask_b32_e64 v5, 0, -1, vcc_lo
	s_subb_u32 s4, s19, 0
	s_cmp_eq_u32 s19, 0
	v_mov_b32_e32 v7, s4
	s_cselect_b32 vcc_lo, -1, 0
	s_cmp_eq_u32 s5, 0
	v_cndmask_b32_e32 v5, -1, v5, vcc_lo
	v_cmp_le_u32_e32 vcc_lo, s33, v2
	s_cselect_b32 s4, -1, 0
	v_cndmask_b32_e64 v6, 0, -1, vcc_lo
	s_delay_alu instid0(VALU_DEP_3) | instskip(NEXT) | instid1(VALU_DEP_2)
	v_cmp_ne_u32_e32 vcc_lo, 0, v5
	v_cndmask_b32_e64 v5, -1, v6, s4
	v_cndmask_b32_e32 v3, v3, v4, vcc_lo
	v_cndmask_b32_e32 v6, s19, v7, vcc_lo
	s_delay_alu instid0(VALU_DEP_3) | instskip(NEXT) | instid1(VALU_DEP_3)
	v_cmp_ne_u32_e32 vcc_lo, 0, v5
	v_cndmask_b32_e32 v2, v2, v3, vcc_lo
	s_delay_alu instid0(VALU_DEP_3) | instskip(NEXT) | instid1(VALU_DEP_2)
	v_cndmask_b32_e32 v4, s5, v6, vcc_lo
	v_xor_b32_e32 v2, s20, v2
	s_delay_alu instid0(VALU_DEP_2) | instskip(NEXT) | instid1(VALU_DEP_2)
	v_xor_b32_e32 v3, s20, v4
	v_sub_co_u32 v2, vcc_lo, v2, s20
	s_delay_alu instid0(VALU_DEP_2)
	v_subrev_co_ci_u32_e32 v3, vcc_lo, s20, v3, vcc_lo
	s_cbranch_execnz .LBB70_156
.LBB70_155:                             ;   in Loop: Header=BB70_33 Depth=1
	v_cvt_f32_u32_e32 v2, s33
	s_sub_i32 s4, 0, s33
	s_delay_alu instid0(VALU_DEP_1) | instskip(SKIP_2) | instid1(VALU_DEP_1)
	v_rcp_iflag_f32_e32 v2, v2
	s_waitcnt_depctr 0xfff
	v_mul_f32_e32 v2, 0x4f7ffffe, v2
	v_cvt_u32_f32_e32 v2, v2
	s_delay_alu instid0(VALU_DEP_1) | instskip(NEXT) | instid1(VALU_DEP_1)
	v_mul_lo_u32 v3, s4, v2
	v_mul_hi_u32 v3, v2, v3
	s_delay_alu instid0(VALU_DEP_1) | instskip(NEXT) | instid1(VALU_DEP_1)
	v_add_nc_u32_e32 v2, v2, v3
	v_mul_hi_u32 v2, s95, v2
	s_delay_alu instid0(VALU_DEP_1) | instskip(NEXT) | instid1(VALU_DEP_1)
	v_mul_lo_u32 v2, v2, s33
	v_sub_nc_u32_e32 v2, s95, v2
	s_delay_alu instid0(VALU_DEP_1) | instskip(SKIP_1) | instid1(VALU_DEP_2)
	v_subrev_nc_u32_e32 v3, s33, v2
	v_cmp_le_u32_e32 vcc_lo, s33, v2
	v_cndmask_b32_e32 v2, v2, v3, vcc_lo
	s_delay_alu instid0(VALU_DEP_1) | instskip(SKIP_1) | instid1(VALU_DEP_2)
	v_subrev_nc_u32_e32 v3, s33, v2
	v_cmp_le_u32_e32 vcc_lo, s33, v2
	v_cndmask_b32_e32 v12, v2, v3, vcc_lo
	s_delay_alu instid0(VALU_DEP_1)
	v_dual_mov_b32 v2, v12 :: v_dual_mov_b32 v3, v13
.LBB70_156:                             ;   in Loop: Header=BB70_33 Depth=1
	s_delay_alu instid0(VALU_DEP_1) | instskip(NEXT) | instid1(VALU_DEP_2)
	v_sub_co_u32 v2, vcc_lo, s95, v2
	v_sub_co_ci_u32_e32 v3, vcc_lo, s73, v3, vcc_lo
	s_mov_b32 s4, 0
	s_mov_b32 s5, exec_lo
                                        ; implicit-def: $vgpr45
	s_delay_alu instid0(VALU_DEP_1)
	v_cmpx_gt_i64_e64 v[2:3], v[0:1]
	s_cbranch_execz .LBB70_169
; %bb.157:                              ;   in Loop: Header=BB70_33 Depth=1
	v_dual_mov_b32 v4, v10 :: v_dual_mov_b32 v5, v11
	v_dual_mov_b32 v7, v1 :: v_dual_mov_b32 v6, v0
	s_mov_b32 s19, 0
                                        ; implicit-def: $sgpr20
	s_branch .LBB70_159
.LBB70_158:                             ;   in Loop: Header=BB70_159 Depth=2
	s_or_b32 exec_lo, exec_lo, s4
	s_waitcnt vmcnt(0) lgkmcnt(0)
	s_barrier
	buffer_gl0_inv
	ds_load_b32 v8, v13 offset:3072
	v_add_co_u32 v6, vcc_lo, v6, s33
	v_add_co_ci_u32_e32 v7, vcc_lo, 0, v7, vcc_lo
	s_waitcnt lgkmcnt(0)
	s_barrier
	buffer_gl0_inv
	v_cmp_ge_i64_e32 vcc_lo, v[6:7], v[2:3]
	v_and_b32_e32 v9, 0x7fff, v8
	s_delay_alu instid0(VALU_DEP_1) | instskip(NEXT) | instid1(VALU_DEP_1)
	v_cmp_ne_u16_e64 s4, 0, v9
	s_or_b32 s21, s4, vcc_lo
	v_add_co_u32 v4, vcc_lo, v4, s68
	s_and_b32 s21, exec_lo, s21
	v_add_co_ci_u32_e32 v5, vcc_lo, s69, v5, vcc_lo
	s_or_b32 s19, s21, s19
	s_and_not1_b32 s20, s20, exec_lo
	s_and_b32 s4, s4, exec_lo
	s_delay_alu instid0(SALU_CYCLE_1)
	s_or_b32 s20, s20, s4
	s_and_not1_b32 exec_lo, exec_lo, s19
	s_cbranch_execz .LBB70_168
.LBB70_159:                             ;   Parent Loop BB70_33 Depth=1
                                        ; =>  This Inner Loop Header: Depth=2
	s_delay_alu instid0(VALU_DEP_1)
	v_cmp_gt_i64_e32 vcc_lo, s[24:25], v[6:7]
	v_mov_b32_e32 v8, 0
	s_and_saveexec_b32 s4, vcc_lo
	s_cbranch_execz .LBB70_161
; %bb.160:                              ;   in Loop: Header=BB70_159 Depth=2
	global_load_u16 v8, v[4:5], off
.LBB70_161:                             ;   in Loop: Header=BB70_159 Depth=2
	s_or_b32 exec_lo, exec_lo, s4
	s_and_saveexec_b32 s4, vcc_lo
	s_cbranch_execz .LBB70_158
; %bb.162:                              ;   in Loop: Header=BB70_159 Depth=2
	s_waitcnt vmcnt(0)
	v_cmp_lt_i16_e32 vcc_lo, -1, v8
	v_and_b32_e32 v9, 0xffff, v8
	v_dual_cndmask_b32 v12, 0xffff, v43 :: v_dual_lshlrev_b32 v25, 16, v8
	s_delay_alu instid0(VALU_DEP_1) | instskip(NEXT) | instid1(VALU_DEP_2)
	v_cmp_o_f32_e32 vcc_lo, v25, v25
	v_xor_b32_e32 v9, v12, v9
	s_delay_alu instid0(VALU_DEP_1) | instskip(NEXT) | instid1(VALU_DEP_1)
	v_cndmask_b32_e32 v9, 0xffff, v9, vcc_lo
	v_and_b32_e32 v9, s58, v9
	s_delay_alu instid0(VALU_DEP_1)
	v_cmp_eq_u32_e32 vcc_lo, s59, v9
	s_and_b32 exec_lo, exec_lo, vcc_lo
	s_cbranch_execz .LBB70_158
; %bb.163:                              ;   in Loop: Header=BB70_159 Depth=2
	v_perm_b32 v8, v8, s102, 0x5040100
	ds_store_b32 v13, v8 offset:3072
	s_branch .LBB70_158
.LBB70_164:                             ;   in Loop: Header=BB70_33 Depth=1
                                        ; implicit-def: $sgpr20
                                        ; implicit-def: $sgpr21
                                        ; implicit-def: $sgpr19
	s_branch .LBB70_183
.LBB70_165:                             ;   in Loop: Header=BB70_33 Depth=1
                                        ; implicit-def: $vgpr2_vgpr3
	s_branch .LBB70_110
.LBB70_166:                             ;   in Loop: Header=BB70_33 Depth=1
                                        ; implicit-def: $vgpr2_vgpr3
	s_branch .LBB70_125
.LBB70_167:                             ;   in Loop: Header=BB70_33 Depth=1
	s_mov_b32 s20, -1
	s_mov_b32 s4, 0
                                        ; implicit-def: $sgpr19
                                        ; implicit-def: $vgpr45
	s_mov_b32 s21, s20
	s_cbranch_execnz .LBB70_170
	s_branch .LBB70_183
.LBB70_168:                             ;   in Loop: Header=BB70_33 Depth=1
	s_or_b32 exec_lo, exec_lo, s19
	v_lshrrev_b32_e32 v45, 16, v8
	s_and_b32 s4, s20, exec_lo
.LBB70_169:                             ;   in Loop: Header=BB70_33 Depth=1
	s_or_b32 exec_lo, exec_lo, s5
	s_mov_b32 s19, -1
	s_mov_b32 s20, 0
	s_delay_alu instid0(SALU_CYCLE_1)
	s_mov_b32 s21, s20
	s_branch .LBB70_183
.LBB70_170:                             ;   in Loop: Header=BB70_33 Depth=1
	s_add_u32 s19, s93, s12
	s_addc_u32 s5, s94, s13
	s_mov_b32 s4, s67
	s_delay_alu instid0(SALU_CYCLE_1)
	s_cmp_lg_u64 s[4:5], 0
	s_cbranch_scc0 .LBB70_213
; %bb.171:                              ;   in Loop: Header=BB70_33 Depth=1
	v_cvt_f32_u32_e32 v2, s33
	s_sub_u32 s21, 0, s33
	s_subb_u32 s23, 0, 0
	s_delay_alu instid0(VALU_DEP_1) | instskip(NEXT) | instid1(VALU_DEP_1)
	v_fmac_f32_e32 v2, 0x4f800000, v44
	v_rcp_f32_e32 v2, v2
	s_waitcnt_depctr 0xfff
	v_mul_f32_e32 v2, 0x5f7ffffc, v2
	s_delay_alu instid0(VALU_DEP_1) | instskip(NEXT) | instid1(VALU_DEP_1)
	v_mul_f32_e32 v3, 0x2f800000, v2
	v_trunc_f32_e32 v3, v3
	s_delay_alu instid0(VALU_DEP_1) | instskip(SKIP_1) | instid1(VALU_DEP_2)
	v_fmac_f32_e32 v2, 0xcf800000, v3
	v_cvt_u32_f32_e32 v3, v3
	v_cvt_u32_f32_e32 v2, v2
	s_delay_alu instid0(VALU_DEP_2) | instskip(NEXT) | instid1(VALU_DEP_2)
	v_readfirstlane_b32 s4, v3
	v_readfirstlane_b32 s20, v2
	s_delay_alu instid0(VALU_DEP_2) | instskip(NEXT) | instid1(VALU_DEP_1)
	s_mul_i32 s44, s21, s4
	s_mul_hi_u32 s46, s21, s20
	s_mul_i32 s45, s23, s20
	s_add_i32 s44, s46, s44
	s_mul_i32 s47, s21, s20
	s_add_i32 s44, s44, s45
	s_mul_hi_u32 s46, s20, s47
	s_mul_hi_u32 s66, s4, s47
	s_mul_i32 s45, s4, s47
	s_mul_hi_u32 s47, s20, s44
	s_mul_i32 s20, s20, s44
	s_mul_hi_u32 s72, s4, s44
	s_add_u32 s20, s46, s20
	s_addc_u32 s46, 0, s47
	s_add_u32 s20, s20, s45
	s_mul_i32 s44, s4, s44
	s_addc_u32 s20, s46, s66
	s_addc_u32 s45, s72, 0
	s_add_u32 s20, s20, s44
	s_addc_u32 s44, 0, s45
	v_add_co_u32 v2, s20, v2, s20
	s_delay_alu instid0(VALU_DEP_1) | instskip(SKIP_1) | instid1(VALU_DEP_1)
	s_cmp_lg_u32 s20, 0
	s_addc_u32 s4, s4, s44
	v_readfirstlane_b32 s20, v2
	s_mul_i32 s44, s21, s4
	s_delay_alu instid0(VALU_DEP_1)
	s_mul_hi_u32 s45, s21, s20
	s_mul_i32 s23, s23, s20
	s_add_i32 s44, s45, s44
	s_mul_i32 s21, s21, s20
	s_add_i32 s44, s44, s23
	s_mul_hi_u32 s45, s4, s21
	s_mul_i32 s46, s4, s21
	s_mul_hi_u32 s21, s20, s21
	s_mul_hi_u32 s47, s20, s44
	s_mul_i32 s20, s20, s44
	s_mul_hi_u32 s23, s4, s44
	s_add_u32 s20, s21, s20
	s_addc_u32 s21, 0, s47
	s_add_u32 s20, s20, s46
	s_mul_i32 s44, s4, s44
	s_addc_u32 s20, s21, s45
	s_addc_u32 s21, s23, 0
	s_add_u32 s20, s20, s44
	s_addc_u32 s21, 0, s21
	v_add_co_u32 v2, s20, v2, s20
	s_delay_alu instid0(VALU_DEP_1) | instskip(SKIP_2) | instid1(VALU_DEP_1)
	s_cmp_lg_u32 s20, 0
	s_addc_u32 s4, s4, s21
	s_ashr_i32 s20, s5, 31
	v_readfirstlane_b32 s23, v2
	s_add_u32 s44, s19, s20
	s_mov_b32 s21, s20
	s_addc_u32 s45, s5, s20
	s_delay_alu instid0(SALU_CYCLE_1) | instskip(NEXT) | instid1(SALU_CYCLE_1)
	s_xor_b64 s[44:45], s[44:45], s[20:21]
	s_mul_i32 s46, s44, s4
	s_mul_hi_u32 s47, s44, s23
	s_mul_hi_u32 s21, s44, s4
	;; [unrolled: 1-line block ×3, first 2 shown]
	s_mul_i32 s23, s45, s23
	s_add_u32 s46, s47, s46
	s_addc_u32 s21, 0, s21
	s_mul_hi_u32 s66, s45, s4
	s_add_u32 s23, s46, s23
	s_mul_i32 s4, s45, s4
	s_addc_u32 s21, s21, s72
	s_addc_u32 s23, s66, 0
	s_add_u32 s4, s21, s4
	s_addc_u32 s21, 0, s23
	s_mul_hi_u32 s23, s33, s4
	s_mul_i32 s4, s33, s4
	s_mul_i32 s21, s33, s21
	v_sub_co_u32 v2, s4, s44, s4
	s_add_i32 s23, s23, s21
	s_cmp_lg_u32 s4, 0
	s_delay_alu instid0(VALU_DEP_1) | instskip(SKIP_2) | instid1(VALU_DEP_1)
	v_sub_co_u32 v3, s4, v2, s33
	s_subb_u32 s21, s45, s23
	s_cmp_lg_u32 s4, 0
	v_cmp_le_u32_e32 vcc_lo, s33, v3
	v_sub_co_u32 v4, s4, v3, s33
	s_subb_u32 s23, s21, 0
	s_cmp_lg_u32 s4, 0
	v_cmp_le_u32_e64 s4, s33, v2
	s_subb_u32 s44, s23, 0
	v_cndmask_b32_e64 v5, 0, -1, vcc_lo
	s_cmp_eq_u32 s23, 0
	s_cselect_b32 vcc_lo, -1, 0
	v_cndmask_b32_e64 v6, 0, -1, s4
	s_delay_alu instid0(VALU_DEP_2) | instskip(SKIP_2) | instid1(VALU_DEP_1)
	v_cndmask_b32_e32 v5, -1, v5, vcc_lo
	s_cmp_eq_u32 s21, 0
	s_cselect_b32 vcc_lo, -1, 0
	v_cmp_ne_u32_e64 s4, 0, v5
	v_dual_cndmask_b32 v5, -1, v6 :: v_dual_mov_b32 v6, s44
	s_delay_alu instid0(VALU_DEP_2) | instskip(NEXT) | instid1(VALU_DEP_2)
	v_cndmask_b32_e64 v3, v3, v4, s4
	v_cmp_ne_u32_e32 vcc_lo, 0, v5
	s_delay_alu instid0(VALU_DEP_3) | instskip(NEXT) | instid1(VALU_DEP_3)
	v_cndmask_b32_e64 v4, s23, v6, s4
	v_cndmask_b32_e32 v2, v2, v3, vcc_lo
	s_delay_alu instid0(VALU_DEP_2) | instskip(NEXT) | instid1(VALU_DEP_2)
	v_cndmask_b32_e32 v3, s21, v4, vcc_lo
	v_xor_b32_e32 v2, s20, v2
	s_delay_alu instid0(VALU_DEP_2) | instskip(NEXT) | instid1(VALU_DEP_2)
	v_xor_b32_e32 v3, s20, v3
	v_sub_co_u32 v2, vcc_lo, v2, s20
	s_delay_alu instid0(VALU_DEP_2)
	v_subrev_co_ci_u32_e32 v3, vcc_lo, s20, v3, vcc_lo
	s_cbranch_execnz .LBB70_173
.LBB70_172:                             ;   in Loop: Header=BB70_33 Depth=1
	v_cvt_f32_u32_e32 v2, s33
	s_sub_i32 s4, 0, s33
	s_delay_alu instid0(VALU_DEP_1) | instskip(SKIP_2) | instid1(VALU_DEP_1)
	v_rcp_iflag_f32_e32 v2, v2
	s_waitcnt_depctr 0xfff
	v_mul_f32_e32 v2, 0x4f7ffffe, v2
	v_cvt_u32_f32_e32 v2, v2
	s_delay_alu instid0(VALU_DEP_1) | instskip(NEXT) | instid1(VALU_DEP_1)
	v_mul_lo_u32 v3, s4, v2
	v_mul_hi_u32 v3, v2, v3
	s_delay_alu instid0(VALU_DEP_1) | instskip(NEXT) | instid1(VALU_DEP_1)
	v_add_nc_u32_e32 v2, v2, v3
	v_mul_hi_u32 v2, s19, v2
	s_delay_alu instid0(VALU_DEP_1) | instskip(NEXT) | instid1(VALU_DEP_1)
	v_mul_lo_u32 v2, v2, s33
	v_sub_nc_u32_e32 v2, s19, v2
	s_delay_alu instid0(VALU_DEP_1) | instskip(SKIP_1) | instid1(VALU_DEP_2)
	v_subrev_nc_u32_e32 v3, s33, v2
	v_cmp_le_u32_e32 vcc_lo, s33, v2
	v_cndmask_b32_e32 v2, v2, v3, vcc_lo
	s_delay_alu instid0(VALU_DEP_1) | instskip(SKIP_1) | instid1(VALU_DEP_2)
	v_subrev_nc_u32_e32 v3, s33, v2
	v_cmp_le_u32_e32 vcc_lo, s33, v2
	v_cndmask_b32_e32 v12, v2, v3, vcc_lo
	s_delay_alu instid0(VALU_DEP_1)
	v_dual_mov_b32 v2, v12 :: v_dual_mov_b32 v3, v13
.LBB70_173:                             ;   in Loop: Header=BB70_33 Depth=1
	s_delay_alu instid0(VALU_DEP_1) | instskip(NEXT) | instid1(VALU_DEP_2)
	v_sub_co_u32 v2, vcc_lo, s19, v2
	v_sub_co_ci_u32_e32 v3, vcc_lo, s5, v3, vcc_lo
	s_mov_b32 s4, 0
	s_mov_b32 s5, exec_lo
                                        ; implicit-def: $vgpr45
	s_delay_alu instid0(VALU_DEP_1)
	v_cmpx_gt_i64_e64 v[2:3], v[0:1]
	s_cbranch_execz .LBB70_182
; %bb.174:                              ;   in Loop: Header=BB70_33 Depth=1
	v_dual_mov_b32 v6, v34 :: v_dual_mov_b32 v5, v1
	v_mov_b32_e32 v4, v0
	s_mov_b32 s19, 0
                                        ; implicit-def: $sgpr20
	s_branch .LBB70_176
.LBB70_175:                             ;   in Loop: Header=BB70_176 Depth=2
	s_or_b32 exec_lo, exec_lo, s4
	s_waitcnt lgkmcnt(0)
	s_barrier
	buffer_gl0_inv
	ds_load_b32 v7, v13 offset:3072
	v_add_co_u32 v4, vcc_lo, v4, s33
	v_add_co_ci_u32_e32 v5, vcc_lo, 0, v5, vcc_lo
	v_add_nc_u32_e32 v6, s101, v6
	s_waitcnt lgkmcnt(0)
	s_barrier
	s_delay_alu instid0(VALU_DEP_2) | instskip(SKIP_2) | instid1(VALU_DEP_1)
	v_cmp_ge_i64_e32 vcc_lo, v[4:5], v[2:3]
	buffer_gl0_inv
	v_and_b32_e32 v8, 0x7fff, v7
	v_cmp_ne_u16_e64 s4, 0, v8
	s_delay_alu instid0(VALU_DEP_1) | instskip(NEXT) | instid1(SALU_CYCLE_1)
	s_or_b32 s21, s4, vcc_lo
	s_and_b32 s21, exec_lo, s21
	s_delay_alu instid0(SALU_CYCLE_1) | instskip(SKIP_2) | instid1(SALU_CYCLE_1)
	s_or_b32 s19, s21, s19
	s_and_not1_b32 s20, s20, exec_lo
	s_and_b32 s4, s4, exec_lo
	s_or_b32 s20, s20, s4
	s_and_not1_b32 exec_lo, exec_lo, s19
	s_cbranch_execz .LBB70_181
.LBB70_176:                             ;   Parent Loop BB70_33 Depth=1
                                        ; =>  This Inner Loop Header: Depth=2
	s_delay_alu instid0(VALU_DEP_1)
	v_cmp_gt_i64_e32 vcc_lo, s[12:13], v[4:5]
	v_mov_b32_e32 v7, 0
	s_and_saveexec_b32 s4, vcc_lo
	s_cbranch_execz .LBB70_178
; %bb.177:                              ;   in Loop: Header=BB70_176 Depth=2
	ds_load_u16 v7, v6
.LBB70_178:                             ;   in Loop: Header=BB70_176 Depth=2
	s_or_b32 exec_lo, exec_lo, s4
	s_and_saveexec_b32 s4, vcc_lo
	s_cbranch_execz .LBB70_175
; %bb.179:                              ;   in Loop: Header=BB70_176 Depth=2
	s_waitcnt lgkmcnt(0)
	v_cmp_lt_i16_e32 vcc_lo, -1, v7
	v_and_b32_e32 v8, 0xffff, v7
	v_lshlrev_b32_e32 v12, 16, v7
	v_cndmask_b32_e32 v9, 0xffff, v43, vcc_lo
	s_delay_alu instid0(VALU_DEP_2) | instskip(NEXT) | instid1(VALU_DEP_2)
	v_cmp_o_f32_e32 vcc_lo, v12, v12
	v_xor_b32_e32 v8, v9, v8
	s_delay_alu instid0(VALU_DEP_1) | instskip(NEXT) | instid1(VALU_DEP_1)
	v_cndmask_b32_e32 v8, 0xffff, v8, vcc_lo
	v_and_b32_e32 v8, s58, v8
	s_delay_alu instid0(VALU_DEP_1)
	v_cmp_eq_u32_e32 vcc_lo, s59, v8
	s_and_b32 exec_lo, exec_lo, vcc_lo
	s_cbranch_execz .LBB70_175
; %bb.180:                              ;   in Loop: Header=BB70_176 Depth=2
	v_perm_b32 v7, v7, s102, 0x5040100
	ds_store_b32 v13, v7 offset:3072
	s_branch .LBB70_175
.LBB70_181:                             ;   in Loop: Header=BB70_33 Depth=1
	s_or_b32 exec_lo, exec_lo, s19
	v_lshrrev_b32_e32 v45, 16, v7
	s_and_b32 s4, s20, exec_lo
.LBB70_182:                             ;   in Loop: Header=BB70_33 Depth=1
	s_or_b32 exec_lo, exec_lo, s5
	s_mov_b32 s21, -1
	s_mov_b32 s20, 0
	s_mov_b32 s19, 0
.LBB70_183:                             ;   in Loop: Header=BB70_33 Depth=1
	s_mov_b32 s5, 0
                                        ; implicit-def: $sgpr72
	s_and_saveexec_b32 s12, s4
	s_cbranch_execz .LBB70_294
; %bb.184:                              ;   in Loop: Header=BB70_33 Depth=1
	s_xor_b32 s4, s22, -1
	s_mov_b32 s72, 1
	s_and_not1_b32 vcc_lo, exec_lo, s4
	s_cbranch_vccnz .LBB70_195
; %bb.185:                              ;   in Loop: Header=BB70_33 Depth=1
	v_cmp_gt_i64_e64 s4, s[26:27], s[10:11]
                                        ; implicit-def: $sgpr72
                                        ; implicit-def: $sgpr5
                                        ; implicit-def: $sgpr13
	s_delay_alu instid0(VALU_DEP_1)
	s_and_b32 vcc_lo, exec_lo, s4
	s_mov_b32 s4, -1
	s_cbranch_vccnz .LBB70_191
; %bb.186:                              ;   in Loop: Header=BB70_33 Depth=1
	ds_load_b64 v[2:3], v13 offset:5120
	s_waitcnt lgkmcnt(0)
	v_cmp_ne_u64_e32 vcc_lo, 0, v[2:3]
	s_cbranch_vccnz .LBB70_190
; %bb.187:                              ;   in Loop: Header=BB70_33 Depth=1
	s_and_saveexec_b32 s4, s0
	s_cbranch_execz .LBB70_189
; %bb.188:                              ;   in Loop: Header=BB70_33 Depth=1
	v_dual_mov_b32 v2, s10 :: v_dual_mov_b32 v3, s11
	ds_store_b64 v13, v[2:3] offset:5128
.LBB70_189:                             ;   in Loop: Header=BB70_33 Depth=1
	s_or_b32 exec_lo, exec_lo, s4
	s_waitcnt lgkmcnt(0)
	s_barrier
	buffer_gl0_inv
.LBB70_190:                             ;   in Loop: Header=BB70_33 Depth=1
	s_lshl_b32 s4, 1, s17
	s_and_b32 s5, s59, s18
	s_or_b32 s13, s58, s16
	s_or_b32 s5, s5, s4
	s_mov_b32 s4, 0
	s_mov_b32 s72, 8
.LBB70_191:                             ;   in Loop: Header=BB70_33 Depth=1
	s_and_not1_b32 vcc_lo, exec_lo, s4
	s_cbranch_vccnz .LBB70_193
; %bb.192:                              ;   in Loop: Header=BB70_33 Depth=1
	s_sub_u32 s26, s26, s10
	s_subb_u32 s27, s27, s11
	s_mov_b32 s4, -1
	s_mov_b32 s72, 0
	s_mov_b32 s5, s59
	;; [unrolled: 1-line block ×3, first 2 shown]
.LBB70_193:                             ;   in Loop: Header=BB70_33 Depth=1
	s_delay_alu instid0(SALU_CYCLE_1)
	s_mov_b32 s58, s13
	s_mov_b32 s59, s5
	s_and_not1_b32 vcc_lo, exec_lo, s4
	s_mov_b32 s5, -1
	s_cbranch_vccz .LBB70_196
.LBB70_194:                             ;   in Loop: Header=BB70_33 Depth=1
                                        ; implicit-def: $sgpr22
                                        ; implicit-def: $sgpr23
                                        ; implicit-def: $sgpr13
	s_branch .LBB70_293
.LBB70_195:                             ;   in Loop: Header=BB70_33 Depth=1
	s_mov_b64 s[26:27], 1
	s_mov_b32 s5, -1
	s_cbranch_execnz .LBB70_194
.LBB70_196:                             ;   in Loop: Header=BB70_33 Depth=1
	s_cmp_eq_u64 s[8:9], 1
	s_cselect_b32 s4, -1, 0
	s_cmp_eq_u64 s[26:27], 1
	s_cselect_b32 s5, -1, 0
	s_delay_alu instid0(SALU_CYCLE_1)
	s_and_b32 s66, s4, s5
	s_mov_b32 s4, -1
	s_and_b32 vcc_lo, exec_lo, s66
	s_cbranch_vccz .LBB70_211
; %bb.197:                              ;   in Loop: Header=BB70_33 Depth=1
	ds_load_b64 v[2:3], v13 offset:5120
	s_waitcnt lgkmcnt(0)
	s_barrier
	buffer_gl0_inv
	v_readfirstlane_b32 s10, v2
	v_readfirstlane_b32 s11, v3
	s_and_saveexec_b32 s4, s3
	s_cbranch_execz .LBB70_199
; %bb.198:                              ;   in Loop: Header=BB70_33 Depth=1
	ds_store_b16 v35, v13
.LBB70_199:                             ;   in Loop: Header=BB70_33 Depth=1
	s_or_b32 exec_lo, exec_lo, s4
	s_delay_alu instid0(VALU_DEP_1)
	v_cmp_gt_i64_e64 s13, s[10:11], 0
	s_lshl_b32 s4, 2, s17
	s_and_b32 s5, s59, s18
	s_or_b32 s58, s58, s16
	s_or_b32 s59, s5, s4
	s_waitcnt lgkmcnt(0)
	s_and_b32 vcc_lo, exec_lo, s13
	s_barrier
	buffer_gl0_inv
	s_cbranch_vccnz .LBB70_214
; %bb.200:                              ;   in Loop: Header=BB70_33 Depth=1
	s_mov_b32 s72, s67
	s_delay_alu instid0(SALU_CYCLE_1)
	s_cmp_lg_u64 s[72:73], 0
	s_cbranch_scc0 .LBB70_259
; %bb.201:                              ;   in Loop: Header=BB70_33 Depth=1
	v_cvt_f32_u32_e32 v2, s33
	s_sub_u32 s13, 0, s33
	s_subb_u32 s22, 0, 0
	s_delay_alu instid0(VALU_DEP_1) | instskip(NEXT) | instid1(VALU_DEP_1)
	v_fmac_f32_e32 v2, 0x4f800000, v44
	v_rcp_f32_e32 v2, v2
	s_waitcnt_depctr 0xfff
	v_mul_f32_e32 v2, 0x5f7ffffc, v2
	s_delay_alu instid0(VALU_DEP_1) | instskip(NEXT) | instid1(VALU_DEP_1)
	v_mul_f32_e32 v3, 0x2f800000, v2
	v_trunc_f32_e32 v3, v3
	s_delay_alu instid0(VALU_DEP_1) | instskip(SKIP_1) | instid1(VALU_DEP_2)
	v_fmac_f32_e32 v2, 0xcf800000, v3
	v_cvt_u32_f32_e32 v3, v3
	v_cvt_u32_f32_e32 v2, v2
	s_delay_alu instid0(VALU_DEP_2) | instskip(NEXT) | instid1(VALU_DEP_2)
	v_readfirstlane_b32 s4, v3
	v_readfirstlane_b32 s5, v2
	s_delay_alu instid0(VALU_DEP_2) | instskip(NEXT) | instid1(VALU_DEP_1)
	s_mul_i32 s23, s13, s4
	s_mul_hi_u32 s45, s13, s5
	s_mul_i32 s44, s22, s5
	s_add_i32 s23, s45, s23
	s_mul_i32 s46, s13, s5
	s_add_i32 s23, s23, s44
	s_mul_hi_u32 s45, s5, s46
	s_mul_hi_u32 s47, s4, s46
	s_mul_i32 s44, s4, s46
	s_mul_hi_u32 s46, s5, s23
	s_mul_i32 s5, s5, s23
	s_mul_hi_u32 s72, s4, s23
	s_add_u32 s5, s45, s5
	s_addc_u32 s45, 0, s46
	s_add_u32 s5, s5, s44
	s_mul_i32 s23, s4, s23
	s_addc_u32 s5, s45, s47
	s_addc_u32 s44, s72, 0
	s_add_u32 s5, s5, s23
	s_addc_u32 s23, 0, s44
	v_add_co_u32 v2, s5, v2, s5
	s_delay_alu instid0(VALU_DEP_1) | instskip(SKIP_1) | instid1(VALU_DEP_1)
	s_cmp_lg_u32 s5, 0
	s_addc_u32 s4, s4, s23
	v_readfirstlane_b32 s5, v2
	s_mul_i32 s23, s13, s4
	s_delay_alu instid0(VALU_DEP_1)
	s_mul_hi_u32 s44, s13, s5
	s_mul_i32 s22, s22, s5
	s_add_i32 s23, s44, s23
	s_mul_i32 s13, s13, s5
	s_add_i32 s23, s23, s22
	s_mul_hi_u32 s44, s4, s13
	s_mul_i32 s45, s4, s13
	s_mul_hi_u32 s13, s5, s13
	s_mul_hi_u32 s46, s5, s23
	s_mul_i32 s5, s5, s23
	s_mul_hi_u32 s22, s4, s23
	s_add_u32 s5, s13, s5
	s_addc_u32 s13, 0, s46
	s_add_u32 s5, s5, s45
	s_mul_i32 s23, s4, s23
	s_addc_u32 s5, s13, s44
	s_addc_u32 s13, s22, 0
	s_add_u32 s5, s5, s23
	s_addc_u32 s13, 0, s13
	v_add_co_u32 v2, s5, v2, s5
	s_delay_alu instid0(VALU_DEP_1) | instskip(SKIP_2) | instid1(VALU_DEP_1)
	s_cmp_lg_u32 s5, 0
	s_addc_u32 s13, s4, s13
	s_ashr_i32 s22, s73, 31
	v_readfirstlane_b32 s44, v2
	s_add_u32 s4, s95, s22
	s_mov_b32 s23, s22
	s_addc_u32 s5, s73, s22
	s_delay_alu instid0(SALU_CYCLE_1) | instskip(NEXT) | instid1(SALU_CYCLE_1)
	s_xor_b64 s[4:5], s[4:5], s[22:23]
	s_mul_i32 s45, s4, s13
	s_mul_hi_u32 s46, s4, s44
	s_mul_hi_u32 s23, s4, s13
	;; [unrolled: 1-line block ×3, first 2 shown]
	s_mul_i32 s44, s5, s44
	s_add_u32 s45, s46, s45
	s_addc_u32 s23, 0, s23
	s_mul_hi_u32 s47, s5, s13
	s_add_u32 s44, s45, s44
	s_mul_i32 s13, s5, s13
	s_addc_u32 s23, s23, s72
	s_addc_u32 s44, s47, 0
	s_add_u32 s13, s23, s13
	s_addc_u32 s23, 0, s44
	s_mul_hi_u32 s44, s33, s13
	s_mul_i32 s13, s33, s13
	s_mul_i32 s23, s33, s23
	v_sub_co_u32 v2, s4, s4, s13
	s_add_i32 s44, s44, s23
	s_cmp_lg_u32 s4, 0
	s_delay_alu instid0(VALU_DEP_1) | instskip(SKIP_2) | instid1(VALU_DEP_1)
	v_sub_co_u32 v3, s4, v2, s33
	s_subb_u32 s5, s5, s44
	s_cmp_lg_u32 s4, 0
	v_cmp_le_u32_e32 vcc_lo, s33, v3
	v_sub_co_u32 v4, s4, v3, s33
	s_subb_u32 s13, s5, 0
	s_cmp_lg_u32 s4, 0
	v_cmp_le_u32_e64 s4, s33, v2
	s_subb_u32 s23, s13, 0
	v_cndmask_b32_e64 v5, 0, -1, vcc_lo
	s_cmp_eq_u32 s13, 0
	s_cselect_b32 vcc_lo, -1, 0
	v_cndmask_b32_e64 v6, 0, -1, s4
	s_delay_alu instid0(VALU_DEP_2) | instskip(SKIP_2) | instid1(VALU_DEP_1)
	v_cndmask_b32_e32 v5, -1, v5, vcc_lo
	s_cmp_eq_u32 s5, 0
	s_cselect_b32 vcc_lo, -1, 0
	v_cmp_ne_u32_e64 s4, 0, v5
	v_dual_cndmask_b32 v5, -1, v6 :: v_dual_mov_b32 v6, s23
	s_delay_alu instid0(VALU_DEP_2) | instskip(NEXT) | instid1(VALU_DEP_2)
	v_cndmask_b32_e64 v3, v3, v4, s4
	v_cmp_ne_u32_e32 vcc_lo, 0, v5
	s_delay_alu instid0(VALU_DEP_3) | instskip(NEXT) | instid1(VALU_DEP_3)
	v_cndmask_b32_e64 v4, s13, v6, s4
	v_cndmask_b32_e32 v2, v2, v3, vcc_lo
	s_delay_alu instid0(VALU_DEP_2) | instskip(NEXT) | instid1(VALU_DEP_2)
	v_cndmask_b32_e32 v3, s5, v4, vcc_lo
	v_xor_b32_e32 v2, s22, v2
	s_delay_alu instid0(VALU_DEP_2) | instskip(NEXT) | instid1(VALU_DEP_2)
	v_xor_b32_e32 v3, s22, v3
	v_sub_co_u32 v2, vcc_lo, v2, s22
	s_delay_alu instid0(VALU_DEP_2)
	v_subrev_co_ci_u32_e32 v3, vcc_lo, s22, v3, vcc_lo
	s_cbranch_execnz .LBB70_203
.LBB70_202:                             ;   in Loop: Header=BB70_33 Depth=1
	v_cvt_f32_u32_e32 v2, s33
	s_sub_i32 s4, 0, s33
	s_delay_alu instid0(VALU_DEP_1) | instskip(SKIP_2) | instid1(VALU_DEP_1)
	v_rcp_iflag_f32_e32 v2, v2
	s_waitcnt_depctr 0xfff
	v_mul_f32_e32 v2, 0x4f7ffffe, v2
	v_cvt_u32_f32_e32 v2, v2
	s_delay_alu instid0(VALU_DEP_1) | instskip(NEXT) | instid1(VALU_DEP_1)
	v_mul_lo_u32 v3, s4, v2
	v_mul_hi_u32 v3, v2, v3
	s_delay_alu instid0(VALU_DEP_1) | instskip(NEXT) | instid1(VALU_DEP_1)
	v_add_nc_u32_e32 v2, v2, v3
	v_mul_hi_u32 v2, s95, v2
	s_delay_alu instid0(VALU_DEP_1) | instskip(NEXT) | instid1(VALU_DEP_1)
	v_mul_lo_u32 v2, v2, s33
	v_sub_nc_u32_e32 v2, s95, v2
	s_delay_alu instid0(VALU_DEP_1) | instskip(SKIP_1) | instid1(VALU_DEP_2)
	v_subrev_nc_u32_e32 v3, s33, v2
	v_cmp_le_u32_e32 vcc_lo, s33, v2
	v_cndmask_b32_e32 v2, v2, v3, vcc_lo
	s_delay_alu instid0(VALU_DEP_1) | instskip(SKIP_1) | instid1(VALU_DEP_2)
	v_subrev_nc_u32_e32 v3, s33, v2
	v_cmp_le_u32_e32 vcc_lo, s33, v2
	v_cndmask_b32_e32 v12, v2, v3, vcc_lo
	s_delay_alu instid0(VALU_DEP_1)
	v_dual_mov_b32 v2, v12 :: v_dual_mov_b32 v3, v13
.LBB70_203:                             ;   in Loop: Header=BB70_33 Depth=1
	s_delay_alu instid0(VALU_DEP_1) | instskip(NEXT) | instid1(VALU_DEP_2)
	v_sub_co_u32 v2, vcc_lo, s95, v2
	v_sub_co_ci_u32_e32 v3, vcc_lo, s73, v3, vcc_lo
	s_mov_b32 s4, 0
	s_mov_b32 s5, exec_lo
                                        ; implicit-def: $vgpr45
	s_delay_alu instid0(VALU_DEP_1)
	v_cmpx_gt_i64_e64 v[2:3], v[0:1]
	s_cbranch_execz .LBB70_216
; %bb.204:                              ;   in Loop: Header=BB70_33 Depth=1
	v_dual_mov_b32 v4, v10 :: v_dual_mov_b32 v5, v11
	v_dual_mov_b32 v7, v1 :: v_dual_mov_b32 v6, v0
	s_mov_b32 s13, 0
                                        ; implicit-def: $sgpr22
	s_branch .LBB70_206
.LBB70_205:                             ;   in Loop: Header=BB70_206 Depth=2
	s_or_b32 exec_lo, exec_lo, s4
	s_waitcnt vmcnt(0) lgkmcnt(0)
	s_barrier
	buffer_gl0_inv
	ds_load_b32 v8, v13 offset:3072
	v_add_co_u32 v6, vcc_lo, v6, s33
	v_add_co_ci_u32_e32 v7, vcc_lo, 0, v7, vcc_lo
	s_waitcnt lgkmcnt(0)
	s_barrier
	buffer_gl0_inv
	v_cmp_ge_i64_e32 vcc_lo, v[6:7], v[2:3]
	v_and_b32_e32 v9, 0x7fff, v8
	s_delay_alu instid0(VALU_DEP_1) | instskip(NEXT) | instid1(VALU_DEP_1)
	v_cmp_ne_u16_e64 s4, 0, v9
	s_or_b32 s23, s4, vcc_lo
	v_add_co_u32 v4, vcc_lo, v4, s68
	s_and_b32 s23, exec_lo, s23
	v_add_co_ci_u32_e32 v5, vcc_lo, s69, v5, vcc_lo
	s_or_b32 s13, s23, s13
	s_and_not1_b32 s22, s22, exec_lo
	s_and_b32 s4, s4, exec_lo
	s_delay_alu instid0(SALU_CYCLE_1)
	s_or_b32 s22, s22, s4
	s_and_not1_b32 exec_lo, exec_lo, s13
	s_cbranch_execz .LBB70_215
.LBB70_206:                             ;   Parent Loop BB70_33 Depth=1
                                        ; =>  This Inner Loop Header: Depth=2
	s_delay_alu instid0(VALU_DEP_1)
	v_cmp_gt_i64_e32 vcc_lo, s[24:25], v[6:7]
	v_mov_b32_e32 v8, 0
	s_and_saveexec_b32 s4, vcc_lo
	s_cbranch_execz .LBB70_208
; %bb.207:                              ;   in Loop: Header=BB70_206 Depth=2
	global_load_u16 v8, v[4:5], off
.LBB70_208:                             ;   in Loop: Header=BB70_206 Depth=2
	s_or_b32 exec_lo, exec_lo, s4
	s_and_saveexec_b32 s4, vcc_lo
	s_cbranch_execz .LBB70_205
; %bb.209:                              ;   in Loop: Header=BB70_206 Depth=2
	s_waitcnt vmcnt(0)
	v_cmp_lt_i16_e32 vcc_lo, -1, v8
	v_and_b32_e32 v9, 0xffff, v8
	v_dual_cndmask_b32 v12, 0xffff, v43 :: v_dual_lshlrev_b32 v25, 16, v8
	s_delay_alu instid0(VALU_DEP_1) | instskip(NEXT) | instid1(VALU_DEP_2)
	v_cmp_o_f32_e32 vcc_lo, v25, v25
	v_xor_b32_e32 v9, v12, v9
	s_delay_alu instid0(VALU_DEP_1) | instskip(NEXT) | instid1(VALU_DEP_1)
	v_cndmask_b32_e32 v9, 0xffff, v9, vcc_lo
	v_and_b32_e32 v9, s58, v9
	s_delay_alu instid0(VALU_DEP_1)
	v_cmp_eq_u32_e32 vcc_lo, s59, v9
	s_and_b32 exec_lo, exec_lo, vcc_lo
	s_cbranch_execz .LBB70_205
; %bb.210:                              ;   in Loop: Header=BB70_206 Depth=2
	v_perm_b32 v8, v8, s102, 0x5040100
	ds_store_b32 v13, v8 offset:3072
	s_branch .LBB70_205
.LBB70_211:                             ;   in Loop: Header=BB70_33 Depth=1
                                        ; implicit-def: $sgpr13
                                        ; implicit-def: $sgpr23
                                        ; implicit-def: $sgpr22
	s_branch .LBB70_230
.LBB70_212:                             ;   in Loop: Header=BB70_33 Depth=1
                                        ; implicit-def: $vgpr2_vgpr3
	s_branch .LBB70_155
.LBB70_213:                             ;   in Loop: Header=BB70_33 Depth=1
                                        ; implicit-def: $vgpr2_vgpr3
	s_branch .LBB70_172
.LBB70_214:                             ;   in Loop: Header=BB70_33 Depth=1
	s_mov_b32 s13, -1
	s_mov_b32 s4, 0
                                        ; implicit-def: $sgpr22
                                        ; implicit-def: $vgpr45
	s_mov_b32 s23, s13
	s_cbranch_execnz .LBB70_217
	s_branch .LBB70_230
.LBB70_215:                             ;   in Loop: Header=BB70_33 Depth=1
	s_or_b32 exec_lo, exec_lo, s13
	v_lshrrev_b32_e32 v45, 16, v8
	s_and_b32 s4, s22, exec_lo
.LBB70_216:                             ;   in Loop: Header=BB70_33 Depth=1
	s_or_b32 exec_lo, exec_lo, s5
	s_mov_b32 s22, -1
	s_mov_b32 s13, 0
	s_delay_alu instid0(SALU_CYCLE_1)
	s_mov_b32 s23, s13
	s_branch .LBB70_230
.LBB70_217:                             ;   in Loop: Header=BB70_33 Depth=1
	s_add_u32 s13, s93, s10
	s_addc_u32 s5, s94, s11
	s_mov_b32 s4, s67
	s_delay_alu instid0(SALU_CYCLE_1)
	s_cmp_lg_u64 s[4:5], 0
	s_cbranch_scc0 .LBB70_260
; %bb.218:                              ;   in Loop: Header=BB70_33 Depth=1
	v_cvt_f32_u32_e32 v2, s33
	s_sub_u32 s23, 0, s33
	s_subb_u32 s44, 0, 0
	s_delay_alu instid0(VALU_DEP_1) | instskip(NEXT) | instid1(VALU_DEP_1)
	v_fmac_f32_e32 v2, 0x4f800000, v44
	v_rcp_f32_e32 v2, v2
	s_waitcnt_depctr 0xfff
	v_mul_f32_e32 v2, 0x5f7ffffc, v2
	s_delay_alu instid0(VALU_DEP_1) | instskip(NEXT) | instid1(VALU_DEP_1)
	v_mul_f32_e32 v3, 0x2f800000, v2
	v_trunc_f32_e32 v3, v3
	s_delay_alu instid0(VALU_DEP_1) | instskip(SKIP_1) | instid1(VALU_DEP_2)
	v_fmac_f32_e32 v2, 0xcf800000, v3
	v_cvt_u32_f32_e32 v3, v3
	v_cvt_u32_f32_e32 v2, v2
	s_delay_alu instid0(VALU_DEP_2) | instskip(NEXT) | instid1(VALU_DEP_2)
	v_readfirstlane_b32 s4, v3
	v_readfirstlane_b32 s22, v2
	s_delay_alu instid0(VALU_DEP_2) | instskip(NEXT) | instid1(VALU_DEP_1)
	s_mul_i32 s45, s23, s4
	s_mul_hi_u32 s47, s23, s22
	s_mul_i32 s46, s44, s22
	s_add_i32 s45, s47, s45
	s_mul_i32 s72, s23, s22
	s_add_i32 s45, s45, s46
	s_mul_hi_u32 s47, s22, s72
	s_mul_hi_u32 s82, s4, s72
	s_mul_i32 s46, s4, s72
	s_mul_hi_u32 s72, s22, s45
	s_mul_i32 s22, s22, s45
	s_mul_hi_u32 s83, s4, s45
	s_add_u32 s22, s47, s22
	s_addc_u32 s47, 0, s72
	s_add_u32 s22, s22, s46
	s_mul_i32 s45, s4, s45
	s_addc_u32 s22, s47, s82
	s_addc_u32 s46, s83, 0
	s_add_u32 s22, s22, s45
	s_addc_u32 s45, 0, s46
	v_add_co_u32 v2, s22, v2, s22
	s_delay_alu instid0(VALU_DEP_1) | instskip(SKIP_1) | instid1(VALU_DEP_1)
	s_cmp_lg_u32 s22, 0
	s_addc_u32 s4, s4, s45
	v_readfirstlane_b32 s22, v2
	s_mul_i32 s45, s23, s4
	s_delay_alu instid0(VALU_DEP_1)
	s_mul_hi_u32 s46, s23, s22
	s_mul_i32 s44, s44, s22
	s_add_i32 s45, s46, s45
	s_mul_i32 s23, s23, s22
	s_add_i32 s45, s45, s44
	s_mul_hi_u32 s46, s4, s23
	s_mul_i32 s47, s4, s23
	s_mul_hi_u32 s23, s22, s23
	s_mul_hi_u32 s72, s22, s45
	s_mul_i32 s22, s22, s45
	s_mul_hi_u32 s44, s4, s45
	s_add_u32 s22, s23, s22
	s_addc_u32 s23, 0, s72
	s_add_u32 s22, s22, s47
	s_mul_i32 s45, s4, s45
	s_addc_u32 s22, s23, s46
	s_addc_u32 s23, s44, 0
	s_add_u32 s22, s22, s45
	s_addc_u32 s23, 0, s23
	v_add_co_u32 v2, s22, v2, s22
	s_delay_alu instid0(VALU_DEP_1) | instskip(SKIP_2) | instid1(VALU_DEP_1)
	s_cmp_lg_u32 s22, 0
	s_addc_u32 s4, s4, s23
	s_ashr_i32 s22, s5, 31
	v_readfirstlane_b32 s46, v2
	s_add_u32 s44, s13, s22
	s_mov_b32 s23, s22
	s_addc_u32 s45, s5, s22
	s_delay_alu instid0(SALU_CYCLE_1) | instskip(NEXT) | instid1(SALU_CYCLE_1)
	s_xor_b64 s[44:45], s[44:45], s[22:23]
	s_mul_i32 s47, s44, s4
	s_mul_hi_u32 s72, s44, s46
	s_mul_hi_u32 s23, s44, s4
	;; [unrolled: 1-line block ×3, first 2 shown]
	s_mul_i32 s46, s45, s46
	s_add_u32 s47, s72, s47
	s_addc_u32 s23, 0, s23
	s_mul_hi_u32 s82, s45, s4
	s_add_u32 s46, s47, s46
	s_mul_i32 s4, s45, s4
	s_addc_u32 s23, s23, s83
	s_addc_u32 s46, s82, 0
	s_add_u32 s4, s23, s4
	s_addc_u32 s23, 0, s46
	s_mul_hi_u32 s46, s33, s4
	s_mul_i32 s4, s33, s4
	s_mul_i32 s23, s33, s23
	v_sub_co_u32 v2, s4, s44, s4
	s_add_i32 s46, s46, s23
	s_cmp_lg_u32 s4, 0
	s_delay_alu instid0(VALU_DEP_1) | instskip(SKIP_2) | instid1(VALU_DEP_1)
	v_sub_co_u32 v3, s4, v2, s33
	s_subb_u32 s23, s45, s46
	s_cmp_lg_u32 s4, 0
	v_cmp_le_u32_e32 vcc_lo, s33, v3
	v_sub_co_u32 v4, s4, v3, s33
	s_subb_u32 s44, s23, 0
	s_cmp_lg_u32 s4, 0
	v_cmp_le_u32_e64 s4, s33, v2
	s_subb_u32 s45, s44, 0
	v_cndmask_b32_e64 v5, 0, -1, vcc_lo
	s_cmp_eq_u32 s44, 0
	s_cselect_b32 vcc_lo, -1, 0
	v_cndmask_b32_e64 v6, 0, -1, s4
	s_delay_alu instid0(VALU_DEP_2) | instskip(SKIP_2) | instid1(VALU_DEP_1)
	v_cndmask_b32_e32 v5, -1, v5, vcc_lo
	s_cmp_eq_u32 s23, 0
	s_cselect_b32 vcc_lo, -1, 0
	v_cmp_ne_u32_e64 s4, 0, v5
	v_dual_cndmask_b32 v5, -1, v6 :: v_dual_mov_b32 v6, s45
	s_delay_alu instid0(VALU_DEP_2) | instskip(NEXT) | instid1(VALU_DEP_2)
	v_cndmask_b32_e64 v3, v3, v4, s4
	v_cmp_ne_u32_e32 vcc_lo, 0, v5
	s_delay_alu instid0(VALU_DEP_3) | instskip(NEXT) | instid1(VALU_DEP_3)
	v_cndmask_b32_e64 v4, s44, v6, s4
	v_cndmask_b32_e32 v2, v2, v3, vcc_lo
	s_delay_alu instid0(VALU_DEP_2) | instskip(NEXT) | instid1(VALU_DEP_2)
	v_cndmask_b32_e32 v3, s23, v4, vcc_lo
	v_xor_b32_e32 v2, s22, v2
	s_delay_alu instid0(VALU_DEP_2) | instskip(NEXT) | instid1(VALU_DEP_2)
	v_xor_b32_e32 v3, s22, v3
	v_sub_co_u32 v2, vcc_lo, v2, s22
	s_delay_alu instid0(VALU_DEP_2)
	v_subrev_co_ci_u32_e32 v3, vcc_lo, s22, v3, vcc_lo
	s_cbranch_execnz .LBB70_220
.LBB70_219:                             ;   in Loop: Header=BB70_33 Depth=1
	v_cvt_f32_u32_e32 v2, s33
	s_sub_i32 s4, 0, s33
	s_delay_alu instid0(VALU_DEP_1) | instskip(SKIP_2) | instid1(VALU_DEP_1)
	v_rcp_iflag_f32_e32 v2, v2
	s_waitcnt_depctr 0xfff
	v_mul_f32_e32 v2, 0x4f7ffffe, v2
	v_cvt_u32_f32_e32 v2, v2
	s_delay_alu instid0(VALU_DEP_1) | instskip(NEXT) | instid1(VALU_DEP_1)
	v_mul_lo_u32 v3, s4, v2
	v_mul_hi_u32 v3, v2, v3
	s_delay_alu instid0(VALU_DEP_1) | instskip(NEXT) | instid1(VALU_DEP_1)
	v_add_nc_u32_e32 v2, v2, v3
	v_mul_hi_u32 v2, s13, v2
	s_delay_alu instid0(VALU_DEP_1) | instskip(NEXT) | instid1(VALU_DEP_1)
	v_mul_lo_u32 v2, v2, s33
	v_sub_nc_u32_e32 v2, s13, v2
	s_delay_alu instid0(VALU_DEP_1) | instskip(SKIP_1) | instid1(VALU_DEP_2)
	v_subrev_nc_u32_e32 v3, s33, v2
	v_cmp_le_u32_e32 vcc_lo, s33, v2
	v_cndmask_b32_e32 v2, v2, v3, vcc_lo
	s_delay_alu instid0(VALU_DEP_1) | instskip(SKIP_1) | instid1(VALU_DEP_2)
	v_subrev_nc_u32_e32 v3, s33, v2
	v_cmp_le_u32_e32 vcc_lo, s33, v2
	v_cndmask_b32_e32 v12, v2, v3, vcc_lo
	s_delay_alu instid0(VALU_DEP_1)
	v_dual_mov_b32 v2, v12 :: v_dual_mov_b32 v3, v13
.LBB70_220:                             ;   in Loop: Header=BB70_33 Depth=1
	s_delay_alu instid0(VALU_DEP_1) | instskip(NEXT) | instid1(VALU_DEP_2)
	v_sub_co_u32 v2, vcc_lo, s13, v2
	v_sub_co_ci_u32_e32 v3, vcc_lo, s5, v3, vcc_lo
	s_mov_b32 s4, 0
	s_mov_b32 s5, exec_lo
                                        ; implicit-def: $vgpr45
	s_delay_alu instid0(VALU_DEP_1)
	v_cmpx_gt_i64_e64 v[2:3], v[0:1]
	s_cbranch_execz .LBB70_229
; %bb.221:                              ;   in Loop: Header=BB70_33 Depth=1
	v_dual_mov_b32 v6, v34 :: v_dual_mov_b32 v5, v1
	v_mov_b32_e32 v4, v0
	s_mov_b32 s13, 0
                                        ; implicit-def: $sgpr22
	s_branch .LBB70_223
.LBB70_222:                             ;   in Loop: Header=BB70_223 Depth=2
	s_or_b32 exec_lo, exec_lo, s4
	s_waitcnt lgkmcnt(0)
	s_barrier
	buffer_gl0_inv
	ds_load_b32 v7, v13 offset:3072
	v_add_co_u32 v4, vcc_lo, v4, s33
	v_add_co_ci_u32_e32 v5, vcc_lo, 0, v5, vcc_lo
	v_add_nc_u32_e32 v6, s101, v6
	s_waitcnt lgkmcnt(0)
	s_barrier
	s_delay_alu instid0(VALU_DEP_2) | instskip(SKIP_2) | instid1(VALU_DEP_1)
	v_cmp_ge_i64_e32 vcc_lo, v[4:5], v[2:3]
	buffer_gl0_inv
	v_and_b32_e32 v8, 0x7fff, v7
	v_cmp_ne_u16_e64 s4, 0, v8
	s_delay_alu instid0(VALU_DEP_1) | instskip(NEXT) | instid1(SALU_CYCLE_1)
	s_or_b32 s23, s4, vcc_lo
	s_and_b32 s23, exec_lo, s23
	s_delay_alu instid0(SALU_CYCLE_1) | instskip(SKIP_2) | instid1(SALU_CYCLE_1)
	s_or_b32 s13, s23, s13
	s_and_not1_b32 s22, s22, exec_lo
	s_and_b32 s4, s4, exec_lo
	s_or_b32 s22, s22, s4
	s_and_not1_b32 exec_lo, exec_lo, s13
	s_cbranch_execz .LBB70_228
.LBB70_223:                             ;   Parent Loop BB70_33 Depth=1
                                        ; =>  This Inner Loop Header: Depth=2
	s_delay_alu instid0(VALU_DEP_1)
	v_cmp_gt_i64_e32 vcc_lo, s[10:11], v[4:5]
	v_mov_b32_e32 v7, 0
	s_and_saveexec_b32 s4, vcc_lo
	s_cbranch_execz .LBB70_225
; %bb.224:                              ;   in Loop: Header=BB70_223 Depth=2
	ds_load_u16 v7, v6
.LBB70_225:                             ;   in Loop: Header=BB70_223 Depth=2
	s_or_b32 exec_lo, exec_lo, s4
	s_and_saveexec_b32 s4, vcc_lo
	s_cbranch_execz .LBB70_222
; %bb.226:                              ;   in Loop: Header=BB70_223 Depth=2
	s_waitcnt lgkmcnt(0)
	v_cmp_lt_i16_e32 vcc_lo, -1, v7
	v_and_b32_e32 v8, 0xffff, v7
	v_lshlrev_b32_e32 v12, 16, v7
	v_cndmask_b32_e32 v9, 0xffff, v43, vcc_lo
	s_delay_alu instid0(VALU_DEP_2) | instskip(NEXT) | instid1(VALU_DEP_2)
	v_cmp_o_f32_e32 vcc_lo, v12, v12
	v_xor_b32_e32 v8, v9, v8
	s_delay_alu instid0(VALU_DEP_1) | instskip(NEXT) | instid1(VALU_DEP_1)
	v_cndmask_b32_e32 v8, 0xffff, v8, vcc_lo
	v_and_b32_e32 v8, s58, v8
	s_delay_alu instid0(VALU_DEP_1)
	v_cmp_eq_u32_e32 vcc_lo, s59, v8
	s_and_b32 exec_lo, exec_lo, vcc_lo
	s_cbranch_execz .LBB70_222
; %bb.227:                              ;   in Loop: Header=BB70_223 Depth=2
	v_perm_b32 v7, v7, s102, 0x5040100
	ds_store_b32 v13, v7 offset:3072
	s_branch .LBB70_222
.LBB70_228:                             ;   in Loop: Header=BB70_33 Depth=1
	s_or_b32 exec_lo, exec_lo, s13
	v_lshrrev_b32_e32 v45, 16, v7
	s_and_b32 s4, s22, exec_lo
.LBB70_229:                             ;   in Loop: Header=BB70_33 Depth=1
	s_or_b32 exec_lo, exec_lo, s5
	s_mov_b32 s23, -1
	s_mov_b32 s13, 0
	s_mov_b32 s22, 0
.LBB70_230:                             ;   in Loop: Header=BB70_33 Depth=1
	s_mov_b32 s5, 0
                                        ; implicit-def: $sgpr72
	s_and_saveexec_b32 s10, s4
	s_cbranch_execz .LBB70_292
; %bb.231:                              ;   in Loop: Header=BB70_33 Depth=1
	s_xor_b32 s4, s66, -1
	s_mov_b32 s72, 1
	s_and_not1_b32 vcc_lo, exec_lo, s4
	s_cbranch_vccnz .LBB70_242
; %bb.232:                              ;   in Loop: Header=BB70_33 Depth=1
	v_cmp_gt_i64_e64 s4, s[26:27], s[8:9]
                                        ; implicit-def: $sgpr72
                                        ; implicit-def: $sgpr5
                                        ; implicit-def: $sgpr11
	s_delay_alu instid0(VALU_DEP_1)
	s_and_b32 vcc_lo, exec_lo, s4
	s_mov_b32 s4, -1
	s_cbranch_vccnz .LBB70_238
; %bb.233:                              ;   in Loop: Header=BB70_33 Depth=1
	ds_load_b64 v[2:3], v13 offset:5120
	s_waitcnt lgkmcnt(0)
	v_cmp_ne_u64_e32 vcc_lo, 0, v[2:3]
	s_cbranch_vccnz .LBB70_237
; %bb.234:                              ;   in Loop: Header=BB70_33 Depth=1
	s_and_saveexec_b32 s4, s0
	s_cbranch_execz .LBB70_236
; %bb.235:                              ;   in Loop: Header=BB70_33 Depth=1
	v_dual_mov_b32 v2, s8 :: v_dual_mov_b32 v3, s9
	ds_store_b64 v13, v[2:3] offset:5128
.LBB70_236:                             ;   in Loop: Header=BB70_33 Depth=1
	s_or_b32 exec_lo, exec_lo, s4
	s_waitcnt lgkmcnt(0)
	s_barrier
	buffer_gl0_inv
.LBB70_237:                             ;   in Loop: Header=BB70_33 Depth=1
	s_lshl_b32 s4, 2, s17
	s_and_b32 s5, s59, s18
	s_or_b32 s11, s58, s16
	s_or_b32 s5, s5, s4
	s_mov_b32 s4, 0
	s_mov_b32 s72, 8
.LBB70_238:                             ;   in Loop: Header=BB70_33 Depth=1
	s_and_not1_b32 vcc_lo, exec_lo, s4
	s_cbranch_vccnz .LBB70_240
; %bb.239:                              ;   in Loop: Header=BB70_33 Depth=1
	s_sub_u32 s26, s26, s8
	s_subb_u32 s27, s27, s9
	s_mov_b32 s4, -1
	s_mov_b32 s72, 0
	s_mov_b32 s5, s59
	;; [unrolled: 1-line block ×3, first 2 shown]
.LBB70_240:                             ;   in Loop: Header=BB70_33 Depth=1
	s_delay_alu instid0(SALU_CYCLE_1)
	s_mov_b32 s58, s11
	s_mov_b32 s59, s5
	s_and_not1_b32 vcc_lo, exec_lo, s4
	s_mov_b32 s9, -1
	s_cbranch_vccz .LBB70_243
.LBB70_241:                             ;   in Loop: Header=BB70_33 Depth=1
                                        ; implicit-def: $sgpr17
                                        ; implicit-def: $sgpr44
                                        ; implicit-def: $sgpr18
	s_branch .LBB70_291
.LBB70_242:                             ;   in Loop: Header=BB70_33 Depth=1
	s_mov_b64 s[26:27], 1
	s_mov_b32 s9, -1
	s_cbranch_execnz .LBB70_241
.LBB70_243:                             ;   in Loop: Header=BB70_33 Depth=1
	s_cmp_eq_u64 s[6:7], 1
	s_mov_b32 s45, -1
	s_cselect_b32 s4, -1, 0
	s_cmp_eq_u64 s[26:27], 1
	s_cselect_b32 s5, -1, 0
	s_delay_alu instid0(SALU_CYCLE_1) | instskip(NEXT) | instid1(SALU_CYCLE_1)
	s_and_b32 s11, s4, s5
	s_and_b32 vcc_lo, exec_lo, s11
	s_cbranch_vccz .LBB70_258
; %bb.244:                              ;   in Loop: Header=BB70_33 Depth=1
	ds_load_b64 v[2:3], v13 offset:5120
	s_waitcnt lgkmcnt(0)
	s_barrier
	buffer_gl0_inv
	v_readfirstlane_b32 s8, v2
	v_readfirstlane_b32 s9, v3
	s_and_saveexec_b32 s4, s3
	s_cbranch_execz .LBB70_246
; %bb.245:                              ;   in Loop: Header=BB70_33 Depth=1
	ds_store_b16 v35, v13
.LBB70_246:                             ;   in Loop: Header=BB70_33 Depth=1
	s_or_b32 exec_lo, exec_lo, s4
	s_delay_alu instid0(VALU_DEP_1)
	v_cmp_gt_i64_e64 s4, s[8:9], 0
	s_or_b32 s59, s59, s16
	s_or_b32 s58, s58, s16
	s_waitcnt lgkmcnt(0)
	s_barrier
	buffer_gl0_inv
	s_and_b32 vcc_lo, exec_lo, s4
	s_cbranch_vccnz .LBB70_261
; %bb.247:                              ;   in Loop: Header=BB70_33 Depth=1
	s_mov_b32 s72, s67
	s_delay_alu instid0(SALU_CYCLE_1)
	s_cmp_lg_u64 s[72:73], 0
	s_cbranch_scc0 .LBB70_297
; %bb.248:                              ;   in Loop: Header=BB70_33 Depth=1
	v_cvt_f32_u32_e32 v2, s33
	s_sub_u32 s17, 0, s33
	s_subb_u32 s18, 0, 0
	s_delay_alu instid0(VALU_DEP_1) | instskip(NEXT) | instid1(VALU_DEP_1)
	v_fmac_f32_e32 v2, 0x4f800000, v44
	v_rcp_f32_e32 v2, v2
	s_waitcnt_depctr 0xfff
	v_mul_f32_e32 v2, 0x5f7ffffc, v2
	s_delay_alu instid0(VALU_DEP_1) | instskip(NEXT) | instid1(VALU_DEP_1)
	v_mul_f32_e32 v3, 0x2f800000, v2
	v_trunc_f32_e32 v3, v3
	s_delay_alu instid0(VALU_DEP_1) | instskip(SKIP_1) | instid1(VALU_DEP_2)
	v_fmac_f32_e32 v2, 0xcf800000, v3
	v_cvt_u32_f32_e32 v3, v3
	v_cvt_u32_f32_e32 v2, v2
	s_delay_alu instid0(VALU_DEP_2) | instskip(NEXT) | instid1(VALU_DEP_2)
	v_readfirstlane_b32 s4, v3
	v_readfirstlane_b32 s5, v2
	s_delay_alu instid0(VALU_DEP_2) | instskip(NEXT) | instid1(VALU_DEP_1)
	s_mul_i32 s44, s17, s4
	s_mul_hi_u32 s46, s17, s5
	s_mul_i32 s45, s18, s5
	s_add_i32 s44, s46, s44
	s_mul_i32 s47, s17, s5
	s_add_i32 s44, s44, s45
	s_mul_hi_u32 s46, s5, s47
	s_mul_hi_u32 s66, s4, s47
	s_mul_i32 s45, s4, s47
	s_mul_hi_u32 s47, s5, s44
	s_mul_i32 s5, s5, s44
	s_mul_hi_u32 s72, s4, s44
	s_add_u32 s5, s46, s5
	s_addc_u32 s46, 0, s47
	s_add_u32 s5, s5, s45
	s_mul_i32 s44, s4, s44
	s_addc_u32 s5, s46, s66
	s_addc_u32 s45, s72, 0
	s_add_u32 s5, s5, s44
	s_addc_u32 s44, 0, s45
	v_add_co_u32 v2, s5, v2, s5
	s_delay_alu instid0(VALU_DEP_1) | instskip(SKIP_1) | instid1(VALU_DEP_1)
	s_cmp_lg_u32 s5, 0
	s_addc_u32 s4, s4, s44
	v_readfirstlane_b32 s5, v2
	s_mul_i32 s44, s17, s4
	s_delay_alu instid0(VALU_DEP_1)
	s_mul_hi_u32 s45, s17, s5
	s_mul_i32 s18, s18, s5
	s_add_i32 s44, s45, s44
	s_mul_i32 s17, s17, s5
	s_add_i32 s44, s44, s18
	s_mul_hi_u32 s45, s4, s17
	s_mul_i32 s46, s4, s17
	s_mul_hi_u32 s17, s5, s17
	s_mul_hi_u32 s47, s5, s44
	s_mul_i32 s5, s5, s44
	s_mul_hi_u32 s18, s4, s44
	s_add_u32 s5, s17, s5
	s_addc_u32 s17, 0, s47
	s_add_u32 s5, s5, s46
	s_mul_i32 s44, s4, s44
	s_addc_u32 s5, s17, s45
	s_addc_u32 s17, s18, 0
	s_add_u32 s5, s5, s44
	s_addc_u32 s17, 0, s17
	v_add_co_u32 v2, s5, v2, s5
	s_delay_alu instid0(VALU_DEP_1) | instskip(SKIP_2) | instid1(VALU_DEP_1)
	s_cmp_lg_u32 s5, 0
	s_addc_u32 s17, s4, s17
	s_ashr_i32 s44, s73, 31
	v_readfirstlane_b32 s18, v2
	s_add_u32 s4, s95, s44
	s_mov_b32 s45, s44
	s_addc_u32 s5, s73, s44
	s_delay_alu instid0(SALU_CYCLE_1) | instskip(NEXT) | instid1(SALU_CYCLE_1)
	s_xor_b64 s[4:5], s[4:5], s[44:45]
	s_mul_i32 s46, s4, s17
	s_mul_hi_u32 s47, s4, s18
	s_mul_hi_u32 s45, s4, s17
	s_mul_hi_u32 s72, s5, s18
	s_mul_i32 s18, s5, s18
	s_add_u32 s46, s47, s46
	s_addc_u32 s45, 0, s45
	s_mul_hi_u32 s66, s5, s17
	s_add_u32 s18, s46, s18
	s_mul_i32 s17, s5, s17
	s_addc_u32 s18, s45, s72
	s_addc_u32 s45, s66, 0
	s_add_u32 s17, s18, s17
	s_addc_u32 s18, 0, s45
	s_mul_hi_u32 s45, s33, s17
	s_mul_i32 s17, s33, s17
	s_mul_i32 s18, s33, s18
	v_sub_co_u32 v2, s4, s4, s17
	s_add_i32 s45, s45, s18
	s_cmp_lg_u32 s4, 0
	s_delay_alu instid0(VALU_DEP_1) | instskip(SKIP_2) | instid1(VALU_DEP_1)
	v_sub_co_u32 v3, s4, v2, s33
	s_subb_u32 s5, s5, s45
	s_cmp_lg_u32 s4, 0
	v_cmp_le_u32_e32 vcc_lo, s33, v3
	v_sub_co_u32 v4, s4, v3, s33
	s_subb_u32 s17, s5, 0
	s_cmp_lg_u32 s4, 0
	v_cmp_le_u32_e64 s4, s33, v2
	s_subb_u32 s18, s17, 0
	v_cndmask_b32_e64 v5, 0, -1, vcc_lo
	s_cmp_eq_u32 s17, 0
	s_cselect_b32 vcc_lo, -1, 0
	v_cndmask_b32_e64 v6, 0, -1, s4
	s_delay_alu instid0(VALU_DEP_2) | instskip(SKIP_2) | instid1(VALU_DEP_1)
	v_cndmask_b32_e32 v5, -1, v5, vcc_lo
	s_cmp_eq_u32 s5, 0
	s_cselect_b32 vcc_lo, -1, 0
	v_cmp_ne_u32_e64 s4, 0, v5
	v_dual_cndmask_b32 v5, -1, v6 :: v_dual_mov_b32 v6, s18
	s_delay_alu instid0(VALU_DEP_2) | instskip(NEXT) | instid1(VALU_DEP_2)
	v_cndmask_b32_e64 v3, v3, v4, s4
	v_cmp_ne_u32_e32 vcc_lo, 0, v5
	s_delay_alu instid0(VALU_DEP_3) | instskip(NEXT) | instid1(VALU_DEP_3)
	v_cndmask_b32_e64 v4, s17, v6, s4
	v_cndmask_b32_e32 v2, v2, v3, vcc_lo
	s_delay_alu instid0(VALU_DEP_2) | instskip(NEXT) | instid1(VALU_DEP_2)
	v_cndmask_b32_e32 v3, s5, v4, vcc_lo
	v_xor_b32_e32 v2, s44, v2
	s_delay_alu instid0(VALU_DEP_2) | instskip(NEXT) | instid1(VALU_DEP_2)
	v_xor_b32_e32 v3, s44, v3
	v_sub_co_u32 v2, vcc_lo, v2, s44
	s_delay_alu instid0(VALU_DEP_2)
	v_subrev_co_ci_u32_e32 v3, vcc_lo, s44, v3, vcc_lo
	s_cbranch_execnz .LBB70_250
.LBB70_249:                             ;   in Loop: Header=BB70_33 Depth=1
	v_cvt_f32_u32_e32 v2, s33
	s_sub_i32 s4, 0, s33
	s_delay_alu instid0(VALU_DEP_1) | instskip(SKIP_2) | instid1(VALU_DEP_1)
	v_rcp_iflag_f32_e32 v2, v2
	s_waitcnt_depctr 0xfff
	v_mul_f32_e32 v2, 0x4f7ffffe, v2
	v_cvt_u32_f32_e32 v2, v2
	s_delay_alu instid0(VALU_DEP_1) | instskip(NEXT) | instid1(VALU_DEP_1)
	v_mul_lo_u32 v3, s4, v2
	v_mul_hi_u32 v3, v2, v3
	s_delay_alu instid0(VALU_DEP_1) | instskip(NEXT) | instid1(VALU_DEP_1)
	v_add_nc_u32_e32 v2, v2, v3
	v_mul_hi_u32 v2, s95, v2
	s_delay_alu instid0(VALU_DEP_1) | instskip(NEXT) | instid1(VALU_DEP_1)
	v_mul_lo_u32 v2, v2, s33
	v_sub_nc_u32_e32 v2, s95, v2
	s_delay_alu instid0(VALU_DEP_1) | instskip(SKIP_1) | instid1(VALU_DEP_2)
	v_subrev_nc_u32_e32 v3, s33, v2
	v_cmp_le_u32_e32 vcc_lo, s33, v2
	v_cndmask_b32_e32 v2, v2, v3, vcc_lo
	s_delay_alu instid0(VALU_DEP_1) | instskip(SKIP_1) | instid1(VALU_DEP_2)
	v_subrev_nc_u32_e32 v3, s33, v2
	v_cmp_le_u32_e32 vcc_lo, s33, v2
	v_cndmask_b32_e32 v12, v2, v3, vcc_lo
	s_delay_alu instid0(VALU_DEP_1)
	v_dual_mov_b32 v2, v12 :: v_dual_mov_b32 v3, v13
.LBB70_250:                             ;   in Loop: Header=BB70_33 Depth=1
	s_delay_alu instid0(VALU_DEP_1) | instskip(NEXT) | instid1(VALU_DEP_2)
	v_sub_co_u32 v2, vcc_lo, s95, v2
	v_sub_co_ci_u32_e32 v3, vcc_lo, s73, v3, vcc_lo
	s_mov_b32 s45, 0
	s_mov_b32 s5, exec_lo
                                        ; implicit-def: $vgpr45
	s_delay_alu instid0(VALU_DEP_1)
	v_cmpx_gt_i64_e64 v[2:3], v[0:1]
	s_cbranch_execz .LBB70_263
; %bb.251:                              ;   in Loop: Header=BB70_33 Depth=1
	v_dual_mov_b32 v4, v10 :: v_dual_mov_b32 v5, v11
	v_dual_mov_b32 v7, v1 :: v_dual_mov_b32 v6, v0
	s_mov_b32 s17, 0
                                        ; implicit-def: $sgpr18
	s_branch .LBB70_253
.LBB70_252:                             ;   in Loop: Header=BB70_253 Depth=2
	s_or_b32 exec_lo, exec_lo, s4
	s_waitcnt vmcnt(0) lgkmcnt(0)
	s_barrier
	buffer_gl0_inv
	ds_load_b32 v8, v13 offset:3072
	v_add_co_u32 v6, vcc_lo, v6, s33
	v_add_co_ci_u32_e32 v7, vcc_lo, 0, v7, vcc_lo
	s_waitcnt lgkmcnt(0)
	s_barrier
	buffer_gl0_inv
	v_cmp_ge_i64_e32 vcc_lo, v[6:7], v[2:3]
	v_and_b32_e32 v9, 0x7fff, v8
	s_delay_alu instid0(VALU_DEP_1) | instskip(NEXT) | instid1(VALU_DEP_1)
	v_cmp_ne_u16_e64 s4, 0, v9
	s_or_b32 s44, s4, vcc_lo
	v_add_co_u32 v4, vcc_lo, v4, s68
	s_and_b32 s44, exec_lo, s44
	v_add_co_ci_u32_e32 v5, vcc_lo, s69, v5, vcc_lo
	s_or_b32 s17, s44, s17
	s_and_not1_b32 s18, s18, exec_lo
	s_and_b32 s4, s4, exec_lo
	s_delay_alu instid0(SALU_CYCLE_1)
	s_or_b32 s18, s18, s4
	s_and_not1_b32 exec_lo, exec_lo, s17
	s_cbranch_execz .LBB70_262
.LBB70_253:                             ;   Parent Loop BB70_33 Depth=1
                                        ; =>  This Inner Loop Header: Depth=2
	s_delay_alu instid0(VALU_DEP_1)
	v_cmp_gt_i64_e32 vcc_lo, s[24:25], v[6:7]
	v_mov_b32_e32 v8, 0
	s_and_saveexec_b32 s4, vcc_lo
	s_cbranch_execz .LBB70_255
; %bb.254:                              ;   in Loop: Header=BB70_253 Depth=2
	global_load_u16 v8, v[4:5], off
.LBB70_255:                             ;   in Loop: Header=BB70_253 Depth=2
	s_or_b32 exec_lo, exec_lo, s4
	s_and_saveexec_b32 s4, vcc_lo
	s_cbranch_execz .LBB70_252
; %bb.256:                              ;   in Loop: Header=BB70_253 Depth=2
	s_waitcnt vmcnt(0)
	v_cmp_lt_i16_e32 vcc_lo, -1, v8
	v_and_b32_e32 v9, 0xffff, v8
	v_dual_cndmask_b32 v12, 0xffff, v43 :: v_dual_lshlrev_b32 v25, 16, v8
	s_delay_alu instid0(VALU_DEP_1) | instskip(NEXT) | instid1(VALU_DEP_2)
	v_cmp_o_f32_e32 vcc_lo, v25, v25
	v_xor_b32_e32 v9, v12, v9
	s_delay_alu instid0(VALU_DEP_1) | instskip(NEXT) | instid1(VALU_DEP_1)
	v_cndmask_b32_e32 v9, 0xffff, v9, vcc_lo
	v_and_b32_e32 v9, s58, v9
	s_delay_alu instid0(VALU_DEP_1)
	v_cmp_eq_u32_e32 vcc_lo, s59, v9
	s_and_b32 exec_lo, exec_lo, vcc_lo
	s_cbranch_execz .LBB70_252
; %bb.257:                              ;   in Loop: Header=BB70_253 Depth=2
	v_perm_b32 v8, v8, s102, 0x5040100
	ds_store_b32 v13, v8 offset:3072
	s_branch .LBB70_252
.LBB70_258:                             ;   in Loop: Header=BB70_33 Depth=1
                                        ; implicit-def: $sgpr17
                                        ; implicit-def: $sgpr44
                                        ; implicit-def: $sgpr18
	s_branch .LBB70_277
.LBB70_259:                             ;   in Loop: Header=BB70_33 Depth=1
                                        ; implicit-def: $vgpr2_vgpr3
	s_branch .LBB70_202
.LBB70_260:                             ;   in Loop: Header=BB70_33 Depth=1
                                        ; implicit-def: $vgpr2_vgpr3
	s_branch .LBB70_219
.LBB70_261:                             ;   in Loop: Header=BB70_33 Depth=1
	s_mov_b32 s17, -1
	s_mov_b32 s45, 0
                                        ; implicit-def: $sgpr18
                                        ; implicit-def: $vgpr45
	s_mov_b32 s44, s17
	s_cbranch_execnz .LBB70_264
	s_branch .LBB70_277
.LBB70_262:                             ;   in Loop: Header=BB70_33 Depth=1
	s_or_b32 exec_lo, exec_lo, s17
	v_lshrrev_b32_e32 v45, 16, v8
	s_and_b32 s45, s18, exec_lo
.LBB70_263:                             ;   in Loop: Header=BB70_33 Depth=1
	s_or_b32 exec_lo, exec_lo, s5
	s_mov_b32 s18, -1
	s_mov_b32 s17, 0
	s_delay_alu instid0(SALU_CYCLE_1)
	s_mov_b32 s44, s17
	s_branch .LBB70_277
.LBB70_264:                             ;   in Loop: Header=BB70_33 Depth=1
	s_add_u32 s17, s93, s8
	s_addc_u32 s5, s94, s9
	s_mov_b32 s4, s67
	s_delay_alu instid0(SALU_CYCLE_1)
	s_cmp_lg_u64 s[4:5], 0
	s_cbranch_scc0 .LBB70_298
; %bb.265:                              ;   in Loop: Header=BB70_33 Depth=1
	v_cvt_f32_u32_e32 v2, s33
	s_sub_u32 s44, 0, s33
	s_subb_u32 s45, 0, 0
	s_delay_alu instid0(VALU_DEP_1) | instskip(NEXT) | instid1(VALU_DEP_1)
	v_fmac_f32_e32 v2, 0x4f800000, v44
	v_rcp_f32_e32 v2, v2
	s_waitcnt_depctr 0xfff
	v_mul_f32_e32 v2, 0x5f7ffffc, v2
	s_delay_alu instid0(VALU_DEP_1) | instskip(NEXT) | instid1(VALU_DEP_1)
	v_mul_f32_e32 v3, 0x2f800000, v2
	v_trunc_f32_e32 v3, v3
	s_delay_alu instid0(VALU_DEP_1) | instskip(SKIP_1) | instid1(VALU_DEP_2)
	v_fmac_f32_e32 v2, 0xcf800000, v3
	v_cvt_u32_f32_e32 v3, v3
	v_cvt_u32_f32_e32 v2, v2
	s_delay_alu instid0(VALU_DEP_2) | instskip(NEXT) | instid1(VALU_DEP_2)
	v_readfirstlane_b32 s4, v3
	v_readfirstlane_b32 s18, v2
	s_delay_alu instid0(VALU_DEP_2) | instskip(NEXT) | instid1(VALU_DEP_1)
	s_mul_i32 s46, s44, s4
	s_mul_hi_u32 s66, s44, s18
	s_mul_i32 s47, s45, s18
	s_add_i32 s46, s66, s46
	s_mul_i32 s72, s44, s18
	s_add_i32 s46, s46, s47
	s_mul_hi_u32 s66, s18, s72
	s_mul_hi_u32 s82, s4, s72
	s_mul_i32 s47, s4, s72
	s_mul_hi_u32 s72, s18, s46
	s_mul_i32 s18, s18, s46
	s_mul_hi_u32 s83, s4, s46
	s_add_u32 s18, s66, s18
	s_addc_u32 s66, 0, s72
	s_add_u32 s18, s18, s47
	s_mul_i32 s46, s4, s46
	s_addc_u32 s18, s66, s82
	s_addc_u32 s47, s83, 0
	s_add_u32 s18, s18, s46
	s_addc_u32 s46, 0, s47
	v_add_co_u32 v2, s18, v2, s18
	s_delay_alu instid0(VALU_DEP_1) | instskip(SKIP_1) | instid1(VALU_DEP_1)
	s_cmp_lg_u32 s18, 0
	s_addc_u32 s4, s4, s46
	v_readfirstlane_b32 s18, v2
	s_mul_i32 s46, s44, s4
	s_delay_alu instid0(VALU_DEP_1)
	s_mul_hi_u32 s47, s44, s18
	s_mul_i32 s45, s45, s18
	s_add_i32 s46, s47, s46
	s_mul_i32 s44, s44, s18
	s_add_i32 s46, s46, s45
	s_mul_hi_u32 s47, s4, s44
	s_mul_i32 s66, s4, s44
	s_mul_hi_u32 s44, s18, s44
	s_mul_hi_u32 s72, s18, s46
	s_mul_i32 s18, s18, s46
	s_mul_hi_u32 s45, s4, s46
	s_add_u32 s18, s44, s18
	s_addc_u32 s44, 0, s72
	s_add_u32 s18, s18, s66
	s_mul_i32 s46, s4, s46
	s_addc_u32 s18, s44, s47
	s_addc_u32 s44, s45, 0
	s_add_u32 s18, s18, s46
	s_addc_u32 s44, 0, s44
	v_add_co_u32 v2, s18, v2, s18
	s_delay_alu instid0(VALU_DEP_1) | instskip(SKIP_2) | instid1(VALU_DEP_1)
	s_cmp_lg_u32 s18, 0
	s_addc_u32 s4, s4, s44
	s_ashr_i32 s44, s5, 31
	v_readfirstlane_b32 s18, v2
	s_add_u32 s46, s17, s44
	s_mov_b32 s45, s44
	s_addc_u32 s47, s5, s44
	s_delay_alu instid0(SALU_CYCLE_1) | instskip(NEXT) | instid1(SALU_CYCLE_1)
	s_xor_b64 s[46:47], s[46:47], s[44:45]
	s_mul_i32 s66, s46, s4
	s_mul_hi_u32 s72, s46, s18
	s_mul_hi_u32 s45, s46, s4
	;; [unrolled: 1-line block ×3, first 2 shown]
	s_mul_i32 s18, s47, s18
	s_add_u32 s66, s72, s66
	s_addc_u32 s45, 0, s45
	s_mul_hi_u32 s82, s47, s4
	s_add_u32 s18, s66, s18
	s_mul_i32 s4, s47, s4
	s_addc_u32 s18, s45, s83
	s_addc_u32 s45, s82, 0
	s_add_u32 s4, s18, s4
	s_addc_u32 s18, 0, s45
	s_mul_hi_u32 s45, s33, s4
	s_mul_i32 s4, s33, s4
	s_mul_i32 s18, s33, s18
	v_sub_co_u32 v2, s4, s46, s4
	s_add_i32 s45, s45, s18
	s_cmp_lg_u32 s4, 0
	s_delay_alu instid0(VALU_DEP_1) | instskip(SKIP_2) | instid1(VALU_DEP_1)
	v_sub_co_u32 v3, s4, v2, s33
	s_subb_u32 s18, s47, s45
	s_cmp_lg_u32 s4, 0
	v_cmp_le_u32_e32 vcc_lo, s33, v3
	v_sub_co_u32 v4, s4, v3, s33
	s_subb_u32 s45, s18, 0
	s_cmp_lg_u32 s4, 0
	v_cmp_le_u32_e64 s4, s33, v2
	s_subb_u32 s46, s45, 0
	v_cndmask_b32_e64 v5, 0, -1, vcc_lo
	s_cmp_eq_u32 s45, 0
	s_cselect_b32 vcc_lo, -1, 0
	v_cndmask_b32_e64 v6, 0, -1, s4
	s_delay_alu instid0(VALU_DEP_2) | instskip(SKIP_2) | instid1(VALU_DEP_1)
	v_cndmask_b32_e32 v5, -1, v5, vcc_lo
	s_cmp_eq_u32 s18, 0
	s_cselect_b32 vcc_lo, -1, 0
	v_cmp_ne_u32_e64 s4, 0, v5
	v_dual_cndmask_b32 v5, -1, v6 :: v_dual_mov_b32 v6, s46
	s_delay_alu instid0(VALU_DEP_2) | instskip(NEXT) | instid1(VALU_DEP_2)
	v_cndmask_b32_e64 v3, v3, v4, s4
	v_cmp_ne_u32_e32 vcc_lo, 0, v5
	s_delay_alu instid0(VALU_DEP_3) | instskip(NEXT) | instid1(VALU_DEP_3)
	v_cndmask_b32_e64 v4, s45, v6, s4
	v_cndmask_b32_e32 v2, v2, v3, vcc_lo
	s_delay_alu instid0(VALU_DEP_2) | instskip(NEXT) | instid1(VALU_DEP_2)
	v_cndmask_b32_e32 v3, s18, v4, vcc_lo
	v_xor_b32_e32 v2, s44, v2
	s_delay_alu instid0(VALU_DEP_2) | instskip(NEXT) | instid1(VALU_DEP_2)
	v_xor_b32_e32 v3, s44, v3
	v_sub_co_u32 v2, vcc_lo, v2, s44
	s_delay_alu instid0(VALU_DEP_2)
	v_subrev_co_ci_u32_e32 v3, vcc_lo, s44, v3, vcc_lo
	s_cbranch_execnz .LBB70_267
.LBB70_266:                             ;   in Loop: Header=BB70_33 Depth=1
	v_cvt_f32_u32_e32 v2, s33
	s_sub_i32 s4, 0, s33
	s_delay_alu instid0(VALU_DEP_1) | instskip(SKIP_2) | instid1(VALU_DEP_1)
	v_rcp_iflag_f32_e32 v2, v2
	s_waitcnt_depctr 0xfff
	v_mul_f32_e32 v2, 0x4f7ffffe, v2
	v_cvt_u32_f32_e32 v2, v2
	s_delay_alu instid0(VALU_DEP_1) | instskip(NEXT) | instid1(VALU_DEP_1)
	v_mul_lo_u32 v3, s4, v2
	v_mul_hi_u32 v3, v2, v3
	s_delay_alu instid0(VALU_DEP_1) | instskip(NEXT) | instid1(VALU_DEP_1)
	v_add_nc_u32_e32 v2, v2, v3
	v_mul_hi_u32 v2, s17, v2
	s_delay_alu instid0(VALU_DEP_1) | instskip(NEXT) | instid1(VALU_DEP_1)
	v_mul_lo_u32 v2, v2, s33
	v_sub_nc_u32_e32 v2, s17, v2
	s_delay_alu instid0(VALU_DEP_1) | instskip(SKIP_1) | instid1(VALU_DEP_2)
	v_subrev_nc_u32_e32 v3, s33, v2
	v_cmp_le_u32_e32 vcc_lo, s33, v2
	v_cndmask_b32_e32 v2, v2, v3, vcc_lo
	s_delay_alu instid0(VALU_DEP_1) | instskip(SKIP_1) | instid1(VALU_DEP_2)
	v_subrev_nc_u32_e32 v3, s33, v2
	v_cmp_le_u32_e32 vcc_lo, s33, v2
	v_cndmask_b32_e32 v12, v2, v3, vcc_lo
	s_delay_alu instid0(VALU_DEP_1)
	v_dual_mov_b32 v2, v12 :: v_dual_mov_b32 v3, v13
.LBB70_267:                             ;   in Loop: Header=BB70_33 Depth=1
	s_delay_alu instid0(VALU_DEP_1) | instskip(NEXT) | instid1(VALU_DEP_2)
	v_sub_co_u32 v2, vcc_lo, s17, v2
	v_sub_co_ci_u32_e32 v3, vcc_lo, s5, v3, vcc_lo
	s_mov_b32 s45, 0
	s_mov_b32 s5, exec_lo
                                        ; implicit-def: $vgpr45
	s_delay_alu instid0(VALU_DEP_1)
	v_cmpx_gt_i64_e64 v[2:3], v[0:1]
	s_cbranch_execz .LBB70_276
; %bb.268:                              ;   in Loop: Header=BB70_33 Depth=1
	v_dual_mov_b32 v6, v34 :: v_dual_mov_b32 v5, v1
	v_mov_b32_e32 v4, v0
	s_mov_b32 s17, 0
                                        ; implicit-def: $sgpr18
	s_branch .LBB70_270
.LBB70_269:                             ;   in Loop: Header=BB70_270 Depth=2
	s_or_b32 exec_lo, exec_lo, s4
	s_waitcnt lgkmcnt(0)
	s_barrier
	buffer_gl0_inv
	ds_load_b32 v7, v13 offset:3072
	v_add_co_u32 v4, vcc_lo, v4, s33
	v_add_co_ci_u32_e32 v5, vcc_lo, 0, v5, vcc_lo
	v_add_nc_u32_e32 v6, s101, v6
	s_waitcnt lgkmcnt(0)
	s_barrier
	s_delay_alu instid0(VALU_DEP_2) | instskip(SKIP_2) | instid1(VALU_DEP_1)
	v_cmp_ge_i64_e32 vcc_lo, v[4:5], v[2:3]
	buffer_gl0_inv
	v_and_b32_e32 v8, 0x7fff, v7
	v_cmp_ne_u16_e64 s4, 0, v8
	s_delay_alu instid0(VALU_DEP_1) | instskip(NEXT) | instid1(SALU_CYCLE_1)
	s_or_b32 s44, s4, vcc_lo
	s_and_b32 s44, exec_lo, s44
	s_delay_alu instid0(SALU_CYCLE_1) | instskip(SKIP_2) | instid1(SALU_CYCLE_1)
	s_or_b32 s17, s44, s17
	s_and_not1_b32 s18, s18, exec_lo
	s_and_b32 s4, s4, exec_lo
	s_or_b32 s18, s18, s4
	s_and_not1_b32 exec_lo, exec_lo, s17
	s_cbranch_execz .LBB70_275
.LBB70_270:                             ;   Parent Loop BB70_33 Depth=1
                                        ; =>  This Inner Loop Header: Depth=2
	s_delay_alu instid0(VALU_DEP_1)
	v_cmp_gt_i64_e32 vcc_lo, s[8:9], v[4:5]
	v_mov_b32_e32 v7, 0
	s_and_saveexec_b32 s4, vcc_lo
	s_cbranch_execz .LBB70_272
; %bb.271:                              ;   in Loop: Header=BB70_270 Depth=2
	ds_load_u16 v7, v6
.LBB70_272:                             ;   in Loop: Header=BB70_270 Depth=2
	s_or_b32 exec_lo, exec_lo, s4
	s_and_saveexec_b32 s4, vcc_lo
	s_cbranch_execz .LBB70_269
; %bb.273:                              ;   in Loop: Header=BB70_270 Depth=2
	s_waitcnt lgkmcnt(0)
	v_cmp_lt_i16_e32 vcc_lo, -1, v7
	v_and_b32_e32 v8, 0xffff, v7
	v_lshlrev_b32_e32 v12, 16, v7
	v_cndmask_b32_e32 v9, 0xffff, v43, vcc_lo
	s_delay_alu instid0(VALU_DEP_2) | instskip(NEXT) | instid1(VALU_DEP_2)
	v_cmp_o_f32_e32 vcc_lo, v12, v12
	v_xor_b32_e32 v8, v9, v8
	s_delay_alu instid0(VALU_DEP_1) | instskip(NEXT) | instid1(VALU_DEP_1)
	v_cndmask_b32_e32 v8, 0xffff, v8, vcc_lo
	v_and_b32_e32 v8, s58, v8
	s_delay_alu instid0(VALU_DEP_1)
	v_cmp_eq_u32_e32 vcc_lo, s59, v8
	s_and_b32 exec_lo, exec_lo, vcc_lo
	s_cbranch_execz .LBB70_269
; %bb.274:                              ;   in Loop: Header=BB70_270 Depth=2
	v_perm_b32 v7, v7, s102, 0x5040100
	ds_store_b32 v13, v7 offset:3072
	s_branch .LBB70_269
.LBB70_275:                             ;   in Loop: Header=BB70_33 Depth=1
	s_or_b32 exec_lo, exec_lo, s17
	v_lshrrev_b32_e32 v45, 16, v7
	s_and_b32 s45, s18, exec_lo
.LBB70_276:                             ;   in Loop: Header=BB70_33 Depth=1
	s_or_b32 exec_lo, exec_lo, s5
	s_mov_b32 s44, -1
	s_mov_b32 s17, 0
	s_mov_b32 s18, 0
.LBB70_277:                             ;   in Loop: Header=BB70_33 Depth=1
	s_mov_b32 s9, 0
                                        ; implicit-def: $sgpr72
                                        ; implicit-def: $sgpr4_sgpr5
	s_and_saveexec_b32 s8, s45
	s_cbranch_execz .LBB70_290
; %bb.278:                              ;   in Loop: Header=BB70_33 Depth=1
	s_xor_b32 s9, s11, -1
	s_mov_b64 s[4:5], 1
	s_and_not1_b32 vcc_lo, exec_lo, s9
	s_mov_b32 s72, 1
	s_cbranch_vccnz .LBB70_289
; %bb.279:                              ;   in Loop: Header=BB70_33 Depth=1
	v_cmp_gt_i64_e64 s4, s[26:27], s[6:7]
	s_delay_alu instid0(VALU_DEP_1)
	s_and_b32 vcc_lo, exec_lo, s4
	s_cbranch_vccnz .LBB70_285
; %bb.280:                              ;   in Loop: Header=BB70_33 Depth=1
	ds_load_b64 v[2:3], v13 offset:5120
	s_waitcnt lgkmcnt(0)
	v_cmp_ne_u64_e32 vcc_lo, 0, v[2:3]
	s_cbranch_vccnz .LBB70_284
; %bb.281:                              ;   in Loop: Header=BB70_33 Depth=1
	s_and_saveexec_b32 s4, s0
	s_cbranch_execz .LBB70_283
; %bb.282:                              ;   in Loop: Header=BB70_33 Depth=1
	v_dual_mov_b32 v2, s6 :: v_dual_mov_b32 v3, s7
	ds_store_b64 v13, v[2:3] offset:5128
.LBB70_283:                             ;   in Loop: Header=BB70_33 Depth=1
	s_or_b32 exec_lo, exec_lo, s4
	s_waitcnt lgkmcnt(0)
	s_barrier
	buffer_gl0_inv
.LBB70_284:                             ;   in Loop: Header=BB70_33 Depth=1
	s_or_b32 s9, s59, s16
	s_or_b32 s11, s58, s16
	s_mov_b32 s4, 0
	s_mov_b32 s72, 8
	s_branch .LBB70_286
.LBB70_285:                             ;   in Loop: Header=BB70_33 Depth=1
	s_mov_b32 s4, -1
                                        ; implicit-def: $sgpr72
                                        ; implicit-def: $sgpr9
                                        ; implicit-def: $sgpr11
.LBB70_286:                             ;   in Loop: Header=BB70_33 Depth=1
	s_delay_alu instid0(SALU_CYCLE_1)
	s_and_not1_b32 vcc_lo, exec_lo, s4
	s_cbranch_vccnz .LBB70_288
; %bb.287:                              ;   in Loop: Header=BB70_33 Depth=1
	s_sub_u32 s26, s26, s6
	s_subb_u32 s27, s27, s7
	s_mov_b32 s72, 8
	s_mov_b32 s9, s59
	;; [unrolled: 1-line block ×3, first 2 shown]
.LBB70_288:                             ;   in Loop: Header=BB70_33 Depth=1
	s_mov_b64 s[4:5], s[26:27]
	s_mov_b32 s59, s9
	s_mov_b32 s58, s11
.LBB70_289:                             ;   in Loop: Header=BB70_33 Depth=1
	s_mov_b32 s9, exec_lo
.LBB70_290:                             ;   in Loop: Header=BB70_33 Depth=1
	s_or_b32 exec_lo, exec_lo, s8
	s_mov_b64 s[26:27], s[4:5]
.LBB70_291:                             ;   in Loop: Header=BB70_33 Depth=1
	s_and_not1_b32 s4, s13, exec_lo
	s_and_b32 s5, s17, exec_lo
	s_and_not1_b32 s6, s22, exec_lo
	s_or_b32 s13, s4, s5
	s_and_not1_b32 s4, s23, exec_lo
	s_and_b32 s5, s44, exec_lo
	s_and_b32 s7, s18, exec_lo
	s_or_b32 s23, s4, s5
	s_or_b32 s22, s6, s7
	s_and_b32 s5, s9, exec_lo
.LBB70_292:                             ;   in Loop: Header=BB70_33 Depth=1
	s_or_b32 exec_lo, exec_lo, s10
.LBB70_293:                             ;   in Loop: Header=BB70_33 Depth=1
	s_delay_alu instid0(SALU_CYCLE_1)
	s_and_not1_b32 s4, s20, exec_lo
	s_and_b32 s6, s13, exec_lo
	s_and_not1_b32 s7, s19, exec_lo
	s_or_b32 s20, s4, s6
	s_and_not1_b32 s4, s21, exec_lo
	s_and_b32 s6, s23, exec_lo
	s_and_b32 s8, s22, exec_lo
	s_or_b32 s21, s4, s6
	s_or_b32 s19, s7, s8
	s_and_b32 s5, s5, exec_lo
.LBB70_294:                             ;   in Loop: Header=BB70_33 Depth=1
	s_or_b32 exec_lo, exec_lo, s12
	s_and_saveexec_b32 s4, s5
	s_delay_alu instid0(SALU_CYCLE_1)
	s_xor_b32 s4, exec_lo, s4
	s_cbranch_execz .LBB70_31
.LBB70_295:                             ;   in Loop: Header=BB70_33 Depth=1
	s_and_b32 s5, s72, -9
	s_delay_alu instid0(SALU_CYCLE_1)
	s_cmp_eq_u32 s5, 0
	s_cbranch_scc1 .LBB70_29
; %bb.296:                              ;   in Loop: Header=BB70_33 Depth=1
	s_mov_b32 s5, -1
	s_mov_b32 s6, -1
                                        ; implicit-def: $sgpr58
                                        ; implicit-def: $sgpr62
                                        ; implicit-def: $sgpr64
	s_branch .LBB70_30
.LBB70_297:                             ;   in Loop: Header=BB70_33 Depth=1
                                        ; implicit-def: $vgpr2_vgpr3
	s_branch .LBB70_249
.LBB70_298:                             ;   in Loop: Header=BB70_33 Depth=1
                                        ; implicit-def: $vgpr2_vgpr3
	s_branch .LBB70_266
.LBB70_299:
	s_or_b32 exec_lo, exec_lo, s103
	s_xor_b32 s5, s63, -1
	s_xor_b32 s2, s104, -1
	s_xor_b32 s4, vcc_hi, -1
	s_mov_b32 s3, 0
	s_and_saveexec_b32 s6, s2
	s_delay_alu instid0(SALU_CYCLE_1)
	s_xor_b32 s2, exec_lo, s6
	s_cbranch_execz .LBB70_322
; %bb.300:
	s_and_saveexec_b32 s3, s5
	s_delay_alu instid0(SALU_CYCLE_1)
	s_xor_b32 s3, exec_lo, s3
	s_cbranch_execz .LBB70_320
; %bb.301:
	s_and_saveexec_b32 s5, s4
	s_delay_alu instid0(SALU_CYCLE_1)
	s_xor_b32 s4, exec_lo, s5
; %bb.302:
	v_and_b32_e32 v3, 0x8000, v2
	v_mov_b32_e32 v4, 0xffff
	s_delay_alu instid0(VALU_DEP_2) | instskip(NEXT) | instid1(VALU_DEP_2)
	v_cmp_eq_u32_e32 vcc_lo, 0, v3
	v_cndmask_b32_e32 v3, 0x8000, v4, vcc_lo
	s_delay_alu instid0(VALU_DEP_1)
	v_xor_b32_e32 v45, v3, v2
; %bb.303:
	s_or_b32 exec_lo, exec_lo, s4
	s_and_saveexec_b32 s4, s0
	s_cbranch_execz .LBB70_305
; %bb.304:
	v_dual_mov_b32 v2, 0 :: v_dual_mov_b32 v3, s24
	ds_store_b32 v2, v3 offset:5140
.LBB70_305:
	s_or_b32 exec_lo, exec_lo, s4
	s_waitcnt lgkmcnt(0)
	s_barrier
	buffer_gl0_inv
	s_and_saveexec_b32 s4, s1
	s_cbranch_execz .LBB70_317
; %bb.306:
	v_mov_b32_e32 v2, 0
	v_lshlrev_b32_e32 v6, 16, v45
	s_mov_b32 s5, 0
                                        ; implicit-def: $sgpr7
                                        ; implicit-def: $sgpr8
                                        ; implicit-def: $sgpr9
	ds_load_b32 v4, v2 offset:5140
	v_cmp_u_f32_e32 vcc_lo, v6, v6
	s_xor_b32 s6, vcc_lo, -1
	s_waitcnt lgkmcnt(0)
	v_ashrrev_i32_e32 v5, 31, v4
	s_set_inst_prefetch_distance 0x1
	s_branch .LBB70_309
	.p2align	6
.LBB70_307:                             ;   in Loop: Header=BB70_309 Depth=1
	s_or_b32 exec_lo, exec_lo, s13
	s_delay_alu instid0(SALU_CYCLE_1)
	s_and_not1_b32 s1, s9, exec_lo
	s_and_b32 s9, s11, exec_lo
	s_and_not1_b32 s8, s8, exec_lo
	s_and_b32 s11, s12, exec_lo
	s_or_b32 s9, s1, s9
	s_or_b32 s8, s8, s11
.LBB70_308:                             ;   in Loop: Header=BB70_309 Depth=1
	s_or_b32 exec_lo, exec_lo, s10
	s_delay_alu instid0(SALU_CYCLE_1) | instskip(NEXT) | instid1(SALU_CYCLE_1)
	s_and_b32 s1, exec_lo, s8
	s_or_b32 s5, s1, s5
	s_and_not1_b32 s1, s7, exec_lo
	s_and_b32 s7, s9, exec_lo
	s_delay_alu instid0(SALU_CYCLE_1)
	s_or_b32 s7, s1, s7
	s_and_not1_b32 exec_lo, exec_lo, s5
	s_cbranch_execz .LBB70_312
.LBB70_309:                             ; =>This Inner Loop Header: Depth=1
	v_dual_mov_b32 v3, v1 :: v_dual_mov_b32 v2, v0
	s_or_b32 s9, s9, exec_lo
	s_or_b32 s8, s8, exec_lo
	s_mov_b32 s10, exec_lo
                                        ; implicit-def: $vgpr0_vgpr1
	s_delay_alu instid0(VALU_DEP_1)
	v_cmpx_lt_i64_e64 v[2:3], v[4:5]
	s_cbranch_execz .LBB70_308
; %bb.310:                              ;   in Loop: Header=BB70_309 Depth=1
	global_load_u16 v0, v[10:11], off
	s_mov_b32 s12, -1
	s_waitcnt vmcnt(0)
	v_lshlrev_b32_e32 v0, 16, v0
	s_delay_alu instid0(VALU_DEP_1)
	v_cmp_o_f32_e32 vcc_lo, v0, v0
	v_cmp_neq_f32_e64 s1, v0, v6
                                        ; implicit-def: $vgpr0_vgpr1
	s_or_b32 s11, s6, vcc_lo
	s_delay_alu instid0(VALU_DEP_1) | instid1(SALU_CYCLE_1)
	s_and_b32 s1, s1, s11
	s_mov_b32 s11, 0
	s_and_saveexec_b32 s13, s1
	s_cbranch_execz .LBB70_307
; %bb.311:                              ;   in Loop: Header=BB70_309 Depth=1
	v_add_co_u32 v0, vcc_lo, v2, s33
	v_add_co_ci_u32_e32 v1, vcc_lo, 0, v3, vcc_lo
	v_add_co_u32 v10, s1, v10, s68
	s_mov_b32 s11, exec_lo
	s_delay_alu instid0(VALU_DEP_2)
	v_cmp_le_i64_e32 vcc_lo, s[24:25], v[0:1]
	v_add_co_ci_u32_e64 v11, s1, s69, v11, s1
	s_or_not1_b32 s12, vcc_lo, exec_lo
	s_branch .LBB70_307
.LBB70_312:
	s_set_inst_prefetch_distance 0x2
	s_or_b32 exec_lo, exec_lo, s5
	s_xor_b32 s1, s7, -1
	s_delay_alu instid0(SALU_CYCLE_1) | instskip(NEXT) | instid1(SALU_CYCLE_1)
	s_and_saveexec_b32 s5, s1
	s_xor_b32 s5, exec_lo, s5
	s_cbranch_execz .LBB70_317
; %bb.313:
	s_mov_b32 s5, exec_lo
	s_brev_b32 s1, -2
.LBB70_314:                             ; =>This Inner Loop Header: Depth=1
	s_ctz_i32_b32 s6, s5
	s_delay_alu instid0(SALU_CYCLE_1) | instskip(SKIP_1) | instid1(SALU_CYCLE_1)
	v_readlane_b32 s7, v2, s6
	s_lshl_b32 s6, 1, s6
	s_and_not1_b32 s5, s5, s6
	s_delay_alu instid0(VALU_DEP_1)
	s_min_i32 s1, s1, s7
	s_cmp_lg_u32 s5, 0
	s_cbranch_scc1 .LBB70_314
; %bb.315:
	v_mbcnt_lo_u32_b32 v0, exec_lo, 0
	s_mov_b32 s5, exec_lo
	s_delay_alu instid0(VALU_DEP_1)
	v_cmpx_eq_u32_e32 0, v0
	s_xor_b32 s5, exec_lo, s5
	s_cbranch_execz .LBB70_317
; %bb.316:
	v_dual_mov_b32 v0, 0 :: v_dual_mov_b32 v1, s1
	ds_min_i32 v0, v1 offset:5140
.LBB70_317:
	s_or_b32 exec_lo, exec_lo, s4
	s_waitcnt lgkmcnt(0)
	s_barrier
	buffer_gl0_inv
	s_and_saveexec_b32 s4, s0
	s_cbranch_execz .LBB70_319
; %bb.318:
	s_mul_i32 s0, s54, s43
	s_mul_hi_u32 s1, s54, s42
	v_readlane_b32 s16, v49, 0
	s_add_i32 s0, s1, s0
	s_mul_i32 s1, s55, s42
	v_readlane_b32 s17, v49, 1
	s_mul_i32 s5, s54, s42
	s_add_i32 s0, s0, s1
	s_sub_u32 s5, s34, s5
	s_subb_u32 s0, 0, s0
	s_mul_i32 s1, s5, s17
	s_mul_hi_u32 s6, s5, s16
	s_mul_i32 s0, s0, s16
	s_add_i32 s1, s6, s1
	s_mul_i32 s6, s52, s37
	s_mul_hi_u32 s7, s52, s36
	s_add_i32 s1, s1, s0
	s_add_i32 s0, s7, s6
	s_mul_i32 s6, s53, s36
	s_mul_i32 s7, s52, s36
	s_add_i32 s0, s0, s6
	s_sub_u32 s6, s28, s7
	s_subb_u32 s0, s29, s0
	s_mul_i32 s7, s6, s51
	s_mul_hi_u32 s8, s6, s50
	s_mul_i32 s0, s0, s50
	s_add_i32 s7, s8, s7
	s_mul_i32 s8, s52, s49
	s_mul_hi_u32 s9, s52, s48
	s_add_i32 s7, s7, s0
	s_add_i32 s0, s9, s8
	s_mul_i32 s8, s53, s48
	s_mul_i32 s10, s28, s39
	s_mul_hi_u32 s11, s28, s38
	v_readlane_b32 s18, v49, 6
	s_add_i32 s9, s0, s8
	s_add_i32 s0, s11, s10
	s_mul_i32 s8, s29, s38
	v_readlane_b32 s19, v49, 7
	s_mul_i32 s10, s28, s38
	s_add_i32 s0, s0, s8
	s_sub_u32 s10, s34, s10
	s_subb_u32 s0, 0, s0
	s_mul_i32 s8, s10, s19
	s_mul_hi_u32 s11, s10, s18
	s_mul_i32 s0, s0, s18
	s_add_i32 s8, s11, s8
	s_mul_i32 s12, s60, s41
	s_mul_hi_u32 s13, s60, s40
	v_readlane_b32 s20, v49, 2
	s_add_i32 s11, s8, s0
	s_add_i32 s0, s13, s12
	s_mul_i32 s8, s61, s40
	v_readlane_b32 s22, v49, 4
	v_readlane_b32 s23, v49, 5
	v_mov_b32_e32 v2, 0
	s_mul_i32 s12, s60, s40
	s_add_i32 s0, s0, s8
	v_readlane_b32 s21, v49, 3
	s_sub_u32 s12, s54, s12
	ds_load_b32 v0, v2 offset:5140
	s_mul_i32 s13, s12, s23
	s_mul_hi_u32 s14, s12, s22
	s_subb_u32 s0, s55, s0
	s_add_i32 s13, s14, s13
	s_mul_i32 s14, s60, s21
	s_mul_hi_u32 s15, s60, s20
	v_readlane_b32 s24, v49, 10
	s_mul_i32 s8, s52, s48
	v_readlane_b32 s25, v49, 11
	s_mul_i32 s0, s0, s22
	s_add_i32 s14, s15, s14
	s_mul_i32 s15, s61, s20
	s_lshl_b64 s[8:9], s[8:9], 1
	s_mul_i32 s6, s6, s50
	s_add_i32 s13, s13, s0
	s_add_i32 s15, s14, s15
	s_add_u32 s0, s24, s8
	s_addc_u32 s8, s25, s9
	s_lshl_b64 s[6:7], s[6:7], 1
	s_mul_i32 s10, s10, s18
	s_add_u32 s0, s0, s6
	s_addc_u32 s8, s8, s7
	s_lshl_b64 s[6:7], s[10:11], 1
	v_readlane_b32 s10, v49, 8
	s_mul_i32 s14, s60, s20
	v_readlane_b32 s11, v49, 9
	s_add_u32 s6, s0, s6
	s_addc_u32 s7, s8, s7
	s_lshl_b64 s[8:9], s[14:15], 3
	s_mul_i32 s12, s12, s22
	s_add_u32 s10, s10, s8
	s_addc_u32 s11, s11, s9
	s_lshl_b64 s[8:9], s[12:13], 3
	s_mul_i32 s0, s5, s16
	s_add_u32 s5, s10, s8
	s_addc_u32 s8, s11, s9
	s_lshl_b64 s[0:1], s[0:1], 3
	s_waitcnt lgkmcnt(0)
	v_ashrrev_i32_e32 v1, 31, v0
	s_add_u32 s0, s5, s0
	s_addc_u32 s1, s8, s1
	s_clause 0x1
	global_store_b64 v2, v[0:1], s[0:1]
	global_store_b16 v2, v45, s[6:7]
.LBB70_319:
	s_or_b32 exec_lo, exec_lo, s4
.LBB70_320:
	s_or_saveexec_b32 s0, s3
	s_mov_b32 s1, 0
	s_xor_b32 exec_lo, exec_lo, s0
	s_cbranch_execnz .LBB70_328
.LBB70_321:
	s_or_b32 exec_lo, exec_lo, s0
	s_delay_alu instid0(SALU_CYCLE_1)
	s_and_b32 s3, s1, exec_lo
.LBB70_322:
	s_and_not1_saveexec_b32 s0, s2
	s_cbranch_execnz .LBB70_326
; %bb.323:
	s_or_b32 exec_lo, exec_lo, s0
	s_and_saveexec_b32 s0, s3
.LBB70_324:
	; divergent unreachable
.LBB70_325:
	s_nop 0
	s_sendmsg sendmsg(MSG_DEALLOC_VGPRS)
	s_endpgm
.LBB70_326:
	s_cbranch_execnz .LBB70_330
; %bb.327:
	s_or_b32 s3, s3, exec_lo
	s_or_b32 exec_lo, exec_lo, s0
	s_and_saveexec_b32 s0, s3
	s_cbranch_execnz .LBB70_324
	s_branch .LBB70_325
.LBB70_328:
	s_cbranch_execnz .LBB70_332
; %bb.329:
	s_mov_b32 s1, exec_lo
	s_branch .LBB70_321
.LBB70_330:
	s_trap 2
	s_sendmsg_rtn_b32 s0, sendmsg(MSG_RTN_GET_DOORBELL)
	s_mov_b32 ttmp2, m0
	s_waitcnt lgkmcnt(0)
	s_and_b32 s0, s0, 0x3ff
	s_delay_alu instid0(SALU_CYCLE_1) | instskip(NEXT) | instid1(SALU_CYCLE_1)
	s_bitset1_b32 s0, 10
	s_mov_b32 m0, s0
	s_sendmsg sendmsg(MSG_INTERRUPT)
	s_mov_b32 m0, ttmp2
.LBB70_331:                             ; =>This Inner Loop Header: Depth=1
	s_sethalt 5
	s_branch .LBB70_331
.LBB70_332:
	s_trap 2
	s_sendmsg_rtn_b32 s0, sendmsg(MSG_RTN_GET_DOORBELL)
	s_mov_b32 ttmp2, m0
	s_waitcnt lgkmcnt(0)
	s_and_b32 s0, s0, 0x3ff
	s_delay_alu instid0(SALU_CYCLE_1) | instskip(NEXT) | instid1(SALU_CYCLE_1)
	s_bitset1_b32 s0, 10
	s_mov_b32 m0, s0
	s_sendmsg sendmsg(MSG_INTERRUPT)
	s_mov_b32 m0, ttmp2
.LBB70_333:                             ; =>This Inner Loop Header: Depth=1
	s_sethalt 5
	s_branch .LBB70_333
	.section	.rodata,"a",@progbits
	.p2align	6, 0x0
	.amdhsa_kernel _ZN2at6native12_GLOBAL__N_114gatherKthValueIN3c108BFloat16ElLi3EEEvNS_4cuda6detail10TensorInfoIKT_T0_EESA_SA_SA_SA_NS7_IS8_SA_EENS7_IlSA_EE
		.amdhsa_group_segment_fixed_size 5144
		.amdhsa_private_segment_fixed_size 0
		.amdhsa_kernarg_size 1536
		.amdhsa_user_sgpr_count 13
		.amdhsa_user_sgpr_dispatch_ptr 0
		.amdhsa_user_sgpr_queue_ptr 0
		.amdhsa_user_sgpr_kernarg_segment_ptr 1
		.amdhsa_user_sgpr_dispatch_id 0
		.amdhsa_user_sgpr_private_segment_size 0
		.amdhsa_wavefront_size32 1
		.amdhsa_uses_dynamic_stack 0
		.amdhsa_enable_private_segment 0
		.amdhsa_system_sgpr_workgroup_id_x 1
		.amdhsa_system_sgpr_workgroup_id_y 1
		.amdhsa_system_sgpr_workgroup_id_z 1
		.amdhsa_system_sgpr_workgroup_info 0
		.amdhsa_system_vgpr_workitem_id 0
		.amdhsa_next_free_vgpr 50
		.amdhsa_next_free_sgpr 105
		.amdhsa_reserve_vcc 1
		.amdhsa_float_round_mode_32 0
		.amdhsa_float_round_mode_16_64 0
		.amdhsa_float_denorm_mode_32 3
		.amdhsa_float_denorm_mode_16_64 3
		.amdhsa_dx10_clamp 1
		.amdhsa_ieee_mode 1
		.amdhsa_fp16_overflow 0
		.amdhsa_workgroup_processor_mode 1
		.amdhsa_memory_ordered 1
		.amdhsa_forward_progress 0
		.amdhsa_shared_vgpr_count 0
		.amdhsa_exception_fp_ieee_invalid_op 0
		.amdhsa_exception_fp_denorm_src 0
		.amdhsa_exception_fp_ieee_div_zero 0
		.amdhsa_exception_fp_ieee_overflow 0
		.amdhsa_exception_fp_ieee_underflow 0
		.amdhsa_exception_fp_ieee_inexact 0
		.amdhsa_exception_int_div_zero 0
	.end_amdhsa_kernel
	.section	.text._ZN2at6native12_GLOBAL__N_114gatherKthValueIN3c108BFloat16ElLi3EEEvNS_4cuda6detail10TensorInfoIKT_T0_EESA_SA_SA_SA_NS7_IS8_SA_EENS7_IlSA_EE,"axG",@progbits,_ZN2at6native12_GLOBAL__N_114gatherKthValueIN3c108BFloat16ElLi3EEEvNS_4cuda6detail10TensorInfoIKT_T0_EESA_SA_SA_SA_NS7_IS8_SA_EENS7_IlSA_EE,comdat
.Lfunc_end70:
	.size	_ZN2at6native12_GLOBAL__N_114gatherKthValueIN3c108BFloat16ElLi3EEEvNS_4cuda6detail10TensorInfoIKT_T0_EESA_SA_SA_SA_NS7_IS8_SA_EENS7_IlSA_EE, .Lfunc_end70-_ZN2at6native12_GLOBAL__N_114gatherKthValueIN3c108BFloat16ElLi3EEEvNS_4cuda6detail10TensorInfoIKT_T0_EESA_SA_SA_SA_NS7_IS8_SA_EENS7_IlSA_EE
                                        ; -- End function
	.section	.AMDGPU.csdata,"",@progbits
; Kernel info:
; codeLenInByte = 23416
; NumSgprs: 107
; NumVgprs: 50
; ScratchSize: 0
; MemoryBound: 0
; FloatMode: 240
; IeeeMode: 1
; LDSByteSize: 5144 bytes/workgroup (compile time only)
; SGPRBlocks: 13
; VGPRBlocks: 6
; NumSGPRsForWavesPerEU: 107
; NumVGPRsForWavesPerEU: 50
; Occupancy: 16
; WaveLimiterHint : 1
; COMPUTE_PGM_RSRC2:SCRATCH_EN: 0
; COMPUTE_PGM_RSRC2:USER_SGPR: 13
; COMPUTE_PGM_RSRC2:TRAP_HANDLER: 0
; COMPUTE_PGM_RSRC2:TGID_X_EN: 1
; COMPUTE_PGM_RSRC2:TGID_Y_EN: 1
; COMPUTE_PGM_RSRC2:TGID_Z_EN: 1
; COMPUTE_PGM_RSRC2:TIDIG_COMP_CNT: 0
	.section	.text._ZN2at6native12_GLOBAL__N_114gatherKthValueIN3c108BFloat16ElLin1EEEvNS_4cuda6detail10TensorInfoIKT_T0_EESA_SA_SA_SA_NS7_IS8_SA_EENS7_IlSA_EE,"axG",@progbits,_ZN2at6native12_GLOBAL__N_114gatherKthValueIN3c108BFloat16ElLin1EEEvNS_4cuda6detail10TensorInfoIKT_T0_EESA_SA_SA_SA_NS7_IS8_SA_EENS7_IlSA_EE,comdat
	.globl	_ZN2at6native12_GLOBAL__N_114gatherKthValueIN3c108BFloat16ElLin1EEEvNS_4cuda6detail10TensorInfoIKT_T0_EESA_SA_SA_SA_NS7_IS8_SA_EENS7_IlSA_EE ; -- Begin function _ZN2at6native12_GLOBAL__N_114gatherKthValueIN3c108BFloat16ElLin1EEEvNS_4cuda6detail10TensorInfoIKT_T0_EESA_SA_SA_SA_NS7_IS8_SA_EENS7_IlSA_EE
	.p2align	8
	.type	_ZN2at6native12_GLOBAL__N_114gatherKthValueIN3c108BFloat16ElLin1EEEvNS_4cuda6detail10TensorInfoIKT_T0_EESA_SA_SA_SA_NS7_IS8_SA_EENS7_IlSA_EE,@function
_ZN2at6native12_GLOBAL__N_114gatherKthValueIN3c108BFloat16ElLin1EEEvNS_4cuda6detail10TensorInfoIKT_T0_EESA_SA_SA_SA_NS7_IS8_SA_EENS7_IlSA_EE: ; @_ZN2at6native12_GLOBAL__N_114gatherKthValueIN3c108BFloat16ElLin1EEEvNS_4cuda6detail10TensorInfoIKT_T0_EESA_SA_SA_SA_NS7_IS8_SA_EENS7_IlSA_EE
; %bb.0:
	s_clause 0x1
	s_load_b64 s[6:7], s[0:1], 0x500
	s_load_b256 s[24:31], s[0:1], 0x1a0
	s_add_u32 s4, s0, 0x500
	s_addc_u32 s5, s1, 0
	s_mov_b32 s9, 0
	s_waitcnt lgkmcnt(0)
	s_mul_i32 s2, s7, s15
	s_delay_alu instid0(SALU_CYCLE_1) | instskip(NEXT) | instid1(SALU_CYCLE_1)
	s_add_i32 s2, s2, s14
	s_mul_i32 s2, s2, s6
	s_delay_alu instid0(SALU_CYCLE_1) | instskip(NEXT) | instid1(SALU_CYCLE_1)
	s_add_i32 s8, s2, s13
	v_cmp_ge_i64_e64 s2, s[8:9], s[28:29]
	s_delay_alu instid0(VALU_DEP_1)
	s_and_b32 vcc_lo, exec_lo, s2
	s_cbranch_vccnz .LBB71_325
; %bb.1:
	s_load_b32 s7, s[0:1], 0x198
	s_mov_b64 s[2:3], 0
	s_mov_b64 s[10:11], s[8:9]
	s_waitcnt lgkmcnt(0)
	s_cmp_lt_i32 s7, 2
	s_cbranch_scc1 .LBB71_9
; %bb.2:
	s_mov_b32 s14, 0
	s_add_i32 s2, s7, -1
	s_mov_b32 s3, s14
	s_add_i32 s7, s7, 1
	s_lshl_b64 s[10:11], s[2:3], 3
	s_mov_b64 s[2:3], 0
	s_add_u32 s10, s10, s0
	s_addc_u32 s11, s11, s1
	s_add_u32 s16, s10, 8
	s_addc_u32 s17, s11, 0
	s_mov_b64 s[18:19], s[8:9]
.LBB71_3:                               ; =>This Inner Loop Header: Depth=1
	s_load_b64 s[20:21], s[16:17], 0x0
	s_mov_b32 s12, -1
	s_waitcnt lgkmcnt(0)
	s_or_b64 s[10:11], s[18:19], s[20:21]
	s_delay_alu instid0(SALU_CYCLE_1) | instskip(NEXT) | instid1(SALU_CYCLE_1)
	s_mov_b32 s15, s11
                                        ; implicit-def: $sgpr10_sgpr11
	s_cmp_lg_u64 s[14:15], 0
	s_cbranch_scc0 .LBB71_5
; %bb.4:                                ;   in Loop: Header=BB71_3 Depth=1
	s_ashr_i32 s10, s21, 31
	s_delay_alu instid0(SALU_CYCLE_1) | instskip(SKIP_2) | instid1(SALU_CYCLE_1)
	s_add_u32 s22, s20, s10
	s_mov_b32 s11, s10
	s_addc_u32 s23, s21, s10
	s_xor_b64 s[22:23], s[22:23], s[10:11]
	s_delay_alu instid0(SALU_CYCLE_1)
	v_cvt_f32_u32_e32 v1, s22
	v_cvt_f32_u32_e32 v2, s23
	s_sub_u32 s28, 0, s22
	s_subb_u32 s29, 0, s23
	s_waitcnt_depctr 0xfff
	v_fmac_f32_e32 v1, 0x4f800000, v2
	s_delay_alu instid0(VALU_DEP_1) | instskip(SKIP_2) | instid1(VALU_DEP_1)
	v_rcp_f32_e32 v1, v1
	s_waitcnt_depctr 0xfff
	v_mul_f32_e32 v1, 0x5f7ffffc, v1
	v_mul_f32_e32 v2, 0x2f800000, v1
	s_delay_alu instid0(VALU_DEP_1) | instskip(NEXT) | instid1(VALU_DEP_1)
	v_trunc_f32_e32 v2, v2
	v_fmac_f32_e32 v1, 0xcf800000, v2
	v_cvt_u32_f32_e32 v2, v2
	s_delay_alu instid0(VALU_DEP_2) | instskip(NEXT) | instid1(VALU_DEP_2)
	v_cvt_u32_f32_e32 v1, v1
	v_readfirstlane_b32 s12, v2
	s_delay_alu instid0(VALU_DEP_2) | instskip(NEXT) | instid1(VALU_DEP_2)
	v_readfirstlane_b32 s15, v1
	s_mul_i32 s33, s28, s12
	s_delay_alu instid0(VALU_DEP_1)
	s_mul_hi_u32 s35, s28, s15
	s_mul_i32 s34, s29, s15
	s_add_i32 s33, s35, s33
	s_mul_i32 s36, s28, s15
	s_add_i32 s33, s33, s34
	s_mul_hi_u32 s35, s15, s36
	s_mul_hi_u32 s37, s12, s36
	s_mul_i32 s34, s12, s36
	s_mul_hi_u32 s36, s15, s33
	s_mul_i32 s15, s15, s33
	s_mul_hi_u32 s38, s12, s33
	s_add_u32 s15, s35, s15
	s_addc_u32 s35, 0, s36
	s_add_u32 s15, s15, s34
	s_mul_i32 s33, s12, s33
	s_addc_u32 s15, s35, s37
	s_addc_u32 s34, s38, 0
	s_add_u32 s15, s15, s33
	s_addc_u32 s33, 0, s34
	v_add_co_u32 v1, s15, v1, s15
	s_delay_alu instid0(VALU_DEP_1) | instskip(SKIP_1) | instid1(VALU_DEP_1)
	s_cmp_lg_u32 s15, 0
	s_addc_u32 s12, s12, s33
	v_readfirstlane_b32 s15, v1
	s_mul_i32 s33, s28, s12
	s_delay_alu instid0(VALU_DEP_1)
	s_mul_hi_u32 s34, s28, s15
	s_mul_i32 s29, s29, s15
	s_add_i32 s33, s34, s33
	s_mul_i32 s28, s28, s15
	s_add_i32 s33, s33, s29
	s_mul_hi_u32 s34, s12, s28
	s_mul_i32 s35, s12, s28
	s_mul_hi_u32 s28, s15, s28
	s_mul_hi_u32 s36, s15, s33
	s_mul_i32 s15, s15, s33
	s_mul_hi_u32 s29, s12, s33
	s_add_u32 s15, s28, s15
	s_addc_u32 s28, 0, s36
	s_add_u32 s15, s15, s35
	s_mul_i32 s33, s12, s33
	s_addc_u32 s15, s28, s34
	s_addc_u32 s28, s29, 0
	s_add_u32 s15, s15, s33
	s_addc_u32 s28, 0, s28
	v_add_co_u32 v1, s15, v1, s15
	s_delay_alu instid0(VALU_DEP_1) | instskip(SKIP_2) | instid1(VALU_DEP_1)
	s_cmp_lg_u32 s15, 0
	s_addc_u32 s12, s12, s28
	s_ashr_i32 s28, s19, 31
	v_readfirstlane_b32 s15, v1
	s_add_u32 s34, s18, s28
	s_mov_b32 s29, s28
	s_addc_u32 s35, s19, s28
	s_delay_alu instid0(SALU_CYCLE_1) | instskip(NEXT) | instid1(SALU_CYCLE_1)
	s_xor_b64 s[34:35], s[34:35], s[28:29]
	s_mul_i32 s36, s34, s12
	s_mul_hi_u32 s37, s34, s15
	s_mul_hi_u32 s33, s34, s12
	;; [unrolled: 1-line block ×3, first 2 shown]
	s_mul_i32 s15, s35, s15
	s_add_u32 s36, s37, s36
	s_addc_u32 s33, 0, s33
	s_mul_hi_u32 s38, s35, s12
	s_add_u32 s15, s36, s15
	s_mul_i32 s12, s35, s12
	s_addc_u32 s15, s33, s39
	s_addc_u32 s33, s38, 0
	s_add_u32 s12, s15, s12
	s_addc_u32 s15, 0, s33
	s_mul_i32 s38, s22, s12
	s_mul_hi_u32 s33, s22, s12
	s_mul_i32 s37, s22, s15
	v_sub_co_u32 v1, s34, s34, s38
	s_mul_i32 s36, s23, s12
	s_add_i32 s33, s33, s37
	s_delay_alu instid0(SALU_CYCLE_1) | instskip(NEXT) | instid1(VALU_DEP_1)
	s_add_i32 s33, s33, s36
	v_sub_co_u32 v2, s37, v1, s22
	s_sub_i32 s36, s35, s33
	s_cmp_lg_u32 s34, 0
	s_subb_u32 s36, s36, s23
	s_cmp_lg_u32 s37, 0
	v_readfirstlane_b32 s37, v2
	s_subb_u32 s36, s36, 0
	s_delay_alu instid0(SALU_CYCLE_1) | instskip(SKIP_1) | instid1(VALU_DEP_1)
	s_cmp_ge_u32 s36, s23
	s_cselect_b32 s38, -1, 0
	s_cmp_ge_u32 s37, s22
	s_cselect_b32 s37, -1, 0
	s_cmp_eq_u32 s36, s23
	s_cselect_b32 s36, s37, s38
	s_add_u32 s37, s12, 1
	s_addc_u32 s38, s15, 0
	s_add_u32 s39, s12, 2
	s_addc_u32 s40, s15, 0
	s_cmp_lg_u32 s36, 0
	s_cselect_b32 s36, s39, s37
	s_cselect_b32 s37, s40, s38
	s_cmp_lg_u32 s34, 0
	v_readfirstlane_b32 s34, v1
	s_subb_u32 s33, s35, s33
	s_delay_alu instid0(SALU_CYCLE_1) | instskip(SKIP_1) | instid1(VALU_DEP_1)
	s_cmp_ge_u32 s33, s23
	s_cselect_b32 s35, -1, 0
	s_cmp_ge_u32 s34, s22
	s_cselect_b32 s22, -1, 0
	s_cmp_eq_u32 s33, s23
	s_cselect_b32 s22, s22, s35
	s_delay_alu instid0(SALU_CYCLE_1)
	s_cmp_lg_u32 s22, 0
	s_cselect_b32 s23, s37, s15
	s_cselect_b32 s22, s36, s12
	s_xor_b64 s[10:11], s[28:29], s[10:11]
	s_mov_b32 s12, 0
	s_xor_b64 s[22:23], s[22:23], s[10:11]
	s_delay_alu instid0(SALU_CYCLE_1)
	s_sub_u32 s10, s22, s10
	s_subb_u32 s11, s23, s11
.LBB71_5:                               ;   in Loop: Header=BB71_3 Depth=1
	s_and_not1_b32 vcc_lo, exec_lo, s12
	s_cbranch_vccnz .LBB71_7
; %bb.6:                                ;   in Loop: Header=BB71_3 Depth=1
	v_cvt_f32_u32_e32 v1, s20
	s_sub_i32 s11, 0, s20
	s_waitcnt_depctr 0xfff
	v_rcp_iflag_f32_e32 v1, v1
	s_waitcnt_depctr 0xfff
	v_mul_f32_e32 v1, 0x4f7ffffe, v1
	s_delay_alu instid0(VALU_DEP_1) | instskip(NEXT) | instid1(VALU_DEP_1)
	v_cvt_u32_f32_e32 v1, v1
	v_readfirstlane_b32 s10, v1
	s_delay_alu instid0(VALU_DEP_1) | instskip(NEXT) | instid1(SALU_CYCLE_1)
	s_mul_i32 s11, s11, s10
	s_mul_hi_u32 s11, s10, s11
	s_delay_alu instid0(SALU_CYCLE_1) | instskip(NEXT) | instid1(SALU_CYCLE_1)
	s_add_i32 s10, s10, s11
	s_mul_hi_u32 s10, s18, s10
	s_delay_alu instid0(SALU_CYCLE_1) | instskip(SKIP_2) | instid1(SALU_CYCLE_1)
	s_mul_i32 s11, s10, s20
	s_add_i32 s12, s10, 1
	s_sub_i32 s11, s18, s11
	s_sub_i32 s15, s11, s20
	s_cmp_ge_u32 s11, s20
	s_cselect_b32 s10, s12, s10
	s_cselect_b32 s11, s15, s11
	s_add_i32 s12, s10, 1
	s_cmp_ge_u32 s11, s20
	s_mov_b32 s11, s14
	s_cselect_b32 s10, s12, s10
.LBB71_7:                               ;   in Loop: Header=BB71_3 Depth=1
	s_load_b64 s[22:23], s[16:17], 0xc8
	s_mul_i32 s12, s10, s21
	s_mul_hi_u32 s15, s10, s20
	s_mul_i32 s21, s11, s20
	s_add_i32 s12, s15, s12
	s_mul_i32 s15, s10, s20
	s_add_i32 s12, s12, s21
	s_sub_u32 s15, s18, s15
	s_subb_u32 s12, s19, s12
	s_waitcnt lgkmcnt(0)
	s_mul_i32 s12, s22, s12
	s_mul_hi_u32 s18, s22, s15
	s_mul_i32 s19, s23, s15
	s_add_i32 s12, s18, s12
	s_mul_i32 s15, s22, s15
	s_add_i32 s12, s12, s19
	s_add_u32 s2, s15, s2
	s_addc_u32 s3, s12, s3
	s_add_i32 s7, s7, -1
	s_add_u32 s16, s16, -8
	s_addc_u32 s17, s17, -1
	s_cmp_gt_u32 s7, 2
	s_cbranch_scc0 .LBB71_9
; %bb.8:                                ;   in Loop: Header=BB71_3 Depth=1
	s_mov_b64 s[18:19], s[10:11]
	s_branch .LBB71_3
.LBB71_9:
	s_clause 0x1
	s_load_b32 s7, s[0:1], 0x358
	s_load_b64 s[14:15], s[0:1], 0xd0
	s_add_u32 s16, s0, 0x1c0
	s_addc_u32 s17, s1, 0
	s_mov_b64 s[28:29], 0
	s_mov_b64 s[34:35], s[8:9]
	s_waitcnt lgkmcnt(0)
	s_cmp_lt_i32 s7, 2
	s_cbranch_scc1 .LBB71_17
; %bb.10:
	s_mov_b32 s18, 0
	s_add_i32 s20, s7, -1
	s_mov_b32 s21, s18
	s_add_i32 s7, s7, 1
	s_lshl_b64 s[20:21], s[20:21], 3
	s_mov_b64 s[22:23], s[8:9]
	s_add_u32 s12, s20, s16
	s_addc_u32 s19, s21, s17
	s_add_u32 s20, s12, 8
	s_addc_u32 s21, s19, 0
.LBB71_11:                              ; =>This Inner Loop Header: Depth=1
	s_load_b64 s[36:37], s[20:21], 0x0
	s_mov_b32 s12, -1
	s_waitcnt lgkmcnt(0)
	s_or_b64 s[34:35], s[22:23], s[36:37]
	s_delay_alu instid0(SALU_CYCLE_1) | instskip(NEXT) | instid1(SALU_CYCLE_1)
	s_mov_b32 s19, s35
                                        ; implicit-def: $sgpr34_sgpr35
	s_cmp_lg_u64 s[18:19], 0
	s_cbranch_scc0 .LBB71_13
; %bb.12:                               ;   in Loop: Header=BB71_11 Depth=1
	s_ashr_i32 s34, s37, 31
	s_delay_alu instid0(SALU_CYCLE_1) | instskip(SKIP_2) | instid1(SALU_CYCLE_1)
	s_add_u32 s38, s36, s34
	s_mov_b32 s35, s34
	s_addc_u32 s39, s37, s34
	s_xor_b64 s[38:39], s[38:39], s[34:35]
	s_delay_alu instid0(SALU_CYCLE_1)
	v_cvt_f32_u32_e32 v1, s38
	v_cvt_f32_u32_e32 v2, s39
	s_sub_u32 s33, 0, s38
	s_subb_u32 s40, 0, s39
	s_waitcnt_depctr 0xfff
	v_fmac_f32_e32 v1, 0x4f800000, v2
	s_delay_alu instid0(VALU_DEP_1) | instskip(SKIP_2) | instid1(VALU_DEP_1)
	v_rcp_f32_e32 v1, v1
	s_waitcnt_depctr 0xfff
	v_mul_f32_e32 v1, 0x5f7ffffc, v1
	v_mul_f32_e32 v2, 0x2f800000, v1
	s_delay_alu instid0(VALU_DEP_1) | instskip(NEXT) | instid1(VALU_DEP_1)
	v_trunc_f32_e32 v2, v2
	v_fmac_f32_e32 v1, 0xcf800000, v2
	v_cvt_u32_f32_e32 v2, v2
	s_delay_alu instid0(VALU_DEP_2) | instskip(NEXT) | instid1(VALU_DEP_2)
	v_cvt_u32_f32_e32 v1, v1
	v_readfirstlane_b32 s12, v2
	s_delay_alu instid0(VALU_DEP_2) | instskip(NEXT) | instid1(VALU_DEP_2)
	v_readfirstlane_b32 s19, v1
	s_mul_i32 s41, s33, s12
	s_delay_alu instid0(VALU_DEP_1)
	s_mul_hi_u32 s43, s33, s19
	s_mul_i32 s42, s40, s19
	s_add_i32 s41, s43, s41
	s_mul_i32 s44, s33, s19
	s_add_i32 s41, s41, s42
	s_mul_hi_u32 s43, s19, s44
	s_mul_hi_u32 s45, s12, s44
	s_mul_i32 s42, s12, s44
	s_mul_hi_u32 s44, s19, s41
	s_mul_i32 s19, s19, s41
	s_mul_hi_u32 s46, s12, s41
	s_add_u32 s19, s43, s19
	s_addc_u32 s43, 0, s44
	s_add_u32 s19, s19, s42
	s_mul_i32 s41, s12, s41
	s_addc_u32 s19, s43, s45
	s_addc_u32 s42, s46, 0
	s_add_u32 s19, s19, s41
	s_addc_u32 s41, 0, s42
	v_add_co_u32 v1, s19, v1, s19
	s_delay_alu instid0(VALU_DEP_1) | instskip(SKIP_1) | instid1(VALU_DEP_1)
	s_cmp_lg_u32 s19, 0
	s_addc_u32 s12, s12, s41
	v_readfirstlane_b32 s19, v1
	s_mul_i32 s41, s33, s12
	s_delay_alu instid0(VALU_DEP_1)
	s_mul_hi_u32 s42, s33, s19
	s_mul_i32 s40, s40, s19
	s_add_i32 s41, s42, s41
	s_mul_i32 s33, s33, s19
	s_add_i32 s41, s41, s40
	s_mul_hi_u32 s42, s12, s33
	s_mul_i32 s43, s12, s33
	s_mul_hi_u32 s33, s19, s33
	s_mul_hi_u32 s44, s19, s41
	s_mul_i32 s19, s19, s41
	s_mul_hi_u32 s40, s12, s41
	s_add_u32 s19, s33, s19
	s_addc_u32 s33, 0, s44
	s_add_u32 s19, s19, s43
	s_mul_i32 s41, s12, s41
	s_addc_u32 s19, s33, s42
	s_addc_u32 s33, s40, 0
	s_add_u32 s19, s19, s41
	s_addc_u32 s33, 0, s33
	v_add_co_u32 v1, s19, v1, s19
	s_delay_alu instid0(VALU_DEP_1) | instskip(SKIP_2) | instid1(VALU_DEP_1)
	s_cmp_lg_u32 s19, 0
	s_addc_u32 s12, s12, s33
	s_ashr_i32 s40, s23, 31
	v_readfirstlane_b32 s19, v1
	s_add_u32 s42, s22, s40
	s_mov_b32 s41, s40
	s_addc_u32 s43, s23, s40
	s_delay_alu instid0(SALU_CYCLE_1) | instskip(NEXT) | instid1(SALU_CYCLE_1)
	s_xor_b64 s[42:43], s[42:43], s[40:41]
	s_mul_i32 s44, s42, s12
	s_mul_hi_u32 s45, s42, s19
	s_mul_hi_u32 s33, s42, s12
	;; [unrolled: 1-line block ×3, first 2 shown]
	s_mul_i32 s19, s43, s19
	s_add_u32 s44, s45, s44
	s_addc_u32 s33, 0, s33
	s_mul_hi_u32 s46, s43, s12
	s_add_u32 s19, s44, s19
	s_mul_i32 s12, s43, s12
	s_addc_u32 s19, s33, s47
	s_addc_u32 s33, s46, 0
	s_add_u32 s12, s19, s12
	s_addc_u32 s19, 0, s33
	s_mul_i32 s46, s38, s12
	s_mul_hi_u32 s33, s38, s12
	s_mul_i32 s45, s38, s19
	v_sub_co_u32 v1, s42, s42, s46
	s_mul_i32 s44, s39, s12
	s_add_i32 s33, s33, s45
	s_delay_alu instid0(SALU_CYCLE_1) | instskip(NEXT) | instid1(VALU_DEP_1)
	s_add_i32 s33, s33, s44
	v_sub_co_u32 v2, s45, v1, s38
	s_sub_i32 s44, s43, s33
	s_cmp_lg_u32 s42, 0
	s_subb_u32 s44, s44, s39
	s_cmp_lg_u32 s45, 0
	v_readfirstlane_b32 s45, v2
	s_subb_u32 s44, s44, 0
	s_delay_alu instid0(SALU_CYCLE_1) | instskip(SKIP_1) | instid1(VALU_DEP_1)
	s_cmp_ge_u32 s44, s39
	s_cselect_b32 s46, -1, 0
	s_cmp_ge_u32 s45, s38
	s_cselect_b32 s45, -1, 0
	s_cmp_eq_u32 s44, s39
	s_cselect_b32 s44, s45, s46
	s_add_u32 s45, s12, 1
	s_addc_u32 s46, s19, 0
	s_add_u32 s47, s12, 2
	s_addc_u32 s48, s19, 0
	s_cmp_lg_u32 s44, 0
	s_cselect_b32 s44, s47, s45
	s_cselect_b32 s45, s48, s46
	s_cmp_lg_u32 s42, 0
	v_readfirstlane_b32 s42, v1
	s_subb_u32 s33, s43, s33
	s_delay_alu instid0(SALU_CYCLE_1) | instskip(SKIP_1) | instid1(VALU_DEP_1)
	s_cmp_ge_u32 s33, s39
	s_cselect_b32 s43, -1, 0
	s_cmp_ge_u32 s42, s38
	s_cselect_b32 s38, -1, 0
	s_cmp_eq_u32 s33, s39
	s_cselect_b32 s33, s38, s43
	s_delay_alu instid0(SALU_CYCLE_1)
	s_cmp_lg_u32 s33, 0
	s_cselect_b32 s39, s45, s19
	s_cselect_b32 s38, s44, s12
	s_xor_b64 s[34:35], s[40:41], s[34:35]
	s_mov_b32 s12, 0
	s_xor_b64 s[38:39], s[38:39], s[34:35]
	s_delay_alu instid0(SALU_CYCLE_1)
	s_sub_u32 s34, s38, s34
	s_subb_u32 s35, s39, s35
.LBB71_13:                              ;   in Loop: Header=BB71_11 Depth=1
	s_and_not1_b32 vcc_lo, exec_lo, s12
	s_cbranch_vccnz .LBB71_15
; %bb.14:                               ;   in Loop: Header=BB71_11 Depth=1
	v_cvt_f32_u32_e32 v1, s36
	s_sub_i32 s19, 0, s36
	s_mov_b32 s35, s18
	s_waitcnt_depctr 0xfff
	v_rcp_iflag_f32_e32 v1, v1
	s_waitcnt_depctr 0xfff
	v_mul_f32_e32 v1, 0x4f7ffffe, v1
	s_delay_alu instid0(VALU_DEP_1) | instskip(NEXT) | instid1(VALU_DEP_1)
	v_cvt_u32_f32_e32 v1, v1
	v_readfirstlane_b32 s12, v1
	s_delay_alu instid0(VALU_DEP_1) | instskip(NEXT) | instid1(SALU_CYCLE_1)
	s_mul_i32 s19, s19, s12
	s_mul_hi_u32 s19, s12, s19
	s_delay_alu instid0(SALU_CYCLE_1) | instskip(NEXT) | instid1(SALU_CYCLE_1)
	s_add_i32 s12, s12, s19
	s_mul_hi_u32 s12, s22, s12
	s_delay_alu instid0(SALU_CYCLE_1) | instskip(SKIP_2) | instid1(SALU_CYCLE_1)
	s_mul_i32 s19, s12, s36
	s_add_i32 s33, s12, 1
	s_sub_i32 s19, s22, s19
	s_sub_i32 s34, s19, s36
	s_cmp_ge_u32 s19, s36
	s_cselect_b32 s12, s33, s12
	s_cselect_b32 s19, s34, s19
	s_add_i32 s33, s12, 1
	s_cmp_ge_u32 s19, s36
	s_cselect_b32 s34, s33, s12
.LBB71_15:                              ;   in Loop: Header=BB71_11 Depth=1
	s_load_b64 s[38:39], s[20:21], 0xc8
	s_mul_i32 s12, s34, s37
	s_mul_hi_u32 s19, s34, s36
	s_mul_i32 s33, s35, s36
	s_add_i32 s12, s19, s12
	s_mul_i32 s19, s34, s36
	s_add_i32 s12, s12, s33
	s_sub_u32 s19, s22, s19
	s_subb_u32 s12, s23, s12
	s_waitcnt lgkmcnt(0)
	s_mul_i32 s12, s38, s12
	s_mul_hi_u32 s22, s38, s19
	s_mul_i32 s23, s39, s19
	s_add_i32 s12, s22, s12
	s_mul_i32 s19, s38, s19
	s_add_i32 s12, s12, s23
	s_add_u32 s28, s19, s28
	s_addc_u32 s29, s12, s29
	s_add_i32 s7, s7, -1
	s_add_u32 s20, s20, -8
	s_addc_u32 s21, s21, -1
	s_cmp_gt_u32 s7, 2
	s_cbranch_scc0 .LBB71_17
; %bb.16:                               ;   in Loop: Header=BB71_11 Depth=1
	s_mov_b64 s[22:23], s[34:35]
	s_branch .LBB71_11
.LBB71_17:
	s_clause 0x1
	s_load_b32 s7, s[0:1], 0x4f8
	s_load_b64 s[36:37], s[16:17], 0xd0
	s_add_u32 s12, s0, 0x360
	s_addc_u32 s17, s1, 0
	s_mov_b64 s[38:39], 0
	s_waitcnt lgkmcnt(0)
	s_cmp_lt_i32 s7, 2
	s_cbranch_scc1 .LBB71_25
; %bb.18:
	s_mov_b32 s16, 0
	s_add_i32 s18, s7, -1
	s_mov_b32 s19, s16
	s_add_i32 s7, s7, 1
	s_lshl_b64 s[18:19], s[18:19], 3
	s_delay_alu instid0(SALU_CYCLE_1)
	s_add_u32 s12, s18, s12
	s_addc_u32 s17, s19, s17
	s_add_u32 s18, s12, 8
	s_addc_u32 s19, s17, 0
.LBB71_19:                              ; =>This Inner Loop Header: Depth=1
	s_load_b64 s[20:21], s[18:19], 0x0
	s_mov_b32 s12, -1
                                        ; implicit-def: $sgpr40_sgpr41
	s_waitcnt lgkmcnt(0)
	s_or_b64 s[22:23], s[8:9], s[20:21]
	s_delay_alu instid0(SALU_CYCLE_1) | instskip(NEXT) | instid1(SALU_CYCLE_1)
	s_mov_b32 s17, s23
	s_cmp_lg_u64 s[16:17], 0
	s_cbranch_scc0 .LBB71_21
; %bb.20:                               ;   in Loop: Header=BB71_19 Depth=1
	s_ashr_i32 s22, s21, 31
	s_delay_alu instid0(SALU_CYCLE_1) | instskip(SKIP_2) | instid1(SALU_CYCLE_1)
	s_add_u32 s40, s20, s22
	s_mov_b32 s23, s22
	s_addc_u32 s41, s21, s22
	s_xor_b64 s[40:41], s[40:41], s[22:23]
	s_delay_alu instid0(SALU_CYCLE_1)
	v_cvt_f32_u32_e32 v1, s40
	v_cvt_f32_u32_e32 v2, s41
	s_sub_u32 s33, 0, s40
	s_subb_u32 s42, 0, s41
	s_waitcnt_depctr 0xfff
	v_fmac_f32_e32 v1, 0x4f800000, v2
	s_delay_alu instid0(VALU_DEP_1) | instskip(SKIP_2) | instid1(VALU_DEP_1)
	v_rcp_f32_e32 v1, v1
	s_waitcnt_depctr 0xfff
	v_mul_f32_e32 v1, 0x5f7ffffc, v1
	v_mul_f32_e32 v2, 0x2f800000, v1
	s_delay_alu instid0(VALU_DEP_1) | instskip(NEXT) | instid1(VALU_DEP_1)
	v_trunc_f32_e32 v2, v2
	v_fmac_f32_e32 v1, 0xcf800000, v2
	v_cvt_u32_f32_e32 v2, v2
	s_delay_alu instid0(VALU_DEP_2) | instskip(NEXT) | instid1(VALU_DEP_2)
	v_cvt_u32_f32_e32 v1, v1
	v_readfirstlane_b32 s12, v2
	s_delay_alu instid0(VALU_DEP_2) | instskip(NEXT) | instid1(VALU_DEP_2)
	v_readfirstlane_b32 s17, v1
	s_mul_i32 s43, s33, s12
	s_delay_alu instid0(VALU_DEP_1)
	s_mul_hi_u32 s45, s33, s17
	s_mul_i32 s44, s42, s17
	s_add_i32 s43, s45, s43
	s_mul_i32 s46, s33, s17
	s_add_i32 s43, s43, s44
	s_mul_hi_u32 s45, s17, s46
	s_mul_hi_u32 s47, s12, s46
	s_mul_i32 s44, s12, s46
	s_mul_hi_u32 s46, s17, s43
	s_mul_i32 s17, s17, s43
	s_mul_hi_u32 s48, s12, s43
	s_add_u32 s17, s45, s17
	s_addc_u32 s45, 0, s46
	s_add_u32 s17, s17, s44
	s_mul_i32 s43, s12, s43
	s_addc_u32 s17, s45, s47
	s_addc_u32 s44, s48, 0
	s_add_u32 s17, s17, s43
	s_addc_u32 s43, 0, s44
	v_add_co_u32 v1, s17, v1, s17
	s_delay_alu instid0(VALU_DEP_1) | instskip(SKIP_1) | instid1(VALU_DEP_1)
	s_cmp_lg_u32 s17, 0
	s_addc_u32 s12, s12, s43
	v_readfirstlane_b32 s17, v1
	s_mul_i32 s43, s33, s12
	s_delay_alu instid0(VALU_DEP_1)
	s_mul_hi_u32 s44, s33, s17
	s_mul_i32 s42, s42, s17
	s_add_i32 s43, s44, s43
	s_mul_i32 s33, s33, s17
	s_add_i32 s43, s43, s42
	s_mul_hi_u32 s44, s12, s33
	s_mul_i32 s45, s12, s33
	s_mul_hi_u32 s33, s17, s33
	s_mul_hi_u32 s46, s17, s43
	s_mul_i32 s17, s17, s43
	s_mul_hi_u32 s42, s12, s43
	s_add_u32 s17, s33, s17
	s_addc_u32 s33, 0, s46
	s_add_u32 s17, s17, s45
	s_mul_i32 s43, s12, s43
	s_addc_u32 s17, s33, s44
	s_addc_u32 s33, s42, 0
	s_add_u32 s17, s17, s43
	s_addc_u32 s33, 0, s33
	v_add_co_u32 v1, s17, v1, s17
	s_delay_alu instid0(VALU_DEP_1) | instskip(SKIP_2) | instid1(VALU_DEP_1)
	s_cmp_lg_u32 s17, 0
	s_addc_u32 s12, s12, s33
	s_ashr_i32 s42, s9, 31
	v_readfirstlane_b32 s17, v1
	s_add_u32 s44, s8, s42
	s_mov_b32 s43, s42
	s_addc_u32 s45, s9, s42
	s_delay_alu instid0(SALU_CYCLE_1) | instskip(NEXT) | instid1(SALU_CYCLE_1)
	s_xor_b64 s[44:45], s[44:45], s[42:43]
	s_mul_i32 s46, s44, s12
	s_mul_hi_u32 s47, s44, s17
	s_mul_hi_u32 s33, s44, s12
	;; [unrolled: 1-line block ×3, first 2 shown]
	s_mul_i32 s17, s45, s17
	s_add_u32 s46, s47, s46
	s_addc_u32 s33, 0, s33
	s_mul_hi_u32 s48, s45, s12
	s_add_u32 s17, s46, s17
	s_mul_i32 s12, s45, s12
	s_addc_u32 s17, s33, s49
	s_addc_u32 s33, s48, 0
	s_add_u32 s12, s17, s12
	s_addc_u32 s17, 0, s33
	s_mul_i32 s48, s40, s12
	s_mul_hi_u32 s33, s40, s12
	s_mul_i32 s47, s40, s17
	v_sub_co_u32 v1, s44, s44, s48
	s_mul_i32 s46, s41, s12
	s_add_i32 s33, s33, s47
	s_delay_alu instid0(SALU_CYCLE_1) | instskip(NEXT) | instid1(VALU_DEP_1)
	s_add_i32 s33, s33, s46
	v_sub_co_u32 v2, s47, v1, s40
	s_sub_i32 s46, s45, s33
	s_cmp_lg_u32 s44, 0
	s_subb_u32 s46, s46, s41
	s_cmp_lg_u32 s47, 0
	v_readfirstlane_b32 s47, v2
	s_subb_u32 s46, s46, 0
	s_delay_alu instid0(SALU_CYCLE_1) | instskip(SKIP_1) | instid1(VALU_DEP_1)
	s_cmp_ge_u32 s46, s41
	s_cselect_b32 s48, -1, 0
	s_cmp_ge_u32 s47, s40
	s_cselect_b32 s47, -1, 0
	s_cmp_eq_u32 s46, s41
	s_cselect_b32 s46, s47, s48
	s_add_u32 s47, s12, 1
	s_addc_u32 s48, s17, 0
	s_add_u32 s49, s12, 2
	s_addc_u32 s50, s17, 0
	s_cmp_lg_u32 s46, 0
	s_cselect_b32 s46, s49, s47
	s_cselect_b32 s47, s50, s48
	s_cmp_lg_u32 s44, 0
	v_readfirstlane_b32 s44, v1
	s_subb_u32 s33, s45, s33
	s_delay_alu instid0(SALU_CYCLE_1) | instskip(SKIP_1) | instid1(VALU_DEP_1)
	s_cmp_ge_u32 s33, s41
	s_cselect_b32 s45, -1, 0
	s_cmp_ge_u32 s44, s40
	s_cselect_b32 s40, -1, 0
	s_cmp_eq_u32 s33, s41
	s_cselect_b32 s33, s40, s45
	s_delay_alu instid0(SALU_CYCLE_1)
	s_cmp_lg_u32 s33, 0
	s_cselect_b32 s41, s47, s17
	s_cselect_b32 s40, s46, s12
	s_xor_b64 s[22:23], s[42:43], s[22:23]
	s_mov_b32 s12, 0
	s_xor_b64 s[40:41], s[40:41], s[22:23]
	s_delay_alu instid0(SALU_CYCLE_1)
	s_sub_u32 s40, s40, s22
	s_subb_u32 s41, s41, s23
.LBB71_21:                              ;   in Loop: Header=BB71_19 Depth=1
	s_and_not1_b32 vcc_lo, exec_lo, s12
	s_cbranch_vccnz .LBB71_23
; %bb.22:                               ;   in Loop: Header=BB71_19 Depth=1
	v_cvt_f32_u32_e32 v1, s20
	s_sub_i32 s17, 0, s20
	s_mov_b32 s41, s16
	s_waitcnt_depctr 0xfff
	v_rcp_iflag_f32_e32 v1, v1
	s_waitcnt_depctr 0xfff
	v_mul_f32_e32 v1, 0x4f7ffffe, v1
	s_delay_alu instid0(VALU_DEP_1) | instskip(NEXT) | instid1(VALU_DEP_1)
	v_cvt_u32_f32_e32 v1, v1
	v_readfirstlane_b32 s12, v1
	s_delay_alu instid0(VALU_DEP_1) | instskip(NEXT) | instid1(SALU_CYCLE_1)
	s_mul_i32 s17, s17, s12
	s_mul_hi_u32 s17, s12, s17
	s_delay_alu instid0(SALU_CYCLE_1) | instskip(NEXT) | instid1(SALU_CYCLE_1)
	s_add_i32 s12, s12, s17
	s_mul_hi_u32 s12, s8, s12
	s_delay_alu instid0(SALU_CYCLE_1) | instskip(SKIP_2) | instid1(SALU_CYCLE_1)
	s_mul_i32 s17, s12, s20
	s_add_i32 s22, s12, 1
	s_sub_i32 s17, s8, s17
	s_sub_i32 s23, s17, s20
	s_cmp_ge_u32 s17, s20
	s_cselect_b32 s12, s22, s12
	s_cselect_b32 s17, s23, s17
	s_add_i32 s22, s12, 1
	s_cmp_ge_u32 s17, s20
	s_cselect_b32 s40, s22, s12
.LBB71_23:                              ;   in Loop: Header=BB71_19 Depth=1
	s_load_b64 s[22:23], s[18:19], 0xc8
	s_mul_i32 s12, s40, s21
	s_mul_hi_u32 s17, s40, s20
	s_mul_i32 s21, s41, s20
	s_add_i32 s12, s17, s12
	s_mul_i32 s17, s40, s20
	s_add_i32 s12, s12, s21
	s_sub_u32 s8, s8, s17
	s_subb_u32 s9, s9, s12
	s_waitcnt lgkmcnt(0)
	s_mul_i32 s9, s22, s9
	s_mul_hi_u32 s12, s22, s8
	s_mul_i32 s17, s23, s8
	s_add_i32 s9, s12, s9
	s_mul_i32 s8, s22, s8
	s_add_i32 s9, s9, s17
	s_add_u32 s38, s8, s38
	s_addc_u32 s39, s9, s39
	s_add_i32 s7, s7, -1
	s_add_u32 s18, s18, -8
	s_addc_u32 s19, s19, -1
	s_cmp_gt_u32 s7, 2
	s_cbranch_scc0 .LBB71_26
; %bb.24:                               ;   in Loop: Header=BB71_19 Depth=1
	s_mov_b64 s[8:9], s[40:41]
	s_branch .LBB71_19
.LBB71_25:
	s_mov_b64 s[40:41], s[8:9]
.LBB71_26:
	s_clause 0x3
	s_load_b64 s[8:9], s[0:1], 0x0
	s_load_b64 s[46:47], s[0:1], 0x1c0
	;; [unrolled: 1-line block ×4, first 2 shown]
	v_cmp_eq_u32_e64 s0, 0, v0
	s_mov_b32 s49, 0
	s_delay_alu instid0(VALU_DEP_1)
	s_and_saveexec_b32 s1, s0
	s_cbranch_execz .LBB71_28
; %bb.27:
	v_dual_mov_b32 v1, 0 :: v_dual_mov_b32 v4, s25
	s_delay_alu instid0(VALU_DEP_1)
	v_dual_mov_b32 v3, s24 :: v_dual_mov_b32 v2, v1
	ds_store_b32 v1, v1 offset:5136
	ds_store_b128 v1, v[1:4] offset:5120
.LBB71_28:
	s_or_b32 exec_lo, exec_lo, s1
	s_mul_i32 s1, s14, s11
	s_mul_hi_u32 s7, s14, s10
	v_dual_mov_b32 v13, 0 :: v_dual_lshlrev_b32 v16, 2, v0
	s_add_i32 s1, s7, s1
	s_mul_i32 s7, s15, s10
	s_waitcnt lgkmcnt(0)
	s_add_i32 s11, s1, s7
	s_barrier
	buffer_gl0_inv
	s_load_b32 s7, s[4:5], 0xc
	v_dual_mov_b32 v17, v13 :: v_dual_lshlrev_b32 v44, 3, v0
	s_mul_i32 s10, s14, s10
	s_lshl_b64 s[52:53], s[2:3], 1
	s_lshl_b64 s[10:11], s[10:11], 1
	v_mbcnt_lo_u32_b32 v40, -1, 0
	v_or_b32_e32 v11, 6, v44
	s_add_u32 s14, s8, s10
	v_lshrrev_b32_e32 v6, 3, v0
	s_addc_u32 s15, s9, s11
	v_mad_u64_u32 v[2:3], null, v0, s30, 0
	v_mad_u64_u32 v[18:19], null, s30, v11, s[14:15]
	v_or_b32_e32 v12, 4, v44
	v_and_b32_e32 v43, 0x7c, v6
	v_lshlrev_b64 v[6:7], v40, -1
	v_cmp_gt_u32_e32 vcc_lo, 32, v0
	v_cmp_gt_i32_e64 s1, 4, v40
	s_add_u32 s74, s14, s52
	v_mad_u64_u32 v[20:21], null, s30, v12, s[14:15]
	s_addc_u32 s75, s15, s53
	s_waitcnt lgkmcnt(0)
	s_and_b32 s33, s7, 0xffff
	v_or_b32_e32 v24, 2, v44
	v_lshlrev_b32_e32 v41, 1, v0
	s_and_b32 s76, vcc_lo, s1
	s_bfe_u32 s12, s7, 0xb0005
	v_not_b32_e32 v45, v6
	v_mov_b32_e32 v6, v19
	v_dual_mov_b32 v1, v3 :: v_dual_add_nc_u32 v42, 0xc00, v41
	s_add_u32 s78, s33, -1
	s_addc_u32 s79, 0, -1
	s_add_u32 s80, s78, s24
	s_addc_u32 s55, s79, s25
	v_mad_u64_u32 v[22:23], null, s30, v24, s[14:15]
	v_mad_u64_u32 v[3:4], null, v0, s31, v[1:2]
	s_cmp_lt_u32 s13, s6
	v_mov_b32_e32 v7, v21
	s_cselect_b32 s6, 12, 18
	s_delay_alu instid0(VALU_DEP_3)
	v_dual_mov_b32 v1, v13 :: v_dual_mov_b32 v8, v23
	s_add_u32 s56, s4, s6
	s_addc_u32 s57, s5, 0
	s_add_i32 s4, s12, -1
	s_bfe_u32 s81, s33, 0x30005
	v_mad_u64_u32 v[9:10], null, s31, v11, v[6:7]
	s_cmp_gt_u32 s4, 6
	v_lshlrev_b64 v[4:5], 1, v[2:3]
	s_cselect_b32 s82, -1, 0
	s_and_b32 s83, s12, 0x7f8
	s_cmp_lg_u32 s81, 0
	v_lshlrev_b64 v[2:3], 3, v[2:3]
	s_cselect_b32 s85, -1, 0
	s_add_u32 s4, s10, s52
	v_mad_u64_u32 v[10:11], null, s31, v12, v[7:8]
	s_addc_u32 s5, s11, s53
	v_add_co_u32 v14, vcc_lo, s74, v4
	v_mad_u64_u32 v[6:7], null, s31, v24, v[8:9]
	s_add_u32 s58, s8, s4
	v_add_co_u32 v46, s4, s24, v0
	s_addc_u32 s59, s9, s5
	s_lshl_b64 s[60:61], s[30:31], 1
	s_lshl_b64 s[62:63], s[30:31], 3
	v_add_co_ci_u32_e32 v15, vcc_lo, s75, v5, vcc_lo
	v_add_co_ci_u32_e64 v47, null, s25, 0, s4
	s_add_u32 s4, s8, s52
	v_add_co_u32 v24, vcc_lo, s14, v2
	s_addc_u32 s5, s9, s53
	s_add_u32 s6, s4, s10
	v_add_co_ci_u32_e32 v25, vcc_lo, s15, v3, vcc_lo
	v_mov_b32_e32 v21, v10
	s_addc_u32 s8, s5, s11
	v_add_co_u32 v10, vcc_lo, s6, v4
	v_cmp_lt_i64_e64 s77, 0x600, s[24:25]
	v_cmp_gt_i64_e64 s1, s[24:25], v[0:1]
	v_cmp_gt_u16_e64 s84, s7, 31
	s_mul_i32 s4, s31, s33
	s_mul_hi_u32 s7, s30, s33
	v_cmp_eq_u32_e64 s2, 0, v40
	v_cmp_gt_u32_e64 s3, 2, v0
	v_mov_b32_e32 v19, v9
	v_mov_b32_e32 v23, v6
	v_lshl_or_b32 v48, v40, 3, 0xc00
	v_add_co_ci_u32_e32 v11, vcc_lo, s8, v5, vcc_lo
	v_mov_b32_e32 v49, 0x8000
	v_cvt_f32_ubyte0_e32 v50, 0
	v_mov_b32_e32 v51, 0
	s_add_i32 s5, s7, s4
	s_mul_i32 s4, s30, s33
	s_lshl_b32 s86, s33, 1
	s_lshl_b64 s[50:51], s[4:5], 1
	s_mov_b32 s91, 14
	s_movk_i32 s87, 0x3f80
	s_mov_b32 s88, 0
	s_mov_b32 s93, 0
	;; [unrolled: 1-line block ×4, first 2 shown]
                                        ; implicit-def: $sgpr89
                                        ; implicit-def: $sgpr92
                                        ; implicit-def: $sgpr90
                                        ; implicit-def: $sgpr95
                                        ; implicit-def: $sgpr96
                                        ; implicit-def: $sgpr94
	s_branch .LBB71_33
.LBB71_29:                              ;   in Loop: Header=BB71_33 Depth=1
	s_xor_b32 s93, s93, 1
	s_add_i32 s7, s91, -2
	s_cmp_eq_u32 s91, 0
	s_mov_b32 s5, 0
	s_cselect_b32 s6, -1, 0
	s_mov_b32 s91, s7
.LBB71_30:                              ;   in Loop: Header=BB71_33 Depth=1
	s_and_not1_b32 s7, s20, exec_lo
	s_and_b32 s5, s5, exec_lo
	s_and_not1_b32 s21, s21, exec_lo
	s_or_b32 s20, s7, s5
	s_and_not1_b32 s19, s19, exec_lo
	s_or_not1_b32 s15, s6, exec_lo
.LBB71_31:                              ;   in Loop: Header=BB71_33 Depth=1
	s_or_b32 exec_lo, exec_lo, s4
	s_delay_alu instid0(SALU_CYCLE_1)
	s_and_not1_b32 s4, s94, exec_lo
	s_and_b32 s5, s20, exec_lo
	s_and_not1_b32 s6, s95, exec_lo
	s_or_b32 s94, s4, s5
	s_and_not1_b32 s4, s96, exec_lo
	s_and_b32 s5, s21, exec_lo
	s_and_b32 s7, s19, exec_lo
	s_or_b32 s96, s4, s5
	s_or_b32 s95, s6, s7
	s_or_not1_b32 s19, s15, exec_lo
.LBB71_32:                              ;   in Loop: Header=BB71_33 Depth=1
	s_or_b32 exec_lo, exec_lo, s14
	s_delay_alu instid0(SALU_CYCLE_1)
	s_and_b32 s4, exec_lo, s19
	v_mov_b32_e32 v2, s98
	s_or_b32 s88, s4, s88
	s_and_not1_b32 s4, s90, exec_lo
	s_and_b32 s5, s94, exec_lo
	s_and_not1_b32 s6, s89, exec_lo
	s_or_b32 s90, s4, s5
	s_and_not1_b32 s4, s92, exec_lo
	s_and_b32 s5, s96, exec_lo
	s_and_b32 s7, s95, exec_lo
	s_or_b32 s92, s4, s5
	s_or_b32 s89, s6, s7
	s_and_not1_b32 exec_lo, exec_lo, s88
	s_cbranch_execz .LBB71_299
.LBB71_33:                              ; =>This Loop Header: Depth=1
                                        ;     Child Loop BB71_38 Depth 2
                                        ;     Child Loop BB71_57 Depth 2
	;; [unrolled: 1-line block ×16, first 2 shown]
	ds_load_b128 v[2:5], v13 offset:5120
	s_waitcnt lgkmcnt(0)
	v_readfirstlane_b32 s65, v3
	v_readfirstlane_b32 s64, v2
	s_delay_alu instid0(VALU_DEP_1) | instskip(NEXT) | instid1(VALU_DEP_1)
	v_cmp_gt_i64_e64 s4, s[64:65], 0
	s_and_b32 vcc_lo, exec_lo, s4
	s_cbranch_vccnz .LBB71_64
; %bb.34:                               ;   in Loop: Header=BB71_33 Depth=1
	s_and_b32 vcc_lo, exec_lo, s77
	s_cbranch_vccz .LBB71_46
; %bb.35:                               ;   in Loop: Header=BB71_33 Depth=1
	v_cmp_gt_i64_e32 vcc_lo, 0x601, v[4:5]
	s_mov_b32 s6, 0
	s_mov_b32 s4, 0
	s_cbranch_vccz .LBB71_51
; %bb.36:                               ;   in Loop: Header=BB71_33 Depth=1
	global_load_u16 v6, v13, s[56:57]
	global_load_u16 v7, v[14:15], off
	s_mov_b32 s8, 0
	s_waitcnt vmcnt(1)
	v_readfirstlane_b32 s4, v6
	v_and_b32_e32 v6, 0xffff, v6
	s_delay_alu instid0(VALU_DEP_2) | instskip(NEXT) | instid1(SALU_CYCLE_1)
	s_and_b32 s4, 0xffff, s4
	v_add_nc_u32_e32 v8, s4, v0
	s_mul_i32 s5, s61, s4
	s_mul_hi_u32 s7, s60, s4
	s_mul_i32 s9, s60, s4
	s_add_i32 s7, s7, s5
	v_mad_u64_u32 v[2:3], null, s60, v8, s[58:59]
	s_delay_alu instid0(VALU_DEP_1) | instskip(NEXT) | instid1(VALU_DEP_1)
	v_mad_u64_u32 v[4:5], null, s61, v8, v[3:4]
	v_mov_b32_e32 v3, v4
	v_dual_mov_b32 v5, v1 :: v_dual_mov_b32 v4, v0
	s_branch .LBB71_38
.LBB71_37:                              ;   in Loop: Header=BB71_38 Depth=2
	s_or_b32 exec_lo, exec_lo, s5
	v_add_co_u32 v2, vcc_lo, v2, s9
	v_add_co_ci_u32_e32 v3, vcc_lo, s7, v3, vcc_lo
	v_mov_b32_e32 v7, v8
	s_and_not1_b32 exec_lo, exec_lo, s8
	s_cbranch_execz .LBB71_47
.LBB71_38:                              ;   Parent Loop BB71_33 Depth=1
                                        ; =>  This Inner Loop Header: Depth=2
	s_delay_alu instid0(VALU_DEP_1) | instskip(NEXT) | instid1(VALU_DEP_2)
	v_add_co_u32 v4, vcc_lo, v4, v6
	v_add_co_ci_u32_e32 v5, vcc_lo, 0, v5, vcc_lo
	s_waitcnt lgkmcnt(0)
	v_dual_mov_b32 v9, 0 :: v_dual_mov_b32 v8, 0
	s_mov_b32 s5, exec_lo
	s_delay_alu instid0(VALU_DEP_2)
	v_cmp_le_i64_e32 vcc_lo, s[24:25], v[4:5]
	v_cmpx_gt_i64_e64 s[24:25], v[4:5]
	s_cbranch_execz .LBB71_40
; %bb.39:                               ;   in Loop: Header=BB71_38 Depth=2
	global_load_u16 v8, v[2:3], off
.LBB71_40:                              ;   in Loop: Header=BB71_38 Depth=2
	s_or_b32 exec_lo, exec_lo, s5
	s_waitcnt vmcnt(0)
	v_cmp_lt_i16_e64 s4, -1, v7
	v_and_b32_e32 v12, 0xffff, v7
	v_lshlrev_b32_e32 v27, 16, v7
	s_delay_alu instid0(VALU_DEP_3) | instskip(NEXT) | instid1(VALU_DEP_2)
	v_cndmask_b32_e64 v26, 0xffff, v49, s4
	v_cmp_o_f32_e64 s4, v27, v27
	s_delay_alu instid0(VALU_DEP_2) | instskip(NEXT) | instid1(VALU_DEP_1)
	v_xor_b32_e32 v12, v26, v12
	v_cndmask_b32_e64 v12, 0xffff, v12, s4
	s_delay_alu instid0(VALU_DEP_1) | instskip(NEXT) | instid1(VALU_DEP_1)
	v_and_b32_e32 v12, s97, v12
	v_cmp_eq_u32_e64 s4, s98, v12
	s_delay_alu instid0(VALU_DEP_1) | instskip(SKIP_1) | instid1(SALU_CYCLE_1)
	s_cmp_lg_u32 s4, 0
	s_cselect_b32 s5, -1, 0
	s_and_b32 s5, s2, s5
	s_delay_alu instid0(SALU_CYCLE_1)
	s_and_saveexec_b32 s10, s5
	s_cbranch_execz .LBB71_44
; %bb.41:                               ;   in Loop: Header=BB71_38 Depth=2
	s_mov_b32 s13, exec_lo
	s_bcnt1_i32_b32 s11, s4
	v_mbcnt_lo_u32_b32 v9, s13, 0
	s_mov_b32 s12, exec_lo
                                        ; implicit-def: $vgpr12
	s_delay_alu instid0(VALU_DEP_1)
	v_cmpx_eq_u32_e32 0, v9
	s_cbranch_execz .LBB71_43
; %bb.42:                               ;   in Loop: Header=BB71_38 Depth=2
	s_bcnt1_i32_b32 s5, s13
	s_delay_alu instid0(SALU_CYCLE_1) | instskip(NEXT) | instid1(SALU_CYCLE_1)
	s_mul_i32 s5, s11, s5
	v_mov_b32_e32 v12, s5
	ds_add_rtn_u32 v12, v13, v12 offset:5136
.LBB71_43:                              ;   in Loop: Header=BB71_38 Depth=2
	s_or_b32 exec_lo, exec_lo, s12
	s_waitcnt lgkmcnt(0)
	v_readfirstlane_b32 s5, v12
	s_delay_alu instid0(VALU_DEP_1)
	v_mad_u32_u24 v9, s11, v9, s5
.LBB71_44:                              ;   in Loop: Header=BB71_38 Depth=2
	s_or_b32 exec_lo, exec_lo, s10
	ds_bpermute_b32 v9, v13, v9
	s_and_b32 s5, exec_lo, vcc_lo
	s_delay_alu instid0(SALU_CYCLE_1)
	s_or_b32 s8, s5, s8
	s_and_saveexec_b32 s5, s4
	s_cbranch_execz .LBB71_37
; %bb.45:                               ;   in Loop: Header=BB71_38 Depth=2
	v_and_b32_e32 v12, s4, v45
	s_delay_alu instid0(VALU_DEP_1) | instskip(NEXT) | instid1(VALU_DEP_1)
	v_bcnt_u32_b32 v12, v12, 0
	v_lshlrev_b32_e32 v12, 1, v12
	s_waitcnt lgkmcnt(0)
	s_delay_alu instid0(VALU_DEP_1)
	v_lshl_add_u32 v9, v9, 1, v12
	ds_store_b16 v9, v7
	s_branch .LBB71_37
.LBB71_46:                              ;   in Loop: Header=BB71_33 Depth=1
	s_mov_b32 s6, -1
	s_mov_b32 s4, 0
	s_branch .LBB71_50
.LBB71_47:                              ;   in Loop: Header=BB71_33 Depth=1
	s_or_b32 exec_lo, exec_lo, s8
	s_waitcnt lgkmcnt(0)
	s_barrier
	buffer_gl0_inv
	s_and_saveexec_b32 s4, s0
	s_cbranch_execz .LBB71_49
; %bb.48:                               ;   in Loop: Header=BB71_33 Depth=1
	ds_load_b32 v2, v13 offset:5136
	s_waitcnt lgkmcnt(0)
	v_ashrrev_i32_e32 v3, 31, v2
	ds_store_b64 v13, v[2:3] offset:5120
.LBB71_49:                              ;   in Loop: Header=BB71_33 Depth=1
	s_or_b32 exec_lo, exec_lo, s4
	s_waitcnt lgkmcnt(0)
	s_mov_b32 s4, -1
	s_barrier
.LBB71_50:                              ;   in Loop: Header=BB71_33 Depth=1
                                        ; implicit-def: $sgpr64_sgpr65
.LBB71_51:                              ;   in Loop: Header=BB71_33 Depth=1
	s_and_b32 vcc_lo, exec_lo, s6
	s_cbranch_vccz .LBB71_62
; %bb.52:                               ;   in Loop: Header=BB71_33 Depth=1
	v_mov_b32_e32 v6, 0
	s_and_saveexec_b32 s4, s1
	s_cbranch_execz .LBB71_54
; %bb.53:                               ;   in Loop: Header=BB71_33 Depth=1
	global_load_u16 v6, v[14:15], off
.LBB71_54:                              ;   in Loop: Header=BB71_33 Depth=1
	s_or_b32 exec_lo, exec_lo, s4
	s_and_saveexec_b32 s5, s1
	s_cbranch_execz .LBB71_59
; %bb.55:                               ;   in Loop: Header=BB71_33 Depth=1
	global_load_u16 v8, v13, s[56:57]
	s_mov_b32 s9, 0
	s_waitcnt vmcnt(0)
	v_readfirstlane_b32 s4, v8
	v_and_b32_e32 v8, 0xffff, v8
	s_delay_alu instid0(VALU_DEP_2) | instskip(NEXT) | instid1(SALU_CYCLE_1)
	s_and_b32 s4, 0xffff, s4
	v_add_nc_u32_e32 v7, s4, v0
	s_mul_i32 s7, s61, s4
	s_mul_hi_u32 s8, s60, s4
	s_lshl_b32 s6, s4, 1
	s_add_i32 s7, s8, s7
	v_mad_u64_u32 v[2:3], null, s60, v7, s[58:59]
	s_mul_i32 s8, s60, s4
	s_delay_alu instid0(VALU_DEP_1) | instskip(SKIP_1) | instid1(VALU_DEP_2)
	v_mad_u64_u32 v[4:5], null, s61, v7, v[3:4]
	v_mov_b32_e32 v7, v41
	v_mov_b32_e32 v3, v4
	v_dual_mov_b32 v5, v1 :: v_dual_mov_b32 v4, v0
	s_branch .LBB71_57
	.p2align	6
.LBB71_56:                              ;   in Loop: Header=BB71_57 Depth=2
	s_or_b32 exec_lo, exec_lo, s10
	s_delay_alu instid0(SALU_CYCLE_1)
	s_and_b32 s4, exec_lo, vcc_lo
	v_add_co_u32 v2, vcc_lo, v2, s8
	ds_store_b16 v7, v6
	s_waitcnt vmcnt(0)
	v_dual_mov_b32 v6, v9 :: v_dual_add_nc_u32 v7, s6, v7
	v_add_co_ci_u32_e32 v3, vcc_lo, s7, v3, vcc_lo
	s_or_b32 s9, s4, s9
	s_delay_alu instid0(SALU_CYCLE_1)
	s_and_not1_b32 exec_lo, exec_lo, s9
	s_cbranch_execz .LBB71_59
.LBB71_57:                              ;   Parent Loop BB71_33 Depth=1
                                        ; =>  This Inner Loop Header: Depth=2
	s_delay_alu instid0(VALU_DEP_1) | instskip(NEXT) | instid1(VALU_DEP_2)
	v_add_co_u32 v4, vcc_lo, v4, v8
	v_add_co_ci_u32_e32 v5, vcc_lo, 0, v5, vcc_lo
	v_mov_b32_e32 v9, 0
	s_mov_b32 s10, exec_lo
	s_delay_alu instid0(VALU_DEP_2)
	v_cmp_le_i64_e32 vcc_lo, s[24:25], v[4:5]
	v_cmpx_gt_i64_e64 s[24:25], v[4:5]
	s_cbranch_execz .LBB71_56
; %bb.58:                               ;   in Loop: Header=BB71_57 Depth=2
	global_load_u16 v9, v[2:3], off
	s_branch .LBB71_56
.LBB71_59:                              ;   in Loop: Header=BB71_33 Depth=1
	s_or_b32 exec_lo, exec_lo, s5
	s_waitcnt vmcnt(0) lgkmcnt(0)
	s_barrier
	buffer_gl0_inv
	s_and_saveexec_b32 s4, s0
	s_cbranch_execz .LBB71_61
; %bb.60:                               ;   in Loop: Header=BB71_33 Depth=1
	v_dual_mov_b32 v2, s24 :: v_dual_mov_b32 v3, s25
	ds_store_b64 v13, v[2:3] offset:5120
.LBB71_61:                              ;   in Loop: Header=BB71_33 Depth=1
	s_or_b32 exec_lo, exec_lo, s4
	s_mov_b32 s4, -1
	s_waitcnt lgkmcnt(0)
	s_barrier
                                        ; implicit-def: $sgpr64_sgpr65
.LBB71_62:                              ;   in Loop: Header=BB71_33 Depth=1
	s_and_b32 vcc_lo, exec_lo, s4
	s_cbranch_vccz .LBB71_64
; %bb.63:                               ;   in Loop: Header=BB71_33 Depth=1
	buffer_gl0_inv
	ds_load_b64 v[2:3], v13 offset:5120
	s_waitcnt lgkmcnt(0)
	v_readfirstlane_b32 s64, v2
.LBB71_64:                              ;   in Loop: Header=BB71_33 Depth=1
	s_delay_alu instid0(VALU_DEP_1)
	s_cmp_lt_i32 s64, 1
	s_cbranch_scc0 .LBB71_79
; %bb.65:                               ;   in Loop: Header=BB71_33 Depth=1
	global_load_u16 v2, v13, s[56:57]
	s_mov_b32 s5, s25
	s_waitcnt vmcnt(0)
	v_readfirstlane_b32 s4, v2
	s_delay_alu instid0(VALU_DEP_1)
	s_and_b32 s48, s4, 0xffff
	s_mov_b32 s4, s49
	s_lshl_b32 s54, s48, 2
	s_cmp_lg_u64 s[4:5], 0
	s_cbranch_scc0 .LBB71_99
; %bb.66:                               ;   in Loop: Header=BB71_33 Depth=1
	v_cvt_f32_u32_e32 v2, s54
	s_sub_u32 s6, 0, s54
	s_subb_u32 s7, 0, 0
	s_delay_alu instid0(VALU_DEP_1) | instskip(NEXT) | instid1(VALU_DEP_1)
	v_fmac_f32_e32 v2, 0x4f800000, v50
	v_rcp_f32_e32 v2, v2
	s_waitcnt_depctr 0xfff
	v_mul_f32_e32 v2, 0x5f7ffffc, v2
	s_delay_alu instid0(VALU_DEP_1) | instskip(NEXT) | instid1(VALU_DEP_1)
	v_mul_f32_e32 v3, 0x2f800000, v2
	v_trunc_f32_e32 v3, v3
	s_delay_alu instid0(VALU_DEP_1) | instskip(SKIP_1) | instid1(VALU_DEP_2)
	v_fmac_f32_e32 v2, 0xcf800000, v3
	v_cvt_u32_f32_e32 v3, v3
	v_cvt_u32_f32_e32 v2, v2
	s_delay_alu instid0(VALU_DEP_2) | instskip(NEXT) | instid1(VALU_DEP_2)
	v_readfirstlane_b32 s4, v3
	v_readfirstlane_b32 s5, v2
	s_delay_alu instid0(VALU_DEP_2) | instskip(NEXT) | instid1(VALU_DEP_1)
	s_mul_i32 s8, s6, s4
	s_mul_hi_u32 s10, s6, s5
	s_mul_i32 s9, s7, s5
	s_add_i32 s8, s10, s8
	s_mul_i32 s11, s6, s5
	s_add_i32 s8, s8, s9
	s_mul_hi_u32 s10, s5, s11
	s_mul_hi_u32 s12, s4, s11
	s_mul_i32 s9, s4, s11
	s_mul_hi_u32 s11, s5, s8
	s_mul_i32 s5, s5, s8
	s_mul_hi_u32 s13, s4, s8
	s_add_u32 s5, s10, s5
	s_addc_u32 s10, 0, s11
	s_add_u32 s5, s5, s9
	s_mul_i32 s8, s4, s8
	s_addc_u32 s5, s10, s12
	s_addc_u32 s9, s13, 0
	s_add_u32 s5, s5, s8
	s_addc_u32 s8, 0, s9
	v_add_co_u32 v2, s5, v2, s5
	s_delay_alu instid0(VALU_DEP_1) | instskip(SKIP_1) | instid1(VALU_DEP_1)
	s_cmp_lg_u32 s5, 0
	s_addc_u32 s4, s4, s8
	v_readfirstlane_b32 s5, v2
	s_mul_i32 s8, s6, s4
	s_delay_alu instid0(VALU_DEP_1)
	s_mul_hi_u32 s9, s6, s5
	s_mul_i32 s7, s7, s5
	s_add_i32 s8, s9, s8
	s_mul_i32 s6, s6, s5
	s_add_i32 s8, s8, s7
	s_mul_hi_u32 s9, s4, s6
	s_mul_i32 s10, s4, s6
	s_mul_hi_u32 s6, s5, s6
	s_mul_hi_u32 s11, s5, s8
	s_mul_i32 s5, s5, s8
	s_mul_hi_u32 s7, s4, s8
	s_add_u32 s5, s6, s5
	s_addc_u32 s6, 0, s11
	s_add_u32 s5, s5, s10
	s_mul_i32 s8, s4, s8
	s_addc_u32 s5, s6, s9
	s_addc_u32 s6, s7, 0
	s_add_u32 s5, s5, s8
	s_addc_u32 s6, 0, s6
	v_add_co_u32 v2, s5, v2, s5
	s_delay_alu instid0(VALU_DEP_1) | instskip(SKIP_2) | instid1(VALU_DEP_1)
	s_cmp_lg_u32 s5, 0
	s_addc_u32 s8, s4, s6
	s_ashr_i32 s6, s25, 31
	v_readfirstlane_b32 s9, v2
	s_add_u32 s4, s24, s6
	s_mov_b32 s7, s6
	s_addc_u32 s5, s25, s6
	s_delay_alu instid0(SALU_CYCLE_1) | instskip(NEXT) | instid1(SALU_CYCLE_1)
	s_xor_b64 s[4:5], s[4:5], s[6:7]
	s_mul_i32 s10, s4, s8
	s_mul_hi_u32 s11, s4, s9
	s_mul_hi_u32 s7, s4, s8
	;; [unrolled: 1-line block ×3, first 2 shown]
	s_mul_i32 s9, s5, s9
	s_add_u32 s10, s11, s10
	s_addc_u32 s7, 0, s7
	s_mul_hi_u32 s12, s5, s8
	s_add_u32 s9, s10, s9
	s_mul_i32 s8, s5, s8
	s_addc_u32 s7, s7, s13
	s_addc_u32 s9, s12, 0
	s_add_u32 s7, s7, s8
	s_addc_u32 s8, 0, s9
	s_mul_hi_u32 s9, s54, s7
	s_mul_i32 s7, s54, s7
	s_mul_i32 s8, s54, s8
	v_sub_co_u32 v2, s4, s4, s7
	s_add_i32 s9, s9, s8
	s_cmp_lg_u32 s4, 0
	s_delay_alu instid0(VALU_DEP_1) | instskip(SKIP_2) | instid1(VALU_DEP_1)
	v_sub_co_u32 v3, s4, v2, s54
	s_subb_u32 s5, s5, s9
	s_cmp_lg_u32 s4, 0
	v_cmp_le_u32_e32 vcc_lo, s54, v3
	v_sub_co_u32 v4, s4, v3, s54
	s_subb_u32 s7, s5, 0
	s_cmp_lg_u32 s4, 0
	v_cndmask_b32_e64 v5, 0, -1, vcc_lo
	s_subb_u32 s4, s7, 0
	s_cmp_eq_u32 s7, 0
	v_mov_b32_e32 v7, s4
	s_cselect_b32 vcc_lo, -1, 0
	s_cmp_eq_u32 s5, 0
	v_cndmask_b32_e32 v5, -1, v5, vcc_lo
	v_cmp_le_u32_e32 vcc_lo, s54, v2
	s_cselect_b32 s4, -1, 0
	v_cndmask_b32_e64 v6, 0, -1, vcc_lo
	s_delay_alu instid0(VALU_DEP_3) | instskip(NEXT) | instid1(VALU_DEP_2)
	v_cmp_ne_u32_e32 vcc_lo, 0, v5
	v_cndmask_b32_e64 v5, -1, v6, s4
	v_cndmask_b32_e32 v3, v3, v4, vcc_lo
	v_cndmask_b32_e32 v6, s7, v7, vcc_lo
	s_delay_alu instid0(VALU_DEP_3) | instskip(NEXT) | instid1(VALU_DEP_3)
	v_cmp_ne_u32_e32 vcc_lo, 0, v5
	v_cndmask_b32_e32 v2, v2, v3, vcc_lo
	s_delay_alu instid0(VALU_DEP_3) | instskip(NEXT) | instid1(VALU_DEP_2)
	v_cndmask_b32_e32 v4, s5, v6, vcc_lo
	v_xor_b32_e32 v2, s6, v2
	s_delay_alu instid0(VALU_DEP_2) | instskip(NEXT) | instid1(VALU_DEP_2)
	v_xor_b32_e32 v3, s6, v4
	v_sub_co_u32 v26, vcc_lo, v2, s6
	s_delay_alu instid0(VALU_DEP_2)
	v_subrev_co_ci_u32_e32 v27, vcc_lo, s6, v3, vcc_lo
	s_cbranch_execnz .LBB71_68
.LBB71_67:                              ;   in Loop: Header=BB71_33 Depth=1
	v_cvt_f32_u32_e32 v2, s54
	s_sub_i32 s4, 0, s54
	s_delay_alu instid0(VALU_DEP_1) | instskip(SKIP_2) | instid1(VALU_DEP_1)
	v_rcp_iflag_f32_e32 v2, v2
	s_waitcnt_depctr 0xfff
	v_mul_f32_e32 v2, 0x4f7ffffe, v2
	v_cvt_u32_f32_e32 v2, v2
	s_delay_alu instid0(VALU_DEP_1) | instskip(NEXT) | instid1(VALU_DEP_1)
	v_mul_lo_u32 v3, s4, v2
	v_mul_hi_u32 v3, v2, v3
	s_delay_alu instid0(VALU_DEP_1) | instskip(NEXT) | instid1(VALU_DEP_1)
	v_add_nc_u32_e32 v2, v2, v3
	v_mul_hi_u32 v2, s24, v2
	s_delay_alu instid0(VALU_DEP_1) | instskip(NEXT) | instid1(VALU_DEP_1)
	v_mul_lo_u32 v2, v2, s54
	v_sub_nc_u32_e32 v2, s24, v2
	s_delay_alu instid0(VALU_DEP_1) | instskip(SKIP_1) | instid1(VALU_DEP_2)
	v_subrev_nc_u32_e32 v3, s54, v2
	v_cmp_le_u32_e32 vcc_lo, s54, v2
	v_cndmask_b32_e32 v2, v2, v3, vcc_lo
	s_delay_alu instid0(VALU_DEP_1) | instskip(SKIP_1) | instid1(VALU_DEP_2)
	v_subrev_nc_u32_e32 v3, s54, v2
	v_cmp_le_u32_e32 vcc_lo, s54, v2
	v_cndmask_b32_e32 v12, v2, v3, vcc_lo
	s_delay_alu instid0(VALU_DEP_1)
	v_dual_mov_b32 v27, v13 :: v_dual_mov_b32 v26, v12
.LBB71_68:                              ;   in Loop: Header=BB71_33 Depth=1
	v_mov_b32_e32 v2, 0
	v_mov_b32_e32 v3, 0
	s_delay_alu instid0(VALU_DEP_3) | instskip(NEXT) | instid1(VALU_DEP_4)
	v_sub_co_u32 v28, vcc_lo, s24, v26
	v_sub_co_ci_u32_e32 v29, vcc_lo, s25, v27, vcc_lo
	s_delay_alu instid0(VALU_DEP_3)
	v_dual_mov_b32 v5, v3 :: v_dual_mov_b32 v4, v2
	v_dual_mov_b32 v7, v3 :: v_dual_mov_b32 v6, v2
	;; [unrolled: 1-line block ×3, first 2 shown]
	s_mov_b64 s[66:67], 0
	s_mov_b32 s65, exec_lo
	v_cmpx_gt_i64_e64 v[28:29], v[16:17]
	s_cbranch_execz .LBB71_72
; %bb.69:                               ;   in Loop: Header=BB71_33 Depth=1
	v_dual_mov_b32 v31, v25 :: v_dual_mov_b32 v30, v24
	v_dual_mov_b32 v33, v23 :: v_dual_mov_b32 v32, v22
	;; [unrolled: 1-line block ×5, first 2 shown]
	s_mul_i32 s4, s63, s48
	s_mul_hi_u32 s5, s62, s48
	s_and_b32 s99, s91, 0xfe
	s_add_i32 s100, s5, s4
	s_mul_i32 s101, s62, s48
	s_mov_b32 s102, 0
	s_mov_b64 s[68:69], 0
	s_mov_b64 s[70:71], 0
	;; [unrolled: 1-line block ×3, first 2 shown]
.LBB71_70:                              ;   Parent Loop BB71_33 Depth=1
                                        ; =>  This Inner Loop Header: Depth=2
	v_add_co_u32 v2, vcc_lo, v30, s52
	v_add_co_ci_u32_e32 v3, vcc_lo, s53, v31, vcc_lo
	v_add_co_u32 v4, vcc_lo, v32, s52
	v_add_co_ci_u32_e32 v5, vcc_lo, s53, v33, vcc_lo
	;; [unrolled: 2-line block ×4, first 2 shown]
	global_load_u16 v2, v[2:3], off
	global_load_u16 v3, v[4:5], off
	global_load_u16 v4, v[6:7], off
	global_load_u16 v5, v[8:9], off
	v_add_co_u32 v38, vcc_lo, v38, s54
	v_add_co_ci_u32_e32 v39, vcc_lo, 0, v39, vcc_lo
	v_add_co_u32 v36, vcc_lo, v36, s101
	v_add_co_ci_u32_e32 v37, vcc_lo, s100, v37, vcc_lo
	v_add_co_u32 v34, vcc_lo, v34, s101
	v_add_co_ci_u32_e32 v35, vcc_lo, s100, v35, vcc_lo
	v_add_co_u32 v32, vcc_lo, v32, s101
	v_add_co_ci_u32_e32 v33, vcc_lo, s100, v33, vcc_lo
	v_add_co_u32 v30, vcc_lo, v30, s101
	v_add_co_ci_u32_e32 v31, vcc_lo, s100, v31, vcc_lo
	v_cmp_ge_i64_e32 vcc_lo, v[38:39], v[28:29]
	s_waitcnt vmcnt(3)
	v_cmp_lt_i16_e64 s4, -1, v2
	v_and_b32_e32 v6, 0xffff, v2
	v_lshlrev_b32_e32 v2, 16, v2
	s_waitcnt vmcnt(2)
	v_and_b32_e32 v8, 0xffff, v3
	s_waitcnt vmcnt(1)
	v_and_b32_e32 v12, 0xffff, v4
	v_cndmask_b32_e64 v7, 0xffff, v49, s4
	v_cmp_lt_i16_e64 s4, -1, v3
	v_lshlrev_b32_e32 v3, 16, v3
	v_cmp_o_f32_e64 s7, v2, v2
	s_waitcnt vmcnt(0)
	v_and_b32_e32 v53, 0xffff, v5
	v_xor_b32_e32 v6, v7, v6
	v_cndmask_b32_e64 v9, 0xffff, v49, s4
	v_cmp_lt_i16_e64 s4, -1, v4
	v_lshlrev_b32_e32 v4, 16, v4
	s_delay_alu instid0(VALU_DEP_4) | instskip(NEXT) | instid1(VALU_DEP_4)
	v_cndmask_b32_e64 v2, 0xffff, v6, s7
	v_xor_b32_e32 v7, v9, v8
	s_delay_alu instid0(VALU_DEP_4)
	v_cndmask_b32_e64 v52, 0xffff, v49, s4
	v_cmp_lt_i16_e64 s4, -1, v5
	v_lshlrev_b32_e32 v5, 16, v5
	v_cmp_o_f32_e64 s5, v4, v4
	v_and_b32_e32 v6, s97, v2
	v_bfe_u32 v2, v2, s99, 2
	v_cndmask_b32_e64 v54, 0xffff, v49, s4
	v_cmp_o_f32_e64 s4, v3, v3
	v_xor_b32_e32 v3, v52, v12
	v_cmp_o_f32_e64 s6, v5, v5
	v_cmp_eq_u32_e64 s8, 0, v2
	v_xor_b32_e32 v4, v54, v53
	v_cndmask_b32_e64 v5, 0xffff, v7, s4
	v_cndmask_b32_e64 v3, 0xffff, v3, s5
	v_cmp_eq_u32_e64 s4, s98, v6
	v_cmp_eq_u32_e64 s12, 1, v2
	v_cndmask_b32_e64 v4, 0xffff, v4, s6
	v_and_b32_e32 v7, s97, v5
	v_bfe_u32 v5, v5, s99, 2
	v_and_b32_e32 v8, s97, v3
	v_bfe_u32 v3, v3, s99, 2
	;; [unrolled: 2-line block ×3, first 2 shown]
	v_cmp_eq_u32_e64 s5, s98, v7
	v_cmp_eq_u32_e64 s9, 0, v5
	;; [unrolled: 1-line block ×4, first 2 shown]
	s_and_b32 s8, s4, s8
	v_cmp_eq_u32_e64 s7, s98, v9
	v_cmp_eq_u32_e64 s11, 0, v4
	;; [unrolled: 1-line block ×4, first 2 shown]
	v_cndmask_b32_e64 v2, 0, 1, s8
	s_and_b32 s8, s5, s9
	v_cmp_eq_u32_e64 s14, 1, v3
	v_cmp_eq_u32_e64 s18, 2, v3
	v_cmp_eq_u32_e64 s22, 3, v3
	v_cndmask_b32_e64 v3, 0, 1, s8
	s_and_b32 s8, s6, s10
	v_cmp_eq_u32_e64 s15, 1, v4
	v_cmp_eq_u32_e64 s19, 2, v4
	v_cmp_eq_u32_e64 s23, 3, v4
	;; [unrolled: 5-line block ×3, first 2 shown]
	v_cndmask_b32_e64 v5, 0, 1, s8
	v_cmp_ne_u32_e64 s8, 0, v2
	v_cmp_ne_u32_e64 s9, 0, v3
	v_cmp_ne_u32_e64 s10, 0, v4
	s_delay_alu instid0(VALU_DEP_4) | instskip(NEXT) | instid1(VALU_DEP_4)
	v_cmp_ne_u32_e64 s11, 0, v5
	s_bcnt1_i32_b32 s8, s8
	s_delay_alu instid0(VALU_DEP_3) | instskip(NEXT) | instid1(VALU_DEP_2)
	s_bcnt1_i32_b32 s9, s9
	s_bcnt1_i32_b32 s10, s10
	s_add_i32 s8, s9, s8
	s_bcnt1_i32_b32 s11, s11
	s_add_i32 s8, s8, s10
	s_delay_alu instid0(SALU_CYCLE_1) | instskip(NEXT) | instid1(SALU_CYCLE_1)
	s_add_i32 s8, s8, s11
	s_add_u32 s72, s72, s8
	s_addc_u32 s73, s73, 0
	s_and_b32 s8, s4, s12
	s_delay_alu instid0(SALU_CYCLE_1) | instskip(SKIP_1) | instid1(SALU_CYCLE_1)
	v_cndmask_b32_e64 v2, 0, 1, s8
	s_and_b32 s8, s5, s13
	v_cndmask_b32_e64 v3, 0, 1, s8
	s_and_b32 s8, s6, s14
	s_delay_alu instid0(SALU_CYCLE_1) | instskip(SKIP_1) | instid1(VALU_DEP_2)
	v_cndmask_b32_e64 v4, 0, 1, s8
	s_and_b32 s8, s7, s15
	v_cmp_ne_u32_e64 s9, 0, v3
	v_cndmask_b32_e64 v5, 0, 1, s8
	v_cmp_ne_u32_e64 s8, 0, v2
	v_cmp_ne_u32_e64 s10, 0, v4
	s_delay_alu instid0(VALU_DEP_4) | instskip(NEXT) | instid1(VALU_DEP_3)
	s_bcnt1_i32_b32 s9, s9
	v_cmp_ne_u32_e64 s11, 0, v5
	s_delay_alu instid0(VALU_DEP_3) | instskip(NEXT) | instid1(VALU_DEP_2)
	s_bcnt1_i32_b32 s8, s8
	s_bcnt1_i32_b32 s10, s10
	s_add_i32 s8, s9, s8
	s_delay_alu instid0(VALU_DEP_1) | instskip(SKIP_1) | instid1(SALU_CYCLE_1)
	s_bcnt1_i32_b32 s11, s11
	s_add_i32 s8, s8, s10
	s_add_i32 s8, s8, s11
	s_delay_alu instid0(SALU_CYCLE_1) | instskip(SKIP_2) | instid1(SALU_CYCLE_1)
	s_add_u32 s70, s70, s8
	s_addc_u32 s71, s71, 0
	s_and_b32 s8, s4, s16
	v_cndmask_b32_e64 v2, 0, 1, s8
	s_and_b32 s8, s5, s17
	s_delay_alu instid0(SALU_CYCLE_1) | instskip(SKIP_1) | instid1(SALU_CYCLE_1)
	v_cndmask_b32_e64 v3, 0, 1, s8
	s_and_b32 s8, s6, s18
	v_cndmask_b32_e64 v4, 0, 1, s8
	s_and_b32 s8, s7, s19
	s_delay_alu instid0(VALU_DEP_2) | instskip(SKIP_3) | instid1(VALU_DEP_4)
	v_cmp_ne_u32_e64 s9, 0, v3
	v_cndmask_b32_e64 v5, 0, 1, s8
	v_cmp_ne_u32_e64 s8, 0, v2
	v_cmp_ne_u32_e64 s10, 0, v4
	s_bcnt1_i32_b32 s9, s9
	s_delay_alu instid0(VALU_DEP_3) | instskip(NEXT) | instid1(VALU_DEP_3)
	v_cmp_ne_u32_e64 s11, 0, v5
	s_bcnt1_i32_b32 s8, s8
	s_delay_alu instid0(VALU_DEP_2) | instskip(SKIP_1) | instid1(VALU_DEP_1)
	s_bcnt1_i32_b32 s10, s10
	s_add_i32 s8, s9, s8
	s_bcnt1_i32_b32 s11, s11
	s_add_i32 s8, s8, s10
	s_delay_alu instid0(SALU_CYCLE_1) | instskip(NEXT) | instid1(SALU_CYCLE_1)
	s_add_i32 s8, s8, s11
	s_add_u32 s68, s68, s8
	s_addc_u32 s69, s69, 0
	s_and_b32 s4, s4, s20
	v_mov_b32_e32 v6, s68
	v_cndmask_b32_e64 v2, 0, 1, s4
	s_and_b32 s4, s5, s21
	v_mov_b32_e32 v7, s69
	v_cndmask_b32_e64 v3, 0, 1, s4
	s_and_b32 s4, s6, s22
	s_delay_alu instid0(SALU_CYCLE_1) | instskip(SKIP_1) | instid1(VALU_DEP_2)
	v_cndmask_b32_e64 v4, 0, 1, s4
	s_and_b32 s4, s7, s23
	v_cmp_ne_u32_e64 s5, 0, v3
	v_cndmask_b32_e64 v5, 0, 1, s4
	v_cmp_ne_u32_e64 s4, 0, v2
	v_cmp_ne_u32_e64 s6, 0, v4
	v_mov_b32_e32 v2, s72
	s_bcnt1_i32_b32 s5, s5
	v_cmp_ne_u32_e64 s7, 0, v5
	s_bcnt1_i32_b32 s4, s4
	s_bcnt1_i32_b32 s6, s6
	s_add_i32 s4, s5, s4
	v_mov_b32_e32 v4, s70
	s_bcnt1_i32_b32 s5, s7
	s_add_i32 s4, s4, s6
	v_mov_b32_e32 v3, s73
	s_add_i32 s4, s4, s5
	v_mov_b32_e32 v5, s71
	s_add_u32 s66, s66, s4
	s_addc_u32 s67, s67, 0
	s_delay_alu instid0(SALU_CYCLE_1) | instskip(SKIP_1) | instid1(SALU_CYCLE_1)
	v_dual_mov_b32 v8, s66 :: v_dual_mov_b32 v9, s67
	s_or_b32 s102, vcc_lo, s102
	s_and_not1_b32 exec_lo, exec_lo, s102
	s_cbranch_execnz .LBB71_70
; %bb.71:                               ;   in Loop: Header=BB71_33 Depth=1
	s_or_b32 exec_lo, exec_lo, s102
.LBB71_72:                              ;   in Loop: Header=BB71_33 Depth=1
	s_delay_alu instid0(SALU_CYCLE_1) | instskip(SKIP_3) | instid1(VALU_DEP_2)
	s_or_b32 exec_lo, exec_lo, s65
	v_add_co_u32 v28, vcc_lo, v28, v0
	v_add_co_ci_u32_e32 v29, vcc_lo, 0, v29, vcc_lo
	v_mov_b32_e32 v30, 0
	v_cmp_gt_i64_e32 vcc_lo, s[24:25], v[28:29]
	s_and_saveexec_b32 s5, vcc_lo
	s_cbranch_execz .LBB71_74
; %bb.73:                               ;   in Loop: Header=BB71_33 Depth=1
	v_mul_lo_u32 v12, v29, s30
	v_mul_lo_u32 v32, v28, s31
	v_mad_u64_u32 v[30:31], null, v28, s30, 0
	s_delay_alu instid0(VALU_DEP_1) | instskip(NEXT) | instid1(VALU_DEP_1)
	v_add3_u32 v31, v31, v32, v12
	v_lshlrev_b64 v[30:31], 1, v[30:31]
	s_delay_alu instid0(VALU_DEP_1) | instskip(NEXT) | instid1(VALU_DEP_1)
	v_add_co_u32 v30, s4, s74, v30
	v_add_co_ci_u32_e64 v31, s4, s75, v31, s4
	global_load_u16 v30, v[30:31], off
.LBB71_74:                              ;   in Loop: Header=BB71_33 Depth=1
	s_or_b32 exec_lo, exec_lo, s5
	s_and_saveexec_b32 s8, vcc_lo
	s_cbranch_execz .LBB71_81
; %bb.75:                               ;   in Loop: Header=BB71_33 Depth=1
	v_add_co_u32 v12, vcc_lo, v46, s48
	v_add_co_ci_u32_e32 v31, vcc_lo, 0, v47, vcc_lo
	s_mul_i32 s4, s61, s48
	s_delay_alu instid0(VALU_DEP_2) | instskip(NEXT) | instid1(VALU_DEP_2)
	v_sub_co_u32 v12, vcc_lo, v12, v26
	v_sub_co_ci_u32_e32 v26, vcc_lo, v31, v27, vcc_lo
	s_mul_hi_u32 s5, s60, s48
	s_delay_alu instid0(VALU_DEP_2) | instskip(SKIP_1) | instid1(VALU_DEP_2)
	v_mul_lo_u32 v32, s61, v12
	s_and_b32 s9, s91, 0xfe
	v_mul_lo_u32 v31, s60, v26
	v_mad_u64_u32 v[26:27], null, s60, v12, s[58:59]
	s_add_i32 s10, s5, s4
	s_mul_i32 s11, s60, s48
	s_mov_b32 s12, 0
	s_delay_alu instid0(VALU_DEP_1)
	v_add3_u32 v27, v32, v27, v31
	s_branch .LBB71_77
.LBB71_76:                              ;   in Loop: Header=BB71_77 Depth=2
	s_or_b32 exec_lo, exec_lo, s5
	s_waitcnt vmcnt(0)
	v_cmp_lt_i16_e64 s4, -1, v30
	v_and_b32_e32 v31, 0xffff, v30
	v_lshlrev_b32_e32 v30, 16, v30
	s_and_b32 s6, exec_lo, vcc_lo
	s_delay_alu instid0(SALU_CYCLE_1) | instskip(SKIP_1) | instid1(VALU_DEP_2)
	s_or_b32 s12, s6, s12
	v_cndmask_b32_e64 v32, 0xffff, v49, s4
	v_cmp_o_f32_e64 s4, v30, v30
	s_delay_alu instid0(VALU_DEP_2) | instskip(NEXT) | instid1(VALU_DEP_1)
	v_xor_b32_e32 v31, v32, v31
	v_cndmask_b32_e64 v30, 0xffff, v31, s4
	s_delay_alu instid0(VALU_DEP_1) | instskip(SKIP_1) | instid1(VALU_DEP_2)
	v_and_b32_e32 v31, s97, v30
	v_bfe_u32 v30, v30, s9, 2
	v_cmp_eq_u32_e64 s4, s98, v31
	s_delay_alu instid0(VALU_DEP_2) | instskip(SKIP_2) | instid1(VALU_DEP_3)
	v_cmp_eq_u32_e64 s5, 0, v30
	v_cmp_eq_u32_e32 vcc_lo, 1, v30
	v_cmp_eq_u32_e64 s6, 2, v30
	s_and_b32 s5, s4, s5
	s_delay_alu instid0(SALU_CYCLE_1) | instskip(SKIP_4) | instid1(SALU_CYCLE_1)
	v_cndmask_b32_e64 v31, 0, 1, s5
	s_and_b32 s5, s4, vcc_lo
	v_cmp_eq_u32_e32 vcc_lo, 3, v30
	v_cndmask_b32_e64 v32, 0, 1, s5
	s_and_b32 s5, s4, s6
	v_cndmask_b32_e64 v33, 0, 1, s5
	v_cmp_ne_u32_e64 s5, 0, v31
	s_delay_alu instid0(VALU_DEP_3) | instskip(SKIP_1) | instid1(SALU_CYCLE_1)
	v_cmp_ne_u32_e64 s6, 0, v32
	s_and_b32 s4, s4, vcc_lo
	v_cndmask_b32_e64 v30, 0, 1, s4
	s_delay_alu instid0(VALU_DEP_3)
	s_bcnt1_i32_b32 s4, s5
	v_cmp_ne_u32_e64 s7, 0, v33
	v_add_co_u32 v2, vcc_lo, v2, s4
	s_bcnt1_i32_b32 s5, s6
	v_add_co_ci_u32_e32 v3, vcc_lo, 0, v3, vcc_lo
	v_add_co_u32 v4, vcc_lo, v4, s5
	v_add_co_ci_u32_e32 v5, vcc_lo, 0, v5, vcc_lo
	s_bcnt1_i32_b32 s6, s7
	v_cmp_ne_u32_e32 vcc_lo, 0, v30
	v_mov_b32_e32 v30, v12
	v_add_co_u32 v6, s4, v6, s6
	s_delay_alu instid0(VALU_DEP_1) | instskip(SKIP_1) | instid1(SALU_CYCLE_1)
	v_add_co_ci_u32_e64 v7, s4, 0, v7, s4
	s_bcnt1_i32_b32 s4, vcc_lo
	v_add_co_u32 v8, vcc_lo, v8, s4
	v_add_co_ci_u32_e32 v9, vcc_lo, 0, v9, vcc_lo
	v_add_co_u32 v26, vcc_lo, v26, s11
	v_add_co_ci_u32_e32 v27, vcc_lo, s10, v27, vcc_lo
	s_and_not1_b32 exec_lo, exec_lo, s12
	s_cbranch_execz .LBB71_80
.LBB71_77:                              ;   Parent Loop BB71_33 Depth=1
                                        ; =>  This Inner Loop Header: Depth=2
	v_add_co_u32 v28, vcc_lo, v28, s48
	v_add_co_ci_u32_e32 v29, vcc_lo, 0, v29, vcc_lo
	v_mov_b32_e32 v12, 0
	s_mov_b32 s5, exec_lo
	s_delay_alu instid0(VALU_DEP_2)
	v_cmp_le_i64_e32 vcc_lo, s[24:25], v[28:29]
	v_cmpx_gt_i64_e64 s[24:25], v[28:29]
	s_cbranch_execz .LBB71_76
; %bb.78:                               ;   in Loop: Header=BB71_77 Depth=2
	global_load_u16 v12, v[26:27], off
	s_branch .LBB71_76
.LBB71_79:                              ;   in Loop: Header=BB71_33 Depth=1
                                        ; implicit-def: $vgpr8_vgpr9
                                        ; implicit-def: $vgpr4_vgpr5
	s_cbranch_execnz .LBB71_82
	s_branch .LBB71_91
.LBB71_80:                              ;   in Loop: Header=BB71_33 Depth=1
	s_or_b32 exec_lo, exec_lo, s12
.LBB71_81:                              ;   in Loop: Header=BB71_33 Depth=1
	s_delay_alu instid0(SALU_CYCLE_1)
	s_or_b32 exec_lo, exec_lo, s8
	s_branch .LBB71_91
.LBB71_82:                              ;   in Loop: Header=BB71_33 Depth=1
	global_load_u16 v8, v13, s[56:57]
	s_mov_b64 s[66:67], 0
	s_mov_b32 s65, exec_lo
	s_waitcnt vmcnt(0)
	v_readfirstlane_b32 s4, v8
	v_and_b32_e32 v28, 0xffff, v8
	s_delay_alu instid0(VALU_DEP_2) | instskip(NEXT) | instid1(SALU_CYCLE_1)
	s_and_b32 s4, 0xffff, s4
	s_lshl_b32 s54, s4, 2
	s_delay_alu instid0(SALU_CYCLE_1) | instskip(SKIP_1) | instid1(VALU_DEP_1)
	v_cvt_f32_u32_e32 v2, s54
	s_sub_i32 s5, 0, s54
	v_rcp_iflag_f32_e32 v2, v2
	s_waitcnt_depctr 0xfff
	v_mul_f32_e32 v2, 0x4f7ffffe, v2
	s_delay_alu instid0(VALU_DEP_1) | instskip(NEXT) | instid1(VALU_DEP_1)
	v_cvt_u32_f32_e32 v2, v2
	v_readfirstlane_b32 s4, v2
	v_mov_b32_e32 v2, 0
	v_mov_b32_e32 v3, 0
	s_delay_alu instid0(VALU_DEP_3) | instskip(NEXT) | instid1(VALU_DEP_1)
	s_mul_i32 s5, s5, s4
	v_dual_mov_b32 v5, v3 :: v_dual_mov_b32 v4, v2
	s_mul_hi_u32 s5, s4, s5
	v_dual_mov_b32 v7, v3 :: v_dual_mov_b32 v6, v2
	s_add_i32 s4, s4, s5
	v_dual_mov_b32 v9, v3 :: v_dual_mov_b32 v8, v2
	s_mul_hi_u32 s4, s64, s4
	s_delay_alu instid0(SALU_CYCLE_1) | instskip(NEXT) | instid1(SALU_CYCLE_1)
	s_mul_i32 s4, s4, s54
	s_sub_i32 s4, s64, s4
	s_delay_alu instid0(SALU_CYCLE_1) | instskip(SKIP_2) | instid1(SALU_CYCLE_1)
	s_sub_i32 s5, s4, s54
	s_cmp_ge_u32 s4, s54
	s_cselect_b32 s4, s5, s4
	s_sub_i32 s5, s4, s54
	s_cmp_ge_u32 s4, s54
	s_cselect_b32 s4, s5, s4
	s_delay_alu instid0(SALU_CYCLE_1) | instskip(NEXT) | instid1(SALU_CYCLE_1)
	s_sub_i32 s48, s64, s4
	v_cmpx_gt_u32_e64 s48, v16
	s_cbranch_execz .LBB71_86
; %bb.83:                               ;   in Loop: Header=BB71_33 Depth=1
	v_dual_mov_b32 v29, v44 :: v_dual_lshlrev_b32 v12, 3, v28
	v_dual_mov_b32 v27, v17 :: v_dual_mov_b32 v26, v16
	s_and_b32 s99, s91, 0xfe
	s_mov_b32 s100, 0
	s_mov_b64 s[68:69], 0
	s_mov_b64 s[70:71], 0
	s_mov_b64 s[72:73], 0
.LBB71_84:                              ;   Parent Loop BB71_33 Depth=1
                                        ; =>  This Inner Loop Header: Depth=2
	ds_load_b64 v[2:3], v29
	v_add_co_u32 v26, vcc_lo, v26, s54
	v_add_co_ci_u32_e32 v27, vcc_lo, 0, v27, vcc_lo
	s_delay_alu instid0(VALU_DEP_1)
	v_cmp_le_u64_e32 vcc_lo, s[48:49], v[26:27]
	s_waitcnt lgkmcnt(0)
	v_cmp_lt_i16_e64 s4, -1, v2
	v_lshrrev_b32_e32 v4, 16, v2
	v_lshrrev_b32_e32 v5, 16, v3
	v_and_b32_e32 v6, 0xffff, v2
	v_lshlrev_b32_e32 v8, 16, v2
	v_cndmask_b32_e64 v7, 0xffff, v49, s4
	v_cmp_lt_i16_e64 s4, -1, v3
	v_and_b32_e32 v9, 0xffff, v3
	v_cmp_lt_i16_e64 s5, -1, v5
	v_lshlrev_b32_e32 v31, 16, v3
	v_and_b32_e32 v2, 0xffff0000, v2
	v_cndmask_b32_e64 v30, 0xffff, v49, s4
	v_cmp_lt_i16_e64 s4, -1, v4
	v_xor_b32_e32 v6, v7, v6
	v_and_b32_e32 v3, 0xffff0000, v3
	s_delay_alu instid0(VALU_DEP_4) | instskip(NEXT) | instid1(VALU_DEP_4)
	v_xor_b32_e32 v9, v30, v9
	v_cndmask_b32_e64 v7, 0xffff, v49, s4
	v_cndmask_b32_e64 v30, 0xffff, v49, s5
	v_cmp_o_f32_e64 s5, v8, v8
	v_cmp_o_f32_e64 s4, v31, v31
	s_delay_alu instid0(VALU_DEP_4) | instskip(NEXT) | instid1(VALU_DEP_4)
	v_xor_b32_e32 v4, v7, v4
	v_xor_b32_e32 v5, v30, v5
	s_delay_alu instid0(VALU_DEP_4) | instskip(SKIP_3) | instid1(VALU_DEP_4)
	v_cndmask_b32_e64 v6, 0xffff, v6, s5
	v_cmp_o_f32_e64 s5, v2, v2
	v_cndmask_b32_e64 v7, 0xffff, v9, s4
	v_cmp_o_f32_e64 s4, v3, v3
	v_and_b32_e32 v3, s97, v6
	s_delay_alu instid0(VALU_DEP_4) | instskip(SKIP_1) | instid1(VALU_DEP_4)
	v_cndmask_b32_e64 v2, 0xffff, v4, s5
	v_bfe_u32 v6, v6, s99, 2
	v_cndmask_b32_e64 v4, 0xffff, v5, s4
	v_and_b32_e32 v5, s97, v7
	v_bfe_u32 v7, v7, s99, 2
	v_cmp_eq_u32_e64 s4, s98, v3
	v_and_b32_e32 v3, s97, v2
	v_bfe_u32 v2, v2, s99, 2
	v_cmp_eq_u32_e64 s6, 0, v6
	v_cmp_eq_u32_e64 s5, s98, v5
	v_and_b32_e32 v5, s97, v4
	v_bfe_u32 v4, v4, s99, 2
	v_cmp_eq_u32_e64 s7, 0, v7
	v_cmp_eq_u32_e64 s14, s98, v3
	v_cmp_eq_u32_e64 s16, 0, v2
	s_and_b32 s6, s4, s6
	v_cmp_eq_u32_e64 s15, s98, v5
	v_cmp_eq_u32_e64 s17, 0, v4
	v_cndmask_b32_e64 v3, 0, 1, s6
	s_and_b32 s6, s5, s7
	s_and_b32 s16, s14, s16
	v_cndmask_b32_e64 v5, 0, 1, s6
	v_cmp_eq_u32_e64 s6, 1, v2
	v_cmp_eq_u32_e64 s18, 2, v2
	;; [unrolled: 1-line block ×3, first 2 shown]
	v_cndmask_b32_e64 v2, 0, 1, s16
	s_and_b32 s16, s15, s17
	v_cmp_eq_u32_e64 s7, 1, v4
	v_cmp_eq_u32_e64 s19, 2, v4
	;; [unrolled: 1-line block ×3, first 2 shown]
	v_cndmask_b32_e64 v4, 0, 1, s16
	v_cmp_ne_u32_e64 s16, 0, v3
	v_cmp_ne_u32_e64 s22, 0, v2
	;; [unrolled: 1-line block ×3, first 2 shown]
	v_cmp_eq_u32_e64 s8, 1, v6
	v_cmp_ne_u32_e64 s23, 0, v4
	s_bcnt1_i32_b32 s16, s16
	s_bcnt1_i32_b32 s22, s22
	;; [unrolled: 1-line block ×3, first 2 shown]
	s_add_i32 s16, s22, s16
	s_bcnt1_i32_b32 s23, s23
	s_add_i32 s16, s16, s17
	v_cmp_eq_u32_e64 s9, 1, v7
	s_add_i32 s16, s16, s23
	v_cmp_eq_u32_e64 s10, 2, v6
	s_add_u32 s72, s72, s16
	s_addc_u32 s73, s73, 0
	s_and_b32 s8, s4, s8
	s_and_b32 s6, s14, s6
	v_cndmask_b32_e64 v2, 0, 1, s8
	v_cndmask_b32_e64 v3, 0, 1, s6
	s_and_b32 s6, s5, s9
	v_cmp_eq_u32_e64 s11, 2, v7
	v_cndmask_b32_e64 v4, 0, 1, s6
	s_and_b32 s6, s15, s7
	v_cmp_ne_u32_e64 s7, 0, v3
	v_cndmask_b32_e64 v5, 0, 1, s6
	v_cmp_ne_u32_e64 s6, 0, v2
	v_cmp_ne_u32_e64 s8, 0, v4
	v_cmp_eq_u32_e64 s12, 3, v6
	s_bcnt1_i32_b32 s7, s7
	v_cmp_ne_u32_e64 s9, 0, v5
	s_bcnt1_i32_b32 s6, s6
	s_bcnt1_i32_b32 s8, s8
	s_add_i32 s6, s7, s6
	v_cmp_eq_u32_e64 s13, 3, v7
	s_bcnt1_i32_b32 s9, s9
	s_add_i32 s6, s6, s8
	v_add_nc_u32_e32 v29, v29, v12
	s_add_i32 s6, s6, s9
	s_delay_alu instid0(SALU_CYCLE_1) | instskip(SKIP_2) | instid1(SALU_CYCLE_1)
	s_add_u32 s70, s70, s6
	s_addc_u32 s71, s71, 0
	s_and_b32 s6, s4, s10
	v_cndmask_b32_e64 v2, 0, 1, s6
	s_and_b32 s6, s14, s18
	s_delay_alu instid0(SALU_CYCLE_1) | instskip(SKIP_1) | instid1(SALU_CYCLE_1)
	v_cndmask_b32_e64 v3, 0, 1, s6
	s_and_b32 s6, s5, s11
	v_cndmask_b32_e64 v4, 0, 1, s6
	s_and_b32 s6, s15, s19
	s_delay_alu instid0(VALU_DEP_2) | instskip(SKIP_3) | instid1(VALU_DEP_4)
	v_cmp_ne_u32_e64 s7, 0, v3
	v_cndmask_b32_e64 v5, 0, 1, s6
	v_cmp_ne_u32_e64 s6, 0, v2
	v_cmp_ne_u32_e64 s8, 0, v4
	s_bcnt1_i32_b32 s7, s7
	s_delay_alu instid0(VALU_DEP_3) | instskip(NEXT) | instid1(VALU_DEP_3)
	v_cmp_ne_u32_e64 s9, 0, v5
	s_bcnt1_i32_b32 s6, s6
	s_delay_alu instid0(VALU_DEP_2) | instskip(SKIP_1) | instid1(VALU_DEP_1)
	s_bcnt1_i32_b32 s8, s8
	s_add_i32 s6, s7, s6
	s_bcnt1_i32_b32 s9, s9
	s_add_i32 s6, s6, s8
	s_delay_alu instid0(SALU_CYCLE_1) | instskip(NEXT) | instid1(SALU_CYCLE_1)
	s_add_i32 s6, s6, s9
	s_add_u32 s68, s68, s6
	s_addc_u32 s69, s69, 0
	s_and_b32 s4, s4, s12
	v_mov_b32_e32 v6, s68
	v_cndmask_b32_e64 v2, 0, 1, s4
	s_and_b32 s4, s14, s20
	v_mov_b32_e32 v7, s69
	v_cndmask_b32_e64 v3, 0, 1, s4
	s_and_b32 s4, s5, s13
	s_delay_alu instid0(SALU_CYCLE_1) | instskip(SKIP_1) | instid1(VALU_DEP_2)
	v_cndmask_b32_e64 v4, 0, 1, s4
	s_and_b32 s4, s15, s21
	v_cmp_ne_u32_e64 s5, 0, v3
	v_cndmask_b32_e64 v5, 0, 1, s4
	v_cmp_ne_u32_e64 s4, 0, v2
	v_mov_b32_e32 v2, s72
	v_cmp_ne_u32_e64 s6, 0, v4
	s_bcnt1_i32_b32 s5, s5
	v_cmp_ne_u32_e64 s7, 0, v5
	s_bcnt1_i32_b32 s4, s4
	v_mov_b32_e32 v4, s70
	s_bcnt1_i32_b32 s6, s6
	s_add_i32 s4, s5, s4
	s_bcnt1_i32_b32 s5, s7
	s_add_i32 s4, s4, s6
	v_mov_b32_e32 v3, s73
	s_add_i32 s4, s4, s5
	v_mov_b32_e32 v5, s71
	s_add_u32 s66, s66, s4
	s_addc_u32 s67, s67, 0
	s_delay_alu instid0(SALU_CYCLE_1) | instskip(SKIP_1) | instid1(SALU_CYCLE_1)
	v_dual_mov_b32 v8, s66 :: v_dual_mov_b32 v9, s67
	s_or_b32 s100, vcc_lo, s100
	s_and_not1_b32 exec_lo, exec_lo, s100
	s_cbranch_execnz .LBB71_84
; %bb.85:                               ;   in Loop: Header=BB71_33 Depth=1
	s_or_b32 exec_lo, exec_lo, s100
.LBB71_86:                              ;   in Loop: Header=BB71_33 Depth=1
	s_delay_alu instid0(SALU_CYCLE_1) | instskip(SKIP_2) | instid1(VALU_DEP_1)
	s_or_b32 exec_lo, exec_lo, s65
	v_add_nc_u32_e32 v12, s48, v0
	s_mov_b32 s9, exec_lo
	v_cmpx_gt_u32_e64 s64, v12
	s_cbranch_execz .LBB71_90
; %bb.87:                               ;   in Loop: Header=BB71_33 Depth=1
	v_dual_mov_b32 v27, v13 :: v_dual_lshlrev_b32 v30, 1, v28
	v_dual_mov_b32 v26, v12 :: v_dual_lshlrev_b32 v29, 1, v12
	s_mov_b32 s11, 0
	s_and_b32 s10, s64, 0x7fffffff
	s_and_b32 s13, s91, 0xfe
	s_mov_b32 s12, s11
.LBB71_88:                              ;   Parent Loop BB71_33 Depth=1
                                        ; =>  This Inner Loop Header: Depth=2
	ds_load_u16 v12, v29
	v_add_co_u32 v26, vcc_lo, v26, v28
	v_add_co_ci_u32_e32 v27, vcc_lo, 0, v27, vcc_lo
	v_add_nc_u32_e32 v29, v29, v30
	s_delay_alu instid0(VALU_DEP_2) | instskip(SKIP_4) | instid1(VALU_DEP_3)
	v_cmp_le_u64_e32 vcc_lo, s[10:11], v[26:27]
	s_waitcnt lgkmcnt(0)
	v_cmp_lt_i16_e64 s4, -1, v12
	v_and_b32_e32 v31, 0xffff, v12
	v_lshlrev_b32_e32 v12, 16, v12
	v_cndmask_b32_e64 v32, 0xffff, v49, s4
	s_delay_alu instid0(VALU_DEP_2) | instskip(NEXT) | instid1(VALU_DEP_2)
	v_cmp_o_f32_e64 s4, v12, v12
	v_xor_b32_e32 v31, v32, v31
	s_delay_alu instid0(VALU_DEP_1) | instskip(NEXT) | instid1(VALU_DEP_1)
	v_cndmask_b32_e64 v12, 0xffff, v31, s4
	v_and_b32_e32 v31, s97, v12
	v_bfe_u32 v12, v12, s13, 2
	s_delay_alu instid0(VALU_DEP_2) | instskip(NEXT) | instid1(VALU_DEP_2)
	v_cmp_eq_u32_e64 s4, s98, v31
	v_cmp_eq_u32_e64 s5, 0, v12
	;; [unrolled: 1-line block ×5, first 2 shown]
	s_delay_alu instid0(VALU_DEP_4) | instskip(NEXT) | instid1(SALU_CYCLE_1)
	s_and_b32 s5, s4, s5
	v_cndmask_b32_e64 v12, 0, 1, s5
	s_and_b32 s5, s4, s6
	s_delay_alu instid0(SALU_CYCLE_1)
	v_cndmask_b32_e64 v31, 0, 1, s5
	s_and_b32 s5, s4, s7
	s_and_b32 s4, s4, s8
	v_cndmask_b32_e64 v32, 0, 1, s5
	v_cndmask_b32_e64 v33, 0, 1, s4
	v_cmp_ne_u32_e64 s4, 0, v12
	v_cmp_ne_u32_e64 s5, 0, v31
	s_delay_alu instid0(VALU_DEP_4) | instskip(NEXT) | instid1(VALU_DEP_4)
	v_cmp_ne_u32_e64 s6, 0, v32
	v_cmp_ne_u32_e64 s7, 0, v33
	s_delay_alu instid0(VALU_DEP_4) | instskip(NEXT) | instid1(VALU_DEP_3)
	s_bcnt1_i32_b32 s4, s4
	s_bcnt1_i32_b32 s5, s5
	v_add_co_u32 v2, s4, v2, s4
	s_delay_alu instid0(VALU_DEP_1)
	v_add_co_ci_u32_e64 v3, s4, 0, v3, s4
	v_add_co_u32 v4, s4, v4, s5
	s_bcnt1_i32_b32 s6, s6
	v_add_co_ci_u32_e64 v5, s4, 0, v5, s4
	v_add_co_u32 v6, s4, v6, s6
	s_bcnt1_i32_b32 s7, s7
	v_add_co_ci_u32_e64 v7, s4, 0, v7, s4
	v_add_co_u32 v8, s4, v8, s7
	s_delay_alu instid0(VALU_DEP_1) | instskip(SKIP_1) | instid1(SALU_CYCLE_1)
	v_add_co_ci_u32_e64 v9, s4, 0, v9, s4
	s_or_b32 s12, vcc_lo, s12
	s_and_not1_b32 exec_lo, exec_lo, s12
	s_cbranch_execnz .LBB71_88
; %bb.89:                               ;   in Loop: Header=BB71_33 Depth=1
	s_or_b32 exec_lo, exec_lo, s12
.LBB71_90:                              ;   in Loop: Header=BB71_33 Depth=1
	s_delay_alu instid0(SALU_CYCLE_1)
	s_or_b32 exec_lo, exec_lo, s9
.LBB71_91:                              ;   in Loop: Header=BB71_33 Depth=1
	s_lshl_b32 s4, s93, 7
	s_and_saveexec_b32 s5, s2
	s_cbranch_execz .LBB71_93
; %bb.92:                               ;   in Loop: Header=BB71_33 Depth=1
	v_or_b32_e32 v12, s4, v43
	s_delay_alu instid0(VALU_DEP_1)
	v_lshlrev_b32_e32 v12, 3, v12
	ds_store_b128 v12, v[2:5] offset:3072
	ds_store_b128 v12, v[6:9] offset:3088
.LBB71_93:                              ;   in Loop: Header=BB71_33 Depth=1
	s_or_b32 exec_lo, exec_lo, s5
	s_waitcnt vmcnt(0) lgkmcnt(0)
	s_barrier
	buffer_gl0_inv
	s_and_saveexec_b32 s5, s76
	s_cbranch_execz .LBB71_104
; %bb.94:                               ;   in Loop: Header=BB71_33 Depth=1
	v_mov_b32_e32 v2, 0
	v_mov_b32_e32 v3, 0
	s_and_not1_b32 vcc_lo, exec_lo, s84
	s_cbranch_vccnz .LBB71_103
; %bb.95:                               ;   in Loop: Header=BB71_33 Depth=1
	v_mov_b32_e32 v2, 0
	v_mov_b32_e32 v3, 0
	s_and_not1_b32 vcc_lo, exec_lo, s82
	s_cbranch_vccnz .LBB71_100
; %bb.96:                               ;   in Loop: Header=BB71_33 Depth=1
	v_lshl_add_u32 v4, s93, 10, v48
	s_mov_b32 s6, 0
	s_set_inst_prefetch_distance 0x1
	.p2align	6
.LBB71_97:                              ;   Parent Loop BB71_33 Depth=1
                                        ; =>  This Inner Loop Header: Depth=2
	ds_load_2addr_b64 v[5:8], v4 offset1:4
	ds_load_2addr_b64 v[26:29], v4 offset0:8 offset1:12
	ds_load_2addr_b64 v[30:33], v4 offset0:16 offset1:20
	s_add_i32 s6, s6, 8
	s_delay_alu instid0(SALU_CYCLE_1) | instskip(SKIP_3) | instid1(VALU_DEP_2)
	s_cmp_eq_u32 s83, s6
	s_waitcnt lgkmcnt(2)
	v_add_co_u32 v2, vcc_lo, v5, v2
	v_add_co_ci_u32_e32 v3, vcc_lo, v6, v3, vcc_lo
	v_add_co_u32 v2, vcc_lo, v7, v2
	s_delay_alu instid0(VALU_DEP_2)
	v_add_co_ci_u32_e32 v3, vcc_lo, v8, v3, vcc_lo
	ds_load_2addr_b64 v[5:8], v4 offset0:24 offset1:28
	s_waitcnt lgkmcnt(2)
	v_add_co_u32 v2, vcc_lo, v26, v2
	v_add_co_ci_u32_e32 v3, vcc_lo, v27, v3, vcc_lo
	v_add_nc_u32_e32 v4, 0x100, v4
	s_delay_alu instid0(VALU_DEP_3) | instskip(NEXT) | instid1(VALU_DEP_3)
	v_add_co_u32 v2, vcc_lo, v28, v2
	v_add_co_ci_u32_e32 v3, vcc_lo, v29, v3, vcc_lo
	s_waitcnt lgkmcnt(1)
	s_delay_alu instid0(VALU_DEP_2) | instskip(NEXT) | instid1(VALU_DEP_2)
	v_add_co_u32 v2, vcc_lo, v30, v2
	v_add_co_ci_u32_e32 v3, vcc_lo, v31, v3, vcc_lo
	s_delay_alu instid0(VALU_DEP_2) | instskip(NEXT) | instid1(VALU_DEP_2)
	v_add_co_u32 v2, vcc_lo, v32, v2
	v_add_co_ci_u32_e32 v3, vcc_lo, v33, v3, vcc_lo
	s_waitcnt lgkmcnt(0)
	s_delay_alu instid0(VALU_DEP_2) | instskip(NEXT) | instid1(VALU_DEP_2)
	v_add_co_u32 v2, vcc_lo, v5, v2
	v_add_co_ci_u32_e32 v3, vcc_lo, v6, v3, vcc_lo
	s_delay_alu instid0(VALU_DEP_2) | instskip(NEXT) | instid1(VALU_DEP_2)
	v_add_co_u32 v2, vcc_lo, v7, v2
	v_add_co_ci_u32_e32 v3, vcc_lo, v8, v3, vcc_lo
	s_cbranch_scc0 .LBB71_97
; %bb.98:                               ;   in Loop: Header=BB71_33 Depth=1
	s_set_inst_prefetch_distance 0x2
	s_mov_b32 s6, s83
	s_and_not1_b32 vcc_lo, exec_lo, s85
	s_cbranch_vccz .LBB71_101
	s_branch .LBB71_103
.LBB71_99:                              ;   in Loop: Header=BB71_33 Depth=1
                                        ; implicit-def: $vgpr26_vgpr27
	s_branch .LBB71_67
.LBB71_100:                             ;   in Loop: Header=BB71_33 Depth=1
	s_mov_b32 s6, 0
	s_and_not1_b32 vcc_lo, exec_lo, s85
	s_cbranch_vccnz .LBB71_103
.LBB71_101:                             ;   in Loop: Header=BB71_33 Depth=1
	s_lshl_b32 s7, s93, 10
	s_lshl_b32 s6, s6, 5
	s_delay_alu instid0(SALU_CYCLE_1)
	v_add3_u32 v4, s7, s6, v48
	s_mov_b32 s6, s81
.LBB71_102:                             ;   Parent Loop BB71_33 Depth=1
                                        ; =>  This Inner Loop Header: Depth=2
	ds_load_b64 v[5:6], v4
	v_add_nc_u32_e32 v4, 32, v4
	s_add_i32 s6, s6, -1
	s_delay_alu instid0(SALU_CYCLE_1)
	s_cmp_lg_u32 s6, 0
	s_waitcnt lgkmcnt(0)
	v_add_co_u32 v2, vcc_lo, v5, v2
	v_add_co_ci_u32_e32 v3, vcc_lo, v6, v3, vcc_lo
	s_cbranch_scc1 .LBB71_102
.LBB71_103:                             ;   in Loop: Header=BB71_33 Depth=1
	v_add_lshl_u32 v4, s4, v40, 3
	ds_store_b64 v4, v[2:3] offset:3072
.LBB71_104:                             ;   in Loop: Header=BB71_33 Depth=1
	s_or_b32 exec_lo, exec_lo, s5
	s_lshl_b32 s4, s4, 3
	s_waitcnt lgkmcnt(0)
	v_mov_b32_e32 v6, s4
	s_barrier
	buffer_gl0_inv
	s_and_b32 s17, s91, 0xfe
	s_mov_b32 s19, -1
	ds_load_b128 v[2:5], v6 offset:3072
	ds_load_b128 v[6:9], v6 offset:3088
	s_lshl_b32 s16, 3, s17
	s_delay_alu instid0(SALU_CYCLE_1)
	s_not_b32 s18, s16
	s_waitcnt lgkmcnt(1)
	v_readfirstlane_b32 s13, v3
	v_readfirstlane_b32 s12, v2
	;; [unrolled: 1-line block ×4, first 2 shown]
	s_waitcnt lgkmcnt(0)
	v_readfirstlane_b32 s8, v6
	v_readfirstlane_b32 s9, v7
	s_cmp_eq_u64 s[12:13], 1
	v_readfirstlane_b32 s6, v8
	s_cselect_b32 s4, -1, 0
	s_cmp_eq_u64 s[26:27], 1
	v_readfirstlane_b32 s7, v9
	s_cselect_b32 s5, -1, 0
	s_delay_alu instid0(SALU_CYCLE_1) | instskip(NEXT) | instid1(SALU_CYCLE_1)
	s_and_b32 s20, s4, s5
	s_and_b32 vcc_lo, exec_lo, s20
	s_cbranch_vccz .LBB71_119
; %bb.105:                              ;   in Loop: Header=BB71_33 Depth=1
	ds_load_b64 v[2:3], v13 offset:5120
	s_waitcnt lgkmcnt(0)
	s_barrier
	buffer_gl0_inv
	v_readfirstlane_b32 s14, v2
	v_readfirstlane_b32 s15, v3
	s_and_saveexec_b32 s4, s3
	s_cbranch_execz .LBB71_107
; %bb.106:                              ;   in Loop: Header=BB71_33 Depth=1
	ds_store_b16 v42, v13
.LBB71_107:                             ;   in Loop: Header=BB71_33 Depth=1
	s_or_b32 exec_lo, exec_lo, s4
	s_delay_alu instid0(VALU_DEP_1)
	v_cmp_lt_i64_e64 s4, s[14:15], 1
	s_and_b32 s98, s98, s18
	s_or_b32 s97, s97, s16
	s_waitcnt lgkmcnt(0)
	s_barrier
	buffer_gl0_inv
	s_and_b32 vcc_lo, exec_lo, s4
	s_cbranch_vccz .LBB71_120
; %bb.108:                              ;   in Loop: Header=BB71_33 Depth=1
	s_mov_b32 s54, s49
	s_delay_alu instid0(SALU_CYCLE_1)
	s_cmp_lg_u64 s[54:55], 0
	s_cbranch_scc0 .LBB71_165
; %bb.109:                              ;   in Loop: Header=BB71_33 Depth=1
	v_cvt_f32_u32_e32 v2, s33
	s_sub_u32 s21, 0, s33
	s_subb_u32 s22, 0, 0
	s_delay_alu instid0(VALU_DEP_1) | instskip(NEXT) | instid1(VALU_DEP_1)
	v_fmac_f32_e32 v2, 0x4f800000, v50
	v_rcp_f32_e32 v2, v2
	s_waitcnt_depctr 0xfff
	v_mul_f32_e32 v2, 0x5f7ffffc, v2
	s_delay_alu instid0(VALU_DEP_1) | instskip(NEXT) | instid1(VALU_DEP_1)
	v_mul_f32_e32 v3, 0x2f800000, v2
	v_trunc_f32_e32 v3, v3
	s_delay_alu instid0(VALU_DEP_1) | instskip(SKIP_1) | instid1(VALU_DEP_2)
	v_fmac_f32_e32 v2, 0xcf800000, v3
	v_cvt_u32_f32_e32 v3, v3
	v_cvt_u32_f32_e32 v2, v2
	s_delay_alu instid0(VALU_DEP_2) | instskip(NEXT) | instid1(VALU_DEP_2)
	v_readfirstlane_b32 s4, v3
	v_readfirstlane_b32 s5, v2
	s_delay_alu instid0(VALU_DEP_2) | instskip(NEXT) | instid1(VALU_DEP_1)
	s_mul_i32 s23, s21, s4
	s_mul_hi_u32 s54, s21, s5
	s_mul_i32 s48, s22, s5
	s_add_i32 s23, s54, s23
	s_mul_i32 s64, s21, s5
	s_add_i32 s23, s23, s48
	s_mul_hi_u32 s54, s5, s64
	s_mul_hi_u32 s65, s4, s64
	s_mul_i32 s48, s4, s64
	s_mul_hi_u32 s64, s5, s23
	s_mul_i32 s5, s5, s23
	s_mul_hi_u32 s66, s4, s23
	s_add_u32 s5, s54, s5
	s_addc_u32 s54, 0, s64
	s_add_u32 s5, s5, s48
	s_mul_i32 s23, s4, s23
	s_addc_u32 s5, s54, s65
	s_addc_u32 s48, s66, 0
	s_add_u32 s5, s5, s23
	s_addc_u32 s23, 0, s48
	v_add_co_u32 v2, s5, v2, s5
	s_delay_alu instid0(VALU_DEP_1) | instskip(SKIP_1) | instid1(VALU_DEP_1)
	s_cmp_lg_u32 s5, 0
	s_addc_u32 s4, s4, s23
	v_readfirstlane_b32 s5, v2
	s_mul_i32 s23, s21, s4
	s_delay_alu instid0(VALU_DEP_1)
	s_mul_hi_u32 s48, s21, s5
	s_mul_i32 s22, s22, s5
	s_add_i32 s23, s48, s23
	s_mul_i32 s21, s21, s5
	s_add_i32 s23, s23, s22
	s_mul_hi_u32 s48, s4, s21
	s_mul_i32 s54, s4, s21
	s_mul_hi_u32 s21, s5, s21
	s_mul_hi_u32 s64, s5, s23
	s_mul_i32 s5, s5, s23
	s_mul_hi_u32 s22, s4, s23
	s_add_u32 s5, s21, s5
	s_addc_u32 s21, 0, s64
	s_add_u32 s5, s5, s54
	s_mul_i32 s23, s4, s23
	s_addc_u32 s5, s21, s48
	s_addc_u32 s21, s22, 0
	s_add_u32 s5, s5, s23
	s_addc_u32 s21, 0, s21
	v_add_co_u32 v2, s5, v2, s5
	s_delay_alu instid0(VALU_DEP_1) | instskip(SKIP_2) | instid1(VALU_DEP_1)
	s_cmp_lg_u32 s5, 0
	s_addc_u32 s21, s4, s21
	s_ashr_i32 s22, s55, 31
	v_readfirstlane_b32 s48, v2
	s_add_u32 s4, s80, s22
	s_mov_b32 s23, s22
	s_addc_u32 s5, s55, s22
	s_delay_alu instid0(SALU_CYCLE_1) | instskip(NEXT) | instid1(SALU_CYCLE_1)
	s_xor_b64 s[4:5], s[4:5], s[22:23]
	s_mul_i32 s54, s4, s21
	s_mul_hi_u32 s64, s4, s48
	s_mul_hi_u32 s23, s4, s21
	;; [unrolled: 1-line block ×3, first 2 shown]
	s_mul_i32 s48, s5, s48
	s_add_u32 s54, s64, s54
	s_addc_u32 s23, 0, s23
	s_mul_hi_u32 s65, s5, s21
	s_add_u32 s48, s54, s48
	s_mul_i32 s21, s5, s21
	s_addc_u32 s23, s23, s66
	s_addc_u32 s48, s65, 0
	s_add_u32 s21, s23, s21
	s_addc_u32 s23, 0, s48
	s_mul_hi_u32 s48, s33, s21
	s_mul_i32 s21, s33, s21
	s_mul_i32 s23, s33, s23
	v_sub_co_u32 v2, s4, s4, s21
	s_add_i32 s48, s48, s23
	s_cmp_lg_u32 s4, 0
	s_delay_alu instid0(VALU_DEP_1) | instskip(SKIP_2) | instid1(VALU_DEP_1)
	v_sub_co_u32 v3, s4, v2, s33
	s_subb_u32 s5, s5, s48
	s_cmp_lg_u32 s4, 0
	v_cmp_le_u32_e32 vcc_lo, s33, v3
	v_sub_co_u32 v4, s4, v3, s33
	s_subb_u32 s21, s5, 0
	s_cmp_lg_u32 s4, 0
	v_cndmask_b32_e64 v5, 0, -1, vcc_lo
	s_subb_u32 s4, s21, 0
	s_cmp_eq_u32 s21, 0
	v_mov_b32_e32 v7, s4
	s_cselect_b32 vcc_lo, -1, 0
	s_cmp_eq_u32 s5, 0
	v_cndmask_b32_e32 v5, -1, v5, vcc_lo
	v_cmp_le_u32_e32 vcc_lo, s33, v2
	s_cselect_b32 s4, -1, 0
	v_cndmask_b32_e64 v6, 0, -1, vcc_lo
	s_delay_alu instid0(VALU_DEP_3) | instskip(NEXT) | instid1(VALU_DEP_2)
	v_cmp_ne_u32_e32 vcc_lo, 0, v5
	v_cndmask_b32_e64 v5, -1, v6, s4
	v_cndmask_b32_e32 v3, v3, v4, vcc_lo
	v_cndmask_b32_e32 v6, s21, v7, vcc_lo
	s_delay_alu instid0(VALU_DEP_3) | instskip(NEXT) | instid1(VALU_DEP_3)
	v_cmp_ne_u32_e32 vcc_lo, 0, v5
	v_cndmask_b32_e32 v2, v2, v3, vcc_lo
	s_delay_alu instid0(VALU_DEP_3) | instskip(NEXT) | instid1(VALU_DEP_2)
	v_cndmask_b32_e32 v4, s5, v6, vcc_lo
	v_xor_b32_e32 v2, s22, v2
	s_delay_alu instid0(VALU_DEP_2) | instskip(NEXT) | instid1(VALU_DEP_2)
	v_xor_b32_e32 v3, s22, v4
	v_sub_co_u32 v2, vcc_lo, v2, s22
	s_delay_alu instid0(VALU_DEP_2)
	v_subrev_co_ci_u32_e32 v3, vcc_lo, s22, v3, vcc_lo
	s_cbranch_execnz .LBB71_111
.LBB71_110:                             ;   in Loop: Header=BB71_33 Depth=1
	v_cvt_f32_u32_e32 v2, s33
	s_sub_i32 s4, 0, s33
	s_delay_alu instid0(VALU_DEP_1) | instskip(SKIP_2) | instid1(VALU_DEP_1)
	v_rcp_iflag_f32_e32 v2, v2
	s_waitcnt_depctr 0xfff
	v_mul_f32_e32 v2, 0x4f7ffffe, v2
	v_cvt_u32_f32_e32 v2, v2
	s_delay_alu instid0(VALU_DEP_1) | instskip(NEXT) | instid1(VALU_DEP_1)
	v_mul_lo_u32 v3, s4, v2
	v_mul_hi_u32 v3, v2, v3
	s_delay_alu instid0(VALU_DEP_1) | instskip(NEXT) | instid1(VALU_DEP_1)
	v_add_nc_u32_e32 v2, v2, v3
	v_mul_hi_u32 v2, s80, v2
	s_delay_alu instid0(VALU_DEP_1) | instskip(NEXT) | instid1(VALU_DEP_1)
	v_mul_lo_u32 v2, v2, s33
	v_sub_nc_u32_e32 v2, s80, v2
	s_delay_alu instid0(VALU_DEP_1) | instskip(SKIP_1) | instid1(VALU_DEP_2)
	v_subrev_nc_u32_e32 v3, s33, v2
	v_cmp_le_u32_e32 vcc_lo, s33, v2
	v_cndmask_b32_e32 v2, v2, v3, vcc_lo
	s_delay_alu instid0(VALU_DEP_1) | instskip(SKIP_1) | instid1(VALU_DEP_2)
	v_subrev_nc_u32_e32 v3, s33, v2
	v_cmp_le_u32_e32 vcc_lo, s33, v2
	v_cndmask_b32_e32 v12, v2, v3, vcc_lo
	s_delay_alu instid0(VALU_DEP_1)
	v_dual_mov_b32 v2, v12 :: v_dual_mov_b32 v3, v13
.LBB71_111:                             ;   in Loop: Header=BB71_33 Depth=1
	s_delay_alu instid0(VALU_DEP_1) | instskip(NEXT) | instid1(VALU_DEP_2)
	v_sub_co_u32 v2, vcc_lo, s80, v2
	v_sub_co_ci_u32_e32 v3, vcc_lo, s55, v3, vcc_lo
	s_mov_b32 s4, 0
	s_mov_b32 s5, exec_lo
                                        ; implicit-def: $vgpr51
	s_delay_alu instid0(VALU_DEP_1)
	v_cmpx_gt_i64_e64 v[2:3], v[0:1]
	s_cbranch_execz .LBB71_122
; %bb.112:                              ;   in Loop: Header=BB71_33 Depth=1
	v_dual_mov_b32 v4, v10 :: v_dual_mov_b32 v5, v11
	v_dual_mov_b32 v7, v1 :: v_dual_mov_b32 v6, v0
	s_mov_b32 s21, 0
                                        ; implicit-def: $sgpr22
	s_branch .LBB71_114
.LBB71_113:                             ;   in Loop: Header=BB71_114 Depth=2
	s_or_b32 exec_lo, exec_lo, s4
	s_waitcnt vmcnt(0) lgkmcnt(0)
	s_barrier
	buffer_gl0_inv
	ds_load_b32 v8, v13 offset:3072
	v_add_co_u32 v6, vcc_lo, v6, s33
	v_add_co_ci_u32_e32 v7, vcc_lo, 0, v7, vcc_lo
	s_waitcnt lgkmcnt(0)
	s_barrier
	buffer_gl0_inv
	v_cmp_ge_i64_e32 vcc_lo, v[6:7], v[2:3]
	v_and_b32_e32 v9, 0x7fff, v8
	s_delay_alu instid0(VALU_DEP_1) | instskip(NEXT) | instid1(VALU_DEP_1)
	v_cmp_ne_u16_e64 s4, 0, v9
	s_or_b32 s23, s4, vcc_lo
	v_add_co_u32 v4, vcc_lo, v4, s50
	s_and_b32 s23, exec_lo, s23
	v_add_co_ci_u32_e32 v5, vcc_lo, s51, v5, vcc_lo
	s_or_b32 s21, s23, s21
	s_and_not1_b32 s22, s22, exec_lo
	s_and_b32 s4, s4, exec_lo
	s_delay_alu instid0(SALU_CYCLE_1)
	s_or_b32 s22, s22, s4
	s_and_not1_b32 exec_lo, exec_lo, s21
	s_cbranch_execz .LBB71_121
.LBB71_114:                             ;   Parent Loop BB71_33 Depth=1
                                        ; =>  This Inner Loop Header: Depth=2
	s_delay_alu instid0(VALU_DEP_1)
	v_cmp_gt_i64_e32 vcc_lo, s[24:25], v[6:7]
	v_mov_b32_e32 v8, 0
	s_and_saveexec_b32 s4, vcc_lo
	s_cbranch_execz .LBB71_116
; %bb.115:                              ;   in Loop: Header=BB71_114 Depth=2
	global_load_u16 v8, v[4:5], off
.LBB71_116:                             ;   in Loop: Header=BB71_114 Depth=2
	s_or_b32 exec_lo, exec_lo, s4
	s_and_saveexec_b32 s4, vcc_lo
	s_cbranch_execz .LBB71_113
; %bb.117:                              ;   in Loop: Header=BB71_114 Depth=2
	s_waitcnt vmcnt(0)
	v_cmp_lt_i16_e32 vcc_lo, -1, v8
	v_dual_cndmask_b32 v12, 0xffff, v49 :: v_dual_and_b32 v9, 0xffff, v8
	s_delay_alu instid0(VALU_DEP_1) | instskip(SKIP_1) | instid1(VALU_DEP_1)
	v_xor_b32_e32 v9, v12, v9
	v_lshlrev_b32_e32 v26, 16, v8
	v_cmp_o_f32_e32 vcc_lo, v26, v26
	s_delay_alu instid0(VALU_DEP_3) | instskip(NEXT) | instid1(VALU_DEP_1)
	v_cndmask_b32_e32 v9, 0xffff, v9, vcc_lo
	v_and_b32_e32 v9, s97, v9
	s_delay_alu instid0(VALU_DEP_1)
	v_cmp_eq_u32_e32 vcc_lo, s98, v9
	s_and_b32 exec_lo, exec_lo, vcc_lo
	s_cbranch_execz .LBB71_113
; %bb.118:                              ;   in Loop: Header=BB71_114 Depth=2
	v_perm_b32 v8, v8, s87, 0x5040100
	ds_store_b32 v13, v8 offset:3072
	s_branch .LBB71_113
.LBB71_119:                             ;   in Loop: Header=BB71_33 Depth=1
	s_mov_b32 s4, -1
                                        ; implicit-def: $sgpr5
                                        ; implicit-def: $sgpr22
                                        ; implicit-def: $sgpr21
	s_branch .LBB71_136
.LBB71_120:                             ;   in Loop: Header=BB71_33 Depth=1
	s_mov_b32 s5, -1
	s_mov_b32 s4, 0
                                        ; implicit-def: $sgpr21
                                        ; implicit-def: $vgpr51
	s_mov_b32 s22, s5
	s_cbranch_execnz .LBB71_123
	s_branch .LBB71_136
.LBB71_121:                             ;   in Loop: Header=BB71_33 Depth=1
	s_or_b32 exec_lo, exec_lo, s21
	v_lshrrev_b32_e32 v51, 16, v8
	s_and_b32 s4, s22, exec_lo
.LBB71_122:                             ;   in Loop: Header=BB71_33 Depth=1
	s_or_b32 exec_lo, exec_lo, s5
	s_mov_b32 s21, -1
	s_mov_b32 s5, 0
	s_delay_alu instid0(SALU_CYCLE_1)
	s_mov_b32 s22, s5
	s_branch .LBB71_136
.LBB71_123:                             ;   in Loop: Header=BB71_33 Depth=1
	s_add_u32 s21, s78, s14
	s_addc_u32 s5, s79, s15
	s_mov_b32 s4, s49
	s_delay_alu instid0(SALU_CYCLE_1)
	s_cmp_lg_u64 s[4:5], 0
	s_cbranch_scc0 .LBB71_166
; %bb.124:                              ;   in Loop: Header=BB71_33 Depth=1
	v_cvt_f32_u32_e32 v2, s33
	s_sub_u32 s23, 0, s33
	s_subb_u32 s48, 0, 0
	s_delay_alu instid0(VALU_DEP_1) | instskip(NEXT) | instid1(VALU_DEP_1)
	v_fmac_f32_e32 v2, 0x4f800000, v50
	v_rcp_f32_e32 v2, v2
	s_waitcnt_depctr 0xfff
	v_mul_f32_e32 v2, 0x5f7ffffc, v2
	s_delay_alu instid0(VALU_DEP_1) | instskip(NEXT) | instid1(VALU_DEP_1)
	v_mul_f32_e32 v3, 0x2f800000, v2
	v_trunc_f32_e32 v3, v3
	s_delay_alu instid0(VALU_DEP_1) | instskip(SKIP_1) | instid1(VALU_DEP_2)
	v_fmac_f32_e32 v2, 0xcf800000, v3
	v_cvt_u32_f32_e32 v3, v3
	v_cvt_u32_f32_e32 v2, v2
	s_delay_alu instid0(VALU_DEP_2) | instskip(NEXT) | instid1(VALU_DEP_2)
	v_readfirstlane_b32 s4, v3
	v_readfirstlane_b32 s22, v2
	s_delay_alu instid0(VALU_DEP_2) | instskip(NEXT) | instid1(VALU_DEP_1)
	s_mul_i32 s54, s23, s4
	s_mul_hi_u32 s65, s23, s22
	s_mul_i32 s64, s48, s22
	s_add_i32 s54, s65, s54
	s_mul_i32 s66, s23, s22
	s_add_i32 s54, s54, s64
	s_mul_hi_u32 s65, s22, s66
	s_mul_hi_u32 s67, s4, s66
	s_mul_i32 s64, s4, s66
	s_mul_hi_u32 s66, s22, s54
	s_mul_i32 s22, s22, s54
	s_mul_hi_u32 s68, s4, s54
	s_add_u32 s22, s65, s22
	s_addc_u32 s65, 0, s66
	s_add_u32 s22, s22, s64
	s_mul_i32 s54, s4, s54
	s_addc_u32 s22, s65, s67
	s_addc_u32 s64, s68, 0
	s_add_u32 s22, s22, s54
	s_addc_u32 s54, 0, s64
	v_add_co_u32 v2, s22, v2, s22
	s_delay_alu instid0(VALU_DEP_1) | instskip(SKIP_1) | instid1(VALU_DEP_1)
	s_cmp_lg_u32 s22, 0
	s_addc_u32 s4, s4, s54
	v_readfirstlane_b32 s22, v2
	s_mul_i32 s54, s23, s4
	s_delay_alu instid0(VALU_DEP_1)
	s_mul_hi_u32 s64, s23, s22
	s_mul_i32 s48, s48, s22
	s_add_i32 s54, s64, s54
	s_mul_i32 s23, s23, s22
	s_add_i32 s54, s54, s48
	s_mul_hi_u32 s64, s4, s23
	s_mul_i32 s65, s4, s23
	s_mul_hi_u32 s23, s22, s23
	s_mul_hi_u32 s66, s22, s54
	s_mul_i32 s22, s22, s54
	s_mul_hi_u32 s48, s4, s54
	s_add_u32 s22, s23, s22
	s_addc_u32 s23, 0, s66
	s_add_u32 s22, s22, s65
	s_mul_i32 s54, s4, s54
	s_addc_u32 s22, s23, s64
	s_addc_u32 s23, s48, 0
	s_add_u32 s22, s22, s54
	s_addc_u32 s23, 0, s23
	v_add_co_u32 v2, s22, v2, s22
	s_delay_alu instid0(VALU_DEP_1) | instskip(SKIP_2) | instid1(VALU_DEP_1)
	s_cmp_lg_u32 s22, 0
	s_addc_u32 s4, s4, s23
	s_ashr_i32 s22, s5, 31
	v_readfirstlane_b32 s48, v2
	s_add_u32 s64, s21, s22
	s_mov_b32 s23, s22
	s_addc_u32 s65, s5, s22
	s_delay_alu instid0(SALU_CYCLE_1) | instskip(NEXT) | instid1(SALU_CYCLE_1)
	s_xor_b64 s[64:65], s[64:65], s[22:23]
	s_mul_i32 s54, s64, s4
	s_mul_hi_u32 s66, s64, s48
	s_mul_hi_u32 s23, s64, s4
	;; [unrolled: 1-line block ×3, first 2 shown]
	s_mul_i32 s48, s65, s48
	s_add_u32 s54, s66, s54
	s_addc_u32 s23, 0, s23
	s_mul_hi_u32 s67, s65, s4
	s_add_u32 s48, s54, s48
	s_mul_i32 s4, s65, s4
	s_addc_u32 s23, s23, s68
	s_addc_u32 s48, s67, 0
	s_add_u32 s4, s23, s4
	s_addc_u32 s23, 0, s48
	s_mul_hi_u32 s48, s33, s4
	s_mul_i32 s4, s33, s4
	s_mul_i32 s23, s33, s23
	v_sub_co_u32 v2, s4, s64, s4
	s_add_i32 s48, s48, s23
	s_cmp_lg_u32 s4, 0
	s_delay_alu instid0(VALU_DEP_1) | instskip(SKIP_2) | instid1(VALU_DEP_1)
	v_sub_co_u32 v3, s4, v2, s33
	s_subb_u32 s23, s65, s48
	s_cmp_lg_u32 s4, 0
	v_cmp_le_u32_e32 vcc_lo, s33, v3
	v_sub_co_u32 v4, s4, v3, s33
	s_subb_u32 s48, s23, 0
	s_cmp_lg_u32 s4, 0
	v_cndmask_b32_e64 v5, 0, -1, vcc_lo
	s_subb_u32 s4, s48, 0
	s_cmp_eq_u32 s48, 0
	v_mov_b32_e32 v7, s4
	s_cselect_b32 vcc_lo, -1, 0
	s_cmp_eq_u32 s23, 0
	v_cndmask_b32_e32 v5, -1, v5, vcc_lo
	v_cmp_le_u32_e32 vcc_lo, s33, v2
	s_cselect_b32 s4, -1, 0
	v_cndmask_b32_e64 v6, 0, -1, vcc_lo
	s_delay_alu instid0(VALU_DEP_3) | instskip(NEXT) | instid1(VALU_DEP_2)
	v_cmp_ne_u32_e32 vcc_lo, 0, v5
	v_cndmask_b32_e64 v5, -1, v6, s4
	v_cndmask_b32_e32 v3, v3, v4, vcc_lo
	v_cndmask_b32_e32 v6, s48, v7, vcc_lo
	s_delay_alu instid0(VALU_DEP_3) | instskip(NEXT) | instid1(VALU_DEP_3)
	v_cmp_ne_u32_e32 vcc_lo, 0, v5
	v_cndmask_b32_e32 v2, v2, v3, vcc_lo
	s_delay_alu instid0(VALU_DEP_3) | instskip(NEXT) | instid1(VALU_DEP_2)
	v_cndmask_b32_e32 v4, s23, v6, vcc_lo
	v_xor_b32_e32 v2, s22, v2
	s_delay_alu instid0(VALU_DEP_2) | instskip(NEXT) | instid1(VALU_DEP_2)
	v_xor_b32_e32 v3, s22, v4
	v_sub_co_u32 v2, vcc_lo, v2, s22
	s_delay_alu instid0(VALU_DEP_2)
	v_subrev_co_ci_u32_e32 v3, vcc_lo, s22, v3, vcc_lo
	s_cbranch_execnz .LBB71_126
.LBB71_125:                             ;   in Loop: Header=BB71_33 Depth=1
	v_cvt_f32_u32_e32 v2, s33
	s_sub_i32 s4, 0, s33
	s_delay_alu instid0(VALU_DEP_1) | instskip(SKIP_2) | instid1(VALU_DEP_1)
	v_rcp_iflag_f32_e32 v2, v2
	s_waitcnt_depctr 0xfff
	v_mul_f32_e32 v2, 0x4f7ffffe, v2
	v_cvt_u32_f32_e32 v2, v2
	s_delay_alu instid0(VALU_DEP_1) | instskip(NEXT) | instid1(VALU_DEP_1)
	v_mul_lo_u32 v3, s4, v2
	v_mul_hi_u32 v3, v2, v3
	s_delay_alu instid0(VALU_DEP_1) | instskip(NEXT) | instid1(VALU_DEP_1)
	v_add_nc_u32_e32 v2, v2, v3
	v_mul_hi_u32 v2, s21, v2
	s_delay_alu instid0(VALU_DEP_1) | instskip(NEXT) | instid1(VALU_DEP_1)
	v_mul_lo_u32 v2, v2, s33
	v_sub_nc_u32_e32 v2, s21, v2
	s_delay_alu instid0(VALU_DEP_1) | instskip(SKIP_1) | instid1(VALU_DEP_2)
	v_subrev_nc_u32_e32 v3, s33, v2
	v_cmp_le_u32_e32 vcc_lo, s33, v2
	v_cndmask_b32_e32 v2, v2, v3, vcc_lo
	s_delay_alu instid0(VALU_DEP_1) | instskip(SKIP_1) | instid1(VALU_DEP_2)
	v_subrev_nc_u32_e32 v3, s33, v2
	v_cmp_le_u32_e32 vcc_lo, s33, v2
	v_cndmask_b32_e32 v12, v2, v3, vcc_lo
	s_delay_alu instid0(VALU_DEP_1)
	v_dual_mov_b32 v2, v12 :: v_dual_mov_b32 v3, v13
.LBB71_126:                             ;   in Loop: Header=BB71_33 Depth=1
	s_delay_alu instid0(VALU_DEP_1) | instskip(NEXT) | instid1(VALU_DEP_2)
	v_sub_co_u32 v2, vcc_lo, s21, v2
	v_sub_co_ci_u32_e32 v3, vcc_lo, s5, v3, vcc_lo
	s_mov_b32 s4, 0
	s_mov_b32 s5, exec_lo
                                        ; implicit-def: $vgpr51
	s_delay_alu instid0(VALU_DEP_1)
	v_cmpx_gt_i64_e64 v[2:3], v[0:1]
	s_cbranch_execz .LBB71_135
; %bb.127:                              ;   in Loop: Header=BB71_33 Depth=1
	v_mov_b32_e32 v6, v41
	v_dual_mov_b32 v5, v1 :: v_dual_mov_b32 v4, v0
	s_mov_b32 s21, 0
                                        ; implicit-def: $sgpr22
	s_branch .LBB71_129
.LBB71_128:                             ;   in Loop: Header=BB71_129 Depth=2
	s_or_b32 exec_lo, exec_lo, s4
	s_waitcnt lgkmcnt(0)
	s_barrier
	buffer_gl0_inv
	ds_load_b32 v7, v13 offset:3072
	v_add_co_u32 v4, vcc_lo, v4, s33
	v_add_co_ci_u32_e32 v5, vcc_lo, 0, v5, vcc_lo
	v_add_nc_u32_e32 v6, s86, v6
	s_waitcnt lgkmcnt(0)
	s_barrier
	s_delay_alu instid0(VALU_DEP_2) | instskip(SKIP_2) | instid1(VALU_DEP_1)
	v_cmp_ge_i64_e32 vcc_lo, v[4:5], v[2:3]
	buffer_gl0_inv
	v_and_b32_e32 v8, 0x7fff, v7
	v_cmp_ne_u16_e64 s4, 0, v8
	s_delay_alu instid0(VALU_DEP_1) | instskip(NEXT) | instid1(SALU_CYCLE_1)
	s_or_b32 s23, s4, vcc_lo
	s_and_b32 s23, exec_lo, s23
	s_delay_alu instid0(SALU_CYCLE_1) | instskip(SKIP_2) | instid1(SALU_CYCLE_1)
	s_or_b32 s21, s23, s21
	s_and_not1_b32 s22, s22, exec_lo
	s_and_b32 s4, s4, exec_lo
	s_or_b32 s22, s22, s4
	s_and_not1_b32 exec_lo, exec_lo, s21
	s_cbranch_execz .LBB71_134
.LBB71_129:                             ;   Parent Loop BB71_33 Depth=1
                                        ; =>  This Inner Loop Header: Depth=2
	s_delay_alu instid0(VALU_DEP_1)
	v_cmp_gt_i64_e32 vcc_lo, s[14:15], v[4:5]
	v_mov_b32_e32 v7, 0
	s_and_saveexec_b32 s4, vcc_lo
	s_cbranch_execz .LBB71_131
; %bb.130:                              ;   in Loop: Header=BB71_129 Depth=2
	ds_load_u16 v7, v6
.LBB71_131:                             ;   in Loop: Header=BB71_129 Depth=2
	s_or_b32 exec_lo, exec_lo, s4
	s_and_saveexec_b32 s4, vcc_lo
	s_cbranch_execz .LBB71_128
; %bb.132:                              ;   in Loop: Header=BB71_129 Depth=2
	s_waitcnt lgkmcnt(0)
	v_cmp_lt_i16_e32 vcc_lo, -1, v7
	v_and_b32_e32 v8, 0xffff, v7
	v_dual_cndmask_b32 v9, 0xffff, v49 :: v_dual_lshlrev_b32 v12, 16, v7
	s_delay_alu instid0(VALU_DEP_1) | instskip(NEXT) | instid1(VALU_DEP_2)
	v_cmp_o_f32_e32 vcc_lo, v12, v12
	v_xor_b32_e32 v8, v9, v8
	s_delay_alu instid0(VALU_DEP_1) | instskip(NEXT) | instid1(VALU_DEP_1)
	v_cndmask_b32_e32 v8, 0xffff, v8, vcc_lo
	v_and_b32_e32 v8, s97, v8
	s_delay_alu instid0(VALU_DEP_1)
	v_cmp_eq_u32_e32 vcc_lo, s98, v8
	s_and_b32 exec_lo, exec_lo, vcc_lo
	s_cbranch_execz .LBB71_128
; %bb.133:                              ;   in Loop: Header=BB71_129 Depth=2
	v_perm_b32 v7, v7, s87, 0x5040100
	ds_store_b32 v13, v7 offset:3072
	s_branch .LBB71_128
.LBB71_134:                             ;   in Loop: Header=BB71_33 Depth=1
	s_or_b32 exec_lo, exec_lo, s21
	v_lshrrev_b32_e32 v51, 16, v7
	s_and_b32 s4, s22, exec_lo
.LBB71_135:                             ;   in Loop: Header=BB71_33 Depth=1
	s_or_b32 exec_lo, exec_lo, s5
	s_mov_b32 s22, -1
	s_mov_b32 s5, 0
	s_mov_b32 s21, 0
.LBB71_136:                             ;   in Loop: Header=BB71_33 Depth=1
	s_and_not1_b32 s14, s94, exec_lo
	s_and_b32 s5, s5, exec_lo
	s_and_not1_b32 s15, s95, exec_lo
	s_or_b32 s94, s14, s5
	s_and_not1_b32 s5, s96, exec_lo
	s_and_b32 s14, s22, exec_lo
	s_and_b32 s21, s21, exec_lo
	s_or_b32 s96, s5, s14
	s_or_b32 s95, s15, s21
	s_and_saveexec_b32 s14, s4
	s_cbranch_execz .LBB71_32
; %bb.137:                              ;   in Loop: Header=BB71_33 Depth=1
	s_xor_b32 s4, s20, -1
	s_mov_b32 s54, 1
	s_and_not1_b32 vcc_lo, exec_lo, s4
	s_cbranch_vccnz .LBB71_148
; %bb.138:                              ;   in Loop: Header=BB71_33 Depth=1
	v_cmp_gt_i64_e64 s4, s[26:27], s[12:13]
                                        ; implicit-def: $sgpr54
                                        ; implicit-def: $sgpr5
                                        ; implicit-def: $sgpr15
	s_delay_alu instid0(VALU_DEP_1)
	s_and_b32 vcc_lo, exec_lo, s4
	s_mov_b32 s4, -1
	s_cbranch_vccnz .LBB71_144
; %bb.139:                              ;   in Loop: Header=BB71_33 Depth=1
	ds_load_b64 v[2:3], v13 offset:5120
	s_waitcnt lgkmcnt(0)
	v_cmp_ne_u64_e32 vcc_lo, 0, v[2:3]
	s_cbranch_vccnz .LBB71_143
; %bb.140:                              ;   in Loop: Header=BB71_33 Depth=1
	s_and_saveexec_b32 s4, s0
	s_cbranch_execz .LBB71_142
; %bb.141:                              ;   in Loop: Header=BB71_33 Depth=1
	v_dual_mov_b32 v2, s12 :: v_dual_mov_b32 v3, s13
	ds_store_b64 v13, v[2:3] offset:5128
.LBB71_142:                             ;   in Loop: Header=BB71_33 Depth=1
	s_or_b32 exec_lo, exec_lo, s4
	s_waitcnt lgkmcnt(0)
	s_barrier
	buffer_gl0_inv
.LBB71_143:                             ;   in Loop: Header=BB71_33 Depth=1
	s_and_b32 s5, s98, s18
	s_or_b32 s15, s97, s16
	s_mov_b32 s4, 0
	s_mov_b32 s54, 8
.LBB71_144:                             ;   in Loop: Header=BB71_33 Depth=1
	s_and_not1_b32 vcc_lo, exec_lo, s4
	s_cbranch_vccnz .LBB71_146
; %bb.145:                              ;   in Loop: Header=BB71_33 Depth=1
	s_sub_u32 s26, s26, s12
	s_subb_u32 s27, s27, s13
	s_mov_b32 s4, -1
	s_mov_b32 s54, 0
	s_mov_b32 s5, s98
	;; [unrolled: 1-line block ×3, first 2 shown]
.LBB71_146:                             ;   in Loop: Header=BB71_33 Depth=1
	s_delay_alu instid0(SALU_CYCLE_1)
	s_mov_b32 s97, s15
	s_mov_b32 s98, s5
	s_and_b32 vcc_lo, exec_lo, s4
	s_mov_b32 s15, -1
	s_cbranch_vccnz .LBB71_149
.LBB71_147:                             ;   in Loop: Header=BB71_33 Depth=1
	s_mov_b32 s5, -1
                                        ; implicit-def: $sgpr19
                                        ; implicit-def: $sgpr21
                                        ; implicit-def: $sgpr20
	s_delay_alu instid0(SALU_CYCLE_1) | instskip(NEXT) | instid1(SALU_CYCLE_1)
	s_and_saveexec_b32 s4, s5
	s_xor_b32 s4, exec_lo, s4
	s_cbranch_execz .LBB71_31
	s_branch .LBB71_295
.LBB71_148:                             ;   in Loop: Header=BB71_33 Depth=1
	s_mov_b64 s[26:27], 1
	s_mov_b32 s15, -1
	s_branch .LBB71_147
.LBB71_149:                             ;   in Loop: Header=BB71_33 Depth=1
	s_cmp_eq_u64 s[10:11], 1
	s_cselect_b32 s4, -1, 0
	s_cmp_eq_u64 s[26:27], 1
	s_cselect_b32 s5, -1, 0
	s_delay_alu instid0(SALU_CYCLE_1)
	s_and_b32 s22, s4, s5
	s_mov_b32 s4, -1
	s_and_b32 vcc_lo, exec_lo, s22
	s_cbranch_vccz .LBB71_164
; %bb.150:                              ;   in Loop: Header=BB71_33 Depth=1
	ds_load_b64 v[2:3], v13 offset:5120
	s_waitcnt lgkmcnt(0)
	s_barrier
	buffer_gl0_inv
	v_readfirstlane_b32 s12, v2
	v_readfirstlane_b32 s13, v3
	s_and_saveexec_b32 s4, s3
	s_cbranch_execz .LBB71_152
; %bb.151:                              ;   in Loop: Header=BB71_33 Depth=1
	ds_store_b16 v42, v13
.LBB71_152:                             ;   in Loop: Header=BB71_33 Depth=1
	s_or_b32 exec_lo, exec_lo, s4
	s_delay_alu instid0(VALU_DEP_1)
	v_cmp_gt_i64_e64 s19, s[12:13], 0
	s_lshl_b32 s4, 1, s17
	s_and_b32 s5, s98, s18
	s_or_b32 s97, s97, s16
	s_or_b32 s98, s5, s4
	s_waitcnt lgkmcnt(0)
	s_and_b32 vcc_lo, exec_lo, s19
	s_barrier
	buffer_gl0_inv
	s_cbranch_vccnz .LBB71_167
; %bb.153:                              ;   in Loop: Header=BB71_33 Depth=1
	s_mov_b32 s54, s49
	s_delay_alu instid0(SALU_CYCLE_1)
	s_cmp_lg_u64 s[54:55], 0
	s_cbranch_scc0 .LBB71_212
; %bb.154:                              ;   in Loop: Header=BB71_33 Depth=1
	v_cvt_f32_u32_e32 v2, s33
	s_sub_u32 s19, 0, s33
	s_subb_u32 s20, 0, 0
	s_delay_alu instid0(VALU_DEP_1) | instskip(NEXT) | instid1(VALU_DEP_1)
	v_fmac_f32_e32 v2, 0x4f800000, v50
	v_rcp_f32_e32 v2, v2
	s_waitcnt_depctr 0xfff
	v_mul_f32_e32 v2, 0x5f7ffffc, v2
	s_delay_alu instid0(VALU_DEP_1) | instskip(NEXT) | instid1(VALU_DEP_1)
	v_mul_f32_e32 v3, 0x2f800000, v2
	v_trunc_f32_e32 v3, v3
	s_delay_alu instid0(VALU_DEP_1) | instskip(SKIP_1) | instid1(VALU_DEP_2)
	v_fmac_f32_e32 v2, 0xcf800000, v3
	v_cvt_u32_f32_e32 v3, v3
	v_cvt_u32_f32_e32 v2, v2
	s_delay_alu instid0(VALU_DEP_2) | instskip(NEXT) | instid1(VALU_DEP_2)
	v_readfirstlane_b32 s4, v3
	v_readfirstlane_b32 s5, v2
	s_delay_alu instid0(VALU_DEP_2) | instskip(NEXT) | instid1(VALU_DEP_1)
	s_mul_i32 s21, s19, s4
	s_mul_hi_u32 s48, s19, s5
	s_mul_i32 s23, s20, s5
	s_add_i32 s21, s48, s21
	s_mul_i32 s54, s19, s5
	s_add_i32 s21, s21, s23
	s_mul_hi_u32 s48, s5, s54
	s_mul_hi_u32 s64, s4, s54
	s_mul_i32 s23, s4, s54
	s_mul_hi_u32 s54, s5, s21
	s_mul_i32 s5, s5, s21
	s_mul_hi_u32 s65, s4, s21
	s_add_u32 s5, s48, s5
	s_addc_u32 s48, 0, s54
	s_add_u32 s5, s5, s23
	s_mul_i32 s21, s4, s21
	s_addc_u32 s5, s48, s64
	s_addc_u32 s23, s65, 0
	s_add_u32 s5, s5, s21
	s_addc_u32 s21, 0, s23
	v_add_co_u32 v2, s5, v2, s5
	s_delay_alu instid0(VALU_DEP_1) | instskip(SKIP_1) | instid1(VALU_DEP_1)
	s_cmp_lg_u32 s5, 0
	s_addc_u32 s4, s4, s21
	v_readfirstlane_b32 s5, v2
	s_mul_i32 s21, s19, s4
	s_delay_alu instid0(VALU_DEP_1)
	s_mul_hi_u32 s23, s19, s5
	s_mul_i32 s20, s20, s5
	s_add_i32 s21, s23, s21
	s_mul_i32 s19, s19, s5
	s_add_i32 s21, s21, s20
	s_mul_hi_u32 s23, s4, s19
	s_mul_i32 s48, s4, s19
	s_mul_hi_u32 s19, s5, s19
	s_mul_hi_u32 s54, s5, s21
	s_mul_i32 s5, s5, s21
	s_mul_hi_u32 s20, s4, s21
	s_add_u32 s5, s19, s5
	s_addc_u32 s19, 0, s54
	s_add_u32 s5, s5, s48
	s_mul_i32 s21, s4, s21
	s_addc_u32 s5, s19, s23
	s_addc_u32 s19, s20, 0
	s_add_u32 s5, s5, s21
	s_addc_u32 s19, 0, s19
	v_add_co_u32 v2, s5, v2, s5
	s_delay_alu instid0(VALU_DEP_1) | instskip(SKIP_2) | instid1(VALU_DEP_1)
	s_cmp_lg_u32 s5, 0
	s_addc_u32 s19, s4, s19
	s_ashr_i32 s20, s55, 31
	v_readfirstlane_b32 s23, v2
	s_add_u32 s4, s80, s20
	s_mov_b32 s21, s20
	s_addc_u32 s5, s55, s20
	s_delay_alu instid0(SALU_CYCLE_1) | instskip(NEXT) | instid1(SALU_CYCLE_1)
	s_xor_b64 s[4:5], s[4:5], s[20:21]
	s_mul_i32 s48, s4, s19
	s_mul_hi_u32 s54, s4, s23
	s_mul_hi_u32 s21, s4, s19
	;; [unrolled: 1-line block ×3, first 2 shown]
	s_mul_i32 s23, s5, s23
	s_add_u32 s48, s54, s48
	s_addc_u32 s21, 0, s21
	s_mul_hi_u32 s64, s5, s19
	s_add_u32 s23, s48, s23
	s_mul_i32 s19, s5, s19
	s_addc_u32 s21, s21, s65
	s_addc_u32 s23, s64, 0
	s_add_u32 s19, s21, s19
	s_addc_u32 s21, 0, s23
	s_mul_hi_u32 s23, s33, s19
	s_mul_i32 s19, s33, s19
	s_mul_i32 s21, s33, s21
	v_sub_co_u32 v2, s4, s4, s19
	s_add_i32 s23, s23, s21
	s_cmp_lg_u32 s4, 0
	s_delay_alu instid0(VALU_DEP_1) | instskip(SKIP_2) | instid1(VALU_DEP_1)
	v_sub_co_u32 v3, s4, v2, s33
	s_subb_u32 s5, s5, s23
	s_cmp_lg_u32 s4, 0
	v_cmp_le_u32_e32 vcc_lo, s33, v3
	v_sub_co_u32 v4, s4, v3, s33
	s_subb_u32 s19, s5, 0
	s_cmp_lg_u32 s4, 0
	v_cndmask_b32_e64 v5, 0, -1, vcc_lo
	s_subb_u32 s4, s19, 0
	s_cmp_eq_u32 s19, 0
	v_mov_b32_e32 v7, s4
	s_cselect_b32 vcc_lo, -1, 0
	s_cmp_eq_u32 s5, 0
	v_cndmask_b32_e32 v5, -1, v5, vcc_lo
	v_cmp_le_u32_e32 vcc_lo, s33, v2
	s_cselect_b32 s4, -1, 0
	v_cndmask_b32_e64 v6, 0, -1, vcc_lo
	s_delay_alu instid0(VALU_DEP_3) | instskip(NEXT) | instid1(VALU_DEP_2)
	v_cmp_ne_u32_e32 vcc_lo, 0, v5
	v_cndmask_b32_e64 v5, -1, v6, s4
	v_cndmask_b32_e32 v3, v3, v4, vcc_lo
	v_cndmask_b32_e32 v6, s19, v7, vcc_lo
	s_delay_alu instid0(VALU_DEP_3) | instskip(NEXT) | instid1(VALU_DEP_3)
	v_cmp_ne_u32_e32 vcc_lo, 0, v5
	v_cndmask_b32_e32 v2, v2, v3, vcc_lo
	s_delay_alu instid0(VALU_DEP_3) | instskip(NEXT) | instid1(VALU_DEP_2)
	v_cndmask_b32_e32 v4, s5, v6, vcc_lo
	v_xor_b32_e32 v2, s20, v2
	s_delay_alu instid0(VALU_DEP_2) | instskip(NEXT) | instid1(VALU_DEP_2)
	v_xor_b32_e32 v3, s20, v4
	v_sub_co_u32 v2, vcc_lo, v2, s20
	s_delay_alu instid0(VALU_DEP_2)
	v_subrev_co_ci_u32_e32 v3, vcc_lo, s20, v3, vcc_lo
	s_cbranch_execnz .LBB71_156
.LBB71_155:                             ;   in Loop: Header=BB71_33 Depth=1
	v_cvt_f32_u32_e32 v2, s33
	s_sub_i32 s4, 0, s33
	s_delay_alu instid0(VALU_DEP_1) | instskip(SKIP_2) | instid1(VALU_DEP_1)
	v_rcp_iflag_f32_e32 v2, v2
	s_waitcnt_depctr 0xfff
	v_mul_f32_e32 v2, 0x4f7ffffe, v2
	v_cvt_u32_f32_e32 v2, v2
	s_delay_alu instid0(VALU_DEP_1) | instskip(NEXT) | instid1(VALU_DEP_1)
	v_mul_lo_u32 v3, s4, v2
	v_mul_hi_u32 v3, v2, v3
	s_delay_alu instid0(VALU_DEP_1) | instskip(NEXT) | instid1(VALU_DEP_1)
	v_add_nc_u32_e32 v2, v2, v3
	v_mul_hi_u32 v2, s80, v2
	s_delay_alu instid0(VALU_DEP_1) | instskip(NEXT) | instid1(VALU_DEP_1)
	v_mul_lo_u32 v2, v2, s33
	v_sub_nc_u32_e32 v2, s80, v2
	s_delay_alu instid0(VALU_DEP_1) | instskip(SKIP_1) | instid1(VALU_DEP_2)
	v_subrev_nc_u32_e32 v3, s33, v2
	v_cmp_le_u32_e32 vcc_lo, s33, v2
	v_cndmask_b32_e32 v2, v2, v3, vcc_lo
	s_delay_alu instid0(VALU_DEP_1) | instskip(SKIP_1) | instid1(VALU_DEP_2)
	v_subrev_nc_u32_e32 v3, s33, v2
	v_cmp_le_u32_e32 vcc_lo, s33, v2
	v_cndmask_b32_e32 v12, v2, v3, vcc_lo
	s_delay_alu instid0(VALU_DEP_1)
	v_dual_mov_b32 v2, v12 :: v_dual_mov_b32 v3, v13
.LBB71_156:                             ;   in Loop: Header=BB71_33 Depth=1
	s_delay_alu instid0(VALU_DEP_1) | instskip(NEXT) | instid1(VALU_DEP_2)
	v_sub_co_u32 v2, vcc_lo, s80, v2
	v_sub_co_ci_u32_e32 v3, vcc_lo, s55, v3, vcc_lo
	s_mov_b32 s4, 0
	s_mov_b32 s5, exec_lo
                                        ; implicit-def: $vgpr51
	s_delay_alu instid0(VALU_DEP_1)
	v_cmpx_gt_i64_e64 v[2:3], v[0:1]
	s_cbranch_execz .LBB71_169
; %bb.157:                              ;   in Loop: Header=BB71_33 Depth=1
	v_dual_mov_b32 v4, v10 :: v_dual_mov_b32 v5, v11
	v_dual_mov_b32 v7, v1 :: v_dual_mov_b32 v6, v0
	s_mov_b32 s19, 0
                                        ; implicit-def: $sgpr20
	s_branch .LBB71_159
.LBB71_158:                             ;   in Loop: Header=BB71_159 Depth=2
	s_or_b32 exec_lo, exec_lo, s4
	s_waitcnt vmcnt(0) lgkmcnt(0)
	s_barrier
	buffer_gl0_inv
	ds_load_b32 v8, v13 offset:3072
	v_add_co_u32 v6, vcc_lo, v6, s33
	v_add_co_ci_u32_e32 v7, vcc_lo, 0, v7, vcc_lo
	s_waitcnt lgkmcnt(0)
	s_barrier
	buffer_gl0_inv
	v_cmp_ge_i64_e32 vcc_lo, v[6:7], v[2:3]
	v_and_b32_e32 v9, 0x7fff, v8
	s_delay_alu instid0(VALU_DEP_1) | instskip(NEXT) | instid1(VALU_DEP_1)
	v_cmp_ne_u16_e64 s4, 0, v9
	s_or_b32 s21, s4, vcc_lo
	v_add_co_u32 v4, vcc_lo, v4, s50
	s_and_b32 s21, exec_lo, s21
	v_add_co_ci_u32_e32 v5, vcc_lo, s51, v5, vcc_lo
	s_or_b32 s19, s21, s19
	s_and_not1_b32 s20, s20, exec_lo
	s_and_b32 s4, s4, exec_lo
	s_delay_alu instid0(SALU_CYCLE_1)
	s_or_b32 s20, s20, s4
	s_and_not1_b32 exec_lo, exec_lo, s19
	s_cbranch_execz .LBB71_168
.LBB71_159:                             ;   Parent Loop BB71_33 Depth=1
                                        ; =>  This Inner Loop Header: Depth=2
	s_delay_alu instid0(VALU_DEP_1)
	v_cmp_gt_i64_e32 vcc_lo, s[24:25], v[6:7]
	v_mov_b32_e32 v8, 0
	s_and_saveexec_b32 s4, vcc_lo
	s_cbranch_execz .LBB71_161
; %bb.160:                              ;   in Loop: Header=BB71_159 Depth=2
	global_load_u16 v8, v[4:5], off
.LBB71_161:                             ;   in Loop: Header=BB71_159 Depth=2
	s_or_b32 exec_lo, exec_lo, s4
	s_and_saveexec_b32 s4, vcc_lo
	s_cbranch_execz .LBB71_158
; %bb.162:                              ;   in Loop: Header=BB71_159 Depth=2
	s_waitcnt vmcnt(0)
	v_cmp_lt_i16_e32 vcc_lo, -1, v8
	v_dual_cndmask_b32 v12, 0xffff, v49 :: v_dual_and_b32 v9, 0xffff, v8
	s_delay_alu instid0(VALU_DEP_1) | instskip(SKIP_1) | instid1(VALU_DEP_1)
	v_xor_b32_e32 v9, v12, v9
	v_lshlrev_b32_e32 v26, 16, v8
	v_cmp_o_f32_e32 vcc_lo, v26, v26
	s_delay_alu instid0(VALU_DEP_3) | instskip(NEXT) | instid1(VALU_DEP_1)
	v_cndmask_b32_e32 v9, 0xffff, v9, vcc_lo
	v_and_b32_e32 v9, s97, v9
	s_delay_alu instid0(VALU_DEP_1)
	v_cmp_eq_u32_e32 vcc_lo, s98, v9
	s_and_b32 exec_lo, exec_lo, vcc_lo
	s_cbranch_execz .LBB71_158
; %bb.163:                              ;   in Loop: Header=BB71_159 Depth=2
	v_perm_b32 v8, v8, s87, 0x5040100
	ds_store_b32 v13, v8 offset:3072
	s_branch .LBB71_158
.LBB71_164:                             ;   in Loop: Header=BB71_33 Depth=1
                                        ; implicit-def: $sgpr20
                                        ; implicit-def: $sgpr21
                                        ; implicit-def: $sgpr19
	s_branch .LBB71_183
.LBB71_165:                             ;   in Loop: Header=BB71_33 Depth=1
                                        ; implicit-def: $vgpr2_vgpr3
	s_branch .LBB71_110
.LBB71_166:                             ;   in Loop: Header=BB71_33 Depth=1
                                        ; implicit-def: $vgpr2_vgpr3
	s_branch .LBB71_125
.LBB71_167:                             ;   in Loop: Header=BB71_33 Depth=1
	s_mov_b32 s20, -1
	s_mov_b32 s4, 0
                                        ; implicit-def: $sgpr19
                                        ; implicit-def: $vgpr51
	s_mov_b32 s21, s20
	s_cbranch_execnz .LBB71_170
	s_branch .LBB71_183
.LBB71_168:                             ;   in Loop: Header=BB71_33 Depth=1
	s_or_b32 exec_lo, exec_lo, s19
	v_lshrrev_b32_e32 v51, 16, v8
	s_and_b32 s4, s20, exec_lo
.LBB71_169:                             ;   in Loop: Header=BB71_33 Depth=1
	s_or_b32 exec_lo, exec_lo, s5
	s_mov_b32 s19, -1
	s_mov_b32 s20, 0
	s_delay_alu instid0(SALU_CYCLE_1)
	s_mov_b32 s21, s20
	s_branch .LBB71_183
.LBB71_170:                             ;   in Loop: Header=BB71_33 Depth=1
	s_add_u32 s19, s78, s12
	s_addc_u32 s5, s79, s13
	s_mov_b32 s4, s49
	s_delay_alu instid0(SALU_CYCLE_1)
	s_cmp_lg_u64 s[4:5], 0
	s_cbranch_scc0 .LBB71_213
; %bb.171:                              ;   in Loop: Header=BB71_33 Depth=1
	v_cvt_f32_u32_e32 v2, s33
	s_sub_u32 s21, 0, s33
	s_subb_u32 s23, 0, 0
	s_delay_alu instid0(VALU_DEP_1) | instskip(NEXT) | instid1(VALU_DEP_1)
	v_fmac_f32_e32 v2, 0x4f800000, v50
	v_rcp_f32_e32 v2, v2
	s_waitcnt_depctr 0xfff
	v_mul_f32_e32 v2, 0x5f7ffffc, v2
	s_delay_alu instid0(VALU_DEP_1) | instskip(NEXT) | instid1(VALU_DEP_1)
	v_mul_f32_e32 v3, 0x2f800000, v2
	v_trunc_f32_e32 v3, v3
	s_delay_alu instid0(VALU_DEP_1) | instskip(SKIP_1) | instid1(VALU_DEP_2)
	v_fmac_f32_e32 v2, 0xcf800000, v3
	v_cvt_u32_f32_e32 v3, v3
	v_cvt_u32_f32_e32 v2, v2
	s_delay_alu instid0(VALU_DEP_2) | instskip(NEXT) | instid1(VALU_DEP_2)
	v_readfirstlane_b32 s4, v3
	v_readfirstlane_b32 s20, v2
	s_delay_alu instid0(VALU_DEP_2) | instskip(NEXT) | instid1(VALU_DEP_1)
	s_mul_i32 s48, s21, s4
	s_mul_hi_u32 s64, s21, s20
	s_mul_i32 s54, s23, s20
	s_add_i32 s48, s64, s48
	s_mul_i32 s65, s21, s20
	s_add_i32 s48, s48, s54
	s_mul_hi_u32 s64, s20, s65
	s_mul_hi_u32 s66, s4, s65
	s_mul_i32 s54, s4, s65
	s_mul_hi_u32 s65, s20, s48
	s_mul_i32 s20, s20, s48
	s_mul_hi_u32 s67, s4, s48
	s_add_u32 s20, s64, s20
	s_addc_u32 s64, 0, s65
	s_add_u32 s20, s20, s54
	s_mul_i32 s48, s4, s48
	s_addc_u32 s20, s64, s66
	s_addc_u32 s54, s67, 0
	s_add_u32 s20, s20, s48
	s_addc_u32 s48, 0, s54
	v_add_co_u32 v2, s20, v2, s20
	s_delay_alu instid0(VALU_DEP_1) | instskip(SKIP_1) | instid1(VALU_DEP_1)
	s_cmp_lg_u32 s20, 0
	s_addc_u32 s4, s4, s48
	v_readfirstlane_b32 s20, v2
	s_mul_i32 s48, s21, s4
	s_delay_alu instid0(VALU_DEP_1)
	s_mul_hi_u32 s54, s21, s20
	s_mul_i32 s23, s23, s20
	s_add_i32 s48, s54, s48
	s_mul_i32 s21, s21, s20
	s_add_i32 s48, s48, s23
	s_mul_hi_u32 s54, s4, s21
	s_mul_i32 s64, s4, s21
	s_mul_hi_u32 s21, s20, s21
	s_mul_hi_u32 s65, s20, s48
	s_mul_i32 s20, s20, s48
	s_mul_hi_u32 s23, s4, s48
	s_add_u32 s20, s21, s20
	s_addc_u32 s21, 0, s65
	s_add_u32 s20, s20, s64
	s_mul_i32 s48, s4, s48
	s_addc_u32 s20, s21, s54
	s_addc_u32 s21, s23, 0
	s_add_u32 s20, s20, s48
	s_addc_u32 s21, 0, s21
	v_add_co_u32 v2, s20, v2, s20
	s_delay_alu instid0(VALU_DEP_1) | instskip(SKIP_2) | instid1(VALU_DEP_1)
	s_cmp_lg_u32 s20, 0
	s_addc_u32 s4, s4, s21
	s_ashr_i32 s20, s5, 31
	v_readfirstlane_b32 s23, v2
	s_add_u32 s64, s19, s20
	s_mov_b32 s21, s20
	s_addc_u32 s65, s5, s20
	s_delay_alu instid0(SALU_CYCLE_1) | instskip(NEXT) | instid1(SALU_CYCLE_1)
	s_xor_b64 s[64:65], s[64:65], s[20:21]
	s_mul_i32 s48, s64, s4
	s_mul_hi_u32 s54, s64, s23
	s_mul_hi_u32 s21, s64, s4
	;; [unrolled: 1-line block ×3, first 2 shown]
	s_mul_i32 s23, s65, s23
	s_add_u32 s48, s54, s48
	s_addc_u32 s21, 0, s21
	s_mul_hi_u32 s66, s65, s4
	s_add_u32 s23, s48, s23
	s_mul_i32 s4, s65, s4
	s_addc_u32 s21, s21, s67
	s_addc_u32 s23, s66, 0
	s_add_u32 s4, s21, s4
	s_addc_u32 s21, 0, s23
	s_mul_hi_u32 s23, s33, s4
	s_mul_i32 s4, s33, s4
	s_mul_i32 s21, s33, s21
	v_sub_co_u32 v2, s4, s64, s4
	s_add_i32 s23, s23, s21
	s_cmp_lg_u32 s4, 0
	s_delay_alu instid0(VALU_DEP_1) | instskip(SKIP_2) | instid1(VALU_DEP_1)
	v_sub_co_u32 v3, s4, v2, s33
	s_subb_u32 s21, s65, s23
	s_cmp_lg_u32 s4, 0
	v_cmp_le_u32_e32 vcc_lo, s33, v3
	v_sub_co_u32 v4, s4, v3, s33
	s_subb_u32 s23, s21, 0
	s_cmp_lg_u32 s4, 0
	v_cndmask_b32_e64 v5, 0, -1, vcc_lo
	s_subb_u32 s4, s23, 0
	s_cmp_eq_u32 s23, 0
	v_mov_b32_e32 v7, s4
	s_cselect_b32 vcc_lo, -1, 0
	s_cmp_eq_u32 s21, 0
	v_cndmask_b32_e32 v5, -1, v5, vcc_lo
	v_cmp_le_u32_e32 vcc_lo, s33, v2
	s_cselect_b32 s4, -1, 0
	v_cndmask_b32_e64 v6, 0, -1, vcc_lo
	s_delay_alu instid0(VALU_DEP_3) | instskip(NEXT) | instid1(VALU_DEP_2)
	v_cmp_ne_u32_e32 vcc_lo, 0, v5
	v_cndmask_b32_e64 v5, -1, v6, s4
	v_cndmask_b32_e32 v3, v3, v4, vcc_lo
	v_cndmask_b32_e32 v6, s23, v7, vcc_lo
	s_delay_alu instid0(VALU_DEP_3) | instskip(NEXT) | instid1(VALU_DEP_3)
	v_cmp_ne_u32_e32 vcc_lo, 0, v5
	v_cndmask_b32_e32 v2, v2, v3, vcc_lo
	s_delay_alu instid0(VALU_DEP_3) | instskip(NEXT) | instid1(VALU_DEP_2)
	v_cndmask_b32_e32 v4, s21, v6, vcc_lo
	v_xor_b32_e32 v2, s20, v2
	s_delay_alu instid0(VALU_DEP_2) | instskip(NEXT) | instid1(VALU_DEP_2)
	v_xor_b32_e32 v3, s20, v4
	v_sub_co_u32 v2, vcc_lo, v2, s20
	s_delay_alu instid0(VALU_DEP_2)
	v_subrev_co_ci_u32_e32 v3, vcc_lo, s20, v3, vcc_lo
	s_cbranch_execnz .LBB71_173
.LBB71_172:                             ;   in Loop: Header=BB71_33 Depth=1
	v_cvt_f32_u32_e32 v2, s33
	s_sub_i32 s4, 0, s33
	s_delay_alu instid0(VALU_DEP_1) | instskip(SKIP_2) | instid1(VALU_DEP_1)
	v_rcp_iflag_f32_e32 v2, v2
	s_waitcnt_depctr 0xfff
	v_mul_f32_e32 v2, 0x4f7ffffe, v2
	v_cvt_u32_f32_e32 v2, v2
	s_delay_alu instid0(VALU_DEP_1) | instskip(NEXT) | instid1(VALU_DEP_1)
	v_mul_lo_u32 v3, s4, v2
	v_mul_hi_u32 v3, v2, v3
	s_delay_alu instid0(VALU_DEP_1) | instskip(NEXT) | instid1(VALU_DEP_1)
	v_add_nc_u32_e32 v2, v2, v3
	v_mul_hi_u32 v2, s19, v2
	s_delay_alu instid0(VALU_DEP_1) | instskip(NEXT) | instid1(VALU_DEP_1)
	v_mul_lo_u32 v2, v2, s33
	v_sub_nc_u32_e32 v2, s19, v2
	s_delay_alu instid0(VALU_DEP_1) | instskip(SKIP_1) | instid1(VALU_DEP_2)
	v_subrev_nc_u32_e32 v3, s33, v2
	v_cmp_le_u32_e32 vcc_lo, s33, v2
	v_cndmask_b32_e32 v2, v2, v3, vcc_lo
	s_delay_alu instid0(VALU_DEP_1) | instskip(SKIP_1) | instid1(VALU_DEP_2)
	v_subrev_nc_u32_e32 v3, s33, v2
	v_cmp_le_u32_e32 vcc_lo, s33, v2
	v_cndmask_b32_e32 v12, v2, v3, vcc_lo
	s_delay_alu instid0(VALU_DEP_1)
	v_dual_mov_b32 v2, v12 :: v_dual_mov_b32 v3, v13
.LBB71_173:                             ;   in Loop: Header=BB71_33 Depth=1
	s_delay_alu instid0(VALU_DEP_1) | instskip(NEXT) | instid1(VALU_DEP_2)
	v_sub_co_u32 v2, vcc_lo, s19, v2
	v_sub_co_ci_u32_e32 v3, vcc_lo, s5, v3, vcc_lo
	s_mov_b32 s4, 0
	s_mov_b32 s5, exec_lo
                                        ; implicit-def: $vgpr51
	s_delay_alu instid0(VALU_DEP_1)
	v_cmpx_gt_i64_e64 v[2:3], v[0:1]
	s_cbranch_execz .LBB71_182
; %bb.174:                              ;   in Loop: Header=BB71_33 Depth=1
	v_mov_b32_e32 v6, v41
	v_dual_mov_b32 v5, v1 :: v_dual_mov_b32 v4, v0
	s_mov_b32 s19, 0
                                        ; implicit-def: $sgpr20
	s_branch .LBB71_176
.LBB71_175:                             ;   in Loop: Header=BB71_176 Depth=2
	s_or_b32 exec_lo, exec_lo, s4
	s_waitcnt lgkmcnt(0)
	s_barrier
	buffer_gl0_inv
	ds_load_b32 v7, v13 offset:3072
	v_add_co_u32 v4, vcc_lo, v4, s33
	v_add_co_ci_u32_e32 v5, vcc_lo, 0, v5, vcc_lo
	v_add_nc_u32_e32 v6, s86, v6
	s_waitcnt lgkmcnt(0)
	s_barrier
	s_delay_alu instid0(VALU_DEP_2) | instskip(SKIP_2) | instid1(VALU_DEP_1)
	v_cmp_ge_i64_e32 vcc_lo, v[4:5], v[2:3]
	buffer_gl0_inv
	v_and_b32_e32 v8, 0x7fff, v7
	v_cmp_ne_u16_e64 s4, 0, v8
	s_delay_alu instid0(VALU_DEP_1) | instskip(NEXT) | instid1(SALU_CYCLE_1)
	s_or_b32 s21, s4, vcc_lo
	s_and_b32 s21, exec_lo, s21
	s_delay_alu instid0(SALU_CYCLE_1) | instskip(SKIP_2) | instid1(SALU_CYCLE_1)
	s_or_b32 s19, s21, s19
	s_and_not1_b32 s20, s20, exec_lo
	s_and_b32 s4, s4, exec_lo
	s_or_b32 s20, s20, s4
	s_and_not1_b32 exec_lo, exec_lo, s19
	s_cbranch_execz .LBB71_181
.LBB71_176:                             ;   Parent Loop BB71_33 Depth=1
                                        ; =>  This Inner Loop Header: Depth=2
	s_delay_alu instid0(VALU_DEP_1)
	v_cmp_gt_i64_e32 vcc_lo, s[12:13], v[4:5]
	v_mov_b32_e32 v7, 0
	s_and_saveexec_b32 s4, vcc_lo
	s_cbranch_execz .LBB71_178
; %bb.177:                              ;   in Loop: Header=BB71_176 Depth=2
	ds_load_u16 v7, v6
.LBB71_178:                             ;   in Loop: Header=BB71_176 Depth=2
	s_or_b32 exec_lo, exec_lo, s4
	s_and_saveexec_b32 s4, vcc_lo
	s_cbranch_execz .LBB71_175
; %bb.179:                              ;   in Loop: Header=BB71_176 Depth=2
	s_waitcnt lgkmcnt(0)
	v_cmp_lt_i16_e32 vcc_lo, -1, v7
	v_and_b32_e32 v8, 0xffff, v7
	v_dual_cndmask_b32 v9, 0xffff, v49 :: v_dual_lshlrev_b32 v12, 16, v7
	s_delay_alu instid0(VALU_DEP_1) | instskip(NEXT) | instid1(VALU_DEP_2)
	v_cmp_o_f32_e32 vcc_lo, v12, v12
	v_xor_b32_e32 v8, v9, v8
	s_delay_alu instid0(VALU_DEP_1) | instskip(NEXT) | instid1(VALU_DEP_1)
	v_cndmask_b32_e32 v8, 0xffff, v8, vcc_lo
	v_and_b32_e32 v8, s97, v8
	s_delay_alu instid0(VALU_DEP_1)
	v_cmp_eq_u32_e32 vcc_lo, s98, v8
	s_and_b32 exec_lo, exec_lo, vcc_lo
	s_cbranch_execz .LBB71_175
; %bb.180:                              ;   in Loop: Header=BB71_176 Depth=2
	v_perm_b32 v7, v7, s87, 0x5040100
	ds_store_b32 v13, v7 offset:3072
	s_branch .LBB71_175
.LBB71_181:                             ;   in Loop: Header=BB71_33 Depth=1
	s_or_b32 exec_lo, exec_lo, s19
	v_lshrrev_b32_e32 v51, 16, v7
	s_and_b32 s4, s20, exec_lo
.LBB71_182:                             ;   in Loop: Header=BB71_33 Depth=1
	s_or_b32 exec_lo, exec_lo, s5
	s_mov_b32 s21, -1
	s_mov_b32 s20, 0
	s_mov_b32 s19, 0
.LBB71_183:                             ;   in Loop: Header=BB71_33 Depth=1
	s_mov_b32 s5, 0
                                        ; implicit-def: $sgpr54
	s_and_saveexec_b32 s12, s4
	s_cbranch_execz .LBB71_294
; %bb.184:                              ;   in Loop: Header=BB71_33 Depth=1
	s_xor_b32 s4, s22, -1
	s_mov_b32 s54, 1
	s_and_not1_b32 vcc_lo, exec_lo, s4
	s_cbranch_vccnz .LBB71_195
; %bb.185:                              ;   in Loop: Header=BB71_33 Depth=1
	v_cmp_gt_i64_e64 s4, s[26:27], s[10:11]
                                        ; implicit-def: $sgpr54
                                        ; implicit-def: $sgpr5
                                        ; implicit-def: $sgpr13
	s_delay_alu instid0(VALU_DEP_1)
	s_and_b32 vcc_lo, exec_lo, s4
	s_mov_b32 s4, -1
	s_cbranch_vccnz .LBB71_191
; %bb.186:                              ;   in Loop: Header=BB71_33 Depth=1
	ds_load_b64 v[2:3], v13 offset:5120
	s_waitcnt lgkmcnt(0)
	v_cmp_ne_u64_e32 vcc_lo, 0, v[2:3]
	s_cbranch_vccnz .LBB71_190
; %bb.187:                              ;   in Loop: Header=BB71_33 Depth=1
	s_and_saveexec_b32 s4, s0
	s_cbranch_execz .LBB71_189
; %bb.188:                              ;   in Loop: Header=BB71_33 Depth=1
	v_dual_mov_b32 v2, s10 :: v_dual_mov_b32 v3, s11
	ds_store_b64 v13, v[2:3] offset:5128
.LBB71_189:                             ;   in Loop: Header=BB71_33 Depth=1
	s_or_b32 exec_lo, exec_lo, s4
	s_waitcnt lgkmcnt(0)
	s_barrier
	buffer_gl0_inv
.LBB71_190:                             ;   in Loop: Header=BB71_33 Depth=1
	s_lshl_b32 s4, 1, s17
	s_and_b32 s5, s98, s18
	s_or_b32 s13, s97, s16
	s_or_b32 s5, s5, s4
	s_mov_b32 s4, 0
	s_mov_b32 s54, 8
.LBB71_191:                             ;   in Loop: Header=BB71_33 Depth=1
	s_and_not1_b32 vcc_lo, exec_lo, s4
	s_cbranch_vccnz .LBB71_193
; %bb.192:                              ;   in Loop: Header=BB71_33 Depth=1
	s_sub_u32 s26, s26, s10
	s_subb_u32 s27, s27, s11
	s_mov_b32 s4, -1
	s_mov_b32 s54, 0
	s_mov_b32 s5, s98
	;; [unrolled: 1-line block ×3, first 2 shown]
.LBB71_193:                             ;   in Loop: Header=BB71_33 Depth=1
	s_delay_alu instid0(SALU_CYCLE_1)
	s_mov_b32 s97, s13
	s_mov_b32 s98, s5
	s_and_not1_b32 vcc_lo, exec_lo, s4
	s_mov_b32 s5, -1
	s_cbranch_vccz .LBB71_196
.LBB71_194:                             ;   in Loop: Header=BB71_33 Depth=1
                                        ; implicit-def: $sgpr22
                                        ; implicit-def: $sgpr23
                                        ; implicit-def: $sgpr13
	s_branch .LBB71_293
.LBB71_195:                             ;   in Loop: Header=BB71_33 Depth=1
	s_mov_b64 s[26:27], 1
	s_mov_b32 s5, -1
	s_cbranch_execnz .LBB71_194
.LBB71_196:                             ;   in Loop: Header=BB71_33 Depth=1
	s_cmp_eq_u64 s[8:9], 1
	s_cselect_b32 s4, -1, 0
	s_cmp_eq_u64 s[26:27], 1
	s_cselect_b32 s5, -1, 0
	s_delay_alu instid0(SALU_CYCLE_1)
	s_and_b32 s48, s4, s5
	s_mov_b32 s4, -1
	s_and_b32 vcc_lo, exec_lo, s48
	s_cbranch_vccz .LBB71_211
; %bb.197:                              ;   in Loop: Header=BB71_33 Depth=1
	ds_load_b64 v[2:3], v13 offset:5120
	s_waitcnt lgkmcnt(0)
	s_barrier
	buffer_gl0_inv
	v_readfirstlane_b32 s10, v2
	v_readfirstlane_b32 s11, v3
	s_and_saveexec_b32 s4, s3
	s_cbranch_execz .LBB71_199
; %bb.198:                              ;   in Loop: Header=BB71_33 Depth=1
	ds_store_b16 v42, v13
.LBB71_199:                             ;   in Loop: Header=BB71_33 Depth=1
	s_or_b32 exec_lo, exec_lo, s4
	s_delay_alu instid0(VALU_DEP_1)
	v_cmp_gt_i64_e64 s13, s[10:11], 0
	s_lshl_b32 s4, 2, s17
	s_and_b32 s5, s98, s18
	s_or_b32 s97, s97, s16
	s_or_b32 s98, s5, s4
	s_waitcnt lgkmcnt(0)
	s_and_b32 vcc_lo, exec_lo, s13
	s_barrier
	buffer_gl0_inv
	s_cbranch_vccnz .LBB71_214
; %bb.200:                              ;   in Loop: Header=BB71_33 Depth=1
	s_mov_b32 s54, s49
	s_delay_alu instid0(SALU_CYCLE_1)
	s_cmp_lg_u64 s[54:55], 0
	s_cbranch_scc0 .LBB71_259
; %bb.201:                              ;   in Loop: Header=BB71_33 Depth=1
	v_cvt_f32_u32_e32 v2, s33
	s_sub_u32 s13, 0, s33
	s_subb_u32 s22, 0, 0
	s_delay_alu instid0(VALU_DEP_1) | instskip(NEXT) | instid1(VALU_DEP_1)
	v_fmac_f32_e32 v2, 0x4f800000, v50
	v_rcp_f32_e32 v2, v2
	s_waitcnt_depctr 0xfff
	v_mul_f32_e32 v2, 0x5f7ffffc, v2
	s_delay_alu instid0(VALU_DEP_1) | instskip(NEXT) | instid1(VALU_DEP_1)
	v_mul_f32_e32 v3, 0x2f800000, v2
	v_trunc_f32_e32 v3, v3
	s_delay_alu instid0(VALU_DEP_1) | instskip(SKIP_1) | instid1(VALU_DEP_2)
	v_fmac_f32_e32 v2, 0xcf800000, v3
	v_cvt_u32_f32_e32 v3, v3
	v_cvt_u32_f32_e32 v2, v2
	s_delay_alu instid0(VALU_DEP_2) | instskip(NEXT) | instid1(VALU_DEP_2)
	v_readfirstlane_b32 s4, v3
	v_readfirstlane_b32 s5, v2
	s_delay_alu instid0(VALU_DEP_2) | instskip(NEXT) | instid1(VALU_DEP_1)
	s_mul_i32 s23, s13, s4
	s_mul_hi_u32 s64, s13, s5
	s_mul_i32 s54, s22, s5
	s_add_i32 s23, s64, s23
	s_mul_i32 s65, s13, s5
	s_add_i32 s23, s23, s54
	s_mul_hi_u32 s64, s5, s65
	s_mul_hi_u32 s66, s4, s65
	s_mul_i32 s54, s4, s65
	s_mul_hi_u32 s65, s5, s23
	s_mul_i32 s5, s5, s23
	s_mul_hi_u32 s67, s4, s23
	s_add_u32 s5, s64, s5
	s_addc_u32 s64, 0, s65
	s_add_u32 s5, s5, s54
	s_mul_i32 s23, s4, s23
	s_addc_u32 s5, s64, s66
	s_addc_u32 s54, s67, 0
	s_add_u32 s5, s5, s23
	s_addc_u32 s23, 0, s54
	v_add_co_u32 v2, s5, v2, s5
	s_delay_alu instid0(VALU_DEP_1) | instskip(SKIP_1) | instid1(VALU_DEP_1)
	s_cmp_lg_u32 s5, 0
	s_addc_u32 s4, s4, s23
	v_readfirstlane_b32 s5, v2
	s_mul_i32 s23, s13, s4
	s_delay_alu instid0(VALU_DEP_1)
	s_mul_hi_u32 s54, s13, s5
	s_mul_i32 s22, s22, s5
	s_add_i32 s23, s54, s23
	s_mul_i32 s13, s13, s5
	s_add_i32 s23, s23, s22
	s_mul_hi_u32 s54, s4, s13
	s_mul_i32 s64, s4, s13
	s_mul_hi_u32 s13, s5, s13
	s_mul_hi_u32 s65, s5, s23
	s_mul_i32 s5, s5, s23
	s_mul_hi_u32 s22, s4, s23
	s_add_u32 s5, s13, s5
	s_addc_u32 s13, 0, s65
	s_add_u32 s5, s5, s64
	s_mul_i32 s23, s4, s23
	s_addc_u32 s5, s13, s54
	s_addc_u32 s13, s22, 0
	s_add_u32 s5, s5, s23
	s_addc_u32 s13, 0, s13
	v_add_co_u32 v2, s5, v2, s5
	s_delay_alu instid0(VALU_DEP_1) | instskip(SKIP_2) | instid1(VALU_DEP_1)
	s_cmp_lg_u32 s5, 0
	s_addc_u32 s13, s4, s13
	s_ashr_i32 s22, s55, 31
	v_readfirstlane_b32 s54, v2
	s_add_u32 s4, s80, s22
	s_mov_b32 s23, s22
	s_addc_u32 s5, s55, s22
	s_delay_alu instid0(SALU_CYCLE_1) | instskip(NEXT) | instid1(SALU_CYCLE_1)
	s_xor_b64 s[4:5], s[4:5], s[22:23]
	s_mul_i32 s64, s4, s13
	s_mul_hi_u32 s65, s4, s54
	s_mul_hi_u32 s23, s4, s13
	;; [unrolled: 1-line block ×3, first 2 shown]
	s_mul_i32 s54, s5, s54
	s_add_u32 s64, s65, s64
	s_addc_u32 s23, 0, s23
	s_mul_hi_u32 s66, s5, s13
	s_add_u32 s54, s64, s54
	s_mul_i32 s13, s5, s13
	s_addc_u32 s23, s23, s67
	s_addc_u32 s54, s66, 0
	s_add_u32 s13, s23, s13
	s_addc_u32 s23, 0, s54
	s_mul_hi_u32 s54, s33, s13
	s_mul_i32 s13, s33, s13
	s_mul_i32 s23, s33, s23
	v_sub_co_u32 v2, s4, s4, s13
	s_add_i32 s54, s54, s23
	s_cmp_lg_u32 s4, 0
	s_delay_alu instid0(VALU_DEP_1) | instskip(SKIP_2) | instid1(VALU_DEP_1)
	v_sub_co_u32 v3, s4, v2, s33
	s_subb_u32 s5, s5, s54
	s_cmp_lg_u32 s4, 0
	v_cmp_le_u32_e32 vcc_lo, s33, v3
	v_sub_co_u32 v4, s4, v3, s33
	s_subb_u32 s13, s5, 0
	s_cmp_lg_u32 s4, 0
	v_cndmask_b32_e64 v5, 0, -1, vcc_lo
	s_subb_u32 s4, s13, 0
	s_cmp_eq_u32 s13, 0
	v_mov_b32_e32 v7, s4
	s_cselect_b32 vcc_lo, -1, 0
	s_cmp_eq_u32 s5, 0
	v_cndmask_b32_e32 v5, -1, v5, vcc_lo
	v_cmp_le_u32_e32 vcc_lo, s33, v2
	s_cselect_b32 s4, -1, 0
	v_cndmask_b32_e64 v6, 0, -1, vcc_lo
	s_delay_alu instid0(VALU_DEP_3) | instskip(NEXT) | instid1(VALU_DEP_2)
	v_cmp_ne_u32_e32 vcc_lo, 0, v5
	v_cndmask_b32_e64 v5, -1, v6, s4
	v_cndmask_b32_e32 v3, v3, v4, vcc_lo
	v_cndmask_b32_e32 v6, s13, v7, vcc_lo
	s_delay_alu instid0(VALU_DEP_3) | instskip(NEXT) | instid1(VALU_DEP_3)
	v_cmp_ne_u32_e32 vcc_lo, 0, v5
	v_cndmask_b32_e32 v2, v2, v3, vcc_lo
	s_delay_alu instid0(VALU_DEP_3) | instskip(NEXT) | instid1(VALU_DEP_2)
	v_cndmask_b32_e32 v4, s5, v6, vcc_lo
	v_xor_b32_e32 v2, s22, v2
	s_delay_alu instid0(VALU_DEP_2) | instskip(NEXT) | instid1(VALU_DEP_2)
	v_xor_b32_e32 v3, s22, v4
	v_sub_co_u32 v2, vcc_lo, v2, s22
	s_delay_alu instid0(VALU_DEP_2)
	v_subrev_co_ci_u32_e32 v3, vcc_lo, s22, v3, vcc_lo
	s_cbranch_execnz .LBB71_203
.LBB71_202:                             ;   in Loop: Header=BB71_33 Depth=1
	v_cvt_f32_u32_e32 v2, s33
	s_sub_i32 s4, 0, s33
	s_delay_alu instid0(VALU_DEP_1) | instskip(SKIP_2) | instid1(VALU_DEP_1)
	v_rcp_iflag_f32_e32 v2, v2
	s_waitcnt_depctr 0xfff
	v_mul_f32_e32 v2, 0x4f7ffffe, v2
	v_cvt_u32_f32_e32 v2, v2
	s_delay_alu instid0(VALU_DEP_1) | instskip(NEXT) | instid1(VALU_DEP_1)
	v_mul_lo_u32 v3, s4, v2
	v_mul_hi_u32 v3, v2, v3
	s_delay_alu instid0(VALU_DEP_1) | instskip(NEXT) | instid1(VALU_DEP_1)
	v_add_nc_u32_e32 v2, v2, v3
	v_mul_hi_u32 v2, s80, v2
	s_delay_alu instid0(VALU_DEP_1) | instskip(NEXT) | instid1(VALU_DEP_1)
	v_mul_lo_u32 v2, v2, s33
	v_sub_nc_u32_e32 v2, s80, v2
	s_delay_alu instid0(VALU_DEP_1) | instskip(SKIP_1) | instid1(VALU_DEP_2)
	v_subrev_nc_u32_e32 v3, s33, v2
	v_cmp_le_u32_e32 vcc_lo, s33, v2
	v_cndmask_b32_e32 v2, v2, v3, vcc_lo
	s_delay_alu instid0(VALU_DEP_1) | instskip(SKIP_1) | instid1(VALU_DEP_2)
	v_subrev_nc_u32_e32 v3, s33, v2
	v_cmp_le_u32_e32 vcc_lo, s33, v2
	v_cndmask_b32_e32 v12, v2, v3, vcc_lo
	s_delay_alu instid0(VALU_DEP_1)
	v_dual_mov_b32 v2, v12 :: v_dual_mov_b32 v3, v13
.LBB71_203:                             ;   in Loop: Header=BB71_33 Depth=1
	s_delay_alu instid0(VALU_DEP_1) | instskip(NEXT) | instid1(VALU_DEP_2)
	v_sub_co_u32 v2, vcc_lo, s80, v2
	v_sub_co_ci_u32_e32 v3, vcc_lo, s55, v3, vcc_lo
	s_mov_b32 s4, 0
	s_mov_b32 s5, exec_lo
                                        ; implicit-def: $vgpr51
	s_delay_alu instid0(VALU_DEP_1)
	v_cmpx_gt_i64_e64 v[2:3], v[0:1]
	s_cbranch_execz .LBB71_216
; %bb.204:                              ;   in Loop: Header=BB71_33 Depth=1
	v_dual_mov_b32 v4, v10 :: v_dual_mov_b32 v5, v11
	v_dual_mov_b32 v7, v1 :: v_dual_mov_b32 v6, v0
	s_mov_b32 s13, 0
                                        ; implicit-def: $sgpr22
	s_branch .LBB71_206
.LBB71_205:                             ;   in Loop: Header=BB71_206 Depth=2
	s_or_b32 exec_lo, exec_lo, s4
	s_waitcnt vmcnt(0) lgkmcnt(0)
	s_barrier
	buffer_gl0_inv
	ds_load_b32 v8, v13 offset:3072
	v_add_co_u32 v6, vcc_lo, v6, s33
	v_add_co_ci_u32_e32 v7, vcc_lo, 0, v7, vcc_lo
	s_waitcnt lgkmcnt(0)
	s_barrier
	buffer_gl0_inv
	v_cmp_ge_i64_e32 vcc_lo, v[6:7], v[2:3]
	v_and_b32_e32 v9, 0x7fff, v8
	s_delay_alu instid0(VALU_DEP_1) | instskip(NEXT) | instid1(VALU_DEP_1)
	v_cmp_ne_u16_e64 s4, 0, v9
	s_or_b32 s23, s4, vcc_lo
	v_add_co_u32 v4, vcc_lo, v4, s50
	s_and_b32 s23, exec_lo, s23
	v_add_co_ci_u32_e32 v5, vcc_lo, s51, v5, vcc_lo
	s_or_b32 s13, s23, s13
	s_and_not1_b32 s22, s22, exec_lo
	s_and_b32 s4, s4, exec_lo
	s_delay_alu instid0(SALU_CYCLE_1)
	s_or_b32 s22, s22, s4
	s_and_not1_b32 exec_lo, exec_lo, s13
	s_cbranch_execz .LBB71_215
.LBB71_206:                             ;   Parent Loop BB71_33 Depth=1
                                        ; =>  This Inner Loop Header: Depth=2
	s_delay_alu instid0(VALU_DEP_1)
	v_cmp_gt_i64_e32 vcc_lo, s[24:25], v[6:7]
	v_mov_b32_e32 v8, 0
	s_and_saveexec_b32 s4, vcc_lo
	s_cbranch_execz .LBB71_208
; %bb.207:                              ;   in Loop: Header=BB71_206 Depth=2
	global_load_u16 v8, v[4:5], off
.LBB71_208:                             ;   in Loop: Header=BB71_206 Depth=2
	s_or_b32 exec_lo, exec_lo, s4
	s_and_saveexec_b32 s4, vcc_lo
	s_cbranch_execz .LBB71_205
; %bb.209:                              ;   in Loop: Header=BB71_206 Depth=2
	s_waitcnt vmcnt(0)
	v_cmp_lt_i16_e32 vcc_lo, -1, v8
	v_dual_cndmask_b32 v12, 0xffff, v49 :: v_dual_and_b32 v9, 0xffff, v8
	s_delay_alu instid0(VALU_DEP_1) | instskip(SKIP_1) | instid1(VALU_DEP_1)
	v_xor_b32_e32 v9, v12, v9
	v_lshlrev_b32_e32 v26, 16, v8
	v_cmp_o_f32_e32 vcc_lo, v26, v26
	s_delay_alu instid0(VALU_DEP_3) | instskip(NEXT) | instid1(VALU_DEP_1)
	v_cndmask_b32_e32 v9, 0xffff, v9, vcc_lo
	v_and_b32_e32 v9, s97, v9
	s_delay_alu instid0(VALU_DEP_1)
	v_cmp_eq_u32_e32 vcc_lo, s98, v9
	s_and_b32 exec_lo, exec_lo, vcc_lo
	s_cbranch_execz .LBB71_205
; %bb.210:                              ;   in Loop: Header=BB71_206 Depth=2
	v_perm_b32 v8, v8, s87, 0x5040100
	ds_store_b32 v13, v8 offset:3072
	s_branch .LBB71_205
.LBB71_211:                             ;   in Loop: Header=BB71_33 Depth=1
                                        ; implicit-def: $sgpr13
                                        ; implicit-def: $sgpr23
                                        ; implicit-def: $sgpr22
	s_branch .LBB71_230
.LBB71_212:                             ;   in Loop: Header=BB71_33 Depth=1
                                        ; implicit-def: $vgpr2_vgpr3
	s_branch .LBB71_155
.LBB71_213:                             ;   in Loop: Header=BB71_33 Depth=1
                                        ; implicit-def: $vgpr2_vgpr3
	s_branch .LBB71_172
.LBB71_214:                             ;   in Loop: Header=BB71_33 Depth=1
	s_mov_b32 s13, -1
	s_mov_b32 s4, 0
                                        ; implicit-def: $sgpr22
                                        ; implicit-def: $vgpr51
	s_mov_b32 s23, s13
	s_cbranch_execnz .LBB71_217
	s_branch .LBB71_230
.LBB71_215:                             ;   in Loop: Header=BB71_33 Depth=1
	s_or_b32 exec_lo, exec_lo, s13
	v_lshrrev_b32_e32 v51, 16, v8
	s_and_b32 s4, s22, exec_lo
.LBB71_216:                             ;   in Loop: Header=BB71_33 Depth=1
	s_or_b32 exec_lo, exec_lo, s5
	s_mov_b32 s22, -1
	s_mov_b32 s13, 0
	s_delay_alu instid0(SALU_CYCLE_1)
	s_mov_b32 s23, s13
	s_branch .LBB71_230
.LBB71_217:                             ;   in Loop: Header=BB71_33 Depth=1
	s_add_u32 s13, s78, s10
	s_addc_u32 s5, s79, s11
	s_mov_b32 s4, s49
	s_delay_alu instid0(SALU_CYCLE_1)
	s_cmp_lg_u64 s[4:5], 0
	s_cbranch_scc0 .LBB71_260
; %bb.218:                              ;   in Loop: Header=BB71_33 Depth=1
	v_cvt_f32_u32_e32 v2, s33
	s_sub_u32 s23, 0, s33
	s_subb_u32 s54, 0, 0
	s_delay_alu instid0(VALU_DEP_1) | instskip(NEXT) | instid1(VALU_DEP_1)
	v_fmac_f32_e32 v2, 0x4f800000, v50
	v_rcp_f32_e32 v2, v2
	s_waitcnt_depctr 0xfff
	v_mul_f32_e32 v2, 0x5f7ffffc, v2
	s_delay_alu instid0(VALU_DEP_1) | instskip(NEXT) | instid1(VALU_DEP_1)
	v_mul_f32_e32 v3, 0x2f800000, v2
	v_trunc_f32_e32 v3, v3
	s_delay_alu instid0(VALU_DEP_1) | instskip(SKIP_1) | instid1(VALU_DEP_2)
	v_fmac_f32_e32 v2, 0xcf800000, v3
	v_cvt_u32_f32_e32 v3, v3
	v_cvt_u32_f32_e32 v2, v2
	s_delay_alu instid0(VALU_DEP_2) | instskip(NEXT) | instid1(VALU_DEP_2)
	v_readfirstlane_b32 s4, v3
	v_readfirstlane_b32 s22, v2
	s_delay_alu instid0(VALU_DEP_2) | instskip(NEXT) | instid1(VALU_DEP_1)
	s_mul_i32 s64, s23, s4
	s_mul_hi_u32 s66, s23, s22
	s_mul_i32 s65, s54, s22
	s_add_i32 s64, s66, s64
	s_mul_i32 s67, s23, s22
	s_add_i32 s64, s64, s65
	s_mul_hi_u32 s66, s22, s67
	s_mul_hi_u32 s68, s4, s67
	s_mul_i32 s65, s4, s67
	s_mul_hi_u32 s67, s22, s64
	s_mul_i32 s22, s22, s64
	s_mul_hi_u32 s69, s4, s64
	s_add_u32 s22, s66, s22
	s_addc_u32 s66, 0, s67
	s_add_u32 s22, s22, s65
	s_mul_i32 s64, s4, s64
	s_addc_u32 s22, s66, s68
	s_addc_u32 s65, s69, 0
	s_add_u32 s22, s22, s64
	s_addc_u32 s64, 0, s65
	v_add_co_u32 v2, s22, v2, s22
	s_delay_alu instid0(VALU_DEP_1) | instskip(SKIP_1) | instid1(VALU_DEP_1)
	s_cmp_lg_u32 s22, 0
	s_addc_u32 s4, s4, s64
	v_readfirstlane_b32 s22, v2
	s_mul_i32 s64, s23, s4
	s_delay_alu instid0(VALU_DEP_1)
	s_mul_hi_u32 s65, s23, s22
	s_mul_i32 s54, s54, s22
	s_add_i32 s64, s65, s64
	s_mul_i32 s23, s23, s22
	s_add_i32 s64, s64, s54
	s_mul_hi_u32 s65, s4, s23
	s_mul_i32 s66, s4, s23
	s_mul_hi_u32 s23, s22, s23
	s_mul_hi_u32 s67, s22, s64
	s_mul_i32 s22, s22, s64
	s_mul_hi_u32 s54, s4, s64
	s_add_u32 s22, s23, s22
	s_addc_u32 s23, 0, s67
	s_add_u32 s22, s22, s66
	s_mul_i32 s64, s4, s64
	s_addc_u32 s22, s23, s65
	s_addc_u32 s23, s54, 0
	s_add_u32 s22, s22, s64
	s_addc_u32 s23, 0, s23
	v_add_co_u32 v2, s22, v2, s22
	s_delay_alu instid0(VALU_DEP_1) | instskip(SKIP_2) | instid1(VALU_DEP_1)
	s_cmp_lg_u32 s22, 0
	s_addc_u32 s4, s4, s23
	s_ashr_i32 s22, s5, 31
	v_readfirstlane_b32 s54, v2
	s_add_u32 s64, s13, s22
	s_mov_b32 s23, s22
	s_addc_u32 s65, s5, s22
	s_delay_alu instid0(SALU_CYCLE_1) | instskip(NEXT) | instid1(SALU_CYCLE_1)
	s_xor_b64 s[64:65], s[64:65], s[22:23]
	s_mul_i32 s66, s64, s4
	s_mul_hi_u32 s67, s64, s54
	s_mul_hi_u32 s23, s64, s4
	;; [unrolled: 1-line block ×3, first 2 shown]
	s_mul_i32 s54, s65, s54
	s_add_u32 s66, s67, s66
	s_addc_u32 s23, 0, s23
	s_mul_hi_u32 s68, s65, s4
	s_add_u32 s54, s66, s54
	s_mul_i32 s4, s65, s4
	s_addc_u32 s23, s23, s69
	s_addc_u32 s54, s68, 0
	s_add_u32 s4, s23, s4
	s_addc_u32 s23, 0, s54
	s_mul_hi_u32 s54, s33, s4
	s_mul_i32 s4, s33, s4
	s_mul_i32 s23, s33, s23
	v_sub_co_u32 v2, s4, s64, s4
	s_add_i32 s54, s54, s23
	s_cmp_lg_u32 s4, 0
	s_delay_alu instid0(VALU_DEP_1) | instskip(SKIP_2) | instid1(VALU_DEP_1)
	v_sub_co_u32 v3, s4, v2, s33
	s_subb_u32 s23, s65, s54
	s_cmp_lg_u32 s4, 0
	v_cmp_le_u32_e32 vcc_lo, s33, v3
	v_sub_co_u32 v4, s4, v3, s33
	s_subb_u32 s54, s23, 0
	s_cmp_lg_u32 s4, 0
	v_cndmask_b32_e64 v5, 0, -1, vcc_lo
	s_subb_u32 s4, s54, 0
	s_cmp_eq_u32 s54, 0
	v_mov_b32_e32 v7, s4
	s_cselect_b32 vcc_lo, -1, 0
	s_cmp_eq_u32 s23, 0
	v_cndmask_b32_e32 v5, -1, v5, vcc_lo
	v_cmp_le_u32_e32 vcc_lo, s33, v2
	s_cselect_b32 s4, -1, 0
	v_cndmask_b32_e64 v6, 0, -1, vcc_lo
	s_delay_alu instid0(VALU_DEP_3) | instskip(NEXT) | instid1(VALU_DEP_2)
	v_cmp_ne_u32_e32 vcc_lo, 0, v5
	v_cndmask_b32_e64 v5, -1, v6, s4
	v_cndmask_b32_e32 v3, v3, v4, vcc_lo
	v_cndmask_b32_e32 v6, s54, v7, vcc_lo
	s_delay_alu instid0(VALU_DEP_3) | instskip(NEXT) | instid1(VALU_DEP_3)
	v_cmp_ne_u32_e32 vcc_lo, 0, v5
	v_cndmask_b32_e32 v2, v2, v3, vcc_lo
	s_delay_alu instid0(VALU_DEP_3) | instskip(NEXT) | instid1(VALU_DEP_2)
	v_cndmask_b32_e32 v4, s23, v6, vcc_lo
	v_xor_b32_e32 v2, s22, v2
	s_delay_alu instid0(VALU_DEP_2) | instskip(NEXT) | instid1(VALU_DEP_2)
	v_xor_b32_e32 v3, s22, v4
	v_sub_co_u32 v2, vcc_lo, v2, s22
	s_delay_alu instid0(VALU_DEP_2)
	v_subrev_co_ci_u32_e32 v3, vcc_lo, s22, v3, vcc_lo
	s_cbranch_execnz .LBB71_220
.LBB71_219:                             ;   in Loop: Header=BB71_33 Depth=1
	v_cvt_f32_u32_e32 v2, s33
	s_sub_i32 s4, 0, s33
	s_delay_alu instid0(VALU_DEP_1) | instskip(SKIP_2) | instid1(VALU_DEP_1)
	v_rcp_iflag_f32_e32 v2, v2
	s_waitcnt_depctr 0xfff
	v_mul_f32_e32 v2, 0x4f7ffffe, v2
	v_cvt_u32_f32_e32 v2, v2
	s_delay_alu instid0(VALU_DEP_1) | instskip(NEXT) | instid1(VALU_DEP_1)
	v_mul_lo_u32 v3, s4, v2
	v_mul_hi_u32 v3, v2, v3
	s_delay_alu instid0(VALU_DEP_1) | instskip(NEXT) | instid1(VALU_DEP_1)
	v_add_nc_u32_e32 v2, v2, v3
	v_mul_hi_u32 v2, s13, v2
	s_delay_alu instid0(VALU_DEP_1) | instskip(NEXT) | instid1(VALU_DEP_1)
	v_mul_lo_u32 v2, v2, s33
	v_sub_nc_u32_e32 v2, s13, v2
	s_delay_alu instid0(VALU_DEP_1) | instskip(SKIP_1) | instid1(VALU_DEP_2)
	v_subrev_nc_u32_e32 v3, s33, v2
	v_cmp_le_u32_e32 vcc_lo, s33, v2
	v_cndmask_b32_e32 v2, v2, v3, vcc_lo
	s_delay_alu instid0(VALU_DEP_1) | instskip(SKIP_1) | instid1(VALU_DEP_2)
	v_subrev_nc_u32_e32 v3, s33, v2
	v_cmp_le_u32_e32 vcc_lo, s33, v2
	v_cndmask_b32_e32 v12, v2, v3, vcc_lo
	s_delay_alu instid0(VALU_DEP_1)
	v_dual_mov_b32 v2, v12 :: v_dual_mov_b32 v3, v13
.LBB71_220:                             ;   in Loop: Header=BB71_33 Depth=1
	s_delay_alu instid0(VALU_DEP_1) | instskip(NEXT) | instid1(VALU_DEP_2)
	v_sub_co_u32 v2, vcc_lo, s13, v2
	v_sub_co_ci_u32_e32 v3, vcc_lo, s5, v3, vcc_lo
	s_mov_b32 s4, 0
	s_mov_b32 s5, exec_lo
                                        ; implicit-def: $vgpr51
	s_delay_alu instid0(VALU_DEP_1)
	v_cmpx_gt_i64_e64 v[2:3], v[0:1]
	s_cbranch_execz .LBB71_229
; %bb.221:                              ;   in Loop: Header=BB71_33 Depth=1
	v_mov_b32_e32 v6, v41
	v_dual_mov_b32 v5, v1 :: v_dual_mov_b32 v4, v0
	s_mov_b32 s13, 0
                                        ; implicit-def: $sgpr22
	s_branch .LBB71_223
.LBB71_222:                             ;   in Loop: Header=BB71_223 Depth=2
	s_or_b32 exec_lo, exec_lo, s4
	s_waitcnt lgkmcnt(0)
	s_barrier
	buffer_gl0_inv
	ds_load_b32 v7, v13 offset:3072
	v_add_co_u32 v4, vcc_lo, v4, s33
	v_add_co_ci_u32_e32 v5, vcc_lo, 0, v5, vcc_lo
	v_add_nc_u32_e32 v6, s86, v6
	s_waitcnt lgkmcnt(0)
	s_barrier
	s_delay_alu instid0(VALU_DEP_2) | instskip(SKIP_2) | instid1(VALU_DEP_1)
	v_cmp_ge_i64_e32 vcc_lo, v[4:5], v[2:3]
	buffer_gl0_inv
	v_and_b32_e32 v8, 0x7fff, v7
	v_cmp_ne_u16_e64 s4, 0, v8
	s_delay_alu instid0(VALU_DEP_1) | instskip(NEXT) | instid1(SALU_CYCLE_1)
	s_or_b32 s23, s4, vcc_lo
	s_and_b32 s23, exec_lo, s23
	s_delay_alu instid0(SALU_CYCLE_1) | instskip(SKIP_2) | instid1(SALU_CYCLE_1)
	s_or_b32 s13, s23, s13
	s_and_not1_b32 s22, s22, exec_lo
	s_and_b32 s4, s4, exec_lo
	s_or_b32 s22, s22, s4
	s_and_not1_b32 exec_lo, exec_lo, s13
	s_cbranch_execz .LBB71_228
.LBB71_223:                             ;   Parent Loop BB71_33 Depth=1
                                        ; =>  This Inner Loop Header: Depth=2
	s_delay_alu instid0(VALU_DEP_1)
	v_cmp_gt_i64_e32 vcc_lo, s[10:11], v[4:5]
	v_mov_b32_e32 v7, 0
	s_and_saveexec_b32 s4, vcc_lo
	s_cbranch_execz .LBB71_225
; %bb.224:                              ;   in Loop: Header=BB71_223 Depth=2
	ds_load_u16 v7, v6
.LBB71_225:                             ;   in Loop: Header=BB71_223 Depth=2
	s_or_b32 exec_lo, exec_lo, s4
	s_and_saveexec_b32 s4, vcc_lo
	s_cbranch_execz .LBB71_222
; %bb.226:                              ;   in Loop: Header=BB71_223 Depth=2
	s_waitcnt lgkmcnt(0)
	v_cmp_lt_i16_e32 vcc_lo, -1, v7
	v_and_b32_e32 v8, 0xffff, v7
	v_dual_cndmask_b32 v9, 0xffff, v49 :: v_dual_lshlrev_b32 v12, 16, v7
	s_delay_alu instid0(VALU_DEP_1) | instskip(NEXT) | instid1(VALU_DEP_2)
	v_cmp_o_f32_e32 vcc_lo, v12, v12
	v_xor_b32_e32 v8, v9, v8
	s_delay_alu instid0(VALU_DEP_1) | instskip(NEXT) | instid1(VALU_DEP_1)
	v_cndmask_b32_e32 v8, 0xffff, v8, vcc_lo
	v_and_b32_e32 v8, s97, v8
	s_delay_alu instid0(VALU_DEP_1)
	v_cmp_eq_u32_e32 vcc_lo, s98, v8
	s_and_b32 exec_lo, exec_lo, vcc_lo
	s_cbranch_execz .LBB71_222
; %bb.227:                              ;   in Loop: Header=BB71_223 Depth=2
	v_perm_b32 v7, v7, s87, 0x5040100
	ds_store_b32 v13, v7 offset:3072
	s_branch .LBB71_222
.LBB71_228:                             ;   in Loop: Header=BB71_33 Depth=1
	s_or_b32 exec_lo, exec_lo, s13
	v_lshrrev_b32_e32 v51, 16, v7
	s_and_b32 s4, s22, exec_lo
.LBB71_229:                             ;   in Loop: Header=BB71_33 Depth=1
	s_or_b32 exec_lo, exec_lo, s5
	s_mov_b32 s23, -1
	s_mov_b32 s13, 0
	s_mov_b32 s22, 0
.LBB71_230:                             ;   in Loop: Header=BB71_33 Depth=1
	s_mov_b32 s5, 0
                                        ; implicit-def: $sgpr54
	s_and_saveexec_b32 s10, s4
	s_cbranch_execz .LBB71_292
; %bb.231:                              ;   in Loop: Header=BB71_33 Depth=1
	s_xor_b32 s4, s48, -1
	s_mov_b32 s54, 1
	s_and_not1_b32 vcc_lo, exec_lo, s4
	s_cbranch_vccnz .LBB71_242
; %bb.232:                              ;   in Loop: Header=BB71_33 Depth=1
	v_cmp_gt_i64_e64 s4, s[26:27], s[8:9]
                                        ; implicit-def: $sgpr54
                                        ; implicit-def: $sgpr5
                                        ; implicit-def: $sgpr11
	s_delay_alu instid0(VALU_DEP_1)
	s_and_b32 vcc_lo, exec_lo, s4
	s_mov_b32 s4, -1
	s_cbranch_vccnz .LBB71_238
; %bb.233:                              ;   in Loop: Header=BB71_33 Depth=1
	ds_load_b64 v[2:3], v13 offset:5120
	s_waitcnt lgkmcnt(0)
	v_cmp_ne_u64_e32 vcc_lo, 0, v[2:3]
	s_cbranch_vccnz .LBB71_237
; %bb.234:                              ;   in Loop: Header=BB71_33 Depth=1
	s_and_saveexec_b32 s4, s0
	s_cbranch_execz .LBB71_236
; %bb.235:                              ;   in Loop: Header=BB71_33 Depth=1
	v_dual_mov_b32 v2, s8 :: v_dual_mov_b32 v3, s9
	ds_store_b64 v13, v[2:3] offset:5128
.LBB71_236:                             ;   in Loop: Header=BB71_33 Depth=1
	s_or_b32 exec_lo, exec_lo, s4
	s_waitcnt lgkmcnt(0)
	s_barrier
	buffer_gl0_inv
.LBB71_237:                             ;   in Loop: Header=BB71_33 Depth=1
	s_lshl_b32 s4, 2, s17
	s_and_b32 s5, s98, s18
	s_or_b32 s11, s97, s16
	s_or_b32 s5, s5, s4
	s_mov_b32 s4, 0
	s_mov_b32 s54, 8
.LBB71_238:                             ;   in Loop: Header=BB71_33 Depth=1
	s_and_not1_b32 vcc_lo, exec_lo, s4
	s_cbranch_vccnz .LBB71_240
; %bb.239:                              ;   in Loop: Header=BB71_33 Depth=1
	s_sub_u32 s26, s26, s8
	s_subb_u32 s27, s27, s9
	s_mov_b32 s4, -1
	s_mov_b32 s54, 0
	s_mov_b32 s5, s98
	;; [unrolled: 1-line block ×3, first 2 shown]
.LBB71_240:                             ;   in Loop: Header=BB71_33 Depth=1
	s_delay_alu instid0(SALU_CYCLE_1)
	s_mov_b32 s97, s11
	s_mov_b32 s98, s5
	s_and_not1_b32 vcc_lo, exec_lo, s4
	s_mov_b32 s9, -1
	s_cbranch_vccz .LBB71_243
.LBB71_241:                             ;   in Loop: Header=BB71_33 Depth=1
                                        ; implicit-def: $sgpr17
                                        ; implicit-def: $sgpr48
                                        ; implicit-def: $sgpr18
	s_branch .LBB71_291
.LBB71_242:                             ;   in Loop: Header=BB71_33 Depth=1
	s_mov_b64 s[26:27], 1
	s_mov_b32 s9, -1
	s_cbranch_execnz .LBB71_241
.LBB71_243:                             ;   in Loop: Header=BB71_33 Depth=1
	s_cmp_eq_u64 s[6:7], 1
	s_mov_b32 s64, -1
	s_cselect_b32 s4, -1, 0
	s_cmp_eq_u64 s[26:27], 1
	s_cselect_b32 s5, -1, 0
	s_delay_alu instid0(SALU_CYCLE_1) | instskip(NEXT) | instid1(SALU_CYCLE_1)
	s_and_b32 s11, s4, s5
	s_and_b32 vcc_lo, exec_lo, s11
	s_cbranch_vccz .LBB71_258
; %bb.244:                              ;   in Loop: Header=BB71_33 Depth=1
	ds_load_b64 v[2:3], v13 offset:5120
	s_waitcnt lgkmcnt(0)
	s_barrier
	buffer_gl0_inv
	v_readfirstlane_b32 s8, v2
	v_readfirstlane_b32 s9, v3
	s_and_saveexec_b32 s4, s3
	s_cbranch_execz .LBB71_246
; %bb.245:                              ;   in Loop: Header=BB71_33 Depth=1
	ds_store_b16 v42, v13
.LBB71_246:                             ;   in Loop: Header=BB71_33 Depth=1
	s_or_b32 exec_lo, exec_lo, s4
	s_delay_alu instid0(VALU_DEP_1)
	v_cmp_gt_i64_e64 s4, s[8:9], 0
	s_or_b32 s98, s98, s16
	s_or_b32 s97, s97, s16
	s_waitcnt lgkmcnt(0)
	s_barrier
	buffer_gl0_inv
	s_and_b32 vcc_lo, exec_lo, s4
	s_cbranch_vccnz .LBB71_261
; %bb.247:                              ;   in Loop: Header=BB71_33 Depth=1
	s_mov_b32 s54, s49
	s_delay_alu instid0(SALU_CYCLE_1)
	s_cmp_lg_u64 s[54:55], 0
	s_cbranch_scc0 .LBB71_297
; %bb.248:                              ;   in Loop: Header=BB71_33 Depth=1
	v_cvt_f32_u32_e32 v2, s33
	s_sub_u32 s17, 0, s33
	s_subb_u32 s18, 0, 0
	s_delay_alu instid0(VALU_DEP_1) | instskip(NEXT) | instid1(VALU_DEP_1)
	v_fmac_f32_e32 v2, 0x4f800000, v50
	v_rcp_f32_e32 v2, v2
	s_waitcnt_depctr 0xfff
	v_mul_f32_e32 v2, 0x5f7ffffc, v2
	s_delay_alu instid0(VALU_DEP_1) | instskip(NEXT) | instid1(VALU_DEP_1)
	v_mul_f32_e32 v3, 0x2f800000, v2
	v_trunc_f32_e32 v3, v3
	s_delay_alu instid0(VALU_DEP_1) | instskip(SKIP_1) | instid1(VALU_DEP_2)
	v_fmac_f32_e32 v2, 0xcf800000, v3
	v_cvt_u32_f32_e32 v3, v3
	v_cvt_u32_f32_e32 v2, v2
	s_delay_alu instid0(VALU_DEP_2) | instskip(NEXT) | instid1(VALU_DEP_2)
	v_readfirstlane_b32 s4, v3
	v_readfirstlane_b32 s5, v2
	s_delay_alu instid0(VALU_DEP_2) | instskip(NEXT) | instid1(VALU_DEP_1)
	s_mul_i32 s48, s17, s4
	s_mul_hi_u32 s64, s17, s5
	s_mul_i32 s54, s18, s5
	s_add_i32 s48, s64, s48
	s_mul_i32 s65, s17, s5
	s_add_i32 s48, s48, s54
	s_mul_hi_u32 s64, s5, s65
	s_mul_hi_u32 s66, s4, s65
	s_mul_i32 s54, s4, s65
	s_mul_hi_u32 s65, s5, s48
	s_mul_i32 s5, s5, s48
	s_mul_hi_u32 s67, s4, s48
	s_add_u32 s5, s64, s5
	s_addc_u32 s64, 0, s65
	s_add_u32 s5, s5, s54
	s_mul_i32 s48, s4, s48
	s_addc_u32 s5, s64, s66
	s_addc_u32 s54, s67, 0
	s_add_u32 s5, s5, s48
	s_addc_u32 s48, 0, s54
	v_add_co_u32 v2, s5, v2, s5
	s_delay_alu instid0(VALU_DEP_1) | instskip(SKIP_1) | instid1(VALU_DEP_1)
	s_cmp_lg_u32 s5, 0
	s_addc_u32 s4, s4, s48
	v_readfirstlane_b32 s5, v2
	s_mul_i32 s48, s17, s4
	s_delay_alu instid0(VALU_DEP_1)
	s_mul_hi_u32 s54, s17, s5
	s_mul_i32 s18, s18, s5
	s_add_i32 s48, s54, s48
	s_mul_i32 s17, s17, s5
	s_add_i32 s48, s48, s18
	s_mul_hi_u32 s54, s4, s17
	s_mul_i32 s64, s4, s17
	s_mul_hi_u32 s17, s5, s17
	s_mul_hi_u32 s65, s5, s48
	s_mul_i32 s5, s5, s48
	s_mul_hi_u32 s18, s4, s48
	s_add_u32 s5, s17, s5
	s_addc_u32 s17, 0, s65
	s_add_u32 s5, s5, s64
	s_mul_i32 s48, s4, s48
	s_addc_u32 s5, s17, s54
	s_addc_u32 s17, s18, 0
	s_add_u32 s5, s5, s48
	s_addc_u32 s17, 0, s17
	v_add_co_u32 v2, s5, v2, s5
	s_delay_alu instid0(VALU_DEP_1) | instskip(SKIP_2) | instid1(VALU_DEP_1)
	s_cmp_lg_u32 s5, 0
	s_addc_u32 s17, s4, s17
	s_ashr_i32 s64, s55, 31
	v_readfirstlane_b32 s18, v2
	s_add_u32 s4, s80, s64
	s_mov_b32 s65, s64
	s_addc_u32 s5, s55, s64
	s_delay_alu instid0(SALU_CYCLE_1) | instskip(NEXT) | instid1(SALU_CYCLE_1)
	s_xor_b64 s[4:5], s[4:5], s[64:65]
	s_mul_i32 s54, s4, s17
	s_mul_hi_u32 s65, s4, s18
	s_mul_hi_u32 s48, s4, s17
	;; [unrolled: 1-line block ×3, first 2 shown]
	s_mul_i32 s18, s5, s18
	s_add_u32 s54, s65, s54
	s_addc_u32 s48, 0, s48
	s_mul_hi_u32 s66, s5, s17
	s_add_u32 s18, s54, s18
	s_mul_i32 s17, s5, s17
	s_addc_u32 s18, s48, s67
	s_addc_u32 s48, s66, 0
	s_add_u32 s17, s18, s17
	s_addc_u32 s18, 0, s48
	s_mul_hi_u32 s48, s33, s17
	s_mul_i32 s17, s33, s17
	s_mul_i32 s18, s33, s18
	v_sub_co_u32 v2, s4, s4, s17
	s_add_i32 s48, s48, s18
	s_cmp_lg_u32 s4, 0
	s_delay_alu instid0(VALU_DEP_1) | instskip(SKIP_2) | instid1(VALU_DEP_1)
	v_sub_co_u32 v3, s4, v2, s33
	s_subb_u32 s5, s5, s48
	s_cmp_lg_u32 s4, 0
	v_cmp_le_u32_e32 vcc_lo, s33, v3
	v_sub_co_u32 v4, s4, v3, s33
	s_subb_u32 s17, s5, 0
	s_cmp_lg_u32 s4, 0
	v_cndmask_b32_e64 v5, 0, -1, vcc_lo
	s_subb_u32 s4, s17, 0
	s_cmp_eq_u32 s17, 0
	v_mov_b32_e32 v7, s4
	s_cselect_b32 vcc_lo, -1, 0
	s_cmp_eq_u32 s5, 0
	v_cndmask_b32_e32 v5, -1, v5, vcc_lo
	v_cmp_le_u32_e32 vcc_lo, s33, v2
	s_cselect_b32 s4, -1, 0
	v_cndmask_b32_e64 v6, 0, -1, vcc_lo
	s_delay_alu instid0(VALU_DEP_3) | instskip(NEXT) | instid1(VALU_DEP_2)
	v_cmp_ne_u32_e32 vcc_lo, 0, v5
	v_cndmask_b32_e64 v5, -1, v6, s4
	v_cndmask_b32_e32 v3, v3, v4, vcc_lo
	v_cndmask_b32_e32 v6, s17, v7, vcc_lo
	s_delay_alu instid0(VALU_DEP_3) | instskip(NEXT) | instid1(VALU_DEP_3)
	v_cmp_ne_u32_e32 vcc_lo, 0, v5
	v_cndmask_b32_e32 v2, v2, v3, vcc_lo
	s_delay_alu instid0(VALU_DEP_3) | instskip(NEXT) | instid1(VALU_DEP_2)
	v_cndmask_b32_e32 v4, s5, v6, vcc_lo
	v_xor_b32_e32 v2, s64, v2
	s_delay_alu instid0(VALU_DEP_2) | instskip(NEXT) | instid1(VALU_DEP_2)
	v_xor_b32_e32 v3, s64, v4
	v_sub_co_u32 v2, vcc_lo, v2, s64
	s_delay_alu instid0(VALU_DEP_2)
	v_subrev_co_ci_u32_e32 v3, vcc_lo, s64, v3, vcc_lo
	s_cbranch_execnz .LBB71_250
.LBB71_249:                             ;   in Loop: Header=BB71_33 Depth=1
	v_cvt_f32_u32_e32 v2, s33
	s_sub_i32 s4, 0, s33
	s_delay_alu instid0(VALU_DEP_1) | instskip(SKIP_2) | instid1(VALU_DEP_1)
	v_rcp_iflag_f32_e32 v2, v2
	s_waitcnt_depctr 0xfff
	v_mul_f32_e32 v2, 0x4f7ffffe, v2
	v_cvt_u32_f32_e32 v2, v2
	s_delay_alu instid0(VALU_DEP_1) | instskip(NEXT) | instid1(VALU_DEP_1)
	v_mul_lo_u32 v3, s4, v2
	v_mul_hi_u32 v3, v2, v3
	s_delay_alu instid0(VALU_DEP_1) | instskip(NEXT) | instid1(VALU_DEP_1)
	v_add_nc_u32_e32 v2, v2, v3
	v_mul_hi_u32 v2, s80, v2
	s_delay_alu instid0(VALU_DEP_1) | instskip(NEXT) | instid1(VALU_DEP_1)
	v_mul_lo_u32 v2, v2, s33
	v_sub_nc_u32_e32 v2, s80, v2
	s_delay_alu instid0(VALU_DEP_1) | instskip(SKIP_1) | instid1(VALU_DEP_2)
	v_subrev_nc_u32_e32 v3, s33, v2
	v_cmp_le_u32_e32 vcc_lo, s33, v2
	v_cndmask_b32_e32 v2, v2, v3, vcc_lo
	s_delay_alu instid0(VALU_DEP_1) | instskip(SKIP_1) | instid1(VALU_DEP_2)
	v_subrev_nc_u32_e32 v3, s33, v2
	v_cmp_le_u32_e32 vcc_lo, s33, v2
	v_cndmask_b32_e32 v12, v2, v3, vcc_lo
	s_delay_alu instid0(VALU_DEP_1)
	v_dual_mov_b32 v2, v12 :: v_dual_mov_b32 v3, v13
.LBB71_250:                             ;   in Loop: Header=BB71_33 Depth=1
	s_delay_alu instid0(VALU_DEP_1) | instskip(NEXT) | instid1(VALU_DEP_2)
	v_sub_co_u32 v2, vcc_lo, s80, v2
	v_sub_co_ci_u32_e32 v3, vcc_lo, s55, v3, vcc_lo
	s_mov_b32 s64, 0
	s_mov_b32 s5, exec_lo
                                        ; implicit-def: $vgpr51
	s_delay_alu instid0(VALU_DEP_1)
	v_cmpx_gt_i64_e64 v[2:3], v[0:1]
	s_cbranch_execz .LBB71_263
; %bb.251:                              ;   in Loop: Header=BB71_33 Depth=1
	v_dual_mov_b32 v4, v10 :: v_dual_mov_b32 v5, v11
	v_dual_mov_b32 v7, v1 :: v_dual_mov_b32 v6, v0
	s_mov_b32 s17, 0
                                        ; implicit-def: $sgpr18
	s_branch .LBB71_253
.LBB71_252:                             ;   in Loop: Header=BB71_253 Depth=2
	s_or_b32 exec_lo, exec_lo, s4
	s_waitcnt vmcnt(0) lgkmcnt(0)
	s_barrier
	buffer_gl0_inv
	ds_load_b32 v8, v13 offset:3072
	v_add_co_u32 v6, vcc_lo, v6, s33
	v_add_co_ci_u32_e32 v7, vcc_lo, 0, v7, vcc_lo
	s_waitcnt lgkmcnt(0)
	s_barrier
	buffer_gl0_inv
	v_cmp_ge_i64_e32 vcc_lo, v[6:7], v[2:3]
	v_and_b32_e32 v9, 0x7fff, v8
	s_delay_alu instid0(VALU_DEP_1) | instskip(NEXT) | instid1(VALU_DEP_1)
	v_cmp_ne_u16_e64 s4, 0, v9
	s_or_b32 s48, s4, vcc_lo
	v_add_co_u32 v4, vcc_lo, v4, s50
	s_and_b32 s48, exec_lo, s48
	v_add_co_ci_u32_e32 v5, vcc_lo, s51, v5, vcc_lo
	s_or_b32 s17, s48, s17
	s_and_not1_b32 s18, s18, exec_lo
	s_and_b32 s4, s4, exec_lo
	s_delay_alu instid0(SALU_CYCLE_1)
	s_or_b32 s18, s18, s4
	s_and_not1_b32 exec_lo, exec_lo, s17
	s_cbranch_execz .LBB71_262
.LBB71_253:                             ;   Parent Loop BB71_33 Depth=1
                                        ; =>  This Inner Loop Header: Depth=2
	s_delay_alu instid0(VALU_DEP_1)
	v_cmp_gt_i64_e32 vcc_lo, s[24:25], v[6:7]
	v_mov_b32_e32 v8, 0
	s_and_saveexec_b32 s4, vcc_lo
	s_cbranch_execz .LBB71_255
; %bb.254:                              ;   in Loop: Header=BB71_253 Depth=2
	global_load_u16 v8, v[4:5], off
.LBB71_255:                             ;   in Loop: Header=BB71_253 Depth=2
	s_or_b32 exec_lo, exec_lo, s4
	s_and_saveexec_b32 s4, vcc_lo
	s_cbranch_execz .LBB71_252
; %bb.256:                              ;   in Loop: Header=BB71_253 Depth=2
	s_waitcnt vmcnt(0)
	v_cmp_lt_i16_e32 vcc_lo, -1, v8
	v_dual_cndmask_b32 v12, 0xffff, v49 :: v_dual_and_b32 v9, 0xffff, v8
	s_delay_alu instid0(VALU_DEP_1) | instskip(SKIP_1) | instid1(VALU_DEP_1)
	v_xor_b32_e32 v9, v12, v9
	v_lshlrev_b32_e32 v26, 16, v8
	v_cmp_o_f32_e32 vcc_lo, v26, v26
	s_delay_alu instid0(VALU_DEP_3) | instskip(NEXT) | instid1(VALU_DEP_1)
	v_cndmask_b32_e32 v9, 0xffff, v9, vcc_lo
	v_and_b32_e32 v9, s97, v9
	s_delay_alu instid0(VALU_DEP_1)
	v_cmp_eq_u32_e32 vcc_lo, s98, v9
	s_and_b32 exec_lo, exec_lo, vcc_lo
	s_cbranch_execz .LBB71_252
; %bb.257:                              ;   in Loop: Header=BB71_253 Depth=2
	v_perm_b32 v8, v8, s87, 0x5040100
	ds_store_b32 v13, v8 offset:3072
	s_branch .LBB71_252
.LBB71_258:                             ;   in Loop: Header=BB71_33 Depth=1
                                        ; implicit-def: $sgpr17
                                        ; implicit-def: $sgpr48
                                        ; implicit-def: $sgpr18
	s_branch .LBB71_277
.LBB71_259:                             ;   in Loop: Header=BB71_33 Depth=1
                                        ; implicit-def: $vgpr2_vgpr3
	s_branch .LBB71_202
.LBB71_260:                             ;   in Loop: Header=BB71_33 Depth=1
                                        ; implicit-def: $vgpr2_vgpr3
	s_branch .LBB71_219
.LBB71_261:                             ;   in Loop: Header=BB71_33 Depth=1
	s_mov_b32 s17, -1
	s_mov_b32 s64, 0
                                        ; implicit-def: $sgpr18
                                        ; implicit-def: $vgpr51
	s_mov_b32 s48, s17
	s_cbranch_execnz .LBB71_264
	s_branch .LBB71_277
.LBB71_262:                             ;   in Loop: Header=BB71_33 Depth=1
	s_or_b32 exec_lo, exec_lo, s17
	v_lshrrev_b32_e32 v51, 16, v8
	s_and_b32 s64, s18, exec_lo
.LBB71_263:                             ;   in Loop: Header=BB71_33 Depth=1
	s_or_b32 exec_lo, exec_lo, s5
	s_mov_b32 s18, -1
	s_mov_b32 s17, 0
	s_delay_alu instid0(SALU_CYCLE_1)
	s_mov_b32 s48, s17
	s_branch .LBB71_277
.LBB71_264:                             ;   in Loop: Header=BB71_33 Depth=1
	s_add_u32 s17, s78, s8
	s_addc_u32 s5, s79, s9
	s_mov_b32 s4, s49
	s_delay_alu instid0(SALU_CYCLE_1)
	s_cmp_lg_u64 s[4:5], 0
	s_cbranch_scc0 .LBB71_298
; %bb.265:                              ;   in Loop: Header=BB71_33 Depth=1
	v_cvt_f32_u32_e32 v2, s33
	s_sub_u32 s48, 0, s33
	s_subb_u32 s54, 0, 0
	s_delay_alu instid0(VALU_DEP_1) | instskip(NEXT) | instid1(VALU_DEP_1)
	v_fmac_f32_e32 v2, 0x4f800000, v50
	v_rcp_f32_e32 v2, v2
	s_waitcnt_depctr 0xfff
	v_mul_f32_e32 v2, 0x5f7ffffc, v2
	s_delay_alu instid0(VALU_DEP_1) | instskip(NEXT) | instid1(VALU_DEP_1)
	v_mul_f32_e32 v3, 0x2f800000, v2
	v_trunc_f32_e32 v3, v3
	s_delay_alu instid0(VALU_DEP_1) | instskip(SKIP_1) | instid1(VALU_DEP_2)
	v_fmac_f32_e32 v2, 0xcf800000, v3
	v_cvt_u32_f32_e32 v3, v3
	v_cvt_u32_f32_e32 v2, v2
	s_delay_alu instid0(VALU_DEP_2) | instskip(NEXT) | instid1(VALU_DEP_2)
	v_readfirstlane_b32 s4, v3
	v_readfirstlane_b32 s18, v2
	s_delay_alu instid0(VALU_DEP_2) | instskip(NEXT) | instid1(VALU_DEP_1)
	s_mul_i32 s64, s48, s4
	s_mul_hi_u32 s66, s48, s18
	s_mul_i32 s65, s54, s18
	s_add_i32 s64, s66, s64
	s_mul_i32 s67, s48, s18
	s_add_i32 s64, s64, s65
	s_mul_hi_u32 s66, s18, s67
	s_mul_hi_u32 s68, s4, s67
	s_mul_i32 s65, s4, s67
	s_mul_hi_u32 s67, s18, s64
	s_mul_i32 s18, s18, s64
	s_mul_hi_u32 s69, s4, s64
	s_add_u32 s18, s66, s18
	s_addc_u32 s66, 0, s67
	s_add_u32 s18, s18, s65
	s_mul_i32 s64, s4, s64
	s_addc_u32 s18, s66, s68
	s_addc_u32 s65, s69, 0
	s_add_u32 s18, s18, s64
	s_addc_u32 s64, 0, s65
	v_add_co_u32 v2, s18, v2, s18
	s_delay_alu instid0(VALU_DEP_1) | instskip(SKIP_1) | instid1(VALU_DEP_1)
	s_cmp_lg_u32 s18, 0
	s_addc_u32 s4, s4, s64
	v_readfirstlane_b32 s18, v2
	s_mul_i32 s64, s48, s4
	s_delay_alu instid0(VALU_DEP_1)
	s_mul_hi_u32 s65, s48, s18
	s_mul_i32 s54, s54, s18
	s_add_i32 s64, s65, s64
	s_mul_i32 s48, s48, s18
	s_add_i32 s64, s64, s54
	s_mul_hi_u32 s65, s4, s48
	s_mul_i32 s66, s4, s48
	s_mul_hi_u32 s48, s18, s48
	s_mul_hi_u32 s67, s18, s64
	s_mul_i32 s18, s18, s64
	s_mul_hi_u32 s54, s4, s64
	s_add_u32 s18, s48, s18
	s_addc_u32 s48, 0, s67
	s_add_u32 s18, s18, s66
	s_mul_i32 s64, s4, s64
	s_addc_u32 s18, s48, s65
	s_addc_u32 s48, s54, 0
	s_add_u32 s18, s18, s64
	s_addc_u32 s48, 0, s48
	v_add_co_u32 v2, s18, v2, s18
	s_delay_alu instid0(VALU_DEP_1) | instskip(SKIP_2) | instid1(VALU_DEP_1)
	s_cmp_lg_u32 s18, 0
	s_addc_u32 s4, s4, s48
	s_ashr_i32 s64, s5, 31
	v_readfirstlane_b32 s18, v2
	s_add_u32 s66, s17, s64
	s_mov_b32 s65, s64
	s_addc_u32 s67, s5, s64
	s_delay_alu instid0(SALU_CYCLE_1) | instskip(NEXT) | instid1(SALU_CYCLE_1)
	s_xor_b64 s[66:67], s[66:67], s[64:65]
	s_mul_i32 s54, s66, s4
	s_mul_hi_u32 s65, s66, s18
	s_mul_hi_u32 s48, s66, s4
	;; [unrolled: 1-line block ×3, first 2 shown]
	s_mul_i32 s18, s67, s18
	s_add_u32 s54, s65, s54
	s_addc_u32 s48, 0, s48
	s_mul_hi_u32 s68, s67, s4
	s_add_u32 s18, s54, s18
	s_mul_i32 s4, s67, s4
	s_addc_u32 s18, s48, s69
	s_addc_u32 s48, s68, 0
	s_add_u32 s4, s18, s4
	s_addc_u32 s18, 0, s48
	s_mul_hi_u32 s48, s33, s4
	s_mul_i32 s4, s33, s4
	s_mul_i32 s18, s33, s18
	v_sub_co_u32 v2, s4, s66, s4
	s_add_i32 s48, s48, s18
	s_cmp_lg_u32 s4, 0
	s_delay_alu instid0(VALU_DEP_1) | instskip(SKIP_2) | instid1(VALU_DEP_1)
	v_sub_co_u32 v3, s4, v2, s33
	s_subb_u32 s18, s67, s48
	s_cmp_lg_u32 s4, 0
	v_cmp_le_u32_e32 vcc_lo, s33, v3
	v_sub_co_u32 v4, s4, v3, s33
	s_subb_u32 s48, s18, 0
	s_cmp_lg_u32 s4, 0
	v_cndmask_b32_e64 v5, 0, -1, vcc_lo
	s_subb_u32 s4, s48, 0
	s_cmp_eq_u32 s48, 0
	v_mov_b32_e32 v7, s4
	s_cselect_b32 vcc_lo, -1, 0
	s_cmp_eq_u32 s18, 0
	v_cndmask_b32_e32 v5, -1, v5, vcc_lo
	v_cmp_le_u32_e32 vcc_lo, s33, v2
	s_cselect_b32 s4, -1, 0
	v_cndmask_b32_e64 v6, 0, -1, vcc_lo
	s_delay_alu instid0(VALU_DEP_3) | instskip(NEXT) | instid1(VALU_DEP_2)
	v_cmp_ne_u32_e32 vcc_lo, 0, v5
	v_cndmask_b32_e64 v5, -1, v6, s4
	v_cndmask_b32_e32 v3, v3, v4, vcc_lo
	v_cndmask_b32_e32 v6, s48, v7, vcc_lo
	s_delay_alu instid0(VALU_DEP_3) | instskip(NEXT) | instid1(VALU_DEP_3)
	v_cmp_ne_u32_e32 vcc_lo, 0, v5
	v_cndmask_b32_e32 v2, v2, v3, vcc_lo
	s_delay_alu instid0(VALU_DEP_3) | instskip(NEXT) | instid1(VALU_DEP_2)
	v_cndmask_b32_e32 v4, s18, v6, vcc_lo
	v_xor_b32_e32 v2, s64, v2
	s_delay_alu instid0(VALU_DEP_2) | instskip(NEXT) | instid1(VALU_DEP_2)
	v_xor_b32_e32 v3, s64, v4
	v_sub_co_u32 v2, vcc_lo, v2, s64
	s_delay_alu instid0(VALU_DEP_2)
	v_subrev_co_ci_u32_e32 v3, vcc_lo, s64, v3, vcc_lo
	s_cbranch_execnz .LBB71_267
.LBB71_266:                             ;   in Loop: Header=BB71_33 Depth=1
	v_cvt_f32_u32_e32 v2, s33
	s_sub_i32 s4, 0, s33
	s_delay_alu instid0(VALU_DEP_1) | instskip(SKIP_2) | instid1(VALU_DEP_1)
	v_rcp_iflag_f32_e32 v2, v2
	s_waitcnt_depctr 0xfff
	v_mul_f32_e32 v2, 0x4f7ffffe, v2
	v_cvt_u32_f32_e32 v2, v2
	s_delay_alu instid0(VALU_DEP_1) | instskip(NEXT) | instid1(VALU_DEP_1)
	v_mul_lo_u32 v3, s4, v2
	v_mul_hi_u32 v3, v2, v3
	s_delay_alu instid0(VALU_DEP_1) | instskip(NEXT) | instid1(VALU_DEP_1)
	v_add_nc_u32_e32 v2, v2, v3
	v_mul_hi_u32 v2, s17, v2
	s_delay_alu instid0(VALU_DEP_1) | instskip(NEXT) | instid1(VALU_DEP_1)
	v_mul_lo_u32 v2, v2, s33
	v_sub_nc_u32_e32 v2, s17, v2
	s_delay_alu instid0(VALU_DEP_1) | instskip(SKIP_1) | instid1(VALU_DEP_2)
	v_subrev_nc_u32_e32 v3, s33, v2
	v_cmp_le_u32_e32 vcc_lo, s33, v2
	v_cndmask_b32_e32 v2, v2, v3, vcc_lo
	s_delay_alu instid0(VALU_DEP_1) | instskip(SKIP_1) | instid1(VALU_DEP_2)
	v_subrev_nc_u32_e32 v3, s33, v2
	v_cmp_le_u32_e32 vcc_lo, s33, v2
	v_cndmask_b32_e32 v12, v2, v3, vcc_lo
	s_delay_alu instid0(VALU_DEP_1)
	v_dual_mov_b32 v2, v12 :: v_dual_mov_b32 v3, v13
.LBB71_267:                             ;   in Loop: Header=BB71_33 Depth=1
	s_delay_alu instid0(VALU_DEP_1) | instskip(NEXT) | instid1(VALU_DEP_2)
	v_sub_co_u32 v2, vcc_lo, s17, v2
	v_sub_co_ci_u32_e32 v3, vcc_lo, s5, v3, vcc_lo
	s_mov_b32 s64, 0
	s_mov_b32 s5, exec_lo
                                        ; implicit-def: $vgpr51
	s_delay_alu instid0(VALU_DEP_1)
	v_cmpx_gt_i64_e64 v[2:3], v[0:1]
	s_cbranch_execz .LBB71_276
; %bb.268:                              ;   in Loop: Header=BB71_33 Depth=1
	v_mov_b32_e32 v6, v41
	v_dual_mov_b32 v5, v1 :: v_dual_mov_b32 v4, v0
	s_mov_b32 s17, 0
                                        ; implicit-def: $sgpr18
	s_branch .LBB71_270
.LBB71_269:                             ;   in Loop: Header=BB71_270 Depth=2
	s_or_b32 exec_lo, exec_lo, s4
	s_waitcnt lgkmcnt(0)
	s_barrier
	buffer_gl0_inv
	ds_load_b32 v7, v13 offset:3072
	v_add_co_u32 v4, vcc_lo, v4, s33
	v_add_co_ci_u32_e32 v5, vcc_lo, 0, v5, vcc_lo
	v_add_nc_u32_e32 v6, s86, v6
	s_waitcnt lgkmcnt(0)
	s_barrier
	s_delay_alu instid0(VALU_DEP_2) | instskip(SKIP_2) | instid1(VALU_DEP_1)
	v_cmp_ge_i64_e32 vcc_lo, v[4:5], v[2:3]
	buffer_gl0_inv
	v_and_b32_e32 v8, 0x7fff, v7
	v_cmp_ne_u16_e64 s4, 0, v8
	s_delay_alu instid0(VALU_DEP_1) | instskip(NEXT) | instid1(SALU_CYCLE_1)
	s_or_b32 s48, s4, vcc_lo
	s_and_b32 s48, exec_lo, s48
	s_delay_alu instid0(SALU_CYCLE_1) | instskip(SKIP_2) | instid1(SALU_CYCLE_1)
	s_or_b32 s17, s48, s17
	s_and_not1_b32 s18, s18, exec_lo
	s_and_b32 s4, s4, exec_lo
	s_or_b32 s18, s18, s4
	s_and_not1_b32 exec_lo, exec_lo, s17
	s_cbranch_execz .LBB71_275
.LBB71_270:                             ;   Parent Loop BB71_33 Depth=1
                                        ; =>  This Inner Loop Header: Depth=2
	s_delay_alu instid0(VALU_DEP_1)
	v_cmp_gt_i64_e32 vcc_lo, s[8:9], v[4:5]
	v_mov_b32_e32 v7, 0
	s_and_saveexec_b32 s4, vcc_lo
	s_cbranch_execz .LBB71_272
; %bb.271:                              ;   in Loop: Header=BB71_270 Depth=2
	ds_load_u16 v7, v6
.LBB71_272:                             ;   in Loop: Header=BB71_270 Depth=2
	s_or_b32 exec_lo, exec_lo, s4
	s_and_saveexec_b32 s4, vcc_lo
	s_cbranch_execz .LBB71_269
; %bb.273:                              ;   in Loop: Header=BB71_270 Depth=2
	s_waitcnt lgkmcnt(0)
	v_cmp_lt_i16_e32 vcc_lo, -1, v7
	v_and_b32_e32 v8, 0xffff, v7
	v_dual_cndmask_b32 v9, 0xffff, v49 :: v_dual_lshlrev_b32 v12, 16, v7
	s_delay_alu instid0(VALU_DEP_1) | instskip(NEXT) | instid1(VALU_DEP_2)
	v_cmp_o_f32_e32 vcc_lo, v12, v12
	v_xor_b32_e32 v8, v9, v8
	s_delay_alu instid0(VALU_DEP_1) | instskip(NEXT) | instid1(VALU_DEP_1)
	v_cndmask_b32_e32 v8, 0xffff, v8, vcc_lo
	v_and_b32_e32 v8, s97, v8
	s_delay_alu instid0(VALU_DEP_1)
	v_cmp_eq_u32_e32 vcc_lo, s98, v8
	s_and_b32 exec_lo, exec_lo, vcc_lo
	s_cbranch_execz .LBB71_269
; %bb.274:                              ;   in Loop: Header=BB71_270 Depth=2
	v_perm_b32 v7, v7, s87, 0x5040100
	ds_store_b32 v13, v7 offset:3072
	s_branch .LBB71_269
.LBB71_275:                             ;   in Loop: Header=BB71_33 Depth=1
	s_or_b32 exec_lo, exec_lo, s17
	v_lshrrev_b32_e32 v51, 16, v7
	s_and_b32 s64, s18, exec_lo
.LBB71_276:                             ;   in Loop: Header=BB71_33 Depth=1
	s_or_b32 exec_lo, exec_lo, s5
	s_mov_b32 s48, -1
	s_mov_b32 s17, 0
	s_mov_b32 s18, 0
.LBB71_277:                             ;   in Loop: Header=BB71_33 Depth=1
	s_mov_b32 s9, 0
                                        ; implicit-def: $sgpr54
                                        ; implicit-def: $sgpr4_sgpr5
	s_and_saveexec_b32 s8, s64
	s_cbranch_execz .LBB71_290
; %bb.278:                              ;   in Loop: Header=BB71_33 Depth=1
	s_xor_b32 s9, s11, -1
	s_mov_b64 s[4:5], 1
	s_and_not1_b32 vcc_lo, exec_lo, s9
	s_mov_b32 s54, 1
	s_cbranch_vccnz .LBB71_289
; %bb.279:                              ;   in Loop: Header=BB71_33 Depth=1
	v_cmp_gt_i64_e64 s4, s[26:27], s[6:7]
	s_delay_alu instid0(VALU_DEP_1)
	s_and_b32 vcc_lo, exec_lo, s4
	s_cbranch_vccnz .LBB71_285
; %bb.280:                              ;   in Loop: Header=BB71_33 Depth=1
	ds_load_b64 v[2:3], v13 offset:5120
	s_waitcnt lgkmcnt(0)
	v_cmp_ne_u64_e32 vcc_lo, 0, v[2:3]
	s_cbranch_vccnz .LBB71_284
; %bb.281:                              ;   in Loop: Header=BB71_33 Depth=1
	s_and_saveexec_b32 s4, s0
	s_cbranch_execz .LBB71_283
; %bb.282:                              ;   in Loop: Header=BB71_33 Depth=1
	v_dual_mov_b32 v2, s6 :: v_dual_mov_b32 v3, s7
	ds_store_b64 v13, v[2:3] offset:5128
.LBB71_283:                             ;   in Loop: Header=BB71_33 Depth=1
	s_or_b32 exec_lo, exec_lo, s4
	s_waitcnt lgkmcnt(0)
	s_barrier
	buffer_gl0_inv
.LBB71_284:                             ;   in Loop: Header=BB71_33 Depth=1
	s_or_b32 s9, s98, s16
	s_or_b32 s11, s97, s16
	s_mov_b32 s4, 0
	s_mov_b32 s54, 8
	s_branch .LBB71_286
.LBB71_285:                             ;   in Loop: Header=BB71_33 Depth=1
	s_mov_b32 s4, -1
                                        ; implicit-def: $sgpr54
                                        ; implicit-def: $sgpr9
                                        ; implicit-def: $sgpr11
.LBB71_286:                             ;   in Loop: Header=BB71_33 Depth=1
	s_delay_alu instid0(SALU_CYCLE_1)
	s_and_not1_b32 vcc_lo, exec_lo, s4
	s_cbranch_vccnz .LBB71_288
; %bb.287:                              ;   in Loop: Header=BB71_33 Depth=1
	s_sub_u32 s26, s26, s6
	s_subb_u32 s27, s27, s7
	s_mov_b32 s54, 8
	s_mov_b32 s9, s98
	;; [unrolled: 1-line block ×3, first 2 shown]
.LBB71_288:                             ;   in Loop: Header=BB71_33 Depth=1
	s_mov_b64 s[4:5], s[26:27]
	s_mov_b32 s98, s9
	s_mov_b32 s97, s11
.LBB71_289:                             ;   in Loop: Header=BB71_33 Depth=1
	s_mov_b32 s9, exec_lo
.LBB71_290:                             ;   in Loop: Header=BB71_33 Depth=1
	s_or_b32 exec_lo, exec_lo, s8
	s_mov_b64 s[26:27], s[4:5]
.LBB71_291:                             ;   in Loop: Header=BB71_33 Depth=1
	s_and_not1_b32 s4, s13, exec_lo
	s_and_b32 s5, s17, exec_lo
	s_and_not1_b32 s6, s22, exec_lo
	s_or_b32 s13, s4, s5
	s_and_not1_b32 s4, s23, exec_lo
	s_and_b32 s5, s48, exec_lo
	s_and_b32 s7, s18, exec_lo
	s_or_b32 s23, s4, s5
	s_or_b32 s22, s6, s7
	s_and_b32 s5, s9, exec_lo
.LBB71_292:                             ;   in Loop: Header=BB71_33 Depth=1
	s_or_b32 exec_lo, exec_lo, s10
.LBB71_293:                             ;   in Loop: Header=BB71_33 Depth=1
	s_delay_alu instid0(SALU_CYCLE_1)
	s_and_not1_b32 s4, s20, exec_lo
	s_and_b32 s6, s13, exec_lo
	s_and_not1_b32 s7, s19, exec_lo
	s_or_b32 s20, s4, s6
	s_and_not1_b32 s4, s21, exec_lo
	s_and_b32 s6, s23, exec_lo
	s_and_b32 s8, s22, exec_lo
	s_or_b32 s21, s4, s6
	s_or_b32 s19, s7, s8
	s_and_b32 s5, s5, exec_lo
.LBB71_294:                             ;   in Loop: Header=BB71_33 Depth=1
	s_or_b32 exec_lo, exec_lo, s12
	s_and_saveexec_b32 s4, s5
	s_delay_alu instid0(SALU_CYCLE_1)
	s_xor_b32 s4, exec_lo, s4
	s_cbranch_execz .LBB71_31
.LBB71_295:                             ;   in Loop: Header=BB71_33 Depth=1
	s_and_b32 s5, s54, -9
	s_delay_alu instid0(SALU_CYCLE_1)
	s_cmp_eq_u32 s5, 0
	s_cbranch_scc1 .LBB71_29
; %bb.296:                              ;   in Loop: Header=BB71_33 Depth=1
	s_mov_b32 s5, -1
	s_mov_b32 s6, -1
                                        ; implicit-def: $sgpr97
                                        ; implicit-def: $sgpr91
                                        ; implicit-def: $sgpr93
	s_branch .LBB71_30
.LBB71_297:                             ;   in Loop: Header=BB71_33 Depth=1
                                        ; implicit-def: $vgpr2_vgpr3
	s_branch .LBB71_249
.LBB71_298:                             ;   in Loop: Header=BB71_33 Depth=1
                                        ; implicit-def: $vgpr2_vgpr3
	s_branch .LBB71_266
.LBB71_299:
	s_or_b32 exec_lo, exec_lo, s88
	s_xor_b32 s5, s92, -1
	s_xor_b32 s2, s89, -1
	;; [unrolled: 1-line block ×3, first 2 shown]
	s_mov_b32 s3, 0
	s_and_saveexec_b32 s6, s2
	s_delay_alu instid0(SALU_CYCLE_1)
	s_xor_b32 s2, exec_lo, s6
	s_cbranch_execz .LBB71_322
; %bb.300:
	s_and_saveexec_b32 s3, s5
	s_delay_alu instid0(SALU_CYCLE_1)
	s_xor_b32 s3, exec_lo, s3
	s_cbranch_execz .LBB71_320
; %bb.301:
	s_and_saveexec_b32 s5, s4
	s_delay_alu instid0(SALU_CYCLE_1)
	s_xor_b32 s4, exec_lo, s5
; %bb.302:
	v_and_b32_e32 v3, 0x8000, v2
	v_mov_b32_e32 v4, 0xffff
	s_delay_alu instid0(VALU_DEP_2) | instskip(NEXT) | instid1(VALU_DEP_2)
	v_cmp_eq_u32_e32 vcc_lo, 0, v3
	v_cndmask_b32_e32 v3, 0x8000, v4, vcc_lo
	s_delay_alu instid0(VALU_DEP_1)
	v_xor_b32_e32 v51, v3, v2
; %bb.303:
	s_or_b32 exec_lo, exec_lo, s4
	s_and_saveexec_b32 s4, s0
	s_cbranch_execz .LBB71_305
; %bb.304:
	v_dual_mov_b32 v2, 0 :: v_dual_mov_b32 v3, s24
	ds_store_b32 v2, v3 offset:5140
.LBB71_305:
	s_or_b32 exec_lo, exec_lo, s4
	s_waitcnt lgkmcnt(0)
	s_barrier
	buffer_gl0_inv
	s_and_saveexec_b32 s4, s1
	s_cbranch_execz .LBB71_317
; %bb.306:
	v_mov_b32_e32 v2, 0
	v_lshlrev_b32_e32 v6, 16, v51
	s_mov_b32 s5, 0
                                        ; implicit-def: $sgpr7
                                        ; implicit-def: $sgpr8
                                        ; implicit-def: $sgpr9
	ds_load_b32 v4, v2 offset:5140
	v_cmp_u_f32_e32 vcc_lo, v6, v6
	s_xor_b32 s6, vcc_lo, -1
	s_waitcnt lgkmcnt(0)
	v_ashrrev_i32_e32 v5, 31, v4
	s_set_inst_prefetch_distance 0x1
	s_branch .LBB71_309
	.p2align	6
.LBB71_307:                             ;   in Loop: Header=BB71_309 Depth=1
	s_or_b32 exec_lo, exec_lo, s13
	s_delay_alu instid0(SALU_CYCLE_1)
	s_and_not1_b32 s1, s9, exec_lo
	s_and_b32 s9, s11, exec_lo
	s_and_not1_b32 s8, s8, exec_lo
	s_and_b32 s11, s12, exec_lo
	s_or_b32 s9, s1, s9
	s_or_b32 s8, s8, s11
.LBB71_308:                             ;   in Loop: Header=BB71_309 Depth=1
	s_or_b32 exec_lo, exec_lo, s10
	s_delay_alu instid0(SALU_CYCLE_1) | instskip(NEXT) | instid1(SALU_CYCLE_1)
	s_and_b32 s1, exec_lo, s8
	s_or_b32 s5, s1, s5
	s_and_not1_b32 s1, s7, exec_lo
	s_and_b32 s7, s9, exec_lo
	s_delay_alu instid0(SALU_CYCLE_1)
	s_or_b32 s7, s1, s7
	s_and_not1_b32 exec_lo, exec_lo, s5
	s_cbranch_execz .LBB71_312
.LBB71_309:                             ; =>This Inner Loop Header: Depth=1
	v_dual_mov_b32 v3, v1 :: v_dual_mov_b32 v2, v0
	s_or_b32 s9, s9, exec_lo
	s_or_b32 s8, s8, exec_lo
	s_mov_b32 s10, exec_lo
                                        ; implicit-def: $vgpr0_vgpr1
	s_delay_alu instid0(VALU_DEP_1)
	v_cmpx_lt_i64_e64 v[2:3], v[4:5]
	s_cbranch_execz .LBB71_308
; %bb.310:                              ;   in Loop: Header=BB71_309 Depth=1
	global_load_u16 v0, v[10:11], off
	s_mov_b32 s12, -1
	s_waitcnt vmcnt(0)
	v_lshlrev_b32_e32 v0, 16, v0
	s_delay_alu instid0(VALU_DEP_1)
	v_cmp_o_f32_e32 vcc_lo, v0, v0
	v_cmp_neq_f32_e64 s1, v0, v6
                                        ; implicit-def: $vgpr0_vgpr1
	s_or_b32 s11, s6, vcc_lo
	s_delay_alu instid0(VALU_DEP_1) | instid1(SALU_CYCLE_1)
	s_and_b32 s1, s1, s11
	s_mov_b32 s11, 0
	s_and_saveexec_b32 s13, s1
	s_cbranch_execz .LBB71_307
; %bb.311:                              ;   in Loop: Header=BB71_309 Depth=1
	v_add_co_u32 v0, vcc_lo, v2, s33
	v_add_co_ci_u32_e32 v1, vcc_lo, 0, v3, vcc_lo
	v_add_co_u32 v10, s1, v10, s50
	s_mov_b32 s11, exec_lo
	s_delay_alu instid0(VALU_DEP_2)
	v_cmp_le_i64_e32 vcc_lo, s[24:25], v[0:1]
	v_add_co_ci_u32_e64 v11, s1, s51, v11, s1
	s_or_not1_b32 s12, vcc_lo, exec_lo
	s_branch .LBB71_307
.LBB71_312:
	s_set_inst_prefetch_distance 0x2
	s_or_b32 exec_lo, exec_lo, s5
	s_xor_b32 s1, s7, -1
	s_delay_alu instid0(SALU_CYCLE_1) | instskip(NEXT) | instid1(SALU_CYCLE_1)
	s_and_saveexec_b32 s5, s1
	s_xor_b32 s5, exec_lo, s5
	s_cbranch_execz .LBB71_317
; %bb.313:
	s_mov_b32 s5, exec_lo
	s_brev_b32 s1, -2
.LBB71_314:                             ; =>This Inner Loop Header: Depth=1
	s_ctz_i32_b32 s6, s5
	s_delay_alu instid0(SALU_CYCLE_1) | instskip(SKIP_1) | instid1(SALU_CYCLE_1)
	v_readlane_b32 s7, v2, s6
	s_lshl_b32 s6, 1, s6
	s_and_not1_b32 s5, s5, s6
	s_delay_alu instid0(VALU_DEP_1)
	s_min_i32 s1, s1, s7
	s_cmp_lg_u32 s5, 0
	s_cbranch_scc1 .LBB71_314
; %bb.315:
	v_mbcnt_lo_u32_b32 v0, exec_lo, 0
	s_mov_b32 s5, exec_lo
	s_delay_alu instid0(VALU_DEP_1)
	v_cmpx_eq_u32_e32 0, v0
	s_xor_b32 s5, exec_lo, s5
	s_cbranch_execz .LBB71_317
; %bb.316:
	v_dual_mov_b32 v0, 0 :: v_dual_mov_b32 v1, s1
	ds_min_i32 v0, v1 offset:5140
.LBB71_317:
	s_or_b32 exec_lo, exec_lo, s4
	s_waitcnt lgkmcnt(0)
	s_barrier
	buffer_gl0_inv
	s_and_saveexec_b32 s1, s0
	s_cbranch_execz .LBB71_319
; %bb.318:
	v_mov_b32_e32 v2, 0
	s_mul_i32 s0, s36, s35
	s_mul_hi_u32 s5, s36, s34
	s_mul_i32 s6, s37, s34
	s_add_i32 s0, s5, s0
	ds_load_b32 v0, v2 offset:5140
	s_mul_i32 s7, s44, s41
	s_mul_hi_u32 s8, s44, s40
	s_mul_i32 s4, s36, s34
	s_add_i32 s5, s0, s6
	s_mul_i32 s9, s45, s40
	s_add_i32 s0, s8, s7
	s_lshl_b64 s[4:5], s[4:5], 1
	s_add_i32 s7, s0, s9
	s_add_u32 s0, s46, s4
	s_addc_u32 s8, s47, s5
	s_lshl_b64 s[4:5], s[28:29], 1
	s_mul_i32 s6, s44, s40
	s_add_u32 s4, s0, s4
	s_addc_u32 s5, s8, s5
	s_lshl_b64 s[6:7], s[6:7], 3
	s_delay_alu instid0(SALU_CYCLE_1)
	s_add_u32 s0, s42, s6
	s_addc_u32 s8, s43, s7
	s_lshl_b64 s[6:7], s[38:39], 3
	s_waitcnt lgkmcnt(0)
	v_ashrrev_i32_e32 v1, 31, v0
	s_add_u32 s6, s0, s6
	s_addc_u32 s7, s8, s7
	s_clause 0x1
	global_store_b64 v2, v[0:1], s[6:7]
	global_store_b16 v2, v51, s[4:5]
.LBB71_319:
	s_or_b32 exec_lo, exec_lo, s1
.LBB71_320:
	s_or_saveexec_b32 s0, s3
	s_mov_b32 s1, 0
	s_xor_b32 exec_lo, exec_lo, s0
	s_cbranch_execnz .LBB71_328
.LBB71_321:
	s_or_b32 exec_lo, exec_lo, s0
	s_delay_alu instid0(SALU_CYCLE_1)
	s_and_b32 s3, s1, exec_lo
.LBB71_322:
	s_and_not1_saveexec_b32 s0, s2
	s_cbranch_execnz .LBB71_326
; %bb.323:
	s_or_b32 exec_lo, exec_lo, s0
	s_and_saveexec_b32 s0, s3
.LBB71_324:
	; divergent unreachable
.LBB71_325:
	s_nop 0
	s_sendmsg sendmsg(MSG_DEALLOC_VGPRS)
	s_endpgm
.LBB71_326:
	s_cbranch_execnz .LBB71_330
; %bb.327:
	s_or_b32 s3, s3, exec_lo
	s_or_b32 exec_lo, exec_lo, s0
	s_and_saveexec_b32 s0, s3
	s_cbranch_execnz .LBB71_324
	s_branch .LBB71_325
.LBB71_328:
	s_cbranch_execnz .LBB71_332
; %bb.329:
	s_mov_b32 s1, exec_lo
	s_branch .LBB71_321
.LBB71_330:
	s_trap 2
	s_sendmsg_rtn_b32 s0, sendmsg(MSG_RTN_GET_DOORBELL)
	s_mov_b32 ttmp2, m0
	s_waitcnt lgkmcnt(0)
	s_and_b32 s0, s0, 0x3ff
	s_delay_alu instid0(SALU_CYCLE_1) | instskip(NEXT) | instid1(SALU_CYCLE_1)
	s_bitset1_b32 s0, 10
	s_mov_b32 m0, s0
	s_sendmsg sendmsg(MSG_INTERRUPT)
	s_mov_b32 m0, ttmp2
.LBB71_331:                             ; =>This Inner Loop Header: Depth=1
	s_sethalt 5
	s_branch .LBB71_331
.LBB71_332:
	s_trap 2
	s_sendmsg_rtn_b32 s0, sendmsg(MSG_RTN_GET_DOORBELL)
	s_mov_b32 ttmp2, m0
	s_waitcnt lgkmcnt(0)
	s_and_b32 s0, s0, 0x3ff
	s_delay_alu instid0(SALU_CYCLE_1) | instskip(NEXT) | instid1(SALU_CYCLE_1)
	s_bitset1_b32 s0, 10
	s_mov_b32 m0, s0
	s_sendmsg sendmsg(MSG_INTERRUPT)
	s_mov_b32 m0, ttmp2
.LBB71_333:                             ; =>This Inner Loop Header: Depth=1
	s_sethalt 5
	s_branch .LBB71_333
	.section	.rodata,"a",@progbits
	.p2align	6, 0x0
	.amdhsa_kernel _ZN2at6native12_GLOBAL__N_114gatherKthValueIN3c108BFloat16ElLin1EEEvNS_4cuda6detail10TensorInfoIKT_T0_EESA_SA_SA_SA_NS7_IS8_SA_EENS7_IlSA_EE
		.amdhsa_group_segment_fixed_size 5144
		.amdhsa_private_segment_fixed_size 0
		.amdhsa_kernarg_size 1536
		.amdhsa_user_sgpr_count 13
		.amdhsa_user_sgpr_dispatch_ptr 0
		.amdhsa_user_sgpr_queue_ptr 0
		.amdhsa_user_sgpr_kernarg_segment_ptr 1
		.amdhsa_user_sgpr_dispatch_id 0
		.amdhsa_user_sgpr_private_segment_size 0
		.amdhsa_wavefront_size32 1
		.amdhsa_uses_dynamic_stack 0
		.amdhsa_enable_private_segment 0
		.amdhsa_system_sgpr_workgroup_id_x 1
		.amdhsa_system_sgpr_workgroup_id_y 1
		.amdhsa_system_sgpr_workgroup_id_z 1
		.amdhsa_system_sgpr_workgroup_info 0
		.amdhsa_system_vgpr_workitem_id 0
		.amdhsa_next_free_vgpr 55
		.amdhsa_next_free_sgpr 103
		.amdhsa_reserve_vcc 1
		.amdhsa_float_round_mode_32 0
		.amdhsa_float_round_mode_16_64 0
		.amdhsa_float_denorm_mode_32 3
		.amdhsa_float_denorm_mode_16_64 3
		.amdhsa_dx10_clamp 1
		.amdhsa_ieee_mode 1
		.amdhsa_fp16_overflow 0
		.amdhsa_workgroup_processor_mode 1
		.amdhsa_memory_ordered 1
		.amdhsa_forward_progress 0
		.amdhsa_shared_vgpr_count 0
		.amdhsa_exception_fp_ieee_invalid_op 0
		.amdhsa_exception_fp_denorm_src 0
		.amdhsa_exception_fp_ieee_div_zero 0
		.amdhsa_exception_fp_ieee_overflow 0
		.amdhsa_exception_fp_ieee_underflow 0
		.amdhsa_exception_fp_ieee_inexact 0
		.amdhsa_exception_int_div_zero 0
	.end_amdhsa_kernel
	.section	.text._ZN2at6native12_GLOBAL__N_114gatherKthValueIN3c108BFloat16ElLin1EEEvNS_4cuda6detail10TensorInfoIKT_T0_EESA_SA_SA_SA_NS7_IS8_SA_EENS7_IlSA_EE,"axG",@progbits,_ZN2at6native12_GLOBAL__N_114gatherKthValueIN3c108BFloat16ElLin1EEEvNS_4cuda6detail10TensorInfoIKT_T0_EESA_SA_SA_SA_NS7_IS8_SA_EENS7_IlSA_EE,comdat
.Lfunc_end71:
	.size	_ZN2at6native12_GLOBAL__N_114gatherKthValueIN3c108BFloat16ElLin1EEEvNS_4cuda6detail10TensorInfoIKT_T0_EESA_SA_SA_SA_NS7_IS8_SA_EENS7_IlSA_EE, .Lfunc_end71-_ZN2at6native12_GLOBAL__N_114gatherKthValueIN3c108BFloat16ElLin1EEEvNS_4cuda6detail10TensorInfoIKT_T0_EESA_SA_SA_SA_NS7_IS8_SA_EENS7_IlSA_EE
                                        ; -- End function
	.section	.AMDGPU.csdata,"",@progbits
; Kernel info:
; codeLenInByte = 20956
; NumSgprs: 105
; NumVgprs: 55
; ScratchSize: 0
; MemoryBound: 0
; FloatMode: 240
; IeeeMode: 1
; LDSByteSize: 5144 bytes/workgroup (compile time only)
; SGPRBlocks: 13
; VGPRBlocks: 6
; NumSGPRsForWavesPerEU: 105
; NumVGPRsForWavesPerEU: 55
; Occupancy: 16
; WaveLimiterHint : 1
; COMPUTE_PGM_RSRC2:SCRATCH_EN: 0
; COMPUTE_PGM_RSRC2:USER_SGPR: 13
; COMPUTE_PGM_RSRC2:TRAP_HANDLER: 0
; COMPUTE_PGM_RSRC2:TGID_X_EN: 1
; COMPUTE_PGM_RSRC2:TGID_Y_EN: 1
; COMPUTE_PGM_RSRC2:TGID_Z_EN: 1
; COMPUTE_PGM_RSRC2:TIDIG_COMP_CNT: 0
	.section	.text._ZN2at6native12_GLOBAL__N_112gatherMedianIhjLi1EEEvNS_4cuda6detail10TensorInfoIT_T0_EENS5_IlS7_EENS5_IKS6_S7_EES7_S7_S7_b,"axG",@progbits,_ZN2at6native12_GLOBAL__N_112gatherMedianIhjLi1EEEvNS_4cuda6detail10TensorInfoIT_T0_EENS5_IlS7_EENS5_IKS6_S7_EES7_S7_S7_b,comdat
	.globl	_ZN2at6native12_GLOBAL__N_112gatherMedianIhjLi1EEEvNS_4cuda6detail10TensorInfoIT_T0_EENS5_IlS7_EENS5_IKS6_S7_EES7_S7_S7_b ; -- Begin function _ZN2at6native12_GLOBAL__N_112gatherMedianIhjLi1EEEvNS_4cuda6detail10TensorInfoIT_T0_EENS5_IlS7_EENS5_IKS6_S7_EES7_S7_S7_b
	.p2align	8
	.type	_ZN2at6native12_GLOBAL__N_112gatherMedianIhjLi1EEEvNS_4cuda6detail10TensorInfoIT_T0_EENS5_IlS7_EENS5_IKS6_S7_EES7_S7_S7_b,@function
_ZN2at6native12_GLOBAL__N_112gatherMedianIhjLi1EEEvNS_4cuda6detail10TensorInfoIT_T0_EENS5_IlS7_EENS5_IKS6_S7_EES7_S7_S7_b: ; @_ZN2at6native12_GLOBAL__N_112gatherMedianIhjLi1EEEvNS_4cuda6detail10TensorInfoIT_T0_EENS5_IlS7_EENS5_IKS6_S7_EES7_S7_S7_b
; %bb.0:
	s_clause 0x1
	s_load_b64 s[6:7], s[0:1], 0x298
	s_load_b128 s[28:31], s[0:1], 0x288
	s_add_u32 s4, s0, 0x298
	s_addc_u32 s5, s1, 0
	s_waitcnt lgkmcnt(0)
	s_mul_i32 s2, s7, s15
	s_delay_alu instid0(SALU_CYCLE_1) | instskip(NEXT) | instid1(SALU_CYCLE_1)
	s_add_i32 s2, s2, s14
	s_mul_i32 s27, s2, s6
	s_delay_alu instid0(SALU_CYCLE_1) | instskip(NEXT) | instid1(SALU_CYCLE_1)
	s_add_i32 s27, s27, s13
	s_cmp_ge_u32 s27, s29
	s_cbranch_scc1 .LBB72_251
; %bb.1:
	v_cmp_eq_u32_e64 s2, 0, v0
	s_delay_alu instid0(VALU_DEP_1)
	s_and_saveexec_b32 s3, s2
	s_cbranch_execz .LBB72_3
; %bb.2:
	v_mov_b32_e32 v1, 0
	s_delay_alu instid0(VALU_DEP_1)
	v_mov_b32_e32 v2, v1
	ds_store_b64 v1, v[1:2] offset:4096
.LBB72_3:
	s_or_b32 exec_lo, exec_lo, s3
	v_mov_b32_e32 v1, 0
	s_waitcnt lgkmcnt(0)
	s_barrier
	buffer_gl0_inv
	s_barrier
	buffer_gl0_inv
	ds_load_b64 v[1:2], v1 offset:4096
	s_load_b64 s[8:9], s[0:1], 0x1b0
	s_bitcmp1_b32 s31, 0
	s_mov_b32 s68, s28
	s_cselect_b32 s3, -1, 0
	s_waitcnt lgkmcnt(0)
	v_cmp_gt_i64_e32 vcc_lo, 1, v[1:2]
	s_or_b32 s3, s3, vcc_lo
	s_delay_alu instid0(SALU_CYCLE_1)
	s_and_not1_b32 vcc_lo, exec_lo, s3
	s_cbranch_vccnz .LBB72_5
; %bb.4:
	v_not_b32_e32 v1, v1
	v_not_b32_e32 v2, v2
	s_delay_alu instid0(VALU_DEP_2) | instskip(NEXT) | instid1(VALU_DEP_2)
	v_add_co_u32 v1, vcc_lo, v1, s28
	v_add_co_ci_u32_e32 v2, vcc_lo, 0, v2, vcc_lo
	s_delay_alu instid0(VALU_DEP_1) | instskip(NEXT) | instid1(VALU_DEP_1)
	v_lshrrev_b32_e32 v3, 31, v2
	v_add_co_u32 v1, vcc_lo, v1, v3
	v_add_co_ci_u32_e32 v2, vcc_lo, 0, v2, vcc_lo
	s_delay_alu instid0(VALU_DEP_1) | instskip(NEXT) | instid1(VALU_DEP_1)
	v_alignbit_b32 v1, v2, v1, 1
	v_readfirstlane_b32 s3, v1
	s_delay_alu instid0(VALU_DEP_1)
	s_add_i32 s68, s3, 1
.LBB72_5:
	s_clause 0x2
	s_load_b32 s3, s[0:1], 0x21c
	s_load_b64 s[34:35], s[0:1], 0xd8
	s_load_b64 s[38:39], s[0:1], 0x0
	s_and_saveexec_b32 s7, s2
	s_cbranch_execz .LBB72_7
; %bb.6:
	v_dual_mov_b32 v1, 0 :: v_dual_mov_b32 v2, s28
	ds_store_b32 v1, v1 offset:4112
	ds_store_b64 v1, v[1:2] offset:4104
.LBB72_7:
	s_or_b32 exec_lo, exec_lo, s7
	s_waitcnt lgkmcnt(0)
	s_barrier
	buffer_gl0_inv
	s_load_b32 s7, s[4:5], 0xc
	s_mul_i32 s3, s3, s27
	v_mbcnt_lo_u32_b32 v11, -1, 0
	s_add_u32 s36, s8, s3
	s_addc_u32 s37, s9, 0
	s_clause 0x1
	s_load_b32 s29, s[0:1], 0x144
	s_load_b32 s33, s[0:1], 0x6c
	v_cmp_gt_u32_e32 vcc_lo, 32, v0
	v_cmp_gt_i32_e64 s0, 4, v11
	v_mul_lo_u32 v10, v0, s30
	v_lshl_or_b32 v20, v11, 2, 0xc00
	v_mov_b32_e32 v21, 0
	s_mov_b32 s42, 0
	s_and_b32 s44, vcc_lo, s0
	v_cmp_gt_u32_e64 s0, s28, v0
	s_mov_b32 s54, 6
	s_mov_b32 s64, 0
	v_lshlrev_b32_e32 v18, 2, v10
	s_mov_b32 s66, 0
	s_mov_b32 s67, 0
                                        ; implicit-def: $sgpr59
                                        ; implicit-def: $sgpr61
                                        ; implicit-def: $sgpr60
                                        ; implicit-def: $sgpr63
                                        ; implicit-def: $sgpr65
                                        ; implicit-def: $sgpr62
	v_mov_b32_e32 v22, 0
	s_waitcnt lgkmcnt(0)
	s_and_b32 s31, s7, 0xffff
	s_bfe_u32 s1, s7, 0xb0005
	s_lshl_b32 s43, s31, 2
	s_add_i32 s46, s31, -1
	v_cvt_f32_u32_e32 v1, s43
	s_add_i32 s7, s46, s28
	s_cmpk_gt_u32 s28, 0xc00
	v_cvt_f32_u32_e32 v2, s31
	s_cselect_b32 s47, -1, 0
	v_rcp_iflag_f32_e32 v1, v1
	s_cmp_gt_u32 s31, 31
	v_lshlrev_b32_e32 v12, 2, v0
	s_cselect_b32 s48, -1, 0
	s_cmp_lt_u32 s13, s6
	v_rcp_iflag_f32_e32 v2, v2
	s_cselect_b32 s3, 12, 18
	s_mul_i32 s45, s30, s31
	s_add_u32 s40, s4, s3
	s_addc_u32 s41, s5, 0
	s_waitcnt_depctr 0xfff
	v_mul_f32_e32 v1, 0x4f7ffffe, v1
	s_add_i32 s3, s1, -1
	s_bfe_u32 s49, s31, 0x30005
	s_cmp_gt_u32 s3, 6
	v_mad_u64_u32 v[5:6], null, s30, v12, s[30:31]
	v_cvt_u32_f32_e32 v1, v1
	s_cselect_b32 s50, -1, 0
	s_and_b32 s51, s1, 0x7f8
	s_cmp_lg_u32 s49, 0
	v_cmp_gt_u32_e64 s1, 2, v0
	v_readfirstlane_b32 s3, v1
	s_cselect_b32 s52, -1, 0
	s_sub_i32 s4, 0, s43
	v_lshrrev_b32_e32 v1, 3, v0
	s_delay_alu instid0(VALU_DEP_2) | instskip(NEXT) | instid1(SALU_CYCLE_1)
	s_mul_i32 s4, s4, s3
	s_mul_hi_u32 s4, s3, s4
	s_delay_alu instid0(VALU_DEP_1) | instskip(SKIP_3) | instid1(SALU_CYCLE_1)
	v_and_b32_e32 v13, 0x7c, v1
	s_add_i32 s53, s3, s4
	v_cmp_eq_u32_e64 s3, 0, v11
	s_mul_hi_u32 s4, s28, s53
	s_mul_i32 s4, s4, s43
	s_delay_alu instid0(SALU_CYCLE_1) | instskip(NEXT) | instid1(SALU_CYCLE_1)
	s_sub_i32 s4, s28, s4
	s_sub_i32 s5, s4, s43
	s_cmp_ge_u32 s4, s43
	s_cselect_b32 s4, s5, s4
	s_delay_alu instid0(SALU_CYCLE_1) | instskip(SKIP_4) | instid1(SALU_CYCLE_1)
	s_sub_i32 s6, s4, s43
	s_cmp_ge_u32 s4, s43
	s_cselect_b32 s8, s6, s4
	s_sub_i32 s4, 0, s31
	s_sub_i32 s56, s28, s8
	v_dual_mul_f32 v2, 0x4f7ffffe, v2 :: v_dual_add_nc_u32 v15, s56, v0
	v_add_co_u32 v6, s6, s36, v10
	s_delay_alu instid0(VALU_DEP_1) | instskip(NEXT) | instid1(VALU_DEP_3)
	v_add_co_ci_u32_e64 v7, null, s37, 0, s6
	v_cvt_u32_f32_e32 v3, v2
	v_lshlrev_b64 v[1:2], v11, -1
	v_mul_lo_u32 v4, v15, s30
	v_or_b32_e32 v2, 2, v12
	s_delay_alu instid0(VALU_DEP_4)
	v_readfirstlane_b32 s5, v3
	v_or_b32_e32 v3, 3, v12
	v_not_b32_e32 v14, v1
	v_add3_u32 v1, s31, s28, v0
	v_mul_lo_u32 v16, s30, v2
	s_mul_i32 s4, s4, s5
	v_mul_lo_u32 v17, s30, v3
	s_mul_hi_u32 s4, s5, s4
	v_subrev_nc_u32_e32 v1, s8, v1
	s_add_i32 s55, s5, s4
	s_delay_alu instid0(SALU_CYCLE_1) | instskip(NEXT) | instid1(SALU_CYCLE_1)
	s_mul_hi_u32 s4, s7, s55
	s_mul_i32 s4, s4, s31
	s_delay_alu instid0(VALU_DEP_1) | instskip(SKIP_1) | instid1(SALU_CYCLE_1)
	v_mul_lo_u32 v19, s30, v1
	s_sub_i32 s4, s7, s4
	s_sub_i32 s5, s4, s31
	s_cmp_ge_u32 s4, s31
	s_cselect_b32 s5, s5, s4
	v_cmp_gt_u32_e64 s4, s56, v12
	s_sub_i32 s6, s5, s31
	s_cmp_ge_u32 s5, s31
	s_cselect_b32 s6, s6, s5
	v_cmp_gt_u32_e64 s5, s28, v15
	s_sub_i32 s57, s7, s6
	v_add_co_u32 v8, s6, s36, v4
	s_delay_alu instid0(VALU_DEP_1)
	v_add_co_ci_u32_e64 v9, null, s37, 0, s6
	v_cmp_gt_u32_e64 s6, s57, v0
	s_lshl_b32 s58, s45, 2
	s_branch .LBB72_12
.LBB72_8:                               ;   in Loop: Header=BB72_12 Depth=1
	s_xor_b32 s64, s64, 1
	s_add_i32 s11, s54, -2
	s_cmp_eq_u32 s54, 0
	s_mov_b32 s7, 0
	s_cselect_b32 s10, -1, 0
	s_mov_b32 s54, s11
.LBB72_9:                               ;   in Loop: Header=BB72_12 Depth=1
	s_and_not1_b32 s11, s13, exec_lo
	s_and_b32 s7, s7, exec_lo
	s_and_not1_b32 s14, s14, exec_lo
	s_or_b32 s13, s11, s7
	s_and_not1_b32 s12, s12, exec_lo
	s_or_not1_b32 s11, s10, exec_lo
	s_mov_b32 s68, s20
.LBB72_10:                              ;   in Loop: Header=BB72_12 Depth=1
	s_or_b32 exec_lo, exec_lo, s8
	s_delay_alu instid0(SALU_CYCLE_1)
	s_and_not1_b32 s7, s62, exec_lo
	s_and_b32 s8, s13, exec_lo
	s_and_not1_b32 s10, s63, exec_lo
	s_or_b32 s62, s7, s8
	s_and_not1_b32 s7, s65, exec_lo
	s_and_b32 s8, s14, exec_lo
	s_and_b32 s12, s12, exec_lo
	s_or_b32 s65, s7, s8
	s_or_b32 s63, s10, s12
	s_or_not1_b32 s12, s11, exec_lo
.LBB72_11:                              ;   in Loop: Header=BB72_12 Depth=1
	s_or_b32 exec_lo, exec_lo, s9
	s_delay_alu instid0(SALU_CYCLE_1)
	s_and_b32 s7, exec_lo, s12
	v_mov_b32_e32 v1, s66
	s_or_b32 s42, s7, s42
	s_and_not1_b32 s7, s60, exec_lo
	s_and_b32 s8, s62, exec_lo
	s_and_not1_b32 s9, s59, exec_lo
	s_or_b32 s60, s7, s8
	s_and_not1_b32 s7, s61, exec_lo
	s_and_b32 s8, s65, exec_lo
	s_and_b32 s10, s63, exec_lo
	s_or_b32 s61, s7, s8
	s_or_b32 s59, s9, s10
	s_and_not1_b32 exec_lo, exec_lo, s42
	s_cbranch_execz .LBB72_234
.LBB72_12:                              ; =>This Loop Header: Depth=1
                                        ;     Child Loop BB72_17 Depth 2
                                        ;     Child Loop BB72_32 Depth 2
	;; [unrolled: 1-line block ×16, first 2 shown]
	ds_load_b64 v[1:2], v21 offset:4104
	s_waitcnt lgkmcnt(0)
	v_readfirstlane_b32 s69, v1
	s_delay_alu instid0(VALU_DEP_1)
	s_cmp_lg_u32 s69, 0
	s_cbranch_scc1 .LBB72_39
; %bb.13:                               ;   in Loop: Header=BB72_12 Depth=1
	s_and_b32 vcc_lo, exec_lo, s47
	s_cbranch_vccz .LBB72_25
; %bb.14:                               ;   in Loop: Header=BB72_12 Depth=1
	v_cmp_gt_u32_e32 vcc_lo, 0xc01, v2
	s_mov_b32 s69, 0
	s_mov_b32 s7, 0
	s_cbranch_vccz .LBB72_26
; %bb.15:                               ;   in Loop: Header=BB72_12 Depth=1
	global_load_u16 v1, v21, s[40:41]
	global_load_u8 v4, v[6:7], off
	v_mov_b32_e32 v23, v0
	s_mov_b32 s9, 0
	s_waitcnt vmcnt(1)
	v_add_nc_u32_e32 v2, v0, v1
	v_mul_lo_u32 v3, s30, v1
	s_delay_alu instid0(VALU_DEP_2)
	v_mul_lo_u32 v2, s30, v2
	s_branch .LBB72_17
.LBB72_16:                              ;   in Loop: Header=BB72_17 Depth=2
	s_or_b32 exec_lo, exec_lo, s8
	v_add_nc_u32_e32 v2, v2, v3
	v_mov_b32_e32 v4, v24
	s_and_not1_b32 exec_lo, exec_lo, s9
	s_cbranch_execz .LBB72_124
.LBB72_17:                              ;   Parent Loop BB72_12 Depth=1
                                        ; =>  This Inner Loop Header: Depth=2
	v_dual_mov_b32 v24, 0 :: v_dual_add_nc_u32 v23, v23, v1
	s_waitcnt lgkmcnt(0)
	v_mov_b32_e32 v25, 0
	s_mov_b32 s8, exec_lo
	s_delay_alu instid0(VALU_DEP_2)
	v_cmp_le_u32_e32 vcc_lo, s28, v23
	v_cmpx_gt_u32_e64 s28, v23
	s_cbranch_execz .LBB72_19
; %bb.18:                               ;   in Loop: Header=BB72_17 Depth=2
	global_load_u8 v24, v2, s[36:37]
.LBB72_19:                              ;   in Loop: Header=BB72_17 Depth=2
	s_or_b32 exec_lo, exec_lo, s8
	s_waitcnt vmcnt(0)
	v_and_b32_e32 v26, s67, v4
	s_delay_alu instid0(VALU_DEP_1) | instskip(NEXT) | instid1(VALU_DEP_1)
	v_and_b32_e32 v26, 0xff, v26
	v_cmp_eq_u32_e64 s7, s66, v26
	s_delay_alu instid0(VALU_DEP_1) | instskip(SKIP_1) | instid1(SALU_CYCLE_1)
	s_cmp_lg_u32 s7, 0
	s_cselect_b32 s8, -1, 0
	s_and_b32 s8, s3, s8
	s_delay_alu instid0(SALU_CYCLE_1)
	s_and_saveexec_b32 s10, s8
	s_cbranch_execz .LBB72_23
; %bb.20:                               ;   in Loop: Header=BB72_17 Depth=2
	s_mov_b32 s13, exec_lo
	s_bcnt1_i32_b32 s11, s7
	v_mbcnt_lo_u32_b32 v25, s13, 0
	s_mov_b32 s12, exec_lo
                                        ; implicit-def: $vgpr26
	s_delay_alu instid0(VALU_DEP_1)
	v_cmpx_eq_u32_e32 0, v25
	s_cbranch_execz .LBB72_22
; %bb.21:                               ;   in Loop: Header=BB72_17 Depth=2
	s_bcnt1_i32_b32 s8, s13
	s_delay_alu instid0(SALU_CYCLE_1) | instskip(NEXT) | instid1(SALU_CYCLE_1)
	s_mul_i32 s8, s11, s8
	v_mov_b32_e32 v26, s8
	ds_add_rtn_u32 v26, v21, v26 offset:4112
.LBB72_22:                              ;   in Loop: Header=BB72_17 Depth=2
	s_or_b32 exec_lo, exec_lo, s12
	s_waitcnt lgkmcnt(0)
	v_readfirstlane_b32 s8, v26
	s_delay_alu instid0(VALU_DEP_1)
	v_mad_u32_u24 v25, s11, v25, s8
.LBB72_23:                              ;   in Loop: Header=BB72_17 Depth=2
	s_or_b32 exec_lo, exec_lo, s10
	ds_bpermute_b32 v25, v21, v25
	s_and_b32 s8, exec_lo, vcc_lo
	s_delay_alu instid0(SALU_CYCLE_1)
	s_or_b32 s9, s8, s9
	s_and_saveexec_b32 s8, s7
	s_cbranch_execz .LBB72_16
; %bb.24:                               ;   in Loop: Header=BB72_17 Depth=2
	v_and_b32_e32 v26, s7, v14
	s_waitcnt lgkmcnt(0)
	s_delay_alu instid0(VALU_DEP_1)
	v_bcnt_u32_b32 v25, v26, v25
	ds_store_b8 v25, v4
	s_branch .LBB72_16
.LBB72_25:                              ;   in Loop: Header=BB72_12 Depth=1
	s_mov_b32 s69, -1
	s_mov_b32 s7, 0
.LBB72_26:                              ;   in Loop: Header=BB72_12 Depth=1
	s_and_b32 vcc_lo, exec_lo, s69
	s_cbranch_vccz .LBB72_37
.LBB72_27:                              ;   in Loop: Header=BB72_12 Depth=1
	v_mov_b32_e32 v1, 0
	s_and_saveexec_b32 s7, s0
	s_cbranch_execz .LBB72_29
; %bb.28:                               ;   in Loop: Header=BB72_12 Depth=1
	global_load_u8 v1, v[6:7], off
.LBB72_29:                              ;   in Loop: Header=BB72_12 Depth=1
	s_or_b32 exec_lo, exec_lo, s7
	s_and_saveexec_b32 s8, s0
	s_cbranch_execz .LBB72_34
; %bb.30:                               ;   in Loop: Header=BB72_12 Depth=1
	global_load_u16 v2, v21, s[40:41]
	v_mov_b32_e32 v23, v0
	s_mov_b32 s9, 0
	s_waitcnt vmcnt(0)
	v_add_nc_u32_e32 v3, v0, v2
	v_mul_lo_u32 v4, s30, v2
	s_delay_alu instid0(VALU_DEP_2)
	v_mul_lo_u32 v3, s30, v3
	s_branch .LBB72_32
	.p2align	6
.LBB72_31:                              ;   in Loop: Header=BB72_32 Depth=2
	s_or_b32 exec_lo, exec_lo, s10
	ds_store_b8 v23, v1
	v_add_nc_u32_e32 v3, v3, v4
	s_waitcnt vmcnt(0)
	v_mov_b32_e32 v1, v25
	v_mov_b32_e32 v23, v24
	s_and_b32 s7, exec_lo, vcc_lo
	s_delay_alu instid0(SALU_CYCLE_1) | instskip(NEXT) | instid1(SALU_CYCLE_1)
	s_or_b32 s9, s7, s9
	s_and_not1_b32 exec_lo, exec_lo, s9
	s_cbranch_execz .LBB72_34
.LBB72_32:                              ;   Parent Loop BB72_12 Depth=1
                                        ; =>  This Inner Loop Header: Depth=2
	v_dual_mov_b32 v25, 0 :: v_dual_add_nc_u32 v24, v23, v2
	s_mov_b32 s10, exec_lo
	s_delay_alu instid0(VALU_DEP_1)
	v_cmp_le_u32_e32 vcc_lo, s28, v24
	v_cmpx_gt_u32_e64 s28, v24
	s_cbranch_execz .LBB72_31
; %bb.33:                               ;   in Loop: Header=BB72_32 Depth=2
	global_load_u8 v25, v3, s[36:37]
	s_branch .LBB72_31
.LBB72_34:                              ;   in Loop: Header=BB72_12 Depth=1
	s_or_b32 exec_lo, exec_lo, s8
	s_waitcnt vmcnt(0) lgkmcnt(0)
	s_barrier
	buffer_gl0_inv
	s_and_saveexec_b32 s7, s2
	s_cbranch_execz .LBB72_36
; %bb.35:                               ;   in Loop: Header=BB72_12 Depth=1
	v_mov_b32_e32 v1, s28
	ds_store_b32 v21, v1 offset:4104
.LBB72_36:                              ;   in Loop: Header=BB72_12 Depth=1
	s_or_b32 exec_lo, exec_lo, s7
	s_mov_b32 s7, -1
	s_waitcnt lgkmcnt(0)
	s_barrier
                                        ; implicit-def: $sgpr69
.LBB72_37:                              ;   in Loop: Header=BB72_12 Depth=1
	s_and_b32 vcc_lo, exec_lo, s7
	s_cbranch_vccz .LBB72_39
; %bb.38:                               ;   in Loop: Header=BB72_12 Depth=1
	buffer_gl0_inv
	ds_load_b32 v1, v21 offset:4104
	s_waitcnt lgkmcnt(0)
	v_readfirstlane_b32 s69, v1
.LBB72_39:                              ;   in Loop: Header=BB72_12 Depth=1
	s_delay_alu instid0(VALU_DEP_1)
	s_cmp_lt_i32 s69, 1
	s_cbranch_scc0 .LBB72_43
; %bb.40:                               ;   in Loop: Header=BB72_12 Depth=1
	v_dual_mov_b32 v1, 0 :: v_dual_mov_b32 v2, 0
	v_dual_mov_b32 v3, 0 :: v_dual_mov_b32 v4, 0
	s_mov_b32 s71, 0
	s_and_saveexec_b32 s70, s4
	s_cbranch_execnz .LBB72_44
; %bb.41:                               ;   in Loop: Header=BB72_12 Depth=1
	s_or_b32 exec_lo, exec_lo, s70
	v_mov_b32_e32 v26, 0
	s_and_saveexec_b32 s7, s5
	s_cbranch_execnz .LBB72_47
.LBB72_42:                              ;   in Loop: Header=BB72_12 Depth=1
	s_or_b32 exec_lo, exec_lo, s7
	s_and_saveexec_b32 s11, s5
	s_cbranch_execnz .LBB72_48
	s_branch .LBB72_53
.LBB72_43:                              ;   in Loop: Header=BB72_12 Depth=1
                                        ; implicit-def: $vgpr4
	s_cbranch_execnz .LBB72_54
	s_branch .LBB72_63
.LBB72_44:                              ;   in Loop: Header=BB72_12 Depth=1
	v_mov_b32_e32 v23, v12
	s_and_b32 s72, s54, 0xfe
	s_mov_b32 s73, 0
	s_mov_b32 s74, 0
	s_mov_b32 s75, 0
	s_mov_b32 s76, 0
	s_mov_b32 s77, 0
.LBB72_45:                              ;   Parent Loop BB72_12 Depth=1
                                        ; =>  This Inner Loop Header: Depth=2
	v_add_nc_u32_e32 v1, s73, v18
	v_add_nc_u32_e32 v2, s73, v5
	;; [unrolled: 1-line block ×5, first 2 shown]
	s_clause 0x3
	global_load_u8 v1, v1, s[36:37]
	global_load_u8 v2, v2, s[36:37]
	;; [unrolled: 1-line block ×4, first 2 shown]
	s_add_i32 s73, s73, s58
	v_cmp_le_u32_e32 vcc_lo, s56, v23
	s_waitcnt vmcnt(3)
	v_and_b32_e32 v24, s67, v1
	v_bfe_u32 v1, v1, s72, 2
	s_waitcnt vmcnt(2)
	v_and_b32_e32 v25, s67, v2
	v_bfe_u32 v2, v2, s72, 2
	;; [unrolled: 3-line block ×3, first 2 shown]
	v_cmp_eq_u32_e64 s7, s66, v24
	v_cmp_eq_u32_e64 s11, 0, v1
	s_waitcnt vmcnt(0)
	v_and_b32_e32 v27, s67, v4
	v_bfe_u32 v4, v4, s72, 2
	v_cmp_eq_u32_e64 s8, s66, v25
	v_cmp_eq_u32_e64 s12, 0, v2
	;; [unrolled: 1-line block ×4, first 2 shown]
	s_and_b32 s11, s7, s11
	v_cmp_eq_u32_e64 s10, s66, v27
	v_cmp_eq_u32_e64 s14, 0, v4
	;; [unrolled: 1-line block ×5, first 2 shown]
	v_cndmask_b32_e64 v1, 0, 1, s11
	s_and_b32 s11, s8, s12
	v_cmp_eq_u32_e64 s16, 1, v2
	v_cmp_eq_u32_e64 s20, 2, v2
	v_cmp_eq_u32_e64 s24, 3, v2
	v_cndmask_b32_e64 v2, 0, 1, s11
	s_and_b32 s11, s9, s13
	v_cmp_eq_u32_e64 s17, 1, v3
	v_cmp_eq_u32_e64 s21, 2, v3
	v_cmp_eq_u32_e64 s25, 3, v3
	;; [unrolled: 5-line block ×3, first 2 shown]
	v_cndmask_b32_e64 v4, 0, 1, s11
	s_and_b32 s11, s7, s15
	s_delay_alu instid0(SALU_CYCLE_1) | instskip(SKIP_1) | instid1(SALU_CYCLE_1)
	v_cndmask_b32_e64 v24, 0, 1, s11
	s_and_b32 s11, s8, s16
	v_cndmask_b32_e64 v25, 0, 1, s11
	s_and_b32 s11, s9, s17
	s_delay_alu instid0(SALU_CYCLE_1) | instskip(SKIP_1) | instid1(VALU_DEP_2)
	v_cndmask_b32_e64 v26, 0, 1, s11
	s_and_b32 s11, s10, s18
	v_cmp_ne_u32_e64 s12, 0, v25
	v_cndmask_b32_e64 v27, 0, 1, s11
	s_and_b32 s11, s7, s19
	s_and_b32 s7, s7, s23
	v_cndmask_b32_e64 v28, 0, 1, s11
	s_and_b32 s11, s8, s20
	v_cndmask_b32_e64 v32, 0, 1, s7
	;; [unrolled: 2-line block ×7, first 2 shown]
	v_cndmask_b32_e64 v35, 0, 1, s7
	v_cmp_ne_u32_e64 s7, 0, v1
	v_cmp_ne_u32_e64 s11, 0, v24
	;; [unrolled: 1-line block ×11, first 2 shown]
	s_bcnt1_i32_b32 s7, s7
	s_bcnt1_i32_b32 s11, s11
	;; [unrolled: 1-line block ×4, first 2 shown]
	v_cmp_ne_u32_e64 s10, 0, v4
	v_cmp_ne_u32_e64 s14, 0, v27
	;; [unrolled: 1-line block ×4, first 2 shown]
	s_bcnt1_i32_b32 s8, s8
	s_bcnt1_i32_b32 s12, s12
	s_bcnt1_i32_b32 s16, s16
	s_bcnt1_i32_b32 s20, s20
	s_add_i32 s7, s7, s77
	s_add_i32 s11, s11, s76
	s_add_i32 s15, s15, s75
	s_add_i32 s19, s19, s74
	s_bcnt1_i32_b32 s9, s9
	s_bcnt1_i32_b32 s13, s13
	s_bcnt1_i32_b32 s17, s17
	s_bcnt1_i32_b32 s21, s21
	s_add_i32 s7, s7, s8
	s_add_i32 s8, s11, s12
	s_add_i32 s11, s15, s16
	s_add_i32 s12, s19, s20
	;; [unrolled: 8-line block ×3, first 2 shown]
	s_add_i32 s77, s7, s10
	s_add_i32 s76, s8, s14
	;; [unrolled: 1-line block ×4, first 2 shown]
	v_mov_b32_e32 v3, s75
	v_dual_mov_b32 v1, s77 :: v_dual_mov_b32 v2, s76
	v_mov_b32_e32 v4, s74
	s_or_b32 s71, vcc_lo, s71
	s_delay_alu instid0(SALU_CYCLE_1)
	s_and_not1_b32 exec_lo, exec_lo, s71
	s_cbranch_execnz .LBB72_45
; %bb.46:                               ;   in Loop: Header=BB72_12 Depth=1
	s_or_b32 exec_lo, exec_lo, s71
	s_delay_alu instid0(SALU_CYCLE_1)
	s_or_b32 exec_lo, exec_lo, s70
	v_mov_b32_e32 v26, 0
	s_and_saveexec_b32 s7, s5
	s_cbranch_execz .LBB72_42
.LBB72_47:                              ;   in Loop: Header=BB72_12 Depth=1
	global_load_u8 v26, v[8:9], off
	s_or_b32 exec_lo, exec_lo, s7
	s_and_saveexec_b32 s11, s5
	s_cbranch_execz .LBB72_53
.LBB72_48:                              ;   in Loop: Header=BB72_12 Depth=1
	v_mov_b32_e32 v23, v19
	v_mov_b32_e32 v24, v15
	s_and_b32 s13, s54, 0xfe
	s_mov_b32 s12, 0
	s_branch .LBB72_50
.LBB72_49:                              ;   in Loop: Header=BB72_50 Depth=2
	s_or_b32 exec_lo, exec_lo, s8
	s_waitcnt vmcnt(0)
	v_and_b32_e32 v26, 0xff, v26
	s_and_b32 s8, exec_lo, vcc_lo
	v_add_nc_u32_e32 v23, s45, v23
	s_or_b32 s12, s8, s12
	s_delay_alu instid0(VALU_DEP_2) | instskip(SKIP_1) | instid1(VALU_DEP_2)
	v_and_b32_e32 v27, s67, v26
	v_bfe_u32 v26, v26, s13, 2
	v_cmp_eq_u32_e32 vcc_lo, s66, v27
	s_delay_alu instid0(VALU_DEP_2) | instskip(SKIP_3) | instid1(VALU_DEP_4)
	v_cmp_eq_u32_e64 s7, 0, v26
	v_cmp_eq_u32_e64 s8, 1, v26
	;; [unrolled: 1-line block ×4, first 2 shown]
	s_and_b32 s7, vcc_lo, s7
	s_delay_alu instid0(SALU_CYCLE_1) | instskip(SKIP_1) | instid1(SALU_CYCLE_1)
	v_cndmask_b32_e64 v26, 0, 1, s7
	s_and_b32 s7, vcc_lo, s8
	v_cndmask_b32_e64 v27, 0, 1, s7
	s_and_b32 s7, vcc_lo, s9
	s_delay_alu instid0(SALU_CYCLE_1)
	v_cndmask_b32_e64 v28, 0, 1, s7
	s_and_b32 s7, vcc_lo, s10
	v_cmp_ne_u32_e32 vcc_lo, 0, v26
	v_mov_b32_e32 v26, v25
	v_cndmask_b32_e64 v29, 0, 1, s7
	v_cmp_ne_u32_e64 s7, 0, v27
	v_cmp_ne_u32_e64 s8, 0, v28
	s_bcnt1_i32_b32 s10, vcc_lo
	s_delay_alu instid0(VALU_DEP_3) | instskip(NEXT) | instid1(VALU_DEP_3)
	v_cmp_ne_u32_e64 s9, 0, v29
	s_bcnt1_i32_b32 s7, s7
	s_delay_alu instid0(VALU_DEP_2)
	s_bcnt1_i32_b32 s8, s8
	v_add_nc_u32_e32 v1, s10, v1
	v_add_nc_u32_e32 v2, s7, v2
	s_bcnt1_i32_b32 s9, s9
	v_add_nc_u32_e32 v3, s8, v3
	v_add_nc_u32_e32 v4, s9, v4
	s_and_not1_b32 exec_lo, exec_lo, s12
	s_cbranch_execz .LBB72_52
.LBB72_50:                              ;   Parent Loop BB72_12 Depth=1
                                        ; =>  This Inner Loop Header: Depth=2
	s_delay_alu instid0(VALU_DEP_1) | instskip(SKIP_1) | instid1(VALU_DEP_1)
	v_dual_mov_b32 v25, 0 :: v_dual_add_nc_u32 v24, s31, v24
	s_mov_b32 s8, exec_lo
	v_cmp_le_u32_e32 vcc_lo, s28, v24
	v_cmpx_gt_u32_e64 s28, v24
	s_cbranch_execz .LBB72_49
; %bb.51:                               ;   in Loop: Header=BB72_50 Depth=2
	global_load_u8 v25, v23, s[36:37]
	s_branch .LBB72_49
.LBB72_52:                              ;   in Loop: Header=BB72_12 Depth=1
	s_or_b32 exec_lo, exec_lo, s12
.LBB72_53:                              ;   in Loop: Header=BB72_12 Depth=1
	s_delay_alu instid0(SALU_CYCLE_1)
	s_or_b32 exec_lo, exec_lo, s11
	s_branch .LBB72_63
.LBB72_54:                              ;   in Loop: Header=BB72_12 Depth=1
	s_mul_hi_u32 s7, s69, s53
	v_dual_mov_b32 v1, 0 :: v_dual_mov_b32 v2, 0
	s_mul_i32 s7, s7, s43
	v_dual_mov_b32 v3, 0 :: v_dual_mov_b32 v4, 0
	s_sub_i32 s7, s69, s7
	s_mov_b32 s72, 0
	s_sub_i32 s8, s7, s43
	s_cmp_ge_u32 s7, s43
	s_mov_b32 s71, exec_lo
	s_cselect_b32 s7, s8, s7
	s_delay_alu instid0(SALU_CYCLE_1) | instskip(SKIP_2) | instid1(SALU_CYCLE_1)
	s_sub_i32 s8, s7, s43
	s_cmp_ge_u32 s7, s43
	s_cselect_b32 s7, s8, s7
	s_sub_i32 s70, s69, s7
	s_delay_alu instid0(SALU_CYCLE_1)
	v_cmpx_gt_u32_e64 s70, v12
	s_cbranch_execz .LBB72_58
; %bb.55:                               ;   in Loop: Header=BB72_12 Depth=1
	v_mov_b32_e32 v23, v12
	s_and_b32 s73, s54, 0xfe
	s_mov_b32 s74, 0
	s_mov_b32 s75, 0
	;; [unrolled: 1-line block ×4, first 2 shown]
.LBB72_56:                              ;   Parent Loop BB72_12 Depth=1
                                        ; =>  This Inner Loop Header: Depth=2
	ds_load_b32 v1, v23
	s_waitcnt lgkmcnt(0)
	v_and_b32_e32 v2, 0xff, v1
	v_bfe_u32 v3, v1, 8, 8
	v_bfe_u32 v4, v1, 16, 8
	v_lshrrev_b32_e32 v1, 24, v1
	s_delay_alu instid0(VALU_DEP_4)
	v_and_b32_e32 v24, s67, v2
	v_bfe_u32 v2, v2, s73, 2
	v_and_b32_e32 v25, s67, v3
	v_bfe_u32 v3, v3, s73, 2
	s_waitcnt vmcnt(0)
	v_and_b32_e32 v26, s67, v4
	v_bfe_u32 v4, v4, s73, 2
	v_cmp_eq_u32_e64 s7, s66, v24
	v_cmp_eq_u32_e64 s11, 0, v2
	v_and_b32_e32 v27, s67, v1
	v_bfe_u32 v1, v1, s73, 2
	v_cmp_eq_u32_e64 s8, s66, v25
	v_cmp_eq_u32_e64 s12, 0, v3
	;; [unrolled: 1-line block ×4, first 2 shown]
	s_and_b32 s11, s7, s11
	v_cmp_eq_u32_e64 s10, s66, v27
	v_cmp_eq_u32_e64 s14, 0, v1
	;; [unrolled: 1-line block ×5, first 2 shown]
	v_cndmask_b32_e64 v1, 0, 1, s11
	s_and_b32 s11, s8, s12
	v_cmp_eq_u32_e64 s15, 1, v2
	v_cmp_eq_u32_e64 s19, 2, v2
	v_cmp_eq_u32_e64 s23, 3, v2
	v_cndmask_b32_e64 v2, 0, 1, s11
	s_and_b32 s11, s9, s13
	v_cmp_eq_u32_e64 s16, 1, v3
	v_cmp_eq_u32_e64 s20, 2, v3
	v_cmp_eq_u32_e64 s24, 3, v3
	;; [unrolled: 5-line block ×3, first 2 shown]
	v_cndmask_b32_e64 v4, 0, 1, s11
	s_and_b32 s11, s7, s15
	s_delay_alu instid0(SALU_CYCLE_1) | instskip(SKIP_1) | instid1(SALU_CYCLE_1)
	v_cndmask_b32_e64 v24, 0, 1, s11
	s_and_b32 s11, s8, s16
	v_cndmask_b32_e64 v25, 0, 1, s11
	s_and_b32 s11, s9, s17
	s_delay_alu instid0(SALU_CYCLE_1) | instskip(SKIP_1) | instid1(VALU_DEP_2)
	v_cndmask_b32_e64 v26, 0, 1, s11
	s_and_b32 s11, s10, s18
	v_cmp_ne_u32_e64 s12, 0, v25
	v_cndmask_b32_e64 v27, 0, 1, s11
	s_and_b32 s11, s7, s19
	s_and_b32 s7, s7, s23
	v_cndmask_b32_e64 v28, 0, 1, s11
	s_and_b32 s11, s8, s20
	v_cndmask_b32_e64 v32, 0, 1, s7
	;; [unrolled: 2-line block ×7, first 2 shown]
	v_cndmask_b32_e64 v35, 0, 1, s7
	v_cmp_ne_u32_e64 s7, 0, v1
	v_cmp_ne_u32_e64 s11, 0, v24
	v_cmp_ne_u32_e64 s8, 0, v2
	v_cmp_ne_u32_e64 s13, 0, v26
	v_cmp_ne_u32_e64 s15, 0, v28
	v_cmp_ne_u32_e64 s19, 0, v32
	s_bcnt1_i32_b32 s7, s7
	s_bcnt1_i32_b32 s11, s11
	v_cmp_ne_u32_e64 s14, 0, v27
	v_cmp_ne_u32_e64 s16, 0, v29
	;; [unrolled: 1-line block ×3, first 2 shown]
	s_bcnt1_i32_b32 s8, s8
	s_bcnt1_i32_b32 s12, s12
	s_add_i32 s7, s7, s77
	s_add_i32 s11, s11, s76
	v_cmp_ne_u32_e64 s9, 0, v3
	v_cmp_ne_u32_e64 s17, 0, v30
	;; [unrolled: 1-line block ×3, first 2 shown]
	s_bcnt1_i32_b32 s13, s13
	s_add_i32 s7, s7, s8
	s_add_i32 s8, s11, s12
	s_bcnt1_i32_b32 s15, s15
	s_bcnt1_i32_b32 s19, s19
	v_cmp_ne_u32_e64 s10, 0, v4
	v_cmp_ne_u32_e64 s18, 0, v31
	;; [unrolled: 1-line block ×3, first 2 shown]
	s_bcnt1_i32_b32 s14, s14
	s_add_i32 s8, s8, s13
	s_bcnt1_i32_b32 s16, s16
	s_bcnt1_i32_b32 s20, s20
	s_add_i32 s15, s15, s75
	s_add_i32 s19, s19, s74
	s_add_i32 s76, s8, s14
	s_delay_alu instid0(SALU_CYCLE_1)
	v_dual_mov_b32 v2, s76 :: v_dual_add_nc_u32 v23, s43, v23
	s_bcnt1_i32_b32 s9, s9
	s_bcnt1_i32_b32 s17, s17
	;; [unrolled: 1-line block ×3, first 2 shown]
	s_add_i32 s11, s15, s16
	s_add_i32 s12, s19, s20
	s_bcnt1_i32_b32 s10, s10
	s_bcnt1_i32_b32 s18, s18
	;; [unrolled: 1-line block ×3, first 2 shown]
	s_add_i32 s7, s7, s9
	s_add_i32 s9, s11, s17
	;; [unrolled: 1-line block ×3, first 2 shown]
	v_cmp_le_u32_e32 vcc_lo, s70, v23
	s_add_i32 s77, s7, s10
	s_add_i32 s75, s9, s18
	;; [unrolled: 1-line block ×3, first 2 shown]
	v_mov_b32_e32 v1, s77
	v_dual_mov_b32 v3, s75 :: v_dual_mov_b32 v4, s74
	s_or_b32 s72, vcc_lo, s72
	s_delay_alu instid0(SALU_CYCLE_1)
	s_and_not1_b32 exec_lo, exec_lo, s72
	s_cbranch_execnz .LBB72_56
; %bb.57:                               ;   in Loop: Header=BB72_12 Depth=1
	s_or_b32 exec_lo, exec_lo, s72
.LBB72_58:                              ;   in Loop: Header=BB72_12 Depth=1
	s_delay_alu instid0(SALU_CYCLE_1) | instskip(SKIP_2) | instid1(VALU_DEP_1)
	s_or_b32 exec_lo, exec_lo, s71
	v_add_nc_u32_e32 v23, s70, v0
	s_mov_b32 s12, exec_lo
	v_cmpx_gt_u32_e64 s69, v23
	s_cbranch_execz .LBB72_62
; %bb.59:                               ;   in Loop: Header=BB72_12 Depth=1
	s_and_b32 s14, s54, 0xfe
	s_mov_b32 s13, 0
	s_set_inst_prefetch_distance 0x1
	.p2align	6
.LBB72_60:                              ;   Parent Loop BB72_12 Depth=1
                                        ; =>  This Inner Loop Header: Depth=2
	ds_load_u8 v24, v23
	v_add_nc_u32_e32 v23, s31, v23
	s_delay_alu instid0(VALU_DEP_1) | instskip(SKIP_3) | instid1(VALU_DEP_2)
	v_cmp_le_u32_e32 vcc_lo, s69, v23
	s_waitcnt lgkmcnt(0)
	v_and_b32_e32 v25, s67, v24
	v_bfe_u32 v24, v24, s14, 2
	v_cmp_eq_u32_e64 s7, s66, v25
	s_delay_alu instid0(VALU_DEP_2) | instskip(SKIP_3) | instid1(VALU_DEP_4)
	v_cmp_eq_u32_e64 s8, 0, v24
	v_cmp_eq_u32_e64 s9, 1, v24
	;; [unrolled: 1-line block ×4, first 2 shown]
	s_and_b32 s8, s7, s8
	s_delay_alu instid0(SALU_CYCLE_1) | instskip(SKIP_1) | instid1(SALU_CYCLE_1)
	v_cndmask_b32_e64 v24, 0, 1, s8
	s_and_b32 s8, s7, s9
	v_cndmask_b32_e64 v25, 0, 1, s8
	s_and_b32 s8, s7, s10
	s_and_b32 s7, s7, s11
	s_waitcnt vmcnt(0)
	v_cndmask_b32_e64 v26, 0, 1, s8
	v_cndmask_b32_e64 v27, 0, 1, s7
	v_cmp_ne_u32_e64 s7, 0, v24
	v_cmp_ne_u32_e64 s8, 0, v25
	s_delay_alu instid0(VALU_DEP_4) | instskip(NEXT) | instid1(VALU_DEP_4)
	v_cmp_ne_u32_e64 s9, 0, v26
	v_cmp_ne_u32_e64 s10, 0, v27
	s_delay_alu instid0(VALU_DEP_4) | instskip(NEXT) | instid1(VALU_DEP_3)
	s_bcnt1_i32_b32 s7, s7
	s_bcnt1_i32_b32 s8, s8
	v_add_nc_u32_e32 v1, s7, v1
	s_bcnt1_i32_b32 s9, s9
	s_bcnt1_i32_b32 s10, s10
	v_add_nc_u32_e32 v2, s8, v2
	v_add_nc_u32_e32 v3, s9, v3
	;; [unrolled: 1-line block ×3, first 2 shown]
	s_or_b32 s13, vcc_lo, s13
	s_delay_alu instid0(SALU_CYCLE_1)
	s_and_not1_b32 exec_lo, exec_lo, s13
	s_cbranch_execnz .LBB72_60
; %bb.61:                               ;   in Loop: Header=BB72_12 Depth=1
	s_set_inst_prefetch_distance 0x2
	s_or_b32 exec_lo, exec_lo, s13
.LBB72_62:                              ;   in Loop: Header=BB72_12 Depth=1
	s_delay_alu instid0(SALU_CYCLE_1)
	s_or_b32 exec_lo, exec_lo, s12
.LBB72_63:                              ;   in Loop: Header=BB72_12 Depth=1
	s_lshl_b32 s7, s64, 7
	s_and_saveexec_b32 s8, s3
	s_cbranch_execz .LBB72_65
; %bb.64:                               ;   in Loop: Header=BB72_12 Depth=1
	v_or_b32_e32 v23, s7, v13
	s_delay_alu instid0(VALU_DEP_1)
	v_lshlrev_b32_e32 v23, 2, v23
	ds_store_b128 v23, v[1:4] offset:3072
.LBB72_65:                              ;   in Loop: Header=BB72_12 Depth=1
	s_or_b32 exec_lo, exec_lo, s8
	s_waitcnt vmcnt(0) lgkmcnt(0)
	s_barrier
	buffer_gl0_inv
	s_and_saveexec_b32 s8, s44
	s_cbranch_execz .LBB72_75
; %bb.66:                               ;   in Loop: Header=BB72_12 Depth=1
	v_mov_b32_e32 v1, 0
	s_and_not1_b32 vcc_lo, exec_lo, s48
	s_cbranch_vccnz .LBB72_74
; %bb.67:                               ;   in Loop: Header=BB72_12 Depth=1
	v_mov_b32_e32 v1, 0
	s_and_not1_b32 vcc_lo, exec_lo, s50
	s_mov_b32 s9, 0
	s_cbranch_vccnz .LBB72_71
; %bb.68:                               ;   in Loop: Header=BB72_12 Depth=1
	v_lshl_add_u32 v2, s64, 9, v20
	v_mov_b32_e32 v1, 0
	.p2align	6
.LBB72_69:                              ;   Parent Loop BB72_12 Depth=1
                                        ; =>  This Inner Loop Header: Depth=2
	ds_load_2addr_b32 v[3:4], v2 offset1:4
	ds_load_2addr_b32 v[23:24], v2 offset0:8 offset1:12
	ds_load_2addr_b32 v[25:26], v2 offset0:16 offset1:20
	;; [unrolled: 1-line block ×3, first 2 shown]
	v_add_nc_u32_e32 v2, 0x80, v2
	s_add_i32 s9, s9, 8
	s_delay_alu instid0(SALU_CYCLE_1) | instskip(SKIP_3) | instid1(VALU_DEP_1)
	s_cmp_eq_u32 s51, s9
	s_waitcnt lgkmcnt(3)
	v_add3_u32 v1, v3, v1, v4
	s_waitcnt lgkmcnt(2)
	v_add3_u32 v1, v23, v1, v24
	s_waitcnt lgkmcnt(1)
	s_delay_alu instid0(VALU_DEP_1) | instskip(SKIP_1) | instid1(VALU_DEP_1)
	v_add3_u32 v1, v25, v1, v26
	s_waitcnt lgkmcnt(0)
	v_add3_u32 v1, v27, v1, v28
	s_cbranch_scc0 .LBB72_69
; %bb.70:                               ;   in Loop: Header=BB72_12 Depth=1
	s_mov_b32 s9, s51
.LBB72_71:                              ;   in Loop: Header=BB72_12 Depth=1
	s_and_not1_b32 vcc_lo, exec_lo, s52
	s_cbranch_vccnz .LBB72_74
; %bb.72:                               ;   in Loop: Header=BB72_12 Depth=1
	s_lshl_b32 s10, s64, 9
	s_lshl_b32 s9, s9, 4
	s_delay_alu instid0(SALU_CYCLE_1)
	v_add3_u32 v2, s10, s9, v20
	s_mov_b32 s9, s49
.LBB72_73:                              ;   Parent Loop BB72_12 Depth=1
                                        ; =>  This Inner Loop Header: Depth=2
	ds_load_b32 v3, v2
	v_add_nc_u32_e32 v2, 16, v2
	s_add_i32 s9, s9, -1
	s_delay_alu instid0(SALU_CYCLE_1)
	s_cmp_lg_u32 s9, 0
	s_waitcnt lgkmcnt(0)
	v_add_nc_u32_e32 v1, v3, v1
	s_cbranch_scc1 .LBB72_73
.LBB72_74:                              ;   in Loop: Header=BB72_12 Depth=1
	v_add_lshl_u32 v2, s7, v11, 2
	ds_store_b32 v2, v1 offset:3072
.LBB72_75:                              ;   in Loop: Header=BB72_12 Depth=1
	s_or_b32 exec_lo, exec_lo, s8
	s_lshl_b32 s7, s7, 2
	s_waitcnt lgkmcnt(0)
	v_mov_b32_e32 v1, s7
	s_barrier
	buffer_gl0_inv
	s_and_b32 s16, s54, 0xfe
	s_mov_b32 s12, -1
	ds_load_b128 v[1:4], v1 offset:3072
	s_lshl_b32 s10, 3, s16
	s_delay_alu instid0(SALU_CYCLE_1) | instskip(SKIP_4) | instid1(VALU_DEP_3)
	s_not_b32 s17, s10
	s_waitcnt lgkmcnt(0)
	v_readfirstlane_b32 s11, v1
	v_readfirstlane_b32 s19, v2
	;; [unrolled: 1-line block ×3, first 2 shown]
	s_cmp_eq_u32 s11, 1
	s_cselect_b32 s7, -1, 0
	s_cmp_eq_u32 s68, 1
	s_cselect_b32 s8, -1, 0
	s_delay_alu instid0(SALU_CYCLE_1)
	s_and_b32 s13, s7, s8
	v_readfirstlane_b32 s8, v4
	s_and_b32 vcc_lo, exec_lo, s13
	s_cbranch_vccz .LBB72_86
; %bb.76:                               ;   in Loop: Header=BB72_12 Depth=1
	ds_load_b32 v1, v21 offset:4104
	s_waitcnt lgkmcnt(0)
	s_barrier
	buffer_gl0_inv
	v_readfirstlane_b32 s9, v1
	s_and_saveexec_b32 s7, s1
	s_cbranch_execz .LBB72_78
; %bb.77:                               ;   in Loop: Header=BB72_12 Depth=1
	ds_store_b8 v0, v21 offset:3072
.LBB72_78:                              ;   in Loop: Header=BB72_12 Depth=1
	s_or_b32 exec_lo, exec_lo, s7
	s_and_b32 s66, s66, s17
	s_or_b32 s67, s67, s10
	s_cmp_eq_u32 s9, 0
	s_waitcnt lgkmcnt(0)
	s_barrier
	buffer_gl0_inv
	s_cbranch_scc1 .LBB72_87
; %bb.79:                               ;   in Loop: Header=BB72_12 Depth=1
	s_add_i32 s7, s9, s46
                                        ; implicit-def: $vgpr22
	s_delay_alu instid0(SALU_CYCLE_1) | instskip(NEXT) | instid1(SALU_CYCLE_1)
	s_mul_hi_u32 s14, s7, s55
	s_mul_i32 s14, s14, s31
	s_delay_alu instid0(SALU_CYCLE_1) | instskip(NEXT) | instid1(SALU_CYCLE_1)
	s_sub_i32 s14, s7, s14
	s_sub_i32 s18, s14, s31
	s_cmp_ge_u32 s14, s31
	s_cselect_b32 s14, s18, s14
	s_delay_alu instid0(SALU_CYCLE_1) | instskip(SKIP_2) | instid1(SALU_CYCLE_1)
	s_sub_i32 s18, s14, s31
	s_cmp_ge_u32 s14, s31
	s_cselect_b32 s14, s18, s14
	s_sub_i32 s18, s7, s14
	s_mov_b32 s7, 0
	s_mov_b32 s14, exec_lo
	v_cmpx_gt_u32_e64 s18, v0
	s_cbranch_execz .LBB72_89
; %bb.80:                               ;   in Loop: Header=BB72_12 Depth=1
	v_mov_b32_e32 v1, v0
	s_mov_b32 s20, 0
                                        ; implicit-def: $sgpr21
	s_set_inst_prefetch_distance 0x1
	s_branch .LBB72_82
	.p2align	6
.LBB72_81:                              ;   in Loop: Header=BB72_82 Depth=2
	s_or_b32 exec_lo, exec_lo, s7
	s_waitcnt lgkmcnt(0)
	s_barrier
	buffer_gl0_inv
	ds_load_u16 v2, v21 offset:3072
	v_add_nc_u32_e32 v1, s31, v1
	s_waitcnt lgkmcnt(0)
	s_barrier
	buffer_gl0_inv
	v_cmp_le_u32_e32 vcc_lo, s18, v1
	v_and_b32_e32 v3, 0xff, v2
	s_delay_alu instid0(VALU_DEP_1) | instskip(NEXT) | instid1(VALU_DEP_1)
	v_cmp_ne_u16_e64 s7, 0, v3
	s_or_b32 s22, vcc_lo, s7
	s_delay_alu instid0(SALU_CYCLE_1) | instskip(NEXT) | instid1(SALU_CYCLE_1)
	s_and_b32 s22, exec_lo, s22
	s_or_b32 s20, s22, s20
	s_and_not1_b32 s21, s21, exec_lo
	s_and_b32 s7, s7, exec_lo
	s_delay_alu instid0(SALU_CYCLE_1)
	s_or_b32 s21, s21, s7
	s_and_not1_b32 exec_lo, exec_lo, s20
	s_cbranch_execz .LBB72_88
.LBB72_82:                              ;   Parent Loop BB72_12 Depth=1
                                        ; =>  This Inner Loop Header: Depth=2
	s_delay_alu instid0(VALU_DEP_1)
	v_cmp_gt_u32_e32 vcc_lo, s9, v1
	v_mov_b32_e32 v2, 0
	s_and_saveexec_b32 s7, vcc_lo
	s_cbranch_execz .LBB72_84
; %bb.83:                               ;   in Loop: Header=BB72_82 Depth=2
	ds_load_u8 v2, v1
.LBB72_84:                              ;   in Loop: Header=BB72_82 Depth=2
	s_or_b32 exec_lo, exec_lo, s7
	s_waitcnt lgkmcnt(0)
	v_and_b32_e32 v3, s67, v2
	s_delay_alu instid0(VALU_DEP_1) | instskip(NEXT) | instid1(VALU_DEP_1)
	v_and_b32_e32 v3, 0xff, v3
	v_cmp_eq_u32_e64 s7, s66, v3
	s_delay_alu instid0(VALU_DEP_1) | instskip(NEXT) | instid1(SALU_CYCLE_1)
	s_and_b32 s22, vcc_lo, s7
	s_and_saveexec_b32 s7, s22
	s_cbranch_execz .LBB72_81
; %bb.85:                               ;   in Loop: Header=BB72_82 Depth=2
	v_lshlrev_b16 v2, 8, v2
	s_delay_alu instid0(VALU_DEP_1)
	v_or_b32_e32 v2, 1, v2
	ds_store_b16 v21, v2 offset:3072
	s_branch .LBB72_81
.LBB72_86:                              ;   in Loop: Header=BB72_12 Depth=1
	s_mov_b32 s7, -1
                                        ; implicit-def: $sgpr9
                                        ; implicit-def: $sgpr18
                                        ; implicit-def: $sgpr14
	s_branch .LBB72_99
.LBB72_87:                              ;   in Loop: Header=BB72_12 Depth=1
	s_mov_b32 s9, -1
	s_mov_b32 s7, 0
                                        ; implicit-def: $sgpr14
                                        ; implicit-def: $vgpr22
	s_mov_b32 s18, s9
	s_cbranch_execnz .LBB72_90
	s_branch .LBB72_99
.LBB72_88:                              ;   in Loop: Header=BB72_12 Depth=1
	s_set_inst_prefetch_distance 0x2
	s_or_b32 exec_lo, exec_lo, s20
	v_lshrrev_b16 v22, 8, v2
	s_and_b32 s7, s21, exec_lo
.LBB72_89:                              ;   in Loop: Header=BB72_12 Depth=1
	s_or_b32 exec_lo, exec_lo, s14
	s_mov_b32 s14, -1
	s_mov_b32 s9, 0
	s_delay_alu instid0(SALU_CYCLE_1)
	s_mov_b32 s18, s9
	s_branch .LBB72_99
.LBB72_90:                              ;   in Loop: Header=BB72_12 Depth=1
	s_mov_b32 s7, 0
                                        ; implicit-def: $vgpr22
	s_and_saveexec_b32 s9, s6
	s_cbranch_execz .LBB72_98
; %bb.91:                               ;   in Loop: Header=BB72_12 Depth=1
	v_dual_mov_b32 v1, v10 :: v_dual_mov_b32 v2, v0
	s_mov_b32 s14, 0
                                        ; implicit-def: $sgpr18
	s_set_inst_prefetch_distance 0x1
	s_branch .LBB72_93
	.p2align	6
.LBB72_92:                              ;   in Loop: Header=BB72_93 Depth=2
	s_or_b32 exec_lo, exec_lo, s7
	s_waitcnt lgkmcnt(0)
	s_barrier
	buffer_gl0_inv
	ds_load_u16 v3, v21 offset:3072
	v_add_nc_u32_e32 v2, s31, v2
	v_add_nc_u32_e32 v1, s45, v1
	s_waitcnt lgkmcnt(0)
	s_barrier
	buffer_gl0_inv
	v_cmp_le_u32_e32 vcc_lo, s57, v2
	v_and_b32_e32 v4, 0xff, v3
	s_delay_alu instid0(VALU_DEP_1) | instskip(NEXT) | instid1(VALU_DEP_1)
	v_cmp_ne_u16_e64 s7, 0, v4
	s_or_b32 s20, vcc_lo, s7
	s_delay_alu instid0(SALU_CYCLE_1) | instskip(NEXT) | instid1(SALU_CYCLE_1)
	s_and_b32 s20, exec_lo, s20
	s_or_b32 s14, s20, s14
	s_and_not1_b32 s18, s18, exec_lo
	s_and_b32 s7, s7, exec_lo
	s_delay_alu instid0(SALU_CYCLE_1)
	s_or_b32 s18, s18, s7
	s_and_not1_b32 exec_lo, exec_lo, s14
	s_cbranch_execz .LBB72_97
.LBB72_93:                              ;   Parent Loop BB72_12 Depth=1
                                        ; =>  This Inner Loop Header: Depth=2
	s_delay_alu instid0(VALU_DEP_1)
	v_cmp_gt_u32_e32 vcc_lo, s28, v2
	v_mov_b32_e32 v3, 0
	s_and_saveexec_b32 s7, vcc_lo
	s_cbranch_execz .LBB72_95
; %bb.94:                               ;   in Loop: Header=BB72_93 Depth=2
	global_load_u8 v3, v1, s[36:37]
.LBB72_95:                              ;   in Loop: Header=BB72_93 Depth=2
	s_or_b32 exec_lo, exec_lo, s7
	s_waitcnt vmcnt(0)
	v_and_b32_e32 v4, s67, v3
	s_delay_alu instid0(VALU_DEP_1) | instskip(NEXT) | instid1(VALU_DEP_1)
	v_and_b32_e32 v4, 0xff, v4
	v_cmp_eq_u32_e64 s7, s66, v4
	s_delay_alu instid0(VALU_DEP_1) | instskip(NEXT) | instid1(SALU_CYCLE_1)
	s_and_b32 s20, vcc_lo, s7
	s_and_saveexec_b32 s7, s20
	s_cbranch_execz .LBB72_92
; %bb.96:                               ;   in Loop: Header=BB72_93 Depth=2
	v_lshlrev_b16 v3, 8, v3
	s_delay_alu instid0(VALU_DEP_1)
	v_or_b32_e32 v3, 1, v3
	ds_store_b16 v21, v3 offset:3072
	s_branch .LBB72_92
.LBB72_97:                              ;   in Loop: Header=BB72_12 Depth=1
	s_set_inst_prefetch_distance 0x2
	s_or_b32 exec_lo, exec_lo, s14
	v_lshrrev_b16 v22, 8, v3
	s_and_b32 s7, s18, exec_lo
.LBB72_98:                              ;   in Loop: Header=BB72_12 Depth=1
	s_or_b32 exec_lo, exec_lo, s9
	s_mov_b32 s18, -1
	s_mov_b32 s9, 0
	s_mov_b32 s14, 0
.LBB72_99:                              ;   in Loop: Header=BB72_12 Depth=1
	s_and_not1_b32 s20, s62, exec_lo
	s_and_b32 s9, s9, exec_lo
	s_and_b32 s18, s18, exec_lo
	s_or_b32 s62, s20, s9
	s_and_not1_b32 s9, s65, exec_lo
	s_and_not1_b32 s20, s63, exec_lo
	s_and_b32 s14, s14, exec_lo
	s_or_b32 s65, s9, s18
	s_or_b32 s63, s20, s14
	s_and_saveexec_b32 s9, s7
	s_cbranch_execz .LBB72_11
; %bb.100:                              ;   in Loop: Header=BB72_12 Depth=1
	s_xor_b32 s7, s13, -1
	s_mov_b32 s12, 0
	s_and_not1_b32 vcc_lo, exec_lo, s7
	s_mov_b32 s20, 1
	s_cbranch_vccnz .LBB72_111
; %bb.101:                              ;   in Loop: Header=BB72_12 Depth=1
	s_cmp_gt_u32 s68, s11
	s_mov_b32 s12, -1
                                        ; implicit-def: $sgpr7
                                        ; implicit-def: $sgpr13
                                        ; implicit-def: $sgpr14
	s_cbranch_scc1 .LBB72_107
; %bb.102:                              ;   in Loop: Header=BB72_12 Depth=1
	ds_load_b32 v1, v21 offset:4104
	s_waitcnt lgkmcnt(0)
	v_cmp_ne_u32_e32 vcc_lo, 0, v1
	s_cbranch_vccnz .LBB72_106
; %bb.103:                              ;   in Loop: Header=BB72_12 Depth=1
	s_and_saveexec_b32 s7, s2
	s_cbranch_execz .LBB72_105
; %bb.104:                              ;   in Loop: Header=BB72_12 Depth=1
	v_mov_b32_e32 v1, s11
	ds_store_b32 v21, v1 offset:4108
.LBB72_105:                             ;   in Loop: Header=BB72_12 Depth=1
	s_or_b32 exec_lo, exec_lo, s7
	s_waitcnt lgkmcnt(0)
	s_barrier
	buffer_gl0_inv
.LBB72_106:                             ;   in Loop: Header=BB72_12 Depth=1
	s_and_b32 s13, s66, s17
	s_or_b32 s14, s67, s10
	s_mov_b32 s12, 0
	s_mov_b32 s7, 8
.LBB72_107:                             ;   in Loop: Header=BB72_12 Depth=1
	s_and_not1_b32 vcc_lo, exec_lo, s12
	s_cbranch_vccnz .LBB72_109
; %bb.108:                              ;   in Loop: Header=BB72_12 Depth=1
	s_sub_i32 s68, s68, s11
	s_mov_b32 s12, -1
	s_mov_b32 s7, 0
	s_mov_b32 s13, s66
	;; [unrolled: 1-line block ×3, first 2 shown]
.LBB72_109:                             ;   in Loop: Header=BB72_12 Depth=1
	s_delay_alu instid0(SALU_CYCLE_1)
	s_mov_b32 s67, s14
	s_mov_b32 s66, s13
	;; [unrolled: 1-line block ×3, first 2 shown]
	s_and_b32 vcc_lo, exec_lo, s12
	s_mov_b32 s11, -1
	s_cbranch_vccnz .LBB72_112
.LBB72_110:                             ;   in Loop: Header=BB72_12 Depth=1
	s_mov_b32 s23, -1
                                        ; implicit-def: $sgpr12
                                        ; implicit-def: $sgpr14
                                        ; implicit-def: $sgpr13
                                        ; implicit-def: $sgpr68
	s_delay_alu instid0(SALU_CYCLE_1) | instskip(NEXT) | instid1(SALU_CYCLE_1)
	s_and_saveexec_b32 s8, s23
	s_xor_b32 s8, exec_lo, s8
	s_cbranch_execz .LBB72_10
	s_branch .LBB72_232
.LBB72_111:                             ;   in Loop: Header=BB72_12 Depth=1
	s_mov_b32 s7, 1
	s_and_b32 vcc_lo, exec_lo, s12
	s_mov_b32 s11, -1
	s_cbranch_vccz .LBB72_110
.LBB72_112:                             ;   in Loop: Header=BB72_12 Depth=1
	s_cmp_eq_u32 s19, 1
	s_mov_b32 s22, -1
	s_cselect_b32 s7, -1, 0
	s_cmp_eq_u32 s20, 1
	s_cselect_b32 s12, -1, 0
	s_delay_alu instid0(SALU_CYCLE_1) | instskip(NEXT) | instid1(SALU_CYCLE_1)
	s_and_b32 s21, s7, s12
	s_and_b32 vcc_lo, exec_lo, s21
	s_cbranch_vccz .LBB72_123
; %bb.113:                              ;   in Loop: Header=BB72_12 Depth=1
	ds_load_b32 v1, v21 offset:4104
	s_waitcnt lgkmcnt(0)
	s_barrier
	buffer_gl0_inv
	v_readfirstlane_b32 s12, v1
	s_and_saveexec_b32 s7, s1
	s_cbranch_execz .LBB72_115
; %bb.114:                              ;   in Loop: Header=BB72_12 Depth=1
	ds_store_b8 v0, v21 offset:3072
.LBB72_115:                             ;   in Loop: Header=BB72_12 Depth=1
	s_or_b32 exec_lo, exec_lo, s7
	s_lshl_b32 s7, 1, s16
	s_and_b32 s13, s66, s17
	s_or_b32 s67, s67, s10
	s_or_b32 s66, s13, s7
	s_cmp_eq_u32 s12, 0
	s_waitcnt lgkmcnt(0)
	s_barrier
	buffer_gl0_inv
	s_cbranch_scc1 .LBB72_127
; %bb.116:                              ;   in Loop: Header=BB72_12 Depth=1
	s_add_i32 s7, s12, s46
	s_mov_b32 s22, 0
	s_mul_hi_u32 s13, s7, s55
                                        ; implicit-def: $vgpr22
	s_delay_alu instid0(SALU_CYCLE_1) | instskip(NEXT) | instid1(SALU_CYCLE_1)
	s_mul_i32 s13, s13, s31
	s_sub_i32 s13, s7, s13
	s_delay_alu instid0(SALU_CYCLE_1) | instskip(SKIP_2) | instid1(SALU_CYCLE_1)
	s_sub_i32 s14, s13, s31
	s_cmp_ge_u32 s13, s31
	s_cselect_b32 s13, s14, s13
	s_sub_i32 s14, s13, s31
	s_cmp_ge_u32 s13, s31
	s_cselect_b32 s13, s14, s13
	s_delay_alu instid0(SALU_CYCLE_1)
	s_sub_i32 s14, s7, s13
	s_mov_b32 s13, exec_lo
	v_cmpx_gt_u32_e64 s14, v0
	s_cbranch_execz .LBB72_129
; %bb.117:                              ;   in Loop: Header=BB72_12 Depth=1
	v_mov_b32_e32 v1, v0
	s_mov_b32 s18, 0
                                        ; implicit-def: $sgpr22
	s_set_inst_prefetch_distance 0x1
	s_branch .LBB72_119
	.p2align	6
.LBB72_118:                             ;   in Loop: Header=BB72_119 Depth=2
	s_or_b32 exec_lo, exec_lo, s7
	s_waitcnt lgkmcnt(0)
	s_barrier
	buffer_gl0_inv
	ds_load_u16 v2, v21 offset:3072
	v_add_nc_u32_e32 v1, s31, v1
	s_waitcnt lgkmcnt(0)
	s_barrier
	buffer_gl0_inv
	v_cmp_le_u32_e32 vcc_lo, s14, v1
	v_and_b32_e32 v3, 0xff, v2
	s_delay_alu instid0(VALU_DEP_1) | instskip(NEXT) | instid1(VALU_DEP_1)
	v_cmp_ne_u16_e64 s7, 0, v3
	s_or_b32 s23, vcc_lo, s7
	s_delay_alu instid0(SALU_CYCLE_1) | instskip(NEXT) | instid1(SALU_CYCLE_1)
	s_and_b32 s23, exec_lo, s23
	s_or_b32 s18, s23, s18
	s_and_not1_b32 s22, s22, exec_lo
	s_and_b32 s7, s7, exec_lo
	s_delay_alu instid0(SALU_CYCLE_1)
	s_or_b32 s22, s22, s7
	s_and_not1_b32 exec_lo, exec_lo, s18
	s_cbranch_execz .LBB72_128
.LBB72_119:                             ;   Parent Loop BB72_12 Depth=1
                                        ; =>  This Inner Loop Header: Depth=2
	s_delay_alu instid0(VALU_DEP_1)
	v_cmp_gt_u32_e32 vcc_lo, s12, v1
	v_mov_b32_e32 v2, 0
	s_and_saveexec_b32 s7, vcc_lo
	s_cbranch_execz .LBB72_121
; %bb.120:                              ;   in Loop: Header=BB72_119 Depth=2
	ds_load_u8 v2, v1
.LBB72_121:                             ;   in Loop: Header=BB72_119 Depth=2
	s_or_b32 exec_lo, exec_lo, s7
	s_waitcnt lgkmcnt(0)
	v_and_b32_e32 v3, s67, v2
	s_delay_alu instid0(VALU_DEP_1) | instskip(NEXT) | instid1(VALU_DEP_1)
	v_and_b32_e32 v3, 0xff, v3
	v_cmp_eq_u32_e64 s7, s66, v3
	s_delay_alu instid0(VALU_DEP_1) | instskip(NEXT) | instid1(SALU_CYCLE_1)
	s_and_b32 s23, vcc_lo, s7
	s_and_saveexec_b32 s7, s23
	s_cbranch_execz .LBB72_118
; %bb.122:                              ;   in Loop: Header=BB72_119 Depth=2
	v_lshlrev_b16 v2, 8, v2
	s_delay_alu instid0(VALU_DEP_1)
	v_or_b32_e32 v2, 1, v2
	ds_store_b16 v21, v2 offset:3072
	s_branch .LBB72_118
.LBB72_123:                             ;   in Loop: Header=BB72_12 Depth=1
                                        ; implicit-def: $sgpr13
                                        ; implicit-def: $sgpr14
                                        ; implicit-def: $sgpr12
	s_branch .LBB72_139
.LBB72_124:                             ;   in Loop: Header=BB72_12 Depth=1
	s_or_b32 exec_lo, exec_lo, s9
	s_waitcnt lgkmcnt(0)
	s_barrier
	buffer_gl0_inv
	s_and_saveexec_b32 s7, s2
	s_cbranch_execz .LBB72_126
; %bb.125:                              ;   in Loop: Header=BB72_12 Depth=1
	ds_load_b32 v1, v21 offset:4112
	s_waitcnt lgkmcnt(0)
	ds_store_b32 v21, v1 offset:4104
.LBB72_126:                             ;   in Loop: Header=BB72_12 Depth=1
	s_or_b32 exec_lo, exec_lo, s7
	s_waitcnt lgkmcnt(0)
	s_mov_b32 s7, -1
	s_barrier
	s_and_b32 vcc_lo, exec_lo, s69
	s_cbranch_vccnz .LBB72_27
	s_branch .LBB72_37
.LBB72_127:                             ;   in Loop: Header=BB72_12 Depth=1
	s_mov_b32 s13, -1
	s_mov_b32 s22, 0
                                        ; implicit-def: $sgpr12
                                        ; implicit-def: $vgpr22
	s_mov_b32 s14, s13
	s_cbranch_execnz .LBB72_130
	s_branch .LBB72_139
.LBB72_128:                             ;   in Loop: Header=BB72_12 Depth=1
	s_set_inst_prefetch_distance 0x2
	s_or_b32 exec_lo, exec_lo, s18
	v_lshrrev_b16 v22, 8, v2
	s_and_b32 s22, s22, exec_lo
.LBB72_129:                             ;   in Loop: Header=BB72_12 Depth=1
	s_or_b32 exec_lo, exec_lo, s13
	s_mov_b32 s12, -1
	s_mov_b32 s13, 0
	s_delay_alu instid0(SALU_CYCLE_1)
	s_mov_b32 s14, s13
	s_branch .LBB72_139
.LBB72_130:                             ;   in Loop: Header=BB72_12 Depth=1
	s_mov_b32 s22, 0
                                        ; implicit-def: $vgpr22
	s_and_saveexec_b32 s12, s6
	s_cbranch_execz .LBB72_138
; %bb.131:                              ;   in Loop: Header=BB72_12 Depth=1
	v_dual_mov_b32 v1, v10 :: v_dual_mov_b32 v2, v0
	s_mov_b32 s13, 0
                                        ; implicit-def: $sgpr14
	s_set_inst_prefetch_distance 0x1
	s_branch .LBB72_133
	.p2align	6
.LBB72_132:                             ;   in Loop: Header=BB72_133 Depth=2
	s_or_b32 exec_lo, exec_lo, s7
	s_waitcnt lgkmcnt(0)
	s_barrier
	buffer_gl0_inv
	ds_load_u16 v3, v21 offset:3072
	v_add_nc_u32_e32 v2, s31, v2
	v_add_nc_u32_e32 v1, s45, v1
	s_waitcnt lgkmcnt(0)
	s_barrier
	buffer_gl0_inv
	v_cmp_le_u32_e32 vcc_lo, s57, v2
	v_and_b32_e32 v4, 0xff, v3
	s_delay_alu instid0(VALU_DEP_1) | instskip(NEXT) | instid1(VALU_DEP_1)
	v_cmp_ne_u16_e64 s7, 0, v4
	s_or_b32 s18, vcc_lo, s7
	s_delay_alu instid0(SALU_CYCLE_1) | instskip(NEXT) | instid1(SALU_CYCLE_1)
	s_and_b32 s18, exec_lo, s18
	s_or_b32 s13, s18, s13
	s_and_not1_b32 s14, s14, exec_lo
	s_and_b32 s7, s7, exec_lo
	s_delay_alu instid0(SALU_CYCLE_1)
	s_or_b32 s14, s14, s7
	s_and_not1_b32 exec_lo, exec_lo, s13
	s_cbranch_execz .LBB72_137
.LBB72_133:                             ;   Parent Loop BB72_12 Depth=1
                                        ; =>  This Inner Loop Header: Depth=2
	s_delay_alu instid0(VALU_DEP_1)
	v_cmp_gt_u32_e32 vcc_lo, s28, v2
	v_mov_b32_e32 v3, 0
	s_and_saveexec_b32 s7, vcc_lo
	s_cbranch_execz .LBB72_135
; %bb.134:                              ;   in Loop: Header=BB72_133 Depth=2
	global_load_u8 v3, v1, s[36:37]
.LBB72_135:                             ;   in Loop: Header=BB72_133 Depth=2
	s_or_b32 exec_lo, exec_lo, s7
	s_waitcnt vmcnt(0)
	v_and_b32_e32 v4, s67, v3
	s_delay_alu instid0(VALU_DEP_1) | instskip(NEXT) | instid1(VALU_DEP_1)
	v_and_b32_e32 v4, 0xff, v4
	v_cmp_eq_u32_e64 s7, s66, v4
	s_delay_alu instid0(VALU_DEP_1) | instskip(NEXT) | instid1(SALU_CYCLE_1)
	s_and_b32 s18, vcc_lo, s7
	s_and_saveexec_b32 s7, s18
	s_cbranch_execz .LBB72_132
; %bb.136:                              ;   in Loop: Header=BB72_133 Depth=2
	v_lshlrev_b16 v3, 8, v3
	s_delay_alu instid0(VALU_DEP_1)
	v_or_b32_e32 v3, 1, v3
	ds_store_b16 v21, v3 offset:3072
	s_branch .LBB72_132
.LBB72_137:                             ;   in Loop: Header=BB72_12 Depth=1
	s_set_inst_prefetch_distance 0x2
	s_or_b32 exec_lo, exec_lo, s13
	v_lshrrev_b16 v22, 8, v3
	s_and_b32 s22, s14, exec_lo
.LBB72_138:                             ;   in Loop: Header=BB72_12 Depth=1
	s_or_b32 exec_lo, exec_lo, s12
	s_mov_b32 s14, -1
	s_mov_b32 s13, 0
	s_mov_b32 s12, 0
.LBB72_139:                             ;   in Loop: Header=BB72_12 Depth=1
	s_mov_b32 s23, 0
                                        ; implicit-def: $sgpr7
	s_and_saveexec_b32 s18, s22
	s_cbranch_execz .LBB72_231
; %bb.140:                              ;   in Loop: Header=BB72_12 Depth=1
	s_xor_b32 s7, s21, -1
	s_mov_b32 s21, 0
	s_and_not1_b32 vcc_lo, exec_lo, s7
	s_mov_b32 s24, 1
	s_cbranch_vccnz .LBB72_151
; %bb.141:                              ;   in Loop: Header=BB72_12 Depth=1
	s_cmp_gt_u32 s20, s19
	s_mov_b32 s21, -1
                                        ; implicit-def: $sgpr7
                                        ; implicit-def: $sgpr22
                                        ; implicit-def: $sgpr23
	s_cbranch_scc1 .LBB72_147
; %bb.142:                              ;   in Loop: Header=BB72_12 Depth=1
	ds_load_b32 v1, v21 offset:4104
	s_waitcnt lgkmcnt(0)
	v_cmp_ne_u32_e32 vcc_lo, 0, v1
	s_cbranch_vccnz .LBB72_146
; %bb.143:                              ;   in Loop: Header=BB72_12 Depth=1
	s_and_saveexec_b32 s7, s2
	s_cbranch_execz .LBB72_145
; %bb.144:                              ;   in Loop: Header=BB72_12 Depth=1
	v_mov_b32_e32 v1, s19
	ds_store_b32 v21, v1 offset:4108
.LBB72_145:                             ;   in Loop: Header=BB72_12 Depth=1
	s_or_b32 exec_lo, exec_lo, s7
	s_waitcnt lgkmcnt(0)
	s_barrier
	buffer_gl0_inv
.LBB72_146:                             ;   in Loop: Header=BB72_12 Depth=1
	s_lshl_b32 s7, 1, s16
	s_and_b32 s21, s66, s17
	s_or_b32 s23, s67, s10
	s_or_b32 s22, s21, s7
	s_mov_b32 s21, 0
	s_mov_b32 s7, 8
.LBB72_147:                             ;   in Loop: Header=BB72_12 Depth=1
	s_and_not1_b32 vcc_lo, exec_lo, s21
	s_cbranch_vccnz .LBB72_149
; %bb.148:                              ;   in Loop: Header=BB72_12 Depth=1
	s_sub_i32 s20, s20, s19
	s_mov_b32 s21, -1
	s_mov_b32 s7, 0
	s_mov_b32 s22, s66
	;; [unrolled: 1-line block ×3, first 2 shown]
.LBB72_149:                             ;   in Loop: Header=BB72_12 Depth=1
	s_delay_alu instid0(SALU_CYCLE_1)
	s_mov_b32 s67, s23
	s_mov_b32 s66, s22
	;; [unrolled: 1-line block ×3, first 2 shown]
	s_and_not1_b32 vcc_lo, exec_lo, s21
	s_mov_b32 s26, -1
	s_cbranch_vccz .LBB72_152
.LBB72_150:                             ;   in Loop: Header=BB72_12 Depth=1
                                        ; implicit-def: $sgpr20
                                        ; implicit-def: $sgpr21
                                        ; implicit-def: $sgpr19
	s_branch .LBB72_230
.LBB72_151:                             ;   in Loop: Header=BB72_12 Depth=1
	s_mov_b32 s7, 1
	s_and_not1_b32 vcc_lo, exec_lo, s21
	s_mov_b32 s26, -1
	s_cbranch_vccnz .LBB72_150
.LBB72_152:                             ;   in Loop: Header=BB72_12 Depth=1
	s_cmp_eq_u32 s15, 1
	s_mov_b32 s25, -1
	s_cselect_b32 s7, -1, 0
	s_cmp_eq_u32 s24, 1
	s_cselect_b32 s19, -1, 0
	s_delay_alu instid0(SALU_CYCLE_1) | instskip(NEXT) | instid1(SALU_CYCLE_1)
	s_and_b32 s23, s7, s19
	s_and_b32 vcc_lo, exec_lo, s23
	s_cbranch_vccz .LBB72_163
; %bb.153:                              ;   in Loop: Header=BB72_12 Depth=1
	ds_load_b32 v1, v21 offset:4104
	s_waitcnt lgkmcnt(0)
	s_barrier
	buffer_gl0_inv
	v_readfirstlane_b32 s19, v1
	s_and_saveexec_b32 s7, s1
	s_cbranch_execz .LBB72_155
; %bb.154:                              ;   in Loop: Header=BB72_12 Depth=1
	ds_store_b8 v0, v21 offset:3072
.LBB72_155:                             ;   in Loop: Header=BB72_12 Depth=1
	s_or_b32 exec_lo, exec_lo, s7
	s_lshl_b32 s7, 2, s16
	s_and_b32 s20, s66, s17
	s_or_b32 s67, s67, s10
	s_or_b32 s66, s20, s7
	s_cmp_eq_u32 s19, 0
	s_waitcnt lgkmcnt(0)
	s_barrier
	buffer_gl0_inv
	s_cbranch_scc1 .LBB72_164
; %bb.156:                              ;   in Loop: Header=BB72_12 Depth=1
	s_add_i32 s7, s19, s46
	s_mov_b32 s25, 0
	s_mul_hi_u32 s20, s7, s55
                                        ; implicit-def: $vgpr22
	s_delay_alu instid0(SALU_CYCLE_1) | instskip(NEXT) | instid1(SALU_CYCLE_1)
	s_mul_i32 s20, s20, s31
	s_sub_i32 s20, s7, s20
	s_delay_alu instid0(SALU_CYCLE_1) | instskip(SKIP_2) | instid1(SALU_CYCLE_1)
	s_sub_i32 s21, s20, s31
	s_cmp_ge_u32 s20, s31
	s_cselect_b32 s20, s21, s20
	s_sub_i32 s21, s20, s31
	s_cmp_ge_u32 s20, s31
	s_cselect_b32 s20, s21, s20
	s_delay_alu instid0(SALU_CYCLE_1)
	s_sub_i32 s21, s7, s20
	s_mov_b32 s20, exec_lo
	v_cmpx_gt_u32_e64 s21, v0
	s_cbranch_execz .LBB72_166
; %bb.157:                              ;   in Loop: Header=BB72_12 Depth=1
	v_mov_b32_e32 v1, v0
	s_mov_b32 s22, 0
                                        ; implicit-def: $sgpr25
	s_set_inst_prefetch_distance 0x1
	s_branch .LBB72_159
	.p2align	6
.LBB72_158:                             ;   in Loop: Header=BB72_159 Depth=2
	s_or_b32 exec_lo, exec_lo, s7
	s_waitcnt lgkmcnt(0)
	s_barrier
	buffer_gl0_inv
	ds_load_u16 v2, v21 offset:3072
	v_add_nc_u32_e32 v1, s31, v1
	s_waitcnt lgkmcnt(0)
	s_barrier
	buffer_gl0_inv
	v_cmp_le_u32_e32 vcc_lo, s21, v1
	v_and_b32_e32 v3, 0xff, v2
	s_delay_alu instid0(VALU_DEP_1) | instskip(NEXT) | instid1(VALU_DEP_1)
	v_cmp_ne_u16_e64 s7, 0, v3
	s_or_b32 s26, vcc_lo, s7
	s_delay_alu instid0(SALU_CYCLE_1) | instskip(NEXT) | instid1(SALU_CYCLE_1)
	s_and_b32 s26, exec_lo, s26
	s_or_b32 s22, s26, s22
	s_and_not1_b32 s25, s25, exec_lo
	s_and_b32 s7, s7, exec_lo
	s_delay_alu instid0(SALU_CYCLE_1)
	s_or_b32 s25, s25, s7
	s_and_not1_b32 exec_lo, exec_lo, s22
	s_cbranch_execz .LBB72_165
.LBB72_159:                             ;   Parent Loop BB72_12 Depth=1
                                        ; =>  This Inner Loop Header: Depth=2
	s_delay_alu instid0(VALU_DEP_1)
	v_cmp_gt_u32_e32 vcc_lo, s19, v1
	v_mov_b32_e32 v2, 0
	s_and_saveexec_b32 s7, vcc_lo
	s_cbranch_execz .LBB72_161
; %bb.160:                              ;   in Loop: Header=BB72_159 Depth=2
	ds_load_u8 v2, v1
.LBB72_161:                             ;   in Loop: Header=BB72_159 Depth=2
	s_or_b32 exec_lo, exec_lo, s7
	s_waitcnt lgkmcnt(0)
	v_and_b32_e32 v3, s67, v2
	s_delay_alu instid0(VALU_DEP_1) | instskip(NEXT) | instid1(VALU_DEP_1)
	v_and_b32_e32 v3, 0xff, v3
	v_cmp_eq_u32_e64 s7, s66, v3
	s_delay_alu instid0(VALU_DEP_1) | instskip(NEXT) | instid1(SALU_CYCLE_1)
	s_and_b32 s26, vcc_lo, s7
	s_and_saveexec_b32 s7, s26
	s_cbranch_execz .LBB72_158
; %bb.162:                              ;   in Loop: Header=BB72_159 Depth=2
	v_lshlrev_b16 v2, 8, v2
	s_delay_alu instid0(VALU_DEP_1)
	v_or_b32_e32 v2, 1, v2
	ds_store_b16 v21, v2 offset:3072
	s_branch .LBB72_158
.LBB72_163:                             ;   in Loop: Header=BB72_12 Depth=1
                                        ; implicit-def: $sgpr19
                                        ; implicit-def: $sgpr21
                                        ; implicit-def: $sgpr20
	s_branch .LBB72_176
.LBB72_164:                             ;   in Loop: Header=BB72_12 Depth=1
	s_mov_b32 s19, -1
	s_mov_b32 s25, 0
                                        ; implicit-def: $sgpr20
                                        ; implicit-def: $vgpr22
	s_mov_b32 s21, s19
	s_cbranch_execnz .LBB72_167
	s_branch .LBB72_176
.LBB72_165:                             ;   in Loop: Header=BB72_12 Depth=1
	s_set_inst_prefetch_distance 0x2
	s_or_b32 exec_lo, exec_lo, s22
	v_lshrrev_b16 v22, 8, v2
	s_and_b32 s25, s25, exec_lo
.LBB72_166:                             ;   in Loop: Header=BB72_12 Depth=1
	s_or_b32 exec_lo, exec_lo, s20
	s_mov_b32 s20, -1
	s_mov_b32 s19, 0
	s_delay_alu instid0(SALU_CYCLE_1)
	s_mov_b32 s21, s19
	s_branch .LBB72_176
.LBB72_167:                             ;   in Loop: Header=BB72_12 Depth=1
	s_mov_b32 s25, 0
                                        ; implicit-def: $vgpr22
	s_and_saveexec_b32 s19, s6
	s_cbranch_execz .LBB72_175
; %bb.168:                              ;   in Loop: Header=BB72_12 Depth=1
	v_dual_mov_b32 v1, v10 :: v_dual_mov_b32 v2, v0
	s_mov_b32 s20, 0
                                        ; implicit-def: $sgpr21
	s_set_inst_prefetch_distance 0x1
	s_branch .LBB72_170
	.p2align	6
.LBB72_169:                             ;   in Loop: Header=BB72_170 Depth=2
	s_or_b32 exec_lo, exec_lo, s7
	s_waitcnt lgkmcnt(0)
	s_barrier
	buffer_gl0_inv
	ds_load_u16 v3, v21 offset:3072
	v_add_nc_u32_e32 v2, s31, v2
	v_add_nc_u32_e32 v1, s45, v1
	s_waitcnt lgkmcnt(0)
	s_barrier
	buffer_gl0_inv
	v_cmp_le_u32_e32 vcc_lo, s57, v2
	v_and_b32_e32 v4, 0xff, v3
	s_delay_alu instid0(VALU_DEP_1) | instskip(NEXT) | instid1(VALU_DEP_1)
	v_cmp_ne_u16_e64 s7, 0, v4
	s_or_b32 s22, vcc_lo, s7
	s_delay_alu instid0(SALU_CYCLE_1) | instskip(NEXT) | instid1(SALU_CYCLE_1)
	s_and_b32 s22, exec_lo, s22
	s_or_b32 s20, s22, s20
	s_and_not1_b32 s21, s21, exec_lo
	s_and_b32 s7, s7, exec_lo
	s_delay_alu instid0(SALU_CYCLE_1)
	s_or_b32 s21, s21, s7
	s_and_not1_b32 exec_lo, exec_lo, s20
	s_cbranch_execz .LBB72_174
.LBB72_170:                             ;   Parent Loop BB72_12 Depth=1
                                        ; =>  This Inner Loop Header: Depth=2
	s_delay_alu instid0(VALU_DEP_1)
	v_cmp_gt_u32_e32 vcc_lo, s28, v2
	v_mov_b32_e32 v3, 0
	s_and_saveexec_b32 s7, vcc_lo
	s_cbranch_execz .LBB72_172
; %bb.171:                              ;   in Loop: Header=BB72_170 Depth=2
	global_load_u8 v3, v1, s[36:37]
.LBB72_172:                             ;   in Loop: Header=BB72_170 Depth=2
	s_or_b32 exec_lo, exec_lo, s7
	s_waitcnt vmcnt(0)
	v_and_b32_e32 v4, s67, v3
	s_delay_alu instid0(VALU_DEP_1) | instskip(NEXT) | instid1(VALU_DEP_1)
	v_and_b32_e32 v4, 0xff, v4
	v_cmp_eq_u32_e64 s7, s66, v4
	s_delay_alu instid0(VALU_DEP_1) | instskip(NEXT) | instid1(SALU_CYCLE_1)
	s_and_b32 s22, vcc_lo, s7
	s_and_saveexec_b32 s7, s22
	s_cbranch_execz .LBB72_169
; %bb.173:                              ;   in Loop: Header=BB72_170 Depth=2
	v_lshlrev_b16 v3, 8, v3
	s_delay_alu instid0(VALU_DEP_1)
	v_or_b32_e32 v3, 1, v3
	ds_store_b16 v21, v3 offset:3072
	s_branch .LBB72_169
.LBB72_174:                             ;   in Loop: Header=BB72_12 Depth=1
	s_set_inst_prefetch_distance 0x2
	s_or_b32 exec_lo, exec_lo, s20
	v_lshrrev_b16 v22, 8, v3
	s_and_b32 s25, s21, exec_lo
.LBB72_175:                             ;   in Loop: Header=BB72_12 Depth=1
	s_or_b32 exec_lo, exec_lo, s19
	s_mov_b32 s21, -1
	s_mov_b32 s19, 0
	s_mov_b32 s20, 0
.LBB72_176:                             ;   in Loop: Header=BB72_12 Depth=1
	s_mov_b32 s26, 0
                                        ; implicit-def: $sgpr7
	s_and_saveexec_b32 s22, s25
	s_cbranch_execz .LBB72_229
; %bb.177:                              ;   in Loop: Header=BB72_12 Depth=1
	s_xor_b32 s7, s23, -1
	s_mov_b32 s25, 0
	s_and_not1_b32 vcc_lo, exec_lo, s7
	s_mov_b32 s23, 1
	s_cbranch_vccnz .LBB72_188
; %bb.178:                              ;   in Loop: Header=BB72_12 Depth=1
	s_cmp_gt_u32 s24, s15
	s_mov_b32 s25, -1
                                        ; implicit-def: $sgpr7
                                        ; implicit-def: $sgpr23
                                        ; implicit-def: $sgpr26
	s_cbranch_scc1 .LBB72_184
; %bb.179:                              ;   in Loop: Header=BB72_12 Depth=1
	ds_load_b32 v1, v21 offset:4104
	s_waitcnt lgkmcnt(0)
	v_cmp_ne_u32_e32 vcc_lo, 0, v1
	s_cbranch_vccnz .LBB72_183
; %bb.180:                              ;   in Loop: Header=BB72_12 Depth=1
	s_and_saveexec_b32 s7, s2
	s_cbranch_execz .LBB72_182
; %bb.181:                              ;   in Loop: Header=BB72_12 Depth=1
	v_mov_b32_e32 v1, s15
	ds_store_b32 v21, v1 offset:4108
.LBB72_182:                             ;   in Loop: Header=BB72_12 Depth=1
	s_or_b32 exec_lo, exec_lo, s7
	s_waitcnt lgkmcnt(0)
	s_barrier
	buffer_gl0_inv
.LBB72_183:                             ;   in Loop: Header=BB72_12 Depth=1
	s_lshl_b32 s7, 2, s16
	s_and_b32 s16, s66, s17
	s_or_b32 s26, s67, s10
	s_or_b32 s23, s16, s7
	s_mov_b32 s25, 0
	s_mov_b32 s7, 8
.LBB72_184:                             ;   in Loop: Header=BB72_12 Depth=1
	s_and_not1_b32 vcc_lo, exec_lo, s25
	s_cbranch_vccnz .LBB72_186
; %bb.185:                              ;   in Loop: Header=BB72_12 Depth=1
	s_sub_i32 s24, s24, s15
	s_mov_b32 s25, -1
	s_mov_b32 s7, 0
	s_mov_b32 s23, s66
	;; [unrolled: 1-line block ×3, first 2 shown]
.LBB72_186:                             ;   in Loop: Header=BB72_12 Depth=1
	s_delay_alu instid0(SALU_CYCLE_1)
	s_mov_b32 s67, s26
	s_mov_b32 s66, s23
	;; [unrolled: 1-line block ×3, first 2 shown]
	s_and_not1_b32 vcc_lo, exec_lo, s25
	s_mov_b32 s68, -1
	s_cbranch_vccz .LBB72_189
.LBB72_187:                             ;   in Loop: Header=BB72_12 Depth=1
                                        ; implicit-def: $sgpr16
                                        ; implicit-def: $sgpr24
                                        ; implicit-def: $sgpr17
	s_branch .LBB72_228
.LBB72_188:                             ;   in Loop: Header=BB72_12 Depth=1
	s_mov_b32 s7, 1
	s_and_not1_b32 vcc_lo, exec_lo, s25
	s_mov_b32 s68, -1
	s_cbranch_vccnz .LBB72_187
.LBB72_189:                             ;   in Loop: Header=BB72_12 Depth=1
	s_cmp_eq_u32 s8, 1
	s_mov_b32 s25, -1
	s_cselect_b32 s7, -1, 0
	s_cmp_eq_u32 s23, 1
	s_cselect_b32 s15, -1, 0
	s_delay_alu instid0(SALU_CYCLE_1) | instskip(NEXT) | instid1(SALU_CYCLE_1)
	s_and_b32 s15, s7, s15
	s_and_b32 vcc_lo, exec_lo, s15
	s_cbranch_vccz .LBB72_200
; %bb.190:                              ;   in Loop: Header=BB72_12 Depth=1
	ds_load_b32 v1, v21 offset:4104
	s_waitcnt lgkmcnt(0)
	s_barrier
	buffer_gl0_inv
	v_readfirstlane_b32 s16, v1
	s_and_saveexec_b32 s7, s1
	s_cbranch_execz .LBB72_192
; %bb.191:                              ;   in Loop: Header=BB72_12 Depth=1
	ds_store_b8 v0, v21 offset:3072
.LBB72_192:                             ;   in Loop: Header=BB72_12 Depth=1
	s_or_b32 exec_lo, exec_lo, s7
	s_or_b32 s66, s66, s10
	s_or_b32 s67, s67, s10
	s_cmp_eq_u32 s16, 0
	s_waitcnt lgkmcnt(0)
	s_barrier
	buffer_gl0_inv
	s_cbranch_scc1 .LBB72_201
; %bb.193:                              ;   in Loop: Header=BB72_12 Depth=1
	s_add_i32 s7, s16, s46
	s_mov_b32 s25, 0
	s_mul_hi_u32 s17, s7, s55
                                        ; implicit-def: $vgpr22
	s_delay_alu instid0(SALU_CYCLE_1) | instskip(NEXT) | instid1(SALU_CYCLE_1)
	s_mul_i32 s17, s17, s31
	s_sub_i32 s17, s7, s17
	s_delay_alu instid0(SALU_CYCLE_1) | instskip(SKIP_2) | instid1(SALU_CYCLE_1)
	s_sub_i32 s24, s17, s31
	s_cmp_ge_u32 s17, s31
	s_cselect_b32 s17, s24, s17
	s_sub_i32 s24, s17, s31
	s_cmp_ge_u32 s17, s31
	s_cselect_b32 s17, s24, s17
	s_delay_alu instid0(SALU_CYCLE_1)
	s_sub_i32 s24, s7, s17
	s_mov_b32 s17, exec_lo
	v_cmpx_gt_u32_e64 s24, v0
	s_cbranch_execz .LBB72_203
; %bb.194:                              ;   in Loop: Header=BB72_12 Depth=1
	v_mov_b32_e32 v1, v0
                                        ; implicit-def: $sgpr26
	s_set_inst_prefetch_distance 0x1
	s_branch .LBB72_196
	.p2align	6
.LBB72_195:                             ;   in Loop: Header=BB72_196 Depth=2
	s_or_b32 exec_lo, exec_lo, s7
	s_waitcnt lgkmcnt(0)
	s_barrier
	buffer_gl0_inv
	ds_load_u16 v2, v21 offset:3072
	v_add_nc_u32_e32 v1, s31, v1
	s_waitcnt lgkmcnt(0)
	s_barrier
	buffer_gl0_inv
	v_cmp_le_u32_e32 vcc_lo, s24, v1
	v_and_b32_e32 v3, 0xff, v2
	s_delay_alu instid0(VALU_DEP_1) | instskip(NEXT) | instid1(VALU_DEP_1)
	v_cmp_ne_u16_e64 s7, 0, v3
	s_or_b32 s68, vcc_lo, s7
	s_delay_alu instid0(SALU_CYCLE_1) | instskip(NEXT) | instid1(SALU_CYCLE_1)
	s_and_b32 s68, exec_lo, s68
	s_or_b32 s25, s68, s25
	s_and_not1_b32 s26, s26, exec_lo
	s_and_b32 s7, s7, exec_lo
	s_delay_alu instid0(SALU_CYCLE_1)
	s_or_b32 s26, s26, s7
	s_and_not1_b32 exec_lo, exec_lo, s25
	s_cbranch_execz .LBB72_202
.LBB72_196:                             ;   Parent Loop BB72_12 Depth=1
                                        ; =>  This Inner Loop Header: Depth=2
	s_delay_alu instid0(VALU_DEP_1)
	v_cmp_gt_u32_e32 vcc_lo, s16, v1
	v_mov_b32_e32 v2, 0
	s_and_saveexec_b32 s7, vcc_lo
	s_cbranch_execz .LBB72_198
; %bb.197:                              ;   in Loop: Header=BB72_196 Depth=2
	ds_load_u8 v2, v1
.LBB72_198:                             ;   in Loop: Header=BB72_196 Depth=2
	s_or_b32 exec_lo, exec_lo, s7
	s_waitcnt lgkmcnt(0)
	v_and_b32_e32 v3, s67, v2
	s_delay_alu instid0(VALU_DEP_1) | instskip(NEXT) | instid1(VALU_DEP_1)
	v_and_b32_e32 v3, 0xff, v3
	v_cmp_eq_u32_e64 s7, s66, v3
	s_delay_alu instid0(VALU_DEP_1) | instskip(NEXT) | instid1(SALU_CYCLE_1)
	s_and_b32 s68, vcc_lo, s7
	s_and_saveexec_b32 s7, s68
	s_cbranch_execz .LBB72_195
; %bb.199:                              ;   in Loop: Header=BB72_196 Depth=2
	v_lshlrev_b16 v2, 8, v2
	s_delay_alu instid0(VALU_DEP_1)
	v_or_b32_e32 v2, 1, v2
	ds_store_b16 v21, v2 offset:3072
	s_branch .LBB72_195
.LBB72_200:                             ;   in Loop: Header=BB72_12 Depth=1
                                        ; implicit-def: $sgpr16
                                        ; implicit-def: $sgpr24
                                        ; implicit-def: $sgpr17
	s_branch .LBB72_213
.LBB72_201:                             ;   in Loop: Header=BB72_12 Depth=1
	s_mov_b32 s16, -1
	s_mov_b32 s25, 0
                                        ; implicit-def: $sgpr17
                                        ; implicit-def: $vgpr22
	s_mov_b32 s24, s16
	s_cbranch_execnz .LBB72_204
	s_branch .LBB72_213
.LBB72_202:                             ;   in Loop: Header=BB72_12 Depth=1
	s_set_inst_prefetch_distance 0x2
	s_or_b32 exec_lo, exec_lo, s25
	v_lshrrev_b16 v22, 8, v2
	s_and_b32 s25, s26, exec_lo
.LBB72_203:                             ;   in Loop: Header=BB72_12 Depth=1
	s_or_b32 exec_lo, exec_lo, s17
	s_mov_b32 s17, -1
	s_mov_b32 s16, 0
	s_delay_alu instid0(SALU_CYCLE_1)
	s_mov_b32 s24, s16
	s_branch .LBB72_213
.LBB72_204:                             ;   in Loop: Header=BB72_12 Depth=1
	s_mov_b32 s25, 0
                                        ; implicit-def: $vgpr22
	s_and_saveexec_b32 s16, s6
	s_cbranch_execz .LBB72_212
; %bb.205:                              ;   in Loop: Header=BB72_12 Depth=1
	v_dual_mov_b32 v1, v10 :: v_dual_mov_b32 v2, v0
	s_mov_b32 s17, 0
                                        ; implicit-def: $sgpr24
	s_set_inst_prefetch_distance 0x1
	s_branch .LBB72_207
	.p2align	6
.LBB72_206:                             ;   in Loop: Header=BB72_207 Depth=2
	s_or_b32 exec_lo, exec_lo, s7
	s_waitcnt lgkmcnt(0)
	s_barrier
	buffer_gl0_inv
	ds_load_u16 v3, v21 offset:3072
	v_add_nc_u32_e32 v2, s31, v2
	v_add_nc_u32_e32 v1, s45, v1
	s_waitcnt lgkmcnt(0)
	s_barrier
	buffer_gl0_inv
	v_cmp_le_u32_e32 vcc_lo, s57, v2
	v_and_b32_e32 v4, 0xff, v3
	s_delay_alu instid0(VALU_DEP_1) | instskip(NEXT) | instid1(VALU_DEP_1)
	v_cmp_ne_u16_e64 s7, 0, v4
	s_or_b32 s25, vcc_lo, s7
	s_delay_alu instid0(SALU_CYCLE_1) | instskip(NEXT) | instid1(SALU_CYCLE_1)
	s_and_b32 s25, exec_lo, s25
	s_or_b32 s17, s25, s17
	s_and_not1_b32 s24, s24, exec_lo
	s_and_b32 s7, s7, exec_lo
	s_delay_alu instid0(SALU_CYCLE_1)
	s_or_b32 s24, s24, s7
	s_and_not1_b32 exec_lo, exec_lo, s17
	s_cbranch_execz .LBB72_211
.LBB72_207:                             ;   Parent Loop BB72_12 Depth=1
                                        ; =>  This Inner Loop Header: Depth=2
	s_delay_alu instid0(VALU_DEP_1)
	v_cmp_gt_u32_e32 vcc_lo, s28, v2
	v_mov_b32_e32 v3, 0
	s_and_saveexec_b32 s7, vcc_lo
	s_cbranch_execz .LBB72_209
; %bb.208:                              ;   in Loop: Header=BB72_207 Depth=2
	global_load_u8 v3, v1, s[36:37]
.LBB72_209:                             ;   in Loop: Header=BB72_207 Depth=2
	s_or_b32 exec_lo, exec_lo, s7
	s_waitcnt vmcnt(0)
	v_and_b32_e32 v4, s67, v3
	s_delay_alu instid0(VALU_DEP_1) | instskip(NEXT) | instid1(VALU_DEP_1)
	v_and_b32_e32 v4, 0xff, v4
	v_cmp_eq_u32_e64 s7, s66, v4
	s_delay_alu instid0(VALU_DEP_1) | instskip(NEXT) | instid1(SALU_CYCLE_1)
	s_and_b32 s25, vcc_lo, s7
	s_and_saveexec_b32 s7, s25
	s_cbranch_execz .LBB72_206
; %bb.210:                              ;   in Loop: Header=BB72_207 Depth=2
	v_lshlrev_b16 v3, 8, v3
	s_delay_alu instid0(VALU_DEP_1)
	v_or_b32_e32 v3, 1, v3
	ds_store_b16 v21, v3 offset:3072
	s_branch .LBB72_206
.LBB72_211:                             ;   in Loop: Header=BB72_12 Depth=1
	s_set_inst_prefetch_distance 0x2
	s_or_b32 exec_lo, exec_lo, s17
	v_lshrrev_b16 v22, 8, v3
	s_and_b32 s25, s24, exec_lo
.LBB72_212:                             ;   in Loop: Header=BB72_12 Depth=1
	s_or_b32 exec_lo, exec_lo, s16
	s_mov_b32 s24, -1
	s_mov_b32 s16, 0
	s_mov_b32 s17, 0
.LBB72_213:                             ;   in Loop: Header=BB72_12 Depth=1
	s_mov_b32 s68, 0
                                        ; implicit-def: $sgpr7
	s_and_saveexec_b32 s26, s25
	s_cbranch_execz .LBB72_227
; %bb.214:                              ;   in Loop: Header=BB72_12 Depth=1
	s_xor_b32 s7, s15, -1
	s_delay_alu instid0(SALU_CYCLE_1)
	s_and_not1_b32 vcc_lo, exec_lo, s7
	s_mov_b32 s7, 1
	s_cbranch_vccnz .LBB72_221
; %bb.215:                              ;   in Loop: Header=BB72_12 Depth=1
	s_cmp_gt_u32 s23, s8
	s_cbranch_scc1 .LBB72_222
; %bb.216:                              ;   in Loop: Header=BB72_12 Depth=1
	ds_load_b32 v1, v21 offset:4104
	s_waitcnt lgkmcnt(0)
	v_cmp_ne_u32_e32 vcc_lo, 0, v1
	s_cbranch_vccnz .LBB72_220
; %bb.217:                              ;   in Loop: Header=BB72_12 Depth=1
	s_and_saveexec_b32 s7, s2
	s_cbranch_execz .LBB72_219
; %bb.218:                              ;   in Loop: Header=BB72_12 Depth=1
	v_mov_b32_e32 v1, s8
	ds_store_b32 v21, v1 offset:4108
.LBB72_219:                             ;   in Loop: Header=BB72_12 Depth=1
	s_or_b32 exec_lo, exec_lo, s7
	s_waitcnt lgkmcnt(0)
	s_barrier
	buffer_gl0_inv
.LBB72_220:                             ;   in Loop: Header=BB72_12 Depth=1
	s_or_b32 s15, s66, s10
	s_or_b32 s10, s67, s10
	s_mov_b32 s25, 0
	s_mov_b32 s7, 8
	s_branch .LBB72_223
.LBB72_221:                             ;   in Loop: Header=BB72_12 Depth=1
	s_mov_b32 s23, 1
	s_branch .LBB72_226
.LBB72_222:                             ;   in Loop: Header=BB72_12 Depth=1
	s_mov_b32 s25, -1
                                        ; implicit-def: $sgpr7
                                        ; implicit-def: $sgpr15
                                        ; implicit-def: $sgpr10
.LBB72_223:                             ;   in Loop: Header=BB72_12 Depth=1
	s_delay_alu instid0(SALU_CYCLE_1)
	s_and_not1_b32 vcc_lo, exec_lo, s25
	s_cbranch_vccnz .LBB72_225
; %bb.224:                              ;   in Loop: Header=BB72_12 Depth=1
	s_sub_i32 s23, s23, s8
	s_mov_b32 s7, 8
	s_mov_b32 s15, s66
	;; [unrolled: 1-line block ×3, first 2 shown]
.LBB72_225:                             ;   in Loop: Header=BB72_12 Depth=1
	s_mov_b32 s66, s15
	s_mov_b32 s67, s10
.LBB72_226:                             ;   in Loop: Header=BB72_12 Depth=1
	s_mov_b32 s68, exec_lo
.LBB72_227:                             ;   in Loop: Header=BB72_12 Depth=1
	s_or_b32 exec_lo, exec_lo, s26
.LBB72_228:                             ;   in Loop: Header=BB72_12 Depth=1
	s_delay_alu instid0(SALU_CYCLE_1)
	s_and_not1_b32 s8, s19, exec_lo
	s_and_b32 s10, s16, exec_lo
	s_and_not1_b32 s15, s20, exec_lo
	s_or_b32 s19, s8, s10
	s_and_not1_b32 s8, s21, exec_lo
	s_and_b32 s10, s24, exec_lo
	s_and_b32 s16, s17, exec_lo
	s_or_b32 s21, s8, s10
	s_or_b32 s20, s15, s16
	s_and_b32 s26, s68, exec_lo
	s_mov_b32 s24, s23
.LBB72_229:                             ;   in Loop: Header=BB72_12 Depth=1
	s_or_b32 exec_lo, exec_lo, s22
.LBB72_230:                             ;   in Loop: Header=BB72_12 Depth=1
	s_delay_alu instid0(SALU_CYCLE_1)
	s_and_not1_b32 s8, s13, exec_lo
	s_and_b32 s10, s19, exec_lo
	s_and_not1_b32 s12, s12, exec_lo
	s_or_b32 s13, s8, s10
	s_and_not1_b32 s8, s14, exec_lo
	s_and_b32 s10, s21, exec_lo
	s_and_b32 s15, s20, exec_lo
	s_or_b32 s14, s8, s10
	s_or_b32 s12, s12, s15
	s_and_b32 s23, s26, exec_lo
	s_mov_b32 s20, s24
.LBB72_231:                             ;   in Loop: Header=BB72_12 Depth=1
	s_or_b32 exec_lo, exec_lo, s18
                                        ; implicit-def: $sgpr68
	s_and_saveexec_b32 s8, s23
	s_delay_alu instid0(SALU_CYCLE_1)
	s_xor_b32 s8, exec_lo, s8
	s_cbranch_execz .LBB72_10
.LBB72_232:                             ;   in Loop: Header=BB72_12 Depth=1
	s_and_b32 s7, s7, -9
	s_delay_alu instid0(SALU_CYCLE_1)
	s_cmp_eq_u32 s7, 0
	s_cbranch_scc1 .LBB72_8
; %bb.233:                              ;   in Loop: Header=BB72_12 Depth=1
	s_mov_b32 s7, -1
	s_mov_b32 s10, -1
                                        ; implicit-def: $sgpr67
                                        ; implicit-def: $sgpr20
                                        ; implicit-def: $sgpr54
                                        ; implicit-def: $sgpr64
	s_branch .LBB72_9
.LBB72_234:
	s_or_b32 exec_lo, exec_lo, s42
	s_xor_b32 s4, s61, -1
	s_xor_b32 s1, s59, -1
	;; [unrolled: 1-line block ×3, first 2 shown]
	s_mov_b32 s2, 0
	s_and_saveexec_b32 s5, s1
	s_delay_alu instid0(SALU_CYCLE_1)
	s_xor_b32 s1, exec_lo, s5
	s_cbranch_execz .LBB72_248
; %bb.235:
	s_and_saveexec_b32 s2, s4
	s_delay_alu instid0(SALU_CYCLE_1)
	s_xor_b32 s2, exec_lo, s2
	s_cbranch_execz .LBB72_246
; %bb.236:
	s_and_saveexec_b32 s4, s3
	s_delay_alu instid0(SALU_CYCLE_1)
	s_xor_b32 s3, exec_lo, s4
; %bb.237:
	v_mov_b32_e32 v22, v1
; %bb.238:
	s_or_b32 exec_lo, exec_lo, s3
	s_mul_i32 s3, s33, s27
	s_delay_alu instid0(SALU_CYCLE_1)
	v_mov_b32_e32 v1, s3
	global_store_b8 v1, v22, s[38:39]
	s_and_saveexec_b32 s3, s0
	s_cbranch_execz .LBB72_245
; %bb.239:
	v_and_b32_e32 v2, 0xff, v22
	s_mov_b32 s0, 0
                                        ; implicit-def: $sgpr4
                                        ; implicit-def: $sgpr6
                                        ; implicit-def: $sgpr5
	s_set_inst_prefetch_distance 0x1
	s_branch .LBB72_241
	.p2align	6
.LBB72_240:                             ;   in Loop: Header=BB72_241 Depth=1
	s_or_b32 exec_lo, exec_lo, s7
	s_delay_alu instid0(SALU_CYCLE_1) | instskip(NEXT) | instid1(SALU_CYCLE_1)
	s_and_b32 s7, exec_lo, s6
	s_or_b32 s0, s7, s0
	s_and_not1_b32 s4, s4, exec_lo
	s_and_b32 s7, s5, exec_lo
	s_delay_alu instid0(SALU_CYCLE_1)
	s_or_b32 s4, s4, s7
	s_and_not1_b32 exec_lo, exec_lo, s0
	s_cbranch_execz .LBB72_243
.LBB72_241:                             ; =>This Inner Loop Header: Depth=1
	global_load_u8 v3, v10, s[36:37]
	v_mov_b32_e32 v1, v0
	s_or_b32 s5, s5, exec_lo
	s_or_b32 s6, s6, exec_lo
	s_mov_b32 s7, exec_lo
                                        ; implicit-def: $vgpr0
	s_waitcnt vmcnt(0)
	v_cmpx_ne_u16_e64 v3, v2
	s_cbranch_execz .LBB72_240
; %bb.242:                              ;   in Loop: Header=BB72_241 Depth=1
	v_add_nc_u32_e32 v0, s31, v1
	s_and_not1_b32 s6, s6, exec_lo
	v_add_nc_u32_e32 v10, s45, v10
	s_and_not1_b32 s5, s5, exec_lo
	s_delay_alu instid0(VALU_DEP_2) | instskip(SKIP_1) | instid1(SALU_CYCLE_1)
	v_cmp_le_u32_e32 vcc_lo, s28, v0
	s_and_b32 s8, vcc_lo, exec_lo
	s_or_b32 s6, s6, s8
	s_branch .LBB72_240
.LBB72_243:
	s_set_inst_prefetch_distance 0x2
	s_or_b32 exec_lo, exec_lo, s0
	s_and_saveexec_b32 s0, s4
	s_delay_alu instid0(SALU_CYCLE_1)
	s_xor_b32 s0, exec_lo, s0
	s_cbranch_execz .LBB72_245
; %bb.244:
	s_mul_i32 s4, s29, s27
	s_mov_b32 s5, 0
	v_mov_b32_e32 v2, 0
	s_lshl_b64 s[4:5], s[4:5], 3
	s_delay_alu instid0(SALU_CYCLE_1)
	s_add_u32 s4, s34, s4
	s_addc_u32 s5, s35, s5
	global_store_b64 v2, v[1:2], s[4:5]
.LBB72_245:
	s_or_b32 exec_lo, exec_lo, s3
.LBB72_246:
	s_or_saveexec_b32 s0, s2
	s_mov_b32 s2, 0
	s_xor_b32 exec_lo, exec_lo, s0
	s_cbranch_execnz .LBB72_254
.LBB72_247:
	s_or_b32 exec_lo, exec_lo, s0
	s_delay_alu instid0(SALU_CYCLE_1)
	s_and_b32 s2, s2, exec_lo
.LBB72_248:
	s_and_not1_saveexec_b32 s0, s1
	s_cbranch_execnz .LBB72_252
; %bb.249:
	s_or_b32 exec_lo, exec_lo, s0
	s_and_saveexec_b32 s0, s2
.LBB72_250:
	; divergent unreachable
.LBB72_251:
	s_nop 0
	s_sendmsg sendmsg(MSG_DEALLOC_VGPRS)
	s_endpgm
.LBB72_252:
	s_cbranch_execnz .LBB72_256
; %bb.253:
	s_or_b32 s2, s2, exec_lo
	s_or_b32 exec_lo, exec_lo, s0
	s_and_saveexec_b32 s0, s2
	s_cbranch_execnz .LBB72_250
	s_branch .LBB72_251
.LBB72_254:
	s_cbranch_execnz .LBB72_258
; %bb.255:
	s_mov_b32 s2, exec_lo
	s_branch .LBB72_247
.LBB72_256:
	s_trap 2
	s_sendmsg_rtn_b32 s0, sendmsg(MSG_RTN_GET_DOORBELL)
	s_mov_b32 ttmp2, m0
	s_waitcnt lgkmcnt(0)
	s_and_b32 s0, s0, 0x3ff
	s_delay_alu instid0(SALU_CYCLE_1) | instskip(NEXT) | instid1(SALU_CYCLE_1)
	s_bitset1_b32 s0, 10
	s_mov_b32 m0, s0
	s_sendmsg sendmsg(MSG_INTERRUPT)
	s_mov_b32 m0, ttmp2
.LBB72_257:                             ; =>This Inner Loop Header: Depth=1
	s_sethalt 5
	s_branch .LBB72_257
.LBB72_258:
	s_trap 2
	s_sendmsg_rtn_b32 s0, sendmsg(MSG_RTN_GET_DOORBELL)
	s_mov_b32 ttmp2, m0
	s_waitcnt lgkmcnt(0)
	s_and_b32 s0, s0, 0x3ff
	s_delay_alu instid0(SALU_CYCLE_1) | instskip(NEXT) | instid1(SALU_CYCLE_1)
	s_bitset1_b32 s0, 10
	s_mov_b32 m0, s0
	s_sendmsg sendmsg(MSG_INTERRUPT)
	s_mov_b32 m0, ttmp2
.LBB72_259:                             ; =>This Inner Loop Header: Depth=1
	s_sethalt 5
	s_branch .LBB72_259
	.section	.rodata,"a",@progbits
	.p2align	6, 0x0
	.amdhsa_kernel _ZN2at6native12_GLOBAL__N_112gatherMedianIhjLi1EEEvNS_4cuda6detail10TensorInfoIT_T0_EENS5_IlS7_EENS5_IKS6_S7_EES7_S7_S7_b
		.amdhsa_group_segment_fixed_size 4120
		.amdhsa_private_segment_fixed_size 0
		.amdhsa_kernarg_size 920
		.amdhsa_user_sgpr_count 13
		.amdhsa_user_sgpr_dispatch_ptr 0
		.amdhsa_user_sgpr_queue_ptr 0
		.amdhsa_user_sgpr_kernarg_segment_ptr 1
		.amdhsa_user_sgpr_dispatch_id 0
		.amdhsa_user_sgpr_private_segment_size 0
		.amdhsa_wavefront_size32 1
		.amdhsa_uses_dynamic_stack 0
		.amdhsa_enable_private_segment 0
		.amdhsa_system_sgpr_workgroup_id_x 1
		.amdhsa_system_sgpr_workgroup_id_y 1
		.amdhsa_system_sgpr_workgroup_id_z 1
		.amdhsa_system_sgpr_workgroup_info 0
		.amdhsa_system_vgpr_workitem_id 0
		.amdhsa_next_free_vgpr 36
		.amdhsa_next_free_sgpr 78
		.amdhsa_reserve_vcc 1
		.amdhsa_float_round_mode_32 0
		.amdhsa_float_round_mode_16_64 0
		.amdhsa_float_denorm_mode_32 3
		.amdhsa_float_denorm_mode_16_64 3
		.amdhsa_dx10_clamp 1
		.amdhsa_ieee_mode 1
		.amdhsa_fp16_overflow 0
		.amdhsa_workgroup_processor_mode 1
		.amdhsa_memory_ordered 1
		.amdhsa_forward_progress 0
		.amdhsa_shared_vgpr_count 0
		.amdhsa_exception_fp_ieee_invalid_op 0
		.amdhsa_exception_fp_denorm_src 0
		.amdhsa_exception_fp_ieee_div_zero 0
		.amdhsa_exception_fp_ieee_overflow 0
		.amdhsa_exception_fp_ieee_underflow 0
		.amdhsa_exception_fp_ieee_inexact 0
		.amdhsa_exception_int_div_zero 0
	.end_amdhsa_kernel
	.section	.text._ZN2at6native12_GLOBAL__N_112gatherMedianIhjLi1EEEvNS_4cuda6detail10TensorInfoIT_T0_EENS5_IlS7_EENS5_IKS6_S7_EES7_S7_S7_b,"axG",@progbits,_ZN2at6native12_GLOBAL__N_112gatherMedianIhjLi1EEEvNS_4cuda6detail10TensorInfoIT_T0_EENS5_IlS7_EENS5_IKS6_S7_EES7_S7_S7_b,comdat
.Lfunc_end72:
	.size	_ZN2at6native12_GLOBAL__N_112gatherMedianIhjLi1EEEvNS_4cuda6detail10TensorInfoIT_T0_EENS5_IlS7_EENS5_IKS6_S7_EES7_S7_S7_b, .Lfunc_end72-_ZN2at6native12_GLOBAL__N_112gatherMedianIhjLi1EEEvNS_4cuda6detail10TensorInfoIT_T0_EENS5_IlS7_EENS5_IKS6_S7_EES7_S7_S7_b
                                        ; -- End function
	.section	.AMDGPU.csdata,"",@progbits
; Kernel info:
; codeLenInByte = 9220
; NumSgprs: 80
; NumVgprs: 36
; ScratchSize: 0
; MemoryBound: 0
; FloatMode: 240
; IeeeMode: 1
; LDSByteSize: 4120 bytes/workgroup (compile time only)
; SGPRBlocks: 9
; VGPRBlocks: 4
; NumSGPRsForWavesPerEU: 80
; NumVGPRsForWavesPerEU: 36
; Occupancy: 16
; WaveLimiterHint : 1
; COMPUTE_PGM_RSRC2:SCRATCH_EN: 0
; COMPUTE_PGM_RSRC2:USER_SGPR: 13
; COMPUTE_PGM_RSRC2:TRAP_HANDLER: 0
; COMPUTE_PGM_RSRC2:TGID_X_EN: 1
; COMPUTE_PGM_RSRC2:TGID_Y_EN: 1
; COMPUTE_PGM_RSRC2:TGID_Z_EN: 1
; COMPUTE_PGM_RSRC2:TIDIG_COMP_CNT: 0
	.section	.text._ZN2at6native12_GLOBAL__N_112gatherMedianIhjLi2EEEvNS_4cuda6detail10TensorInfoIT_T0_EENS5_IlS7_EENS5_IKS6_S7_EES7_S7_S7_b,"axG",@progbits,_ZN2at6native12_GLOBAL__N_112gatherMedianIhjLi2EEEvNS_4cuda6detail10TensorInfoIT_T0_EENS5_IlS7_EENS5_IKS6_S7_EES7_S7_S7_b,comdat
	.globl	_ZN2at6native12_GLOBAL__N_112gatherMedianIhjLi2EEEvNS_4cuda6detail10TensorInfoIT_T0_EENS5_IlS7_EENS5_IKS6_S7_EES7_S7_S7_b ; -- Begin function _ZN2at6native12_GLOBAL__N_112gatherMedianIhjLi2EEEvNS_4cuda6detail10TensorInfoIT_T0_EENS5_IlS7_EENS5_IKS6_S7_EES7_S7_S7_b
	.p2align	8
	.type	_ZN2at6native12_GLOBAL__N_112gatherMedianIhjLi2EEEvNS_4cuda6detail10TensorInfoIT_T0_EENS5_IlS7_EENS5_IKS6_S7_EES7_S7_S7_b,@function
_ZN2at6native12_GLOBAL__N_112gatherMedianIhjLi2EEEvNS_4cuda6detail10TensorInfoIT_T0_EENS5_IlS7_EENS5_IKS6_S7_EES7_S7_S7_b: ; @_ZN2at6native12_GLOBAL__N_112gatherMedianIhjLi2EEEvNS_4cuda6detail10TensorInfoIT_T0_EENS5_IlS7_EENS5_IKS6_S7_EES7_S7_S7_b
; %bb.0:
	s_clause 0x1
	s_load_b64 s[6:7], s[0:1], 0x298
	s_load_b128 s[28:31], s[0:1], 0x288
	s_add_u32 s4, s0, 0x298
	s_addc_u32 s5, s1, 0
	s_waitcnt lgkmcnt(0)
	s_mul_i32 s2, s7, s15
	s_delay_alu instid0(SALU_CYCLE_1) | instskip(NEXT) | instid1(SALU_CYCLE_1)
	s_add_i32 s2, s2, s14
	s_mul_i32 s27, s2, s6
	s_delay_alu instid0(SALU_CYCLE_1) | instskip(NEXT) | instid1(SALU_CYCLE_1)
	s_add_i32 s27, s27, s13
	s_cmp_ge_u32 s27, s29
	s_cbranch_scc1 .LBB73_251
; %bb.1:
	s_clause 0x2
	s_load_b32 s33, s[0:1], 0xc
	s_load_b32 s29, s[0:1], 0xe4
	;; [unrolled: 1-line block ×3, first 2 shown]
	v_cmp_eq_u32_e64 s2, 0, v0
	s_waitcnt lgkmcnt(0)
	v_cvt_f32_u32_e32 v1, s33
	v_cvt_f32_u32_e32 v2, s29
	;; [unrolled: 1-line block ×3, first 2 shown]
	s_sub_i32 s11, 0, s3
	s_sub_i32 s9, 0, s33
	v_rcp_iflag_f32_e32 v1, v1
	v_rcp_iflag_f32_e32 v2, v2
	;; [unrolled: 1-line block ×3, first 2 shown]
	s_sub_i32 s10, 0, s29
	s_waitcnt_depctr 0xfff
	v_dual_mul_f32 v1, 0x4f7ffffe, v1 :: v_dual_mul_f32 v2, 0x4f7ffffe, v2
	v_mul_f32_e32 v3, 0x4f7ffffe, v3
	s_delay_alu instid0(VALU_DEP_2) | instskip(NEXT) | instid1(VALU_DEP_3)
	v_cvt_u32_f32_e32 v1, v1
	v_cvt_u32_f32_e32 v2, v2
	s_delay_alu instid0(VALU_DEP_3) | instskip(NEXT) | instid1(VALU_DEP_3)
	v_cvt_u32_f32_e32 v3, v3
	v_readfirstlane_b32 s8, v1
	s_delay_alu instid0(VALU_DEP_3) | instskip(NEXT) | instid1(VALU_DEP_3)
	v_readfirstlane_b32 s7, v2
	v_readfirstlane_b32 s12, v3
	s_delay_alu instid0(VALU_DEP_3) | instskip(NEXT) | instid1(VALU_DEP_2)
	s_mul_i32 s9, s9, s8
	s_mul_i32 s10, s10, s7
	s_delay_alu instid0(VALU_DEP_1)
	s_mul_i32 s11, s11, s12
	s_mul_hi_u32 s9, s8, s9
	s_mul_hi_u32 s11, s12, s11
	;; [unrolled: 1-line block ×3, first 2 shown]
	s_add_i32 s12, s12, s11
	s_and_saveexec_b32 s10, s2
	s_cbranch_execz .LBB73_3
; %bb.2:
	v_mov_b32_e32 v1, 0
	s_delay_alu instid0(VALU_DEP_1)
	v_mov_b32_e32 v2, v1
	ds_store_b64 v1, v[1:2] offset:4096
.LBB73_3:
	s_or_b32 exec_lo, exec_lo, s10
	v_mov_b32_e32 v1, 0
	s_waitcnt lgkmcnt(0)
	s_barrier
	buffer_gl0_inv
	s_barrier
	buffer_gl0_inv
	ds_load_b64 v[1:2], v1 offset:4096
	s_add_i32 s15, s8, s9
	s_clause 0x1
	s_load_b64 s[10:11], s[0:1], 0x21c
	s_load_b64 s[8:9], s[0:1], 0x1b0
	s_add_i32 s14, s7, s14
	s_bitcmp1_b32 s31, 0
	s_mov_b32 s74, s28
	s_cselect_b32 s7, -1, 0
	s_waitcnt lgkmcnt(0)
	v_cmp_gt_i64_e32 vcc_lo, 1, v[1:2]
	s_or_b32 s16, s7, vcc_lo
	s_mul_hi_u32 s7, s27, s12
	s_and_not1_b32 vcc_lo, exec_lo, s16
	s_cbranch_vccnz .LBB73_5
; %bb.4:
	v_not_b32_e32 v1, v1
	v_not_b32_e32 v2, v2
	s_delay_alu instid0(VALU_DEP_2) | instskip(NEXT) | instid1(VALU_DEP_2)
	v_add_co_u32 v1, vcc_lo, v1, s28
	v_add_co_ci_u32_e32 v2, vcc_lo, 0, v2, vcc_lo
	s_delay_alu instid0(VALU_DEP_1) | instskip(NEXT) | instid1(VALU_DEP_1)
	v_lshrrev_b32_e32 v3, 31, v2
	v_add_co_u32 v1, vcc_lo, v1, v3
	v_add_co_ci_u32_e32 v2, vcc_lo, 0, v2, vcc_lo
	s_delay_alu instid0(VALU_DEP_1) | instskip(NEXT) | instid1(VALU_DEP_1)
	v_alignbit_b32 v1, v2, v1, 1
	v_readfirstlane_b32 s12, v1
	s_delay_alu instid0(VALU_DEP_1)
	s_add_i32 s74, s12, 1
.LBB73_5:
	s_clause 0x3
	s_load_b64 s[36:37], s[0:1], 0x144
	s_load_b64 s[34:35], s[0:1], 0xd8
	;; [unrolled: 1-line block ×4, first 2 shown]
	s_mul_hi_u32 s47, s27, s15
	s_mul_hi_u32 s31, s27, s14
	s_and_saveexec_b32 s0, s2
	s_cbranch_execz .LBB73_7
; %bb.6:
	v_dual_mov_b32 v1, 0 :: v_dual_mov_b32 v2, s28
	ds_store_b32 v1, v1 offset:4112
	ds_store_b64 v1, v[1:2] offset:4104
.LBB73_7:
	s_or_b32 exec_lo, exec_lo, s0
	s_mul_i32 s0, s7, s3
	s_waitcnt lgkmcnt(0)
	s_sub_i32 s0, s27, s0
	s_barrier
	buffer_gl0_inv
	s_load_b32 s14, s[4:5], 0xc
	s_add_i32 s1, s7, 1
	s_sub_i32 s12, s0, s3
	s_cmp_ge_u32 s0, s3
	v_mbcnt_lo_u32_b32 v12, -1, 0
	s_cselect_b32 s1, s1, s7
	s_cselect_b32 s0, s12, s0
	s_add_i32 s7, s1, 1
	s_cmp_ge_u32 s0, s3
	v_cmp_gt_u32_e32 vcc_lo, 32, v0
	s_cselect_b32 s0, s7, s1
	v_mul_lo_u32 v11, v0, s30
	s_mul_i32 s1, s0, s3
	s_mul_i32 s0, s0, s10
	s_sub_i32 s1, s27, s1
	v_dual_mov_b32 v22, 0 :: v_dual_lshlrev_b32 v13, 2, v0
	s_mul_i32 s1, s1, s11
	v_lshrrev_b32_e32 v3, 3, v0
	s_add_i32 s0, s0, s1
	s_delay_alu instid0(VALU_DEP_2)
	v_mad_u64_u32 v[9:10], null, s30, v13, s[30:31]
	s_add_u32 s38, s8, s0
	s_addc_u32 s39, s9, 0
	s_waitcnt lgkmcnt(0)
	s_and_b32 s46, s14, 0xffff
	v_cmp_gt_i32_e64 s0, 4, v12
	s_lshl_b32 s48, s46, 2
	s_add_i32 s50, s46, -1
	v_cvt_f32_u32_e32 v1, s48
	s_bfe_u32 s1, s14, 0xb0005
	s_and_b32 s51, vcc_lo, s0
	s_add_i32 s7, s50, s28
	s_cmpk_gt_u32 s28, 0xc00
	v_rcp_iflag_f32_e32 v1, v1
	s_cselect_b32 s52, -1, 0
	s_cmp_gt_u32 s46, 31
	v_cvt_f32_u32_e32 v2, s46
	s_cselect_b32 s53, -1, 0
	s_cmp_lt_u32 s13, s6
	v_add_co_u32 v5, s6, s38, v11
	s_cselect_b32 s0, 12, 18
	v_rcp_iflag_f32_e32 v2, v2
	s_waitcnt_depctr 0xfff
	v_mul_f32_e32 v1, 0x4f7ffffe, v1
	s_add_u32 s44, s4, s0
	s_addc_u32 s45, s5, 0
	s_add_i32 s0, s1, -1
	s_bfe_u32 s54, s46, 0x30005
	v_cvt_u32_f32_e32 v1, v1
	s_cmp_gt_u32 s0, 6
	v_lshlrev_b32_e32 v18, 2, v11
	s_cselect_b32 s55, -1, 0
	s_and_b32 s56, s1, 0x7f8
	v_readfirstlane_b32 s1, v1
	s_cmp_lg_u32 s54, 0
	v_mul_f32_e32 v1, 0x4f7ffffe, v2
	s_cselect_b32 s57, -1, 0
	s_sub_i32 s0, 0, s48
	v_add_co_ci_u32_e64 v6, null, s39, 0, s6
	s_mul_i32 s0, s0, s1
	v_cvt_u32_f32_e32 v1, v1
	s_mul_hi_u32 s3, s1, s0
	v_dual_mov_b32 v21, 0 :: v_dual_and_b32 v14, 0x7c, v3
	s_add_i32 s59, s1, s3
	v_or_b32_e32 v3, 3, v13
	s_mul_hi_u32 s1, s28, s59
	v_cmp_gt_u32_e64 s0, s28, v0
	s_mul_i32 s3, s1, s48
	v_cmp_gt_u32_e64 s1, 2, v0
	s_sub_i32 s3, s28, s3
	v_mul_lo_u32 v17, s30, v3
	s_sub_i32 s4, s3, s48
	s_cmp_ge_u32 s3, s48
	v_lshl_or_b32 v20, v12, 2, 0xc00
	s_cselect_b32 s3, s4, s3
	v_readfirstlane_b32 s4, v1
	s_sub_i32 s5, s3, s48
	s_cmp_ge_u32 s3, s48
	v_lshlrev_b64 v[1:2], v12, -1
	s_cselect_b32 s8, s5, s3
	s_sub_i32 s3, 0, s46
	s_sub_i32 s61, s28, s8
	s_mul_i32 s3, s3, s4
	v_add_nc_u32_e32 v16, s61, v0
	s_mul_hi_u32 s5, s4, s3
	v_not_b32_e32 v15, v1
	s_add_i32 s60, s4, s5
	v_or_b32_e32 v2, 2, v13
	s_mul_hi_u32 s4, s7, s60
	v_mul_lo_u32 v1, v16, s30
	s_mul_i32 s4, s4, s46
	v_cmp_eq_u32_e64 s3, 0, v12
	s_sub_i32 s4, s7, s4
	v_mul_lo_u32 v10, s30, v2
	s_sub_i32 s5, s4, s46
	s_cmp_ge_u32 s4, s46
	s_mul_i32 s49, s30, s46
	s_cselect_b32 s5, s5, s4
	v_cmp_gt_u32_e64 s4, s61, v13
	s_sub_i32 s6, s5, s46
	s_cmp_ge_u32 s5, s46
	s_mov_b32 s58, 0
	s_cselect_b32 s6, s6, s5
	v_cmp_gt_u32_e64 s5, s28, v16
	s_sub_i32 s63, s7, s6
	v_add_co_u32 v7, s6, s38, v1
	v_add3_u32 v1, s46, s28, v0
	v_add_co_ci_u32_e64 v8, null, s39, 0, s6
	v_cmp_gt_u32_e64 s6, s63, v0
	s_mov_b32 s62, 6
	s_delay_alu instid0(VALU_DEP_3)
	v_subrev_nc_u32_e32 v1, s8, v1
	s_lshl_b32 s64, s49, 2
	s_mov_b32 s70, 0
	s_mov_b32 s72, 0
	;; [unrolled: 1-line block ×3, first 2 shown]
	v_mul_lo_u32 v19, s30, v1
                                        ; implicit-def: $sgpr65
                                        ; implicit-def: $sgpr67
                                        ; implicit-def: $sgpr66
                                        ; implicit-def: $sgpr69
                                        ; implicit-def: $sgpr71
                                        ; implicit-def: $sgpr68
	s_branch .LBB73_12
.LBB73_8:                               ;   in Loop: Header=BB73_12 Depth=1
	s_xor_b32 s70, s70, 1
	s_add_i32 s11, s62, -2
	s_cmp_eq_u32 s62, 0
	s_mov_b32 s7, 0
	s_cselect_b32 s10, -1, 0
	s_mov_b32 s62, s11
.LBB73_9:                               ;   in Loop: Header=BB73_12 Depth=1
	s_and_not1_b32 s11, s13, exec_lo
	s_and_b32 s7, s7, exec_lo
	s_and_not1_b32 s14, s14, exec_lo
	s_or_b32 s13, s11, s7
	s_and_not1_b32 s12, s12, exec_lo
	s_or_not1_b32 s11, s10, exec_lo
	s_mov_b32 s74, s20
.LBB73_10:                              ;   in Loop: Header=BB73_12 Depth=1
	s_or_b32 exec_lo, exec_lo, s8
	s_delay_alu instid0(SALU_CYCLE_1)
	s_and_not1_b32 s7, s68, exec_lo
	s_and_b32 s8, s13, exec_lo
	s_and_not1_b32 s10, s69, exec_lo
	s_or_b32 s68, s7, s8
	s_and_not1_b32 s7, s71, exec_lo
	s_and_b32 s8, s14, exec_lo
	s_and_b32 s12, s12, exec_lo
	s_or_b32 s71, s7, s8
	s_or_b32 s69, s10, s12
	s_or_not1_b32 s12, s11, exec_lo
.LBB73_11:                              ;   in Loop: Header=BB73_12 Depth=1
	s_or_b32 exec_lo, exec_lo, s9
	s_delay_alu instid0(SALU_CYCLE_1)
	s_and_b32 s7, exec_lo, s12
	v_mov_b32_e32 v1, s72
	s_or_b32 s58, s7, s58
	s_and_not1_b32 s7, s66, exec_lo
	s_and_b32 s8, s68, exec_lo
	s_and_not1_b32 s9, s65, exec_lo
	s_or_b32 s66, s7, s8
	s_and_not1_b32 s7, s67, exec_lo
	s_and_b32 s8, s71, exec_lo
	s_and_b32 s10, s69, exec_lo
	s_or_b32 s67, s7, s8
	s_or_b32 s65, s9, s10
	s_and_not1_b32 exec_lo, exec_lo, s58
	s_cbranch_execz .LBB73_234
.LBB73_12:                              ; =>This Loop Header: Depth=1
                                        ;     Child Loop BB73_17 Depth 2
                                        ;     Child Loop BB73_32 Depth 2
	;; [unrolled: 1-line block ×16, first 2 shown]
	ds_load_b64 v[1:2], v21 offset:4104
	s_waitcnt lgkmcnt(0)
	v_readfirstlane_b32 s75, v1
	s_delay_alu instid0(VALU_DEP_1)
	s_cmp_lg_u32 s75, 0
	s_cbranch_scc1 .LBB73_39
; %bb.13:                               ;   in Loop: Header=BB73_12 Depth=1
	s_and_b32 vcc_lo, exec_lo, s52
	s_cbranch_vccz .LBB73_25
; %bb.14:                               ;   in Loop: Header=BB73_12 Depth=1
	v_cmp_gt_u32_e32 vcc_lo, 0xc01, v2
	s_mov_b32 s75, 0
	s_mov_b32 s7, 0
	s_cbranch_vccz .LBB73_26
; %bb.15:                               ;   in Loop: Header=BB73_12 Depth=1
	global_load_u16 v1, v21, s[44:45]
	global_load_u8 v4, v[5:6], off
	v_mov_b32_e32 v23, v0
	s_mov_b32 s9, 0
	s_waitcnt vmcnt(1)
	v_add_nc_u32_e32 v2, v0, v1
	v_mul_lo_u32 v3, s30, v1
	s_delay_alu instid0(VALU_DEP_2)
	v_mul_lo_u32 v2, s30, v2
	s_branch .LBB73_17
.LBB73_16:                              ;   in Loop: Header=BB73_17 Depth=2
	s_or_b32 exec_lo, exec_lo, s8
	v_add_nc_u32_e32 v2, v2, v3
	v_mov_b32_e32 v4, v24
	s_and_not1_b32 exec_lo, exec_lo, s9
	s_cbranch_execz .LBB73_124
.LBB73_17:                              ;   Parent Loop BB73_12 Depth=1
                                        ; =>  This Inner Loop Header: Depth=2
	v_dual_mov_b32 v24, 0 :: v_dual_add_nc_u32 v23, v23, v1
	s_waitcnt lgkmcnt(0)
	v_mov_b32_e32 v25, 0
	s_mov_b32 s8, exec_lo
	s_delay_alu instid0(VALU_DEP_2)
	v_cmp_le_u32_e32 vcc_lo, s28, v23
	v_cmpx_gt_u32_e64 s28, v23
	s_cbranch_execz .LBB73_19
; %bb.18:                               ;   in Loop: Header=BB73_17 Depth=2
	global_load_u8 v24, v2, s[38:39]
.LBB73_19:                              ;   in Loop: Header=BB73_17 Depth=2
	s_or_b32 exec_lo, exec_lo, s8
	s_waitcnt vmcnt(0)
	v_and_b32_e32 v26, s73, v4
	s_delay_alu instid0(VALU_DEP_1) | instskip(NEXT) | instid1(VALU_DEP_1)
	v_and_b32_e32 v26, 0xff, v26
	v_cmp_eq_u32_e64 s7, s72, v26
	s_delay_alu instid0(VALU_DEP_1) | instskip(SKIP_1) | instid1(SALU_CYCLE_1)
	s_cmp_lg_u32 s7, 0
	s_cselect_b32 s8, -1, 0
	s_and_b32 s8, s3, s8
	s_delay_alu instid0(SALU_CYCLE_1)
	s_and_saveexec_b32 s10, s8
	s_cbranch_execz .LBB73_23
; %bb.20:                               ;   in Loop: Header=BB73_17 Depth=2
	s_mov_b32 s13, exec_lo
	s_bcnt1_i32_b32 s11, s7
	v_mbcnt_lo_u32_b32 v25, s13, 0
	s_mov_b32 s12, exec_lo
                                        ; implicit-def: $vgpr26
	s_delay_alu instid0(VALU_DEP_1)
	v_cmpx_eq_u32_e32 0, v25
	s_cbranch_execz .LBB73_22
; %bb.21:                               ;   in Loop: Header=BB73_17 Depth=2
	s_bcnt1_i32_b32 s8, s13
	s_delay_alu instid0(SALU_CYCLE_1) | instskip(NEXT) | instid1(SALU_CYCLE_1)
	s_mul_i32 s8, s11, s8
	v_mov_b32_e32 v26, s8
	ds_add_rtn_u32 v26, v21, v26 offset:4112
.LBB73_22:                              ;   in Loop: Header=BB73_17 Depth=2
	s_or_b32 exec_lo, exec_lo, s12
	s_waitcnt lgkmcnt(0)
	v_readfirstlane_b32 s8, v26
	s_delay_alu instid0(VALU_DEP_1)
	v_mad_u32_u24 v25, s11, v25, s8
.LBB73_23:                              ;   in Loop: Header=BB73_17 Depth=2
	s_or_b32 exec_lo, exec_lo, s10
	ds_bpermute_b32 v25, v21, v25
	s_and_b32 s8, exec_lo, vcc_lo
	s_delay_alu instid0(SALU_CYCLE_1)
	s_or_b32 s9, s8, s9
	s_and_saveexec_b32 s8, s7
	s_cbranch_execz .LBB73_16
; %bb.24:                               ;   in Loop: Header=BB73_17 Depth=2
	v_and_b32_e32 v26, s7, v15
	s_waitcnt lgkmcnt(0)
	s_delay_alu instid0(VALU_DEP_1)
	v_bcnt_u32_b32 v25, v26, v25
	ds_store_b8 v25, v4
	s_branch .LBB73_16
.LBB73_25:                              ;   in Loop: Header=BB73_12 Depth=1
	s_mov_b32 s75, -1
	s_mov_b32 s7, 0
.LBB73_26:                              ;   in Loop: Header=BB73_12 Depth=1
	s_and_b32 vcc_lo, exec_lo, s75
	s_cbranch_vccz .LBB73_37
.LBB73_27:                              ;   in Loop: Header=BB73_12 Depth=1
	v_mov_b32_e32 v1, 0
	s_and_saveexec_b32 s7, s0
	s_cbranch_execz .LBB73_29
; %bb.28:                               ;   in Loop: Header=BB73_12 Depth=1
	global_load_u8 v1, v[5:6], off
.LBB73_29:                              ;   in Loop: Header=BB73_12 Depth=1
	s_or_b32 exec_lo, exec_lo, s7
	s_and_saveexec_b32 s8, s0
	s_cbranch_execz .LBB73_34
; %bb.30:                               ;   in Loop: Header=BB73_12 Depth=1
	global_load_u16 v2, v21, s[44:45]
	v_mov_b32_e32 v23, v0
	s_mov_b32 s9, 0
	s_waitcnt vmcnt(0)
	v_add_nc_u32_e32 v3, v0, v2
	v_mul_lo_u32 v4, s30, v2
	s_delay_alu instid0(VALU_DEP_2)
	v_mul_lo_u32 v3, s30, v3
	s_branch .LBB73_32
	.p2align	6
.LBB73_31:                              ;   in Loop: Header=BB73_32 Depth=2
	s_or_b32 exec_lo, exec_lo, s10
	ds_store_b8 v23, v1
	v_add_nc_u32_e32 v3, v3, v4
	s_waitcnt vmcnt(0)
	v_mov_b32_e32 v1, v25
	v_mov_b32_e32 v23, v24
	s_and_b32 s7, exec_lo, vcc_lo
	s_delay_alu instid0(SALU_CYCLE_1) | instskip(NEXT) | instid1(SALU_CYCLE_1)
	s_or_b32 s9, s7, s9
	s_and_not1_b32 exec_lo, exec_lo, s9
	s_cbranch_execz .LBB73_34
.LBB73_32:                              ;   Parent Loop BB73_12 Depth=1
                                        ; =>  This Inner Loop Header: Depth=2
	v_dual_mov_b32 v25, 0 :: v_dual_add_nc_u32 v24, v23, v2
	s_mov_b32 s10, exec_lo
	s_delay_alu instid0(VALU_DEP_1)
	v_cmp_le_u32_e32 vcc_lo, s28, v24
	v_cmpx_gt_u32_e64 s28, v24
	s_cbranch_execz .LBB73_31
; %bb.33:                               ;   in Loop: Header=BB73_32 Depth=2
	global_load_u8 v25, v3, s[38:39]
	s_branch .LBB73_31
.LBB73_34:                              ;   in Loop: Header=BB73_12 Depth=1
	s_or_b32 exec_lo, exec_lo, s8
	s_waitcnt vmcnt(0) lgkmcnt(0)
	s_barrier
	buffer_gl0_inv
	s_and_saveexec_b32 s7, s2
	s_cbranch_execz .LBB73_36
; %bb.35:                               ;   in Loop: Header=BB73_12 Depth=1
	v_mov_b32_e32 v1, s28
	ds_store_b32 v21, v1 offset:4104
.LBB73_36:                              ;   in Loop: Header=BB73_12 Depth=1
	s_or_b32 exec_lo, exec_lo, s7
	s_mov_b32 s7, -1
	s_waitcnt lgkmcnt(0)
	s_barrier
                                        ; implicit-def: $sgpr75
.LBB73_37:                              ;   in Loop: Header=BB73_12 Depth=1
	s_and_b32 vcc_lo, exec_lo, s7
	s_cbranch_vccz .LBB73_39
; %bb.38:                               ;   in Loop: Header=BB73_12 Depth=1
	buffer_gl0_inv
	ds_load_b32 v1, v21 offset:4104
	s_waitcnt lgkmcnt(0)
	v_readfirstlane_b32 s75, v1
.LBB73_39:                              ;   in Loop: Header=BB73_12 Depth=1
	s_delay_alu instid0(VALU_DEP_1)
	s_cmp_lt_i32 s75, 1
	s_cbranch_scc0 .LBB73_43
; %bb.40:                               ;   in Loop: Header=BB73_12 Depth=1
	v_dual_mov_b32 v1, 0 :: v_dual_mov_b32 v2, 0
	v_dual_mov_b32 v3, 0 :: v_dual_mov_b32 v4, 0
	s_mov_b32 s77, 0
	s_and_saveexec_b32 s76, s4
	s_cbranch_execnz .LBB73_44
; %bb.41:                               ;   in Loop: Header=BB73_12 Depth=1
	s_or_b32 exec_lo, exec_lo, s76
	v_mov_b32_e32 v26, 0
	s_and_saveexec_b32 s7, s5
	s_cbranch_execnz .LBB73_47
.LBB73_42:                              ;   in Loop: Header=BB73_12 Depth=1
	s_or_b32 exec_lo, exec_lo, s7
	s_and_saveexec_b32 s11, s5
	s_cbranch_execnz .LBB73_48
	s_branch .LBB73_53
.LBB73_43:                              ;   in Loop: Header=BB73_12 Depth=1
                                        ; implicit-def: $vgpr4
	s_cbranch_execnz .LBB73_54
	s_branch .LBB73_63
.LBB73_44:                              ;   in Loop: Header=BB73_12 Depth=1
	v_mov_b32_e32 v23, v13
	s_and_b32 s78, s62, 0xfe
	s_mov_b32 s79, 0
	s_mov_b32 s80, 0
	;; [unrolled: 1-line block ×5, first 2 shown]
.LBB73_45:                              ;   Parent Loop BB73_12 Depth=1
                                        ; =>  This Inner Loop Header: Depth=2
	v_add_nc_u32_e32 v1, s79, v18
	v_add_nc_u32_e32 v2, s79, v9
	;; [unrolled: 1-line block ×5, first 2 shown]
	s_clause 0x3
	global_load_u8 v1, v1, s[38:39]
	global_load_u8 v2, v2, s[38:39]
	;; [unrolled: 1-line block ×4, first 2 shown]
	s_add_i32 s79, s79, s64
	v_cmp_le_u32_e32 vcc_lo, s61, v23
	s_waitcnt vmcnt(3)
	v_and_b32_e32 v24, s73, v1
	v_bfe_u32 v1, v1, s78, 2
	s_waitcnt vmcnt(2)
	v_and_b32_e32 v25, s73, v2
	v_bfe_u32 v2, v2, s78, 2
	;; [unrolled: 3-line block ×3, first 2 shown]
	v_cmp_eq_u32_e64 s7, s72, v24
	v_cmp_eq_u32_e64 s11, 0, v1
	s_waitcnt vmcnt(0)
	v_and_b32_e32 v27, s73, v4
	v_bfe_u32 v4, v4, s78, 2
	v_cmp_eq_u32_e64 s8, s72, v25
	v_cmp_eq_u32_e64 s12, 0, v2
	;; [unrolled: 1-line block ×4, first 2 shown]
	s_and_b32 s11, s7, s11
	v_cmp_eq_u32_e64 s10, s72, v27
	v_cmp_eq_u32_e64 s14, 0, v4
	;; [unrolled: 1-line block ×5, first 2 shown]
	v_cndmask_b32_e64 v1, 0, 1, s11
	s_and_b32 s11, s8, s12
	v_cmp_eq_u32_e64 s16, 1, v2
	v_cmp_eq_u32_e64 s20, 2, v2
	v_cmp_eq_u32_e64 s24, 3, v2
	v_cndmask_b32_e64 v2, 0, 1, s11
	s_and_b32 s11, s9, s13
	v_cmp_eq_u32_e64 s17, 1, v3
	v_cmp_eq_u32_e64 s21, 2, v3
	v_cmp_eq_u32_e64 s25, 3, v3
	;; [unrolled: 5-line block ×3, first 2 shown]
	v_cndmask_b32_e64 v4, 0, 1, s11
	s_and_b32 s11, s7, s15
	s_delay_alu instid0(SALU_CYCLE_1) | instskip(SKIP_1) | instid1(SALU_CYCLE_1)
	v_cndmask_b32_e64 v24, 0, 1, s11
	s_and_b32 s11, s8, s16
	v_cndmask_b32_e64 v25, 0, 1, s11
	s_and_b32 s11, s9, s17
	s_delay_alu instid0(SALU_CYCLE_1) | instskip(SKIP_1) | instid1(VALU_DEP_2)
	v_cndmask_b32_e64 v26, 0, 1, s11
	s_and_b32 s11, s10, s18
	v_cmp_ne_u32_e64 s12, 0, v25
	v_cndmask_b32_e64 v27, 0, 1, s11
	s_and_b32 s11, s7, s19
	s_and_b32 s7, s7, s23
	v_cndmask_b32_e64 v28, 0, 1, s11
	s_and_b32 s11, s8, s20
	v_cndmask_b32_e64 v32, 0, 1, s7
	;; [unrolled: 2-line block ×7, first 2 shown]
	v_cndmask_b32_e64 v35, 0, 1, s7
	v_cmp_ne_u32_e64 s7, 0, v1
	v_cmp_ne_u32_e64 s11, 0, v24
	;; [unrolled: 1-line block ×11, first 2 shown]
	s_bcnt1_i32_b32 s7, s7
	s_bcnt1_i32_b32 s11, s11
	s_bcnt1_i32_b32 s15, s15
	s_bcnt1_i32_b32 s19, s19
	v_cmp_ne_u32_e64 s10, 0, v4
	v_cmp_ne_u32_e64 s14, 0, v27
	;; [unrolled: 1-line block ×4, first 2 shown]
	s_bcnt1_i32_b32 s8, s8
	s_bcnt1_i32_b32 s12, s12
	s_bcnt1_i32_b32 s16, s16
	s_bcnt1_i32_b32 s20, s20
	s_add_i32 s7, s7, s83
	s_add_i32 s11, s11, s82
	s_add_i32 s15, s15, s81
	s_add_i32 s19, s19, s80
	s_bcnt1_i32_b32 s9, s9
	s_bcnt1_i32_b32 s13, s13
	s_bcnt1_i32_b32 s17, s17
	s_bcnt1_i32_b32 s21, s21
	s_add_i32 s7, s7, s8
	s_add_i32 s8, s11, s12
	s_add_i32 s11, s15, s16
	s_add_i32 s12, s19, s20
	s_bcnt1_i32_b32 s10, s10
	s_bcnt1_i32_b32 s14, s14
	s_bcnt1_i32_b32 s18, s18
	s_bcnt1_i32_b32 s22, s22
	s_add_i32 s7, s7, s9
	s_add_i32 s8, s8, s13
	s_add_i32 s9, s11, s17
	s_add_i32 s11, s12, s21
	s_add_i32 s83, s7, s10
	s_add_i32 s82, s8, s14
	;; [unrolled: 1-line block ×4, first 2 shown]
	v_mov_b32_e32 v3, s81
	v_dual_mov_b32 v1, s83 :: v_dual_mov_b32 v2, s82
	v_mov_b32_e32 v4, s80
	s_or_b32 s77, vcc_lo, s77
	s_delay_alu instid0(SALU_CYCLE_1)
	s_and_not1_b32 exec_lo, exec_lo, s77
	s_cbranch_execnz .LBB73_45
; %bb.46:                               ;   in Loop: Header=BB73_12 Depth=1
	s_or_b32 exec_lo, exec_lo, s77
	s_delay_alu instid0(SALU_CYCLE_1)
	s_or_b32 exec_lo, exec_lo, s76
	v_mov_b32_e32 v26, 0
	s_and_saveexec_b32 s7, s5
	s_cbranch_execz .LBB73_42
.LBB73_47:                              ;   in Loop: Header=BB73_12 Depth=1
	global_load_u8 v26, v[7:8], off
	s_or_b32 exec_lo, exec_lo, s7
	s_and_saveexec_b32 s11, s5
	s_cbranch_execz .LBB73_53
.LBB73_48:                              ;   in Loop: Header=BB73_12 Depth=1
	v_dual_mov_b32 v23, v19 :: v_dual_mov_b32 v24, v16
	s_and_b32 s13, s62, 0xfe
	s_mov_b32 s12, 0
	s_branch .LBB73_50
.LBB73_49:                              ;   in Loop: Header=BB73_50 Depth=2
	s_or_b32 exec_lo, exec_lo, s8
	s_waitcnt vmcnt(0)
	v_and_b32_e32 v26, 0xff, v26
	s_and_b32 s8, exec_lo, vcc_lo
	v_add_nc_u32_e32 v23, s49, v23
	s_or_b32 s12, s8, s12
	s_delay_alu instid0(VALU_DEP_2) | instskip(SKIP_1) | instid1(VALU_DEP_2)
	v_and_b32_e32 v27, s73, v26
	v_bfe_u32 v26, v26, s13, 2
	v_cmp_eq_u32_e32 vcc_lo, s72, v27
	s_delay_alu instid0(VALU_DEP_2) | instskip(SKIP_3) | instid1(VALU_DEP_4)
	v_cmp_eq_u32_e64 s7, 0, v26
	v_cmp_eq_u32_e64 s8, 1, v26
	;; [unrolled: 1-line block ×4, first 2 shown]
	s_and_b32 s7, vcc_lo, s7
	s_delay_alu instid0(SALU_CYCLE_1) | instskip(SKIP_1) | instid1(SALU_CYCLE_1)
	v_cndmask_b32_e64 v26, 0, 1, s7
	s_and_b32 s7, vcc_lo, s8
	v_cndmask_b32_e64 v27, 0, 1, s7
	s_and_b32 s7, vcc_lo, s9
	s_delay_alu instid0(SALU_CYCLE_1)
	v_cndmask_b32_e64 v28, 0, 1, s7
	s_and_b32 s7, vcc_lo, s10
	v_cmp_ne_u32_e32 vcc_lo, 0, v26
	v_mov_b32_e32 v26, v25
	v_cndmask_b32_e64 v29, 0, 1, s7
	v_cmp_ne_u32_e64 s7, 0, v27
	v_cmp_ne_u32_e64 s8, 0, v28
	s_bcnt1_i32_b32 s10, vcc_lo
	s_delay_alu instid0(VALU_DEP_3) | instskip(NEXT) | instid1(VALU_DEP_3)
	v_cmp_ne_u32_e64 s9, 0, v29
	s_bcnt1_i32_b32 s7, s7
	s_delay_alu instid0(VALU_DEP_2)
	s_bcnt1_i32_b32 s8, s8
	v_add_nc_u32_e32 v1, s10, v1
	v_add_nc_u32_e32 v2, s7, v2
	s_bcnt1_i32_b32 s9, s9
	v_add_nc_u32_e32 v3, s8, v3
	v_add_nc_u32_e32 v4, s9, v4
	s_and_not1_b32 exec_lo, exec_lo, s12
	s_cbranch_execz .LBB73_52
.LBB73_50:                              ;   Parent Loop BB73_12 Depth=1
                                        ; =>  This Inner Loop Header: Depth=2
	s_delay_alu instid0(VALU_DEP_1) | instskip(SKIP_1) | instid1(VALU_DEP_1)
	v_dual_mov_b32 v25, 0 :: v_dual_add_nc_u32 v24, s46, v24
	s_mov_b32 s8, exec_lo
	v_cmp_le_u32_e32 vcc_lo, s28, v24
	v_cmpx_gt_u32_e64 s28, v24
	s_cbranch_execz .LBB73_49
; %bb.51:                               ;   in Loop: Header=BB73_50 Depth=2
	global_load_u8 v25, v23, s[38:39]
	s_branch .LBB73_49
.LBB73_52:                              ;   in Loop: Header=BB73_12 Depth=1
	s_or_b32 exec_lo, exec_lo, s12
.LBB73_53:                              ;   in Loop: Header=BB73_12 Depth=1
	s_delay_alu instid0(SALU_CYCLE_1)
	s_or_b32 exec_lo, exec_lo, s11
	s_branch .LBB73_63
.LBB73_54:                              ;   in Loop: Header=BB73_12 Depth=1
	s_mul_hi_u32 s7, s75, s59
	v_dual_mov_b32 v1, 0 :: v_dual_mov_b32 v2, 0
	s_mul_i32 s7, s7, s48
	v_dual_mov_b32 v3, 0 :: v_dual_mov_b32 v4, 0
	s_sub_i32 s7, s75, s7
	s_mov_b32 s78, 0
	s_sub_i32 s8, s7, s48
	s_cmp_ge_u32 s7, s48
	s_mov_b32 s77, exec_lo
	s_cselect_b32 s7, s8, s7
	s_delay_alu instid0(SALU_CYCLE_1) | instskip(SKIP_2) | instid1(SALU_CYCLE_1)
	s_sub_i32 s8, s7, s48
	s_cmp_ge_u32 s7, s48
	s_cselect_b32 s7, s8, s7
	s_sub_i32 s76, s75, s7
	s_delay_alu instid0(SALU_CYCLE_1)
	v_cmpx_gt_u32_e64 s76, v13
	s_cbranch_execz .LBB73_58
; %bb.55:                               ;   in Loop: Header=BB73_12 Depth=1
	v_mov_b32_e32 v23, v13
	s_and_b32 s79, s62, 0xfe
	s_mov_b32 s80, 0
	s_mov_b32 s81, 0
	;; [unrolled: 1-line block ×4, first 2 shown]
.LBB73_56:                              ;   Parent Loop BB73_12 Depth=1
                                        ; =>  This Inner Loop Header: Depth=2
	ds_load_b32 v1, v23
	s_waitcnt lgkmcnt(0)
	v_and_b32_e32 v2, 0xff, v1
	v_bfe_u32 v3, v1, 8, 8
	v_bfe_u32 v4, v1, 16, 8
	v_lshrrev_b32_e32 v1, 24, v1
	s_delay_alu instid0(VALU_DEP_4)
	v_and_b32_e32 v24, s73, v2
	v_bfe_u32 v2, v2, s79, 2
	v_and_b32_e32 v25, s73, v3
	v_bfe_u32 v3, v3, s79, 2
	s_waitcnt vmcnt(0)
	v_and_b32_e32 v26, s73, v4
	v_bfe_u32 v4, v4, s79, 2
	v_cmp_eq_u32_e64 s7, s72, v24
	v_cmp_eq_u32_e64 s11, 0, v2
	v_and_b32_e32 v27, s73, v1
	v_bfe_u32 v1, v1, s79, 2
	v_cmp_eq_u32_e64 s8, s72, v25
	v_cmp_eq_u32_e64 s12, 0, v3
	;; [unrolled: 1-line block ×4, first 2 shown]
	s_and_b32 s11, s7, s11
	v_cmp_eq_u32_e64 s10, s72, v27
	v_cmp_eq_u32_e64 s14, 0, v1
	;; [unrolled: 1-line block ×5, first 2 shown]
	v_cndmask_b32_e64 v1, 0, 1, s11
	s_and_b32 s11, s8, s12
	v_cmp_eq_u32_e64 s15, 1, v2
	v_cmp_eq_u32_e64 s19, 2, v2
	v_cmp_eq_u32_e64 s23, 3, v2
	v_cndmask_b32_e64 v2, 0, 1, s11
	s_and_b32 s11, s9, s13
	v_cmp_eq_u32_e64 s16, 1, v3
	v_cmp_eq_u32_e64 s20, 2, v3
	v_cmp_eq_u32_e64 s24, 3, v3
	;; [unrolled: 5-line block ×3, first 2 shown]
	v_cndmask_b32_e64 v4, 0, 1, s11
	s_and_b32 s11, s7, s15
	s_delay_alu instid0(SALU_CYCLE_1) | instskip(SKIP_1) | instid1(SALU_CYCLE_1)
	v_cndmask_b32_e64 v24, 0, 1, s11
	s_and_b32 s11, s8, s16
	v_cndmask_b32_e64 v25, 0, 1, s11
	s_and_b32 s11, s9, s17
	s_delay_alu instid0(SALU_CYCLE_1) | instskip(SKIP_1) | instid1(VALU_DEP_2)
	v_cndmask_b32_e64 v26, 0, 1, s11
	s_and_b32 s11, s10, s18
	v_cmp_ne_u32_e64 s12, 0, v25
	v_cndmask_b32_e64 v27, 0, 1, s11
	s_and_b32 s11, s7, s19
	s_and_b32 s7, s7, s23
	v_cndmask_b32_e64 v28, 0, 1, s11
	s_and_b32 s11, s8, s20
	v_cndmask_b32_e64 v32, 0, 1, s7
	;; [unrolled: 2-line block ×7, first 2 shown]
	v_cndmask_b32_e64 v35, 0, 1, s7
	v_cmp_ne_u32_e64 s7, 0, v1
	v_cmp_ne_u32_e64 s11, 0, v24
	;; [unrolled: 1-line block ×6, first 2 shown]
	s_bcnt1_i32_b32 s7, s7
	s_bcnt1_i32_b32 s11, s11
	v_cmp_ne_u32_e64 s14, 0, v27
	v_cmp_ne_u32_e64 s16, 0, v29
	;; [unrolled: 1-line block ×3, first 2 shown]
	s_bcnt1_i32_b32 s8, s8
	s_bcnt1_i32_b32 s12, s12
	s_add_i32 s7, s7, s83
	s_add_i32 s11, s11, s82
	v_cmp_ne_u32_e64 s9, 0, v3
	v_cmp_ne_u32_e64 s17, 0, v30
	v_cmp_ne_u32_e64 s21, 0, v34
	s_bcnt1_i32_b32 s13, s13
	s_add_i32 s7, s7, s8
	s_add_i32 s8, s11, s12
	s_bcnt1_i32_b32 s15, s15
	s_bcnt1_i32_b32 s19, s19
	v_cmp_ne_u32_e64 s10, 0, v4
	v_cmp_ne_u32_e64 s18, 0, v31
	;; [unrolled: 1-line block ×3, first 2 shown]
	s_bcnt1_i32_b32 s14, s14
	s_add_i32 s8, s8, s13
	s_bcnt1_i32_b32 s16, s16
	s_bcnt1_i32_b32 s20, s20
	s_add_i32 s15, s15, s81
	s_add_i32 s19, s19, s80
	;; [unrolled: 1-line block ×3, first 2 shown]
	s_delay_alu instid0(SALU_CYCLE_1)
	v_dual_mov_b32 v2, s82 :: v_dual_add_nc_u32 v23, s48, v23
	s_bcnt1_i32_b32 s9, s9
	s_bcnt1_i32_b32 s17, s17
	;; [unrolled: 1-line block ×3, first 2 shown]
	s_add_i32 s11, s15, s16
	s_add_i32 s12, s19, s20
	s_bcnt1_i32_b32 s10, s10
	s_bcnt1_i32_b32 s18, s18
	;; [unrolled: 1-line block ×3, first 2 shown]
	s_add_i32 s7, s7, s9
	s_add_i32 s9, s11, s17
	;; [unrolled: 1-line block ×3, first 2 shown]
	v_cmp_le_u32_e32 vcc_lo, s76, v23
	s_add_i32 s83, s7, s10
	s_add_i32 s81, s9, s18
	;; [unrolled: 1-line block ×3, first 2 shown]
	v_mov_b32_e32 v1, s83
	v_dual_mov_b32 v3, s81 :: v_dual_mov_b32 v4, s80
	s_or_b32 s78, vcc_lo, s78
	s_delay_alu instid0(SALU_CYCLE_1)
	s_and_not1_b32 exec_lo, exec_lo, s78
	s_cbranch_execnz .LBB73_56
; %bb.57:                               ;   in Loop: Header=BB73_12 Depth=1
	s_or_b32 exec_lo, exec_lo, s78
.LBB73_58:                              ;   in Loop: Header=BB73_12 Depth=1
	s_delay_alu instid0(SALU_CYCLE_1) | instskip(SKIP_2) | instid1(VALU_DEP_1)
	s_or_b32 exec_lo, exec_lo, s77
	v_add_nc_u32_e32 v23, s76, v0
	s_mov_b32 s12, exec_lo
	v_cmpx_gt_u32_e64 s75, v23
	s_cbranch_execz .LBB73_62
; %bb.59:                               ;   in Loop: Header=BB73_12 Depth=1
	s_and_b32 s14, s62, 0xfe
	s_mov_b32 s13, 0
	s_set_inst_prefetch_distance 0x1
	.p2align	6
.LBB73_60:                              ;   Parent Loop BB73_12 Depth=1
                                        ; =>  This Inner Loop Header: Depth=2
	ds_load_u8 v24, v23
	v_add_nc_u32_e32 v23, s46, v23
	s_delay_alu instid0(VALU_DEP_1) | instskip(SKIP_3) | instid1(VALU_DEP_2)
	v_cmp_le_u32_e32 vcc_lo, s75, v23
	s_waitcnt lgkmcnt(0)
	v_and_b32_e32 v25, s73, v24
	v_bfe_u32 v24, v24, s14, 2
	v_cmp_eq_u32_e64 s7, s72, v25
	s_delay_alu instid0(VALU_DEP_2) | instskip(SKIP_3) | instid1(VALU_DEP_4)
	v_cmp_eq_u32_e64 s8, 0, v24
	v_cmp_eq_u32_e64 s9, 1, v24
	;; [unrolled: 1-line block ×4, first 2 shown]
	s_and_b32 s8, s7, s8
	s_delay_alu instid0(SALU_CYCLE_1) | instskip(SKIP_1) | instid1(SALU_CYCLE_1)
	v_cndmask_b32_e64 v24, 0, 1, s8
	s_and_b32 s8, s7, s9
	v_cndmask_b32_e64 v25, 0, 1, s8
	s_and_b32 s8, s7, s10
	s_and_b32 s7, s7, s11
	s_waitcnt vmcnt(0)
	v_cndmask_b32_e64 v26, 0, 1, s8
	v_cndmask_b32_e64 v27, 0, 1, s7
	v_cmp_ne_u32_e64 s7, 0, v24
	v_cmp_ne_u32_e64 s8, 0, v25
	s_delay_alu instid0(VALU_DEP_4) | instskip(NEXT) | instid1(VALU_DEP_4)
	v_cmp_ne_u32_e64 s9, 0, v26
	v_cmp_ne_u32_e64 s10, 0, v27
	s_delay_alu instid0(VALU_DEP_4) | instskip(NEXT) | instid1(VALU_DEP_3)
	s_bcnt1_i32_b32 s7, s7
	s_bcnt1_i32_b32 s8, s8
	v_add_nc_u32_e32 v1, s7, v1
	s_bcnt1_i32_b32 s9, s9
	s_bcnt1_i32_b32 s10, s10
	v_add_nc_u32_e32 v2, s8, v2
	v_add_nc_u32_e32 v3, s9, v3
	;; [unrolled: 1-line block ×3, first 2 shown]
	s_or_b32 s13, vcc_lo, s13
	s_delay_alu instid0(SALU_CYCLE_1)
	s_and_not1_b32 exec_lo, exec_lo, s13
	s_cbranch_execnz .LBB73_60
; %bb.61:                               ;   in Loop: Header=BB73_12 Depth=1
	s_set_inst_prefetch_distance 0x2
	s_or_b32 exec_lo, exec_lo, s13
.LBB73_62:                              ;   in Loop: Header=BB73_12 Depth=1
	s_delay_alu instid0(SALU_CYCLE_1)
	s_or_b32 exec_lo, exec_lo, s12
.LBB73_63:                              ;   in Loop: Header=BB73_12 Depth=1
	s_lshl_b32 s7, s70, 7
	s_and_saveexec_b32 s8, s3
	s_cbranch_execz .LBB73_65
; %bb.64:                               ;   in Loop: Header=BB73_12 Depth=1
	v_or_b32_e32 v23, s7, v14
	s_delay_alu instid0(VALU_DEP_1)
	v_lshlrev_b32_e32 v23, 2, v23
	ds_store_b128 v23, v[1:4] offset:3072
.LBB73_65:                              ;   in Loop: Header=BB73_12 Depth=1
	s_or_b32 exec_lo, exec_lo, s8
	s_waitcnt vmcnt(0) lgkmcnt(0)
	s_barrier
	buffer_gl0_inv
	s_and_saveexec_b32 s8, s51
	s_cbranch_execz .LBB73_75
; %bb.66:                               ;   in Loop: Header=BB73_12 Depth=1
	v_mov_b32_e32 v1, 0
	s_and_not1_b32 vcc_lo, exec_lo, s53
	s_cbranch_vccnz .LBB73_74
; %bb.67:                               ;   in Loop: Header=BB73_12 Depth=1
	v_mov_b32_e32 v1, 0
	s_and_not1_b32 vcc_lo, exec_lo, s55
	s_mov_b32 s9, 0
	s_cbranch_vccnz .LBB73_71
; %bb.68:                               ;   in Loop: Header=BB73_12 Depth=1
	v_lshl_add_u32 v2, s70, 9, v20
	v_mov_b32_e32 v1, 0
	.p2align	6
.LBB73_69:                              ;   Parent Loop BB73_12 Depth=1
                                        ; =>  This Inner Loop Header: Depth=2
	ds_load_2addr_b32 v[3:4], v2 offset1:4
	ds_load_2addr_b32 v[23:24], v2 offset0:8 offset1:12
	ds_load_2addr_b32 v[25:26], v2 offset0:16 offset1:20
	;; [unrolled: 1-line block ×3, first 2 shown]
	v_add_nc_u32_e32 v2, 0x80, v2
	s_add_i32 s9, s9, 8
	s_delay_alu instid0(SALU_CYCLE_1) | instskip(SKIP_3) | instid1(VALU_DEP_1)
	s_cmp_eq_u32 s56, s9
	s_waitcnt lgkmcnt(3)
	v_add3_u32 v1, v3, v1, v4
	s_waitcnt lgkmcnt(2)
	v_add3_u32 v1, v23, v1, v24
	s_waitcnt lgkmcnt(1)
	s_delay_alu instid0(VALU_DEP_1) | instskip(SKIP_1) | instid1(VALU_DEP_1)
	v_add3_u32 v1, v25, v1, v26
	s_waitcnt lgkmcnt(0)
	v_add3_u32 v1, v27, v1, v28
	s_cbranch_scc0 .LBB73_69
; %bb.70:                               ;   in Loop: Header=BB73_12 Depth=1
	s_mov_b32 s9, s56
.LBB73_71:                              ;   in Loop: Header=BB73_12 Depth=1
	s_and_not1_b32 vcc_lo, exec_lo, s57
	s_cbranch_vccnz .LBB73_74
; %bb.72:                               ;   in Loop: Header=BB73_12 Depth=1
	s_lshl_b32 s10, s70, 9
	s_lshl_b32 s9, s9, 4
	s_delay_alu instid0(SALU_CYCLE_1)
	v_add3_u32 v2, s10, s9, v20
	s_mov_b32 s9, s54
.LBB73_73:                              ;   Parent Loop BB73_12 Depth=1
                                        ; =>  This Inner Loop Header: Depth=2
	ds_load_b32 v3, v2
	v_add_nc_u32_e32 v2, 16, v2
	s_add_i32 s9, s9, -1
	s_delay_alu instid0(SALU_CYCLE_1)
	s_cmp_lg_u32 s9, 0
	s_waitcnt lgkmcnt(0)
	v_add_nc_u32_e32 v1, v3, v1
	s_cbranch_scc1 .LBB73_73
.LBB73_74:                              ;   in Loop: Header=BB73_12 Depth=1
	v_add_lshl_u32 v2, s7, v12, 2
	ds_store_b32 v2, v1 offset:3072
.LBB73_75:                              ;   in Loop: Header=BB73_12 Depth=1
	s_or_b32 exec_lo, exec_lo, s8
	s_lshl_b32 s7, s7, 2
	s_waitcnt lgkmcnt(0)
	v_mov_b32_e32 v1, s7
	s_barrier
	buffer_gl0_inv
	s_and_b32 s16, s62, 0xfe
	s_mov_b32 s12, -1
	ds_load_b128 v[1:4], v1 offset:3072
	s_lshl_b32 s10, 3, s16
	s_delay_alu instid0(SALU_CYCLE_1) | instskip(SKIP_4) | instid1(VALU_DEP_3)
	s_not_b32 s17, s10
	s_waitcnt lgkmcnt(0)
	v_readfirstlane_b32 s11, v1
	v_readfirstlane_b32 s19, v2
	;; [unrolled: 1-line block ×3, first 2 shown]
	s_cmp_eq_u32 s11, 1
	s_cselect_b32 s7, -1, 0
	s_cmp_eq_u32 s74, 1
	s_cselect_b32 s8, -1, 0
	s_delay_alu instid0(SALU_CYCLE_1)
	s_and_b32 s13, s7, s8
	v_readfirstlane_b32 s8, v4
	s_and_b32 vcc_lo, exec_lo, s13
	s_cbranch_vccz .LBB73_86
; %bb.76:                               ;   in Loop: Header=BB73_12 Depth=1
	ds_load_b32 v1, v21 offset:4104
	s_waitcnt lgkmcnt(0)
	s_barrier
	buffer_gl0_inv
	v_readfirstlane_b32 s9, v1
	s_and_saveexec_b32 s7, s1
	s_cbranch_execz .LBB73_78
; %bb.77:                               ;   in Loop: Header=BB73_12 Depth=1
	ds_store_b8 v0, v21 offset:3072
.LBB73_78:                              ;   in Loop: Header=BB73_12 Depth=1
	s_or_b32 exec_lo, exec_lo, s7
	s_and_b32 s72, s72, s17
	s_or_b32 s73, s73, s10
	s_cmp_eq_u32 s9, 0
	s_waitcnt lgkmcnt(0)
	s_barrier
	buffer_gl0_inv
	s_cbranch_scc1 .LBB73_87
; %bb.79:                               ;   in Loop: Header=BB73_12 Depth=1
	s_add_i32 s7, s9, s50
                                        ; implicit-def: $vgpr22
	s_delay_alu instid0(SALU_CYCLE_1) | instskip(NEXT) | instid1(SALU_CYCLE_1)
	s_mul_hi_u32 s14, s7, s60
	s_mul_i32 s14, s14, s46
	s_delay_alu instid0(SALU_CYCLE_1) | instskip(NEXT) | instid1(SALU_CYCLE_1)
	s_sub_i32 s14, s7, s14
	s_sub_i32 s18, s14, s46
	s_cmp_ge_u32 s14, s46
	s_cselect_b32 s14, s18, s14
	s_delay_alu instid0(SALU_CYCLE_1) | instskip(SKIP_2) | instid1(SALU_CYCLE_1)
	s_sub_i32 s18, s14, s46
	s_cmp_ge_u32 s14, s46
	s_cselect_b32 s14, s18, s14
	s_sub_i32 s18, s7, s14
	s_mov_b32 s7, 0
	s_mov_b32 s14, exec_lo
	v_cmpx_gt_u32_e64 s18, v0
	s_cbranch_execz .LBB73_89
; %bb.80:                               ;   in Loop: Header=BB73_12 Depth=1
	v_mov_b32_e32 v1, v0
	s_mov_b32 s20, 0
                                        ; implicit-def: $sgpr21
	s_set_inst_prefetch_distance 0x1
	s_branch .LBB73_82
	.p2align	6
.LBB73_81:                              ;   in Loop: Header=BB73_82 Depth=2
	s_or_b32 exec_lo, exec_lo, s7
	s_waitcnt lgkmcnt(0)
	s_barrier
	buffer_gl0_inv
	ds_load_u16 v2, v21 offset:3072
	v_add_nc_u32_e32 v1, s46, v1
	s_waitcnt lgkmcnt(0)
	s_barrier
	buffer_gl0_inv
	v_cmp_le_u32_e32 vcc_lo, s18, v1
	v_and_b32_e32 v3, 0xff, v2
	s_delay_alu instid0(VALU_DEP_1) | instskip(NEXT) | instid1(VALU_DEP_1)
	v_cmp_ne_u16_e64 s7, 0, v3
	s_or_b32 s22, vcc_lo, s7
	s_delay_alu instid0(SALU_CYCLE_1) | instskip(NEXT) | instid1(SALU_CYCLE_1)
	s_and_b32 s22, exec_lo, s22
	s_or_b32 s20, s22, s20
	s_and_not1_b32 s21, s21, exec_lo
	s_and_b32 s7, s7, exec_lo
	s_delay_alu instid0(SALU_CYCLE_1)
	s_or_b32 s21, s21, s7
	s_and_not1_b32 exec_lo, exec_lo, s20
	s_cbranch_execz .LBB73_88
.LBB73_82:                              ;   Parent Loop BB73_12 Depth=1
                                        ; =>  This Inner Loop Header: Depth=2
	s_delay_alu instid0(VALU_DEP_1)
	v_cmp_gt_u32_e32 vcc_lo, s9, v1
	v_mov_b32_e32 v2, 0
	s_and_saveexec_b32 s7, vcc_lo
	s_cbranch_execz .LBB73_84
; %bb.83:                               ;   in Loop: Header=BB73_82 Depth=2
	ds_load_u8 v2, v1
.LBB73_84:                              ;   in Loop: Header=BB73_82 Depth=2
	s_or_b32 exec_lo, exec_lo, s7
	s_waitcnt lgkmcnt(0)
	v_and_b32_e32 v3, s73, v2
	s_delay_alu instid0(VALU_DEP_1) | instskip(NEXT) | instid1(VALU_DEP_1)
	v_and_b32_e32 v3, 0xff, v3
	v_cmp_eq_u32_e64 s7, s72, v3
	s_delay_alu instid0(VALU_DEP_1) | instskip(NEXT) | instid1(SALU_CYCLE_1)
	s_and_b32 s22, vcc_lo, s7
	s_and_saveexec_b32 s7, s22
	s_cbranch_execz .LBB73_81
; %bb.85:                               ;   in Loop: Header=BB73_82 Depth=2
	v_lshlrev_b16 v2, 8, v2
	s_delay_alu instid0(VALU_DEP_1)
	v_or_b32_e32 v2, 1, v2
	ds_store_b16 v21, v2 offset:3072
	s_branch .LBB73_81
.LBB73_86:                              ;   in Loop: Header=BB73_12 Depth=1
	s_mov_b32 s7, -1
                                        ; implicit-def: $sgpr9
                                        ; implicit-def: $sgpr18
                                        ; implicit-def: $sgpr14
	s_branch .LBB73_99
.LBB73_87:                              ;   in Loop: Header=BB73_12 Depth=1
	s_mov_b32 s9, -1
	s_mov_b32 s7, 0
                                        ; implicit-def: $sgpr14
                                        ; implicit-def: $vgpr22
	s_mov_b32 s18, s9
	s_cbranch_execnz .LBB73_90
	s_branch .LBB73_99
.LBB73_88:                              ;   in Loop: Header=BB73_12 Depth=1
	s_set_inst_prefetch_distance 0x2
	s_or_b32 exec_lo, exec_lo, s20
	v_lshrrev_b16 v22, 8, v2
	s_and_b32 s7, s21, exec_lo
.LBB73_89:                              ;   in Loop: Header=BB73_12 Depth=1
	s_or_b32 exec_lo, exec_lo, s14
	s_mov_b32 s14, -1
	s_mov_b32 s9, 0
	s_delay_alu instid0(SALU_CYCLE_1)
	s_mov_b32 s18, s9
	s_branch .LBB73_99
.LBB73_90:                              ;   in Loop: Header=BB73_12 Depth=1
	s_mov_b32 s7, 0
                                        ; implicit-def: $vgpr22
	s_and_saveexec_b32 s9, s6
	s_cbranch_execz .LBB73_98
; %bb.91:                               ;   in Loop: Header=BB73_12 Depth=1
	v_dual_mov_b32 v1, v11 :: v_dual_mov_b32 v2, v0
	s_mov_b32 s14, 0
                                        ; implicit-def: $sgpr18
	s_set_inst_prefetch_distance 0x1
	s_branch .LBB73_93
	.p2align	6
.LBB73_92:                              ;   in Loop: Header=BB73_93 Depth=2
	s_or_b32 exec_lo, exec_lo, s7
	s_waitcnt lgkmcnt(0)
	s_barrier
	buffer_gl0_inv
	ds_load_u16 v3, v21 offset:3072
	v_add_nc_u32_e32 v2, s46, v2
	v_add_nc_u32_e32 v1, s49, v1
	s_waitcnt lgkmcnt(0)
	s_barrier
	buffer_gl0_inv
	v_cmp_le_u32_e32 vcc_lo, s63, v2
	v_and_b32_e32 v4, 0xff, v3
	s_delay_alu instid0(VALU_DEP_1) | instskip(NEXT) | instid1(VALU_DEP_1)
	v_cmp_ne_u16_e64 s7, 0, v4
	s_or_b32 s20, vcc_lo, s7
	s_delay_alu instid0(SALU_CYCLE_1) | instskip(NEXT) | instid1(SALU_CYCLE_1)
	s_and_b32 s20, exec_lo, s20
	s_or_b32 s14, s20, s14
	s_and_not1_b32 s18, s18, exec_lo
	s_and_b32 s7, s7, exec_lo
	s_delay_alu instid0(SALU_CYCLE_1)
	s_or_b32 s18, s18, s7
	s_and_not1_b32 exec_lo, exec_lo, s14
	s_cbranch_execz .LBB73_97
.LBB73_93:                              ;   Parent Loop BB73_12 Depth=1
                                        ; =>  This Inner Loop Header: Depth=2
	s_delay_alu instid0(VALU_DEP_1)
	v_cmp_gt_u32_e32 vcc_lo, s28, v2
	v_mov_b32_e32 v3, 0
	s_and_saveexec_b32 s7, vcc_lo
	s_cbranch_execz .LBB73_95
; %bb.94:                               ;   in Loop: Header=BB73_93 Depth=2
	global_load_u8 v3, v1, s[38:39]
.LBB73_95:                              ;   in Loop: Header=BB73_93 Depth=2
	s_or_b32 exec_lo, exec_lo, s7
	s_waitcnt vmcnt(0)
	v_and_b32_e32 v4, s73, v3
	s_delay_alu instid0(VALU_DEP_1) | instskip(NEXT) | instid1(VALU_DEP_1)
	v_and_b32_e32 v4, 0xff, v4
	v_cmp_eq_u32_e64 s7, s72, v4
	s_delay_alu instid0(VALU_DEP_1) | instskip(NEXT) | instid1(SALU_CYCLE_1)
	s_and_b32 s20, vcc_lo, s7
	s_and_saveexec_b32 s7, s20
	s_cbranch_execz .LBB73_92
; %bb.96:                               ;   in Loop: Header=BB73_93 Depth=2
	v_lshlrev_b16 v3, 8, v3
	s_delay_alu instid0(VALU_DEP_1)
	v_or_b32_e32 v3, 1, v3
	ds_store_b16 v21, v3 offset:3072
	s_branch .LBB73_92
.LBB73_97:                              ;   in Loop: Header=BB73_12 Depth=1
	s_set_inst_prefetch_distance 0x2
	s_or_b32 exec_lo, exec_lo, s14
	v_lshrrev_b16 v22, 8, v3
	s_and_b32 s7, s18, exec_lo
.LBB73_98:                              ;   in Loop: Header=BB73_12 Depth=1
	s_or_b32 exec_lo, exec_lo, s9
	s_mov_b32 s18, -1
	s_mov_b32 s9, 0
	s_mov_b32 s14, 0
.LBB73_99:                              ;   in Loop: Header=BB73_12 Depth=1
	s_and_not1_b32 s20, s68, exec_lo
	s_and_b32 s9, s9, exec_lo
	s_and_b32 s18, s18, exec_lo
	s_or_b32 s68, s20, s9
	s_and_not1_b32 s9, s71, exec_lo
	s_and_not1_b32 s20, s69, exec_lo
	s_and_b32 s14, s14, exec_lo
	s_or_b32 s71, s9, s18
	s_or_b32 s69, s20, s14
	s_and_saveexec_b32 s9, s7
	s_cbranch_execz .LBB73_11
; %bb.100:                              ;   in Loop: Header=BB73_12 Depth=1
	s_xor_b32 s7, s13, -1
	s_mov_b32 s12, 0
	s_and_not1_b32 vcc_lo, exec_lo, s7
	s_mov_b32 s20, 1
	s_cbranch_vccnz .LBB73_111
; %bb.101:                              ;   in Loop: Header=BB73_12 Depth=1
	s_cmp_gt_u32 s74, s11
	s_mov_b32 s12, -1
                                        ; implicit-def: $sgpr7
                                        ; implicit-def: $sgpr13
                                        ; implicit-def: $sgpr14
	s_cbranch_scc1 .LBB73_107
; %bb.102:                              ;   in Loop: Header=BB73_12 Depth=1
	ds_load_b32 v1, v21 offset:4104
	s_waitcnt lgkmcnt(0)
	v_cmp_ne_u32_e32 vcc_lo, 0, v1
	s_cbranch_vccnz .LBB73_106
; %bb.103:                              ;   in Loop: Header=BB73_12 Depth=1
	s_and_saveexec_b32 s7, s2
	s_cbranch_execz .LBB73_105
; %bb.104:                              ;   in Loop: Header=BB73_12 Depth=1
	v_mov_b32_e32 v1, s11
	ds_store_b32 v21, v1 offset:4108
.LBB73_105:                             ;   in Loop: Header=BB73_12 Depth=1
	s_or_b32 exec_lo, exec_lo, s7
	s_waitcnt lgkmcnt(0)
	s_barrier
	buffer_gl0_inv
.LBB73_106:                             ;   in Loop: Header=BB73_12 Depth=1
	s_and_b32 s13, s72, s17
	s_or_b32 s14, s73, s10
	s_mov_b32 s12, 0
	s_mov_b32 s7, 8
.LBB73_107:                             ;   in Loop: Header=BB73_12 Depth=1
	s_and_not1_b32 vcc_lo, exec_lo, s12
	s_cbranch_vccnz .LBB73_109
; %bb.108:                              ;   in Loop: Header=BB73_12 Depth=1
	s_sub_i32 s74, s74, s11
	s_mov_b32 s12, -1
	s_mov_b32 s7, 0
	s_mov_b32 s13, s72
	;; [unrolled: 1-line block ×3, first 2 shown]
.LBB73_109:                             ;   in Loop: Header=BB73_12 Depth=1
	s_delay_alu instid0(SALU_CYCLE_1)
	s_mov_b32 s73, s14
	s_mov_b32 s72, s13
	;; [unrolled: 1-line block ×3, first 2 shown]
	s_and_b32 vcc_lo, exec_lo, s12
	s_mov_b32 s11, -1
	s_cbranch_vccnz .LBB73_112
.LBB73_110:                             ;   in Loop: Header=BB73_12 Depth=1
	s_mov_b32 s23, -1
                                        ; implicit-def: $sgpr12
                                        ; implicit-def: $sgpr14
                                        ; implicit-def: $sgpr13
                                        ; implicit-def: $sgpr74
	s_delay_alu instid0(SALU_CYCLE_1) | instskip(NEXT) | instid1(SALU_CYCLE_1)
	s_and_saveexec_b32 s8, s23
	s_xor_b32 s8, exec_lo, s8
	s_cbranch_execz .LBB73_10
	s_branch .LBB73_232
.LBB73_111:                             ;   in Loop: Header=BB73_12 Depth=1
	s_mov_b32 s7, 1
	s_and_b32 vcc_lo, exec_lo, s12
	s_mov_b32 s11, -1
	s_cbranch_vccz .LBB73_110
.LBB73_112:                             ;   in Loop: Header=BB73_12 Depth=1
	s_cmp_eq_u32 s19, 1
	s_mov_b32 s22, -1
	s_cselect_b32 s7, -1, 0
	s_cmp_eq_u32 s20, 1
	s_cselect_b32 s12, -1, 0
	s_delay_alu instid0(SALU_CYCLE_1) | instskip(NEXT) | instid1(SALU_CYCLE_1)
	s_and_b32 s21, s7, s12
	s_and_b32 vcc_lo, exec_lo, s21
	s_cbranch_vccz .LBB73_123
; %bb.113:                              ;   in Loop: Header=BB73_12 Depth=1
	ds_load_b32 v1, v21 offset:4104
	s_waitcnt lgkmcnt(0)
	s_barrier
	buffer_gl0_inv
	v_readfirstlane_b32 s12, v1
	s_and_saveexec_b32 s7, s1
	s_cbranch_execz .LBB73_115
; %bb.114:                              ;   in Loop: Header=BB73_12 Depth=1
	ds_store_b8 v0, v21 offset:3072
.LBB73_115:                             ;   in Loop: Header=BB73_12 Depth=1
	s_or_b32 exec_lo, exec_lo, s7
	s_lshl_b32 s7, 1, s16
	s_and_b32 s13, s72, s17
	s_or_b32 s73, s73, s10
	s_or_b32 s72, s13, s7
	s_cmp_eq_u32 s12, 0
	s_waitcnt lgkmcnt(0)
	s_barrier
	buffer_gl0_inv
	s_cbranch_scc1 .LBB73_127
; %bb.116:                              ;   in Loop: Header=BB73_12 Depth=1
	s_add_i32 s7, s12, s50
	s_mov_b32 s22, 0
	s_mul_hi_u32 s13, s7, s60
                                        ; implicit-def: $vgpr22
	s_delay_alu instid0(SALU_CYCLE_1) | instskip(NEXT) | instid1(SALU_CYCLE_1)
	s_mul_i32 s13, s13, s46
	s_sub_i32 s13, s7, s13
	s_delay_alu instid0(SALU_CYCLE_1) | instskip(SKIP_2) | instid1(SALU_CYCLE_1)
	s_sub_i32 s14, s13, s46
	s_cmp_ge_u32 s13, s46
	s_cselect_b32 s13, s14, s13
	s_sub_i32 s14, s13, s46
	s_cmp_ge_u32 s13, s46
	s_cselect_b32 s13, s14, s13
	s_delay_alu instid0(SALU_CYCLE_1)
	s_sub_i32 s14, s7, s13
	s_mov_b32 s13, exec_lo
	v_cmpx_gt_u32_e64 s14, v0
	s_cbranch_execz .LBB73_129
; %bb.117:                              ;   in Loop: Header=BB73_12 Depth=1
	v_mov_b32_e32 v1, v0
	s_mov_b32 s18, 0
                                        ; implicit-def: $sgpr22
	s_set_inst_prefetch_distance 0x1
	s_branch .LBB73_119
	.p2align	6
.LBB73_118:                             ;   in Loop: Header=BB73_119 Depth=2
	s_or_b32 exec_lo, exec_lo, s7
	s_waitcnt lgkmcnt(0)
	s_barrier
	buffer_gl0_inv
	ds_load_u16 v2, v21 offset:3072
	v_add_nc_u32_e32 v1, s46, v1
	s_waitcnt lgkmcnt(0)
	s_barrier
	buffer_gl0_inv
	v_cmp_le_u32_e32 vcc_lo, s14, v1
	v_and_b32_e32 v3, 0xff, v2
	s_delay_alu instid0(VALU_DEP_1) | instskip(NEXT) | instid1(VALU_DEP_1)
	v_cmp_ne_u16_e64 s7, 0, v3
	s_or_b32 s23, vcc_lo, s7
	s_delay_alu instid0(SALU_CYCLE_1) | instskip(NEXT) | instid1(SALU_CYCLE_1)
	s_and_b32 s23, exec_lo, s23
	s_or_b32 s18, s23, s18
	s_and_not1_b32 s22, s22, exec_lo
	s_and_b32 s7, s7, exec_lo
	s_delay_alu instid0(SALU_CYCLE_1)
	s_or_b32 s22, s22, s7
	s_and_not1_b32 exec_lo, exec_lo, s18
	s_cbranch_execz .LBB73_128
.LBB73_119:                             ;   Parent Loop BB73_12 Depth=1
                                        ; =>  This Inner Loop Header: Depth=2
	s_delay_alu instid0(VALU_DEP_1)
	v_cmp_gt_u32_e32 vcc_lo, s12, v1
	v_mov_b32_e32 v2, 0
	s_and_saveexec_b32 s7, vcc_lo
	s_cbranch_execz .LBB73_121
; %bb.120:                              ;   in Loop: Header=BB73_119 Depth=2
	ds_load_u8 v2, v1
.LBB73_121:                             ;   in Loop: Header=BB73_119 Depth=2
	s_or_b32 exec_lo, exec_lo, s7
	s_waitcnt lgkmcnt(0)
	v_and_b32_e32 v3, s73, v2
	s_delay_alu instid0(VALU_DEP_1) | instskip(NEXT) | instid1(VALU_DEP_1)
	v_and_b32_e32 v3, 0xff, v3
	v_cmp_eq_u32_e64 s7, s72, v3
	s_delay_alu instid0(VALU_DEP_1) | instskip(NEXT) | instid1(SALU_CYCLE_1)
	s_and_b32 s23, vcc_lo, s7
	s_and_saveexec_b32 s7, s23
	s_cbranch_execz .LBB73_118
; %bb.122:                              ;   in Loop: Header=BB73_119 Depth=2
	v_lshlrev_b16 v2, 8, v2
	s_delay_alu instid0(VALU_DEP_1)
	v_or_b32_e32 v2, 1, v2
	ds_store_b16 v21, v2 offset:3072
	s_branch .LBB73_118
.LBB73_123:                             ;   in Loop: Header=BB73_12 Depth=1
                                        ; implicit-def: $sgpr13
                                        ; implicit-def: $sgpr14
                                        ; implicit-def: $sgpr12
	s_branch .LBB73_139
.LBB73_124:                             ;   in Loop: Header=BB73_12 Depth=1
	s_or_b32 exec_lo, exec_lo, s9
	s_waitcnt lgkmcnt(0)
	s_barrier
	buffer_gl0_inv
	s_and_saveexec_b32 s7, s2
	s_cbranch_execz .LBB73_126
; %bb.125:                              ;   in Loop: Header=BB73_12 Depth=1
	ds_load_b32 v1, v21 offset:4112
	s_waitcnt lgkmcnt(0)
	ds_store_b32 v21, v1 offset:4104
.LBB73_126:                             ;   in Loop: Header=BB73_12 Depth=1
	s_or_b32 exec_lo, exec_lo, s7
	s_waitcnt lgkmcnt(0)
	s_mov_b32 s7, -1
	s_barrier
	s_and_b32 vcc_lo, exec_lo, s75
	s_cbranch_vccnz .LBB73_27
	s_branch .LBB73_37
.LBB73_127:                             ;   in Loop: Header=BB73_12 Depth=1
	s_mov_b32 s13, -1
	s_mov_b32 s22, 0
                                        ; implicit-def: $sgpr12
                                        ; implicit-def: $vgpr22
	s_mov_b32 s14, s13
	s_cbranch_execnz .LBB73_130
	s_branch .LBB73_139
.LBB73_128:                             ;   in Loop: Header=BB73_12 Depth=1
	s_set_inst_prefetch_distance 0x2
	s_or_b32 exec_lo, exec_lo, s18
	v_lshrrev_b16 v22, 8, v2
	s_and_b32 s22, s22, exec_lo
.LBB73_129:                             ;   in Loop: Header=BB73_12 Depth=1
	s_or_b32 exec_lo, exec_lo, s13
	s_mov_b32 s12, -1
	s_mov_b32 s13, 0
	s_delay_alu instid0(SALU_CYCLE_1)
	s_mov_b32 s14, s13
	s_branch .LBB73_139
.LBB73_130:                             ;   in Loop: Header=BB73_12 Depth=1
	s_mov_b32 s22, 0
                                        ; implicit-def: $vgpr22
	s_and_saveexec_b32 s12, s6
	s_cbranch_execz .LBB73_138
; %bb.131:                              ;   in Loop: Header=BB73_12 Depth=1
	v_dual_mov_b32 v1, v11 :: v_dual_mov_b32 v2, v0
	s_mov_b32 s13, 0
                                        ; implicit-def: $sgpr14
	s_set_inst_prefetch_distance 0x1
	s_branch .LBB73_133
	.p2align	6
.LBB73_132:                             ;   in Loop: Header=BB73_133 Depth=2
	s_or_b32 exec_lo, exec_lo, s7
	s_waitcnt lgkmcnt(0)
	s_barrier
	buffer_gl0_inv
	ds_load_u16 v3, v21 offset:3072
	v_add_nc_u32_e32 v2, s46, v2
	v_add_nc_u32_e32 v1, s49, v1
	s_waitcnt lgkmcnt(0)
	s_barrier
	buffer_gl0_inv
	v_cmp_le_u32_e32 vcc_lo, s63, v2
	v_and_b32_e32 v4, 0xff, v3
	s_delay_alu instid0(VALU_DEP_1) | instskip(NEXT) | instid1(VALU_DEP_1)
	v_cmp_ne_u16_e64 s7, 0, v4
	s_or_b32 s18, vcc_lo, s7
	s_delay_alu instid0(SALU_CYCLE_1) | instskip(NEXT) | instid1(SALU_CYCLE_1)
	s_and_b32 s18, exec_lo, s18
	s_or_b32 s13, s18, s13
	s_and_not1_b32 s14, s14, exec_lo
	s_and_b32 s7, s7, exec_lo
	s_delay_alu instid0(SALU_CYCLE_1)
	s_or_b32 s14, s14, s7
	s_and_not1_b32 exec_lo, exec_lo, s13
	s_cbranch_execz .LBB73_137
.LBB73_133:                             ;   Parent Loop BB73_12 Depth=1
                                        ; =>  This Inner Loop Header: Depth=2
	s_delay_alu instid0(VALU_DEP_1)
	v_cmp_gt_u32_e32 vcc_lo, s28, v2
	v_mov_b32_e32 v3, 0
	s_and_saveexec_b32 s7, vcc_lo
	s_cbranch_execz .LBB73_135
; %bb.134:                              ;   in Loop: Header=BB73_133 Depth=2
	global_load_u8 v3, v1, s[38:39]
.LBB73_135:                             ;   in Loop: Header=BB73_133 Depth=2
	s_or_b32 exec_lo, exec_lo, s7
	s_waitcnt vmcnt(0)
	v_and_b32_e32 v4, s73, v3
	s_delay_alu instid0(VALU_DEP_1) | instskip(NEXT) | instid1(VALU_DEP_1)
	v_and_b32_e32 v4, 0xff, v4
	v_cmp_eq_u32_e64 s7, s72, v4
	s_delay_alu instid0(VALU_DEP_1) | instskip(NEXT) | instid1(SALU_CYCLE_1)
	s_and_b32 s18, vcc_lo, s7
	s_and_saveexec_b32 s7, s18
	s_cbranch_execz .LBB73_132
; %bb.136:                              ;   in Loop: Header=BB73_133 Depth=2
	v_lshlrev_b16 v3, 8, v3
	s_delay_alu instid0(VALU_DEP_1)
	v_or_b32_e32 v3, 1, v3
	ds_store_b16 v21, v3 offset:3072
	s_branch .LBB73_132
.LBB73_137:                             ;   in Loop: Header=BB73_12 Depth=1
	s_set_inst_prefetch_distance 0x2
	s_or_b32 exec_lo, exec_lo, s13
	v_lshrrev_b16 v22, 8, v3
	s_and_b32 s22, s14, exec_lo
.LBB73_138:                             ;   in Loop: Header=BB73_12 Depth=1
	s_or_b32 exec_lo, exec_lo, s12
	s_mov_b32 s14, -1
	s_mov_b32 s13, 0
	s_mov_b32 s12, 0
.LBB73_139:                             ;   in Loop: Header=BB73_12 Depth=1
	s_mov_b32 s23, 0
                                        ; implicit-def: $sgpr7
	s_and_saveexec_b32 s18, s22
	s_cbranch_execz .LBB73_231
; %bb.140:                              ;   in Loop: Header=BB73_12 Depth=1
	s_xor_b32 s7, s21, -1
	s_mov_b32 s21, 0
	s_and_not1_b32 vcc_lo, exec_lo, s7
	s_mov_b32 s24, 1
	s_cbranch_vccnz .LBB73_151
; %bb.141:                              ;   in Loop: Header=BB73_12 Depth=1
	s_cmp_gt_u32 s20, s19
	s_mov_b32 s21, -1
                                        ; implicit-def: $sgpr7
                                        ; implicit-def: $sgpr22
                                        ; implicit-def: $sgpr23
	s_cbranch_scc1 .LBB73_147
; %bb.142:                              ;   in Loop: Header=BB73_12 Depth=1
	ds_load_b32 v1, v21 offset:4104
	s_waitcnt lgkmcnt(0)
	v_cmp_ne_u32_e32 vcc_lo, 0, v1
	s_cbranch_vccnz .LBB73_146
; %bb.143:                              ;   in Loop: Header=BB73_12 Depth=1
	s_and_saveexec_b32 s7, s2
	s_cbranch_execz .LBB73_145
; %bb.144:                              ;   in Loop: Header=BB73_12 Depth=1
	v_mov_b32_e32 v1, s19
	ds_store_b32 v21, v1 offset:4108
.LBB73_145:                             ;   in Loop: Header=BB73_12 Depth=1
	s_or_b32 exec_lo, exec_lo, s7
	s_waitcnt lgkmcnt(0)
	s_barrier
	buffer_gl0_inv
.LBB73_146:                             ;   in Loop: Header=BB73_12 Depth=1
	s_lshl_b32 s7, 1, s16
	s_and_b32 s21, s72, s17
	s_or_b32 s23, s73, s10
	s_or_b32 s22, s21, s7
	s_mov_b32 s21, 0
	s_mov_b32 s7, 8
.LBB73_147:                             ;   in Loop: Header=BB73_12 Depth=1
	s_and_not1_b32 vcc_lo, exec_lo, s21
	s_cbranch_vccnz .LBB73_149
; %bb.148:                              ;   in Loop: Header=BB73_12 Depth=1
	s_sub_i32 s20, s20, s19
	s_mov_b32 s21, -1
	s_mov_b32 s7, 0
	s_mov_b32 s22, s72
	;; [unrolled: 1-line block ×3, first 2 shown]
.LBB73_149:                             ;   in Loop: Header=BB73_12 Depth=1
	s_delay_alu instid0(SALU_CYCLE_1)
	s_mov_b32 s73, s23
	s_mov_b32 s72, s22
	;; [unrolled: 1-line block ×3, first 2 shown]
	s_and_not1_b32 vcc_lo, exec_lo, s21
	s_mov_b32 s26, -1
	s_cbranch_vccz .LBB73_152
.LBB73_150:                             ;   in Loop: Header=BB73_12 Depth=1
                                        ; implicit-def: $sgpr20
                                        ; implicit-def: $sgpr21
                                        ; implicit-def: $sgpr19
	s_branch .LBB73_230
.LBB73_151:                             ;   in Loop: Header=BB73_12 Depth=1
	s_mov_b32 s7, 1
	s_and_not1_b32 vcc_lo, exec_lo, s21
	s_mov_b32 s26, -1
	s_cbranch_vccnz .LBB73_150
.LBB73_152:                             ;   in Loop: Header=BB73_12 Depth=1
	s_cmp_eq_u32 s15, 1
	s_mov_b32 s25, -1
	s_cselect_b32 s7, -1, 0
	s_cmp_eq_u32 s24, 1
	s_cselect_b32 s19, -1, 0
	s_delay_alu instid0(SALU_CYCLE_1) | instskip(NEXT) | instid1(SALU_CYCLE_1)
	s_and_b32 s23, s7, s19
	s_and_b32 vcc_lo, exec_lo, s23
	s_cbranch_vccz .LBB73_163
; %bb.153:                              ;   in Loop: Header=BB73_12 Depth=1
	ds_load_b32 v1, v21 offset:4104
	s_waitcnt lgkmcnt(0)
	s_barrier
	buffer_gl0_inv
	v_readfirstlane_b32 s19, v1
	s_and_saveexec_b32 s7, s1
	s_cbranch_execz .LBB73_155
; %bb.154:                              ;   in Loop: Header=BB73_12 Depth=1
	ds_store_b8 v0, v21 offset:3072
.LBB73_155:                             ;   in Loop: Header=BB73_12 Depth=1
	s_or_b32 exec_lo, exec_lo, s7
	s_lshl_b32 s7, 2, s16
	s_and_b32 s20, s72, s17
	s_or_b32 s73, s73, s10
	s_or_b32 s72, s20, s7
	s_cmp_eq_u32 s19, 0
	s_waitcnt lgkmcnt(0)
	s_barrier
	buffer_gl0_inv
	s_cbranch_scc1 .LBB73_164
; %bb.156:                              ;   in Loop: Header=BB73_12 Depth=1
	s_add_i32 s7, s19, s50
	s_mov_b32 s25, 0
	s_mul_hi_u32 s20, s7, s60
                                        ; implicit-def: $vgpr22
	s_delay_alu instid0(SALU_CYCLE_1) | instskip(NEXT) | instid1(SALU_CYCLE_1)
	s_mul_i32 s20, s20, s46
	s_sub_i32 s20, s7, s20
	s_delay_alu instid0(SALU_CYCLE_1) | instskip(SKIP_2) | instid1(SALU_CYCLE_1)
	s_sub_i32 s21, s20, s46
	s_cmp_ge_u32 s20, s46
	s_cselect_b32 s20, s21, s20
	s_sub_i32 s21, s20, s46
	s_cmp_ge_u32 s20, s46
	s_cselect_b32 s20, s21, s20
	s_delay_alu instid0(SALU_CYCLE_1)
	s_sub_i32 s21, s7, s20
	s_mov_b32 s20, exec_lo
	v_cmpx_gt_u32_e64 s21, v0
	s_cbranch_execz .LBB73_166
; %bb.157:                              ;   in Loop: Header=BB73_12 Depth=1
	v_mov_b32_e32 v1, v0
	s_mov_b32 s22, 0
                                        ; implicit-def: $sgpr25
	s_set_inst_prefetch_distance 0x1
	s_branch .LBB73_159
	.p2align	6
.LBB73_158:                             ;   in Loop: Header=BB73_159 Depth=2
	s_or_b32 exec_lo, exec_lo, s7
	s_waitcnt lgkmcnt(0)
	s_barrier
	buffer_gl0_inv
	ds_load_u16 v2, v21 offset:3072
	v_add_nc_u32_e32 v1, s46, v1
	s_waitcnt lgkmcnt(0)
	s_barrier
	buffer_gl0_inv
	v_cmp_le_u32_e32 vcc_lo, s21, v1
	v_and_b32_e32 v3, 0xff, v2
	s_delay_alu instid0(VALU_DEP_1) | instskip(NEXT) | instid1(VALU_DEP_1)
	v_cmp_ne_u16_e64 s7, 0, v3
	s_or_b32 s26, vcc_lo, s7
	s_delay_alu instid0(SALU_CYCLE_1) | instskip(NEXT) | instid1(SALU_CYCLE_1)
	s_and_b32 s26, exec_lo, s26
	s_or_b32 s22, s26, s22
	s_and_not1_b32 s25, s25, exec_lo
	s_and_b32 s7, s7, exec_lo
	s_delay_alu instid0(SALU_CYCLE_1)
	s_or_b32 s25, s25, s7
	s_and_not1_b32 exec_lo, exec_lo, s22
	s_cbranch_execz .LBB73_165
.LBB73_159:                             ;   Parent Loop BB73_12 Depth=1
                                        ; =>  This Inner Loop Header: Depth=2
	s_delay_alu instid0(VALU_DEP_1)
	v_cmp_gt_u32_e32 vcc_lo, s19, v1
	v_mov_b32_e32 v2, 0
	s_and_saveexec_b32 s7, vcc_lo
	s_cbranch_execz .LBB73_161
; %bb.160:                              ;   in Loop: Header=BB73_159 Depth=2
	ds_load_u8 v2, v1
.LBB73_161:                             ;   in Loop: Header=BB73_159 Depth=2
	s_or_b32 exec_lo, exec_lo, s7
	s_waitcnt lgkmcnt(0)
	v_and_b32_e32 v3, s73, v2
	s_delay_alu instid0(VALU_DEP_1) | instskip(NEXT) | instid1(VALU_DEP_1)
	v_and_b32_e32 v3, 0xff, v3
	v_cmp_eq_u32_e64 s7, s72, v3
	s_delay_alu instid0(VALU_DEP_1) | instskip(NEXT) | instid1(SALU_CYCLE_1)
	s_and_b32 s26, vcc_lo, s7
	s_and_saveexec_b32 s7, s26
	s_cbranch_execz .LBB73_158
; %bb.162:                              ;   in Loop: Header=BB73_159 Depth=2
	v_lshlrev_b16 v2, 8, v2
	s_delay_alu instid0(VALU_DEP_1)
	v_or_b32_e32 v2, 1, v2
	ds_store_b16 v21, v2 offset:3072
	s_branch .LBB73_158
.LBB73_163:                             ;   in Loop: Header=BB73_12 Depth=1
                                        ; implicit-def: $sgpr19
                                        ; implicit-def: $sgpr21
                                        ; implicit-def: $sgpr20
	s_branch .LBB73_176
.LBB73_164:                             ;   in Loop: Header=BB73_12 Depth=1
	s_mov_b32 s19, -1
	s_mov_b32 s25, 0
                                        ; implicit-def: $sgpr20
                                        ; implicit-def: $vgpr22
	s_mov_b32 s21, s19
	s_cbranch_execnz .LBB73_167
	s_branch .LBB73_176
.LBB73_165:                             ;   in Loop: Header=BB73_12 Depth=1
	s_set_inst_prefetch_distance 0x2
	s_or_b32 exec_lo, exec_lo, s22
	v_lshrrev_b16 v22, 8, v2
	s_and_b32 s25, s25, exec_lo
.LBB73_166:                             ;   in Loop: Header=BB73_12 Depth=1
	s_or_b32 exec_lo, exec_lo, s20
	s_mov_b32 s20, -1
	s_mov_b32 s19, 0
	s_delay_alu instid0(SALU_CYCLE_1)
	s_mov_b32 s21, s19
	s_branch .LBB73_176
.LBB73_167:                             ;   in Loop: Header=BB73_12 Depth=1
	s_mov_b32 s25, 0
                                        ; implicit-def: $vgpr22
	s_and_saveexec_b32 s19, s6
	s_cbranch_execz .LBB73_175
; %bb.168:                              ;   in Loop: Header=BB73_12 Depth=1
	v_dual_mov_b32 v1, v11 :: v_dual_mov_b32 v2, v0
	s_mov_b32 s20, 0
                                        ; implicit-def: $sgpr21
	s_set_inst_prefetch_distance 0x1
	s_branch .LBB73_170
	.p2align	6
.LBB73_169:                             ;   in Loop: Header=BB73_170 Depth=2
	s_or_b32 exec_lo, exec_lo, s7
	s_waitcnt lgkmcnt(0)
	s_barrier
	buffer_gl0_inv
	ds_load_u16 v3, v21 offset:3072
	v_add_nc_u32_e32 v2, s46, v2
	v_add_nc_u32_e32 v1, s49, v1
	s_waitcnt lgkmcnt(0)
	s_barrier
	buffer_gl0_inv
	v_cmp_le_u32_e32 vcc_lo, s63, v2
	v_and_b32_e32 v4, 0xff, v3
	s_delay_alu instid0(VALU_DEP_1) | instskip(NEXT) | instid1(VALU_DEP_1)
	v_cmp_ne_u16_e64 s7, 0, v4
	s_or_b32 s22, vcc_lo, s7
	s_delay_alu instid0(SALU_CYCLE_1) | instskip(NEXT) | instid1(SALU_CYCLE_1)
	s_and_b32 s22, exec_lo, s22
	s_or_b32 s20, s22, s20
	s_and_not1_b32 s21, s21, exec_lo
	s_and_b32 s7, s7, exec_lo
	s_delay_alu instid0(SALU_CYCLE_1)
	s_or_b32 s21, s21, s7
	s_and_not1_b32 exec_lo, exec_lo, s20
	s_cbranch_execz .LBB73_174
.LBB73_170:                             ;   Parent Loop BB73_12 Depth=1
                                        ; =>  This Inner Loop Header: Depth=2
	s_delay_alu instid0(VALU_DEP_1)
	v_cmp_gt_u32_e32 vcc_lo, s28, v2
	v_mov_b32_e32 v3, 0
	s_and_saveexec_b32 s7, vcc_lo
	s_cbranch_execz .LBB73_172
; %bb.171:                              ;   in Loop: Header=BB73_170 Depth=2
	global_load_u8 v3, v1, s[38:39]
.LBB73_172:                             ;   in Loop: Header=BB73_170 Depth=2
	s_or_b32 exec_lo, exec_lo, s7
	s_waitcnt vmcnt(0)
	v_and_b32_e32 v4, s73, v3
	s_delay_alu instid0(VALU_DEP_1) | instskip(NEXT) | instid1(VALU_DEP_1)
	v_and_b32_e32 v4, 0xff, v4
	v_cmp_eq_u32_e64 s7, s72, v4
	s_delay_alu instid0(VALU_DEP_1) | instskip(NEXT) | instid1(SALU_CYCLE_1)
	s_and_b32 s22, vcc_lo, s7
	s_and_saveexec_b32 s7, s22
	s_cbranch_execz .LBB73_169
; %bb.173:                              ;   in Loop: Header=BB73_170 Depth=2
	v_lshlrev_b16 v3, 8, v3
	s_delay_alu instid0(VALU_DEP_1)
	v_or_b32_e32 v3, 1, v3
	ds_store_b16 v21, v3 offset:3072
	s_branch .LBB73_169
.LBB73_174:                             ;   in Loop: Header=BB73_12 Depth=1
	s_set_inst_prefetch_distance 0x2
	s_or_b32 exec_lo, exec_lo, s20
	v_lshrrev_b16 v22, 8, v3
	s_and_b32 s25, s21, exec_lo
.LBB73_175:                             ;   in Loop: Header=BB73_12 Depth=1
	s_or_b32 exec_lo, exec_lo, s19
	s_mov_b32 s21, -1
	s_mov_b32 s19, 0
	s_mov_b32 s20, 0
.LBB73_176:                             ;   in Loop: Header=BB73_12 Depth=1
	s_mov_b32 s26, 0
                                        ; implicit-def: $sgpr7
	s_and_saveexec_b32 s22, s25
	s_cbranch_execz .LBB73_229
; %bb.177:                              ;   in Loop: Header=BB73_12 Depth=1
	s_xor_b32 s7, s23, -1
	s_mov_b32 s25, 0
	s_and_not1_b32 vcc_lo, exec_lo, s7
	s_mov_b32 s23, 1
	s_cbranch_vccnz .LBB73_188
; %bb.178:                              ;   in Loop: Header=BB73_12 Depth=1
	s_cmp_gt_u32 s24, s15
	s_mov_b32 s25, -1
                                        ; implicit-def: $sgpr7
                                        ; implicit-def: $sgpr23
                                        ; implicit-def: $sgpr26
	s_cbranch_scc1 .LBB73_184
; %bb.179:                              ;   in Loop: Header=BB73_12 Depth=1
	ds_load_b32 v1, v21 offset:4104
	s_waitcnt lgkmcnt(0)
	v_cmp_ne_u32_e32 vcc_lo, 0, v1
	s_cbranch_vccnz .LBB73_183
; %bb.180:                              ;   in Loop: Header=BB73_12 Depth=1
	s_and_saveexec_b32 s7, s2
	s_cbranch_execz .LBB73_182
; %bb.181:                              ;   in Loop: Header=BB73_12 Depth=1
	v_mov_b32_e32 v1, s15
	ds_store_b32 v21, v1 offset:4108
.LBB73_182:                             ;   in Loop: Header=BB73_12 Depth=1
	s_or_b32 exec_lo, exec_lo, s7
	s_waitcnt lgkmcnt(0)
	s_barrier
	buffer_gl0_inv
.LBB73_183:                             ;   in Loop: Header=BB73_12 Depth=1
	s_lshl_b32 s7, 2, s16
	s_and_b32 s16, s72, s17
	s_or_b32 s26, s73, s10
	s_or_b32 s23, s16, s7
	s_mov_b32 s25, 0
	s_mov_b32 s7, 8
.LBB73_184:                             ;   in Loop: Header=BB73_12 Depth=1
	s_and_not1_b32 vcc_lo, exec_lo, s25
	s_cbranch_vccnz .LBB73_186
; %bb.185:                              ;   in Loop: Header=BB73_12 Depth=1
	s_sub_i32 s24, s24, s15
	s_mov_b32 s25, -1
	s_mov_b32 s7, 0
	s_mov_b32 s23, s72
	;; [unrolled: 1-line block ×3, first 2 shown]
.LBB73_186:                             ;   in Loop: Header=BB73_12 Depth=1
	s_delay_alu instid0(SALU_CYCLE_1)
	s_mov_b32 s73, s26
	s_mov_b32 s72, s23
	;; [unrolled: 1-line block ×3, first 2 shown]
	s_and_not1_b32 vcc_lo, exec_lo, s25
	s_mov_b32 s74, -1
	s_cbranch_vccz .LBB73_189
.LBB73_187:                             ;   in Loop: Header=BB73_12 Depth=1
                                        ; implicit-def: $sgpr16
                                        ; implicit-def: $sgpr24
                                        ; implicit-def: $sgpr17
	s_branch .LBB73_228
.LBB73_188:                             ;   in Loop: Header=BB73_12 Depth=1
	s_mov_b32 s7, 1
	s_and_not1_b32 vcc_lo, exec_lo, s25
	s_mov_b32 s74, -1
	s_cbranch_vccnz .LBB73_187
.LBB73_189:                             ;   in Loop: Header=BB73_12 Depth=1
	s_cmp_eq_u32 s8, 1
	s_mov_b32 s25, -1
	s_cselect_b32 s7, -1, 0
	s_cmp_eq_u32 s23, 1
	s_cselect_b32 s15, -1, 0
	s_delay_alu instid0(SALU_CYCLE_1) | instskip(NEXT) | instid1(SALU_CYCLE_1)
	s_and_b32 s15, s7, s15
	s_and_b32 vcc_lo, exec_lo, s15
	s_cbranch_vccz .LBB73_200
; %bb.190:                              ;   in Loop: Header=BB73_12 Depth=1
	ds_load_b32 v1, v21 offset:4104
	s_waitcnt lgkmcnt(0)
	s_barrier
	buffer_gl0_inv
	v_readfirstlane_b32 s16, v1
	s_and_saveexec_b32 s7, s1
	s_cbranch_execz .LBB73_192
; %bb.191:                              ;   in Loop: Header=BB73_12 Depth=1
	ds_store_b8 v0, v21 offset:3072
.LBB73_192:                             ;   in Loop: Header=BB73_12 Depth=1
	s_or_b32 exec_lo, exec_lo, s7
	s_or_b32 s72, s72, s10
	s_or_b32 s73, s73, s10
	s_cmp_eq_u32 s16, 0
	s_waitcnt lgkmcnt(0)
	s_barrier
	buffer_gl0_inv
	s_cbranch_scc1 .LBB73_201
; %bb.193:                              ;   in Loop: Header=BB73_12 Depth=1
	s_add_i32 s7, s16, s50
	s_mov_b32 s25, 0
	s_mul_hi_u32 s17, s7, s60
                                        ; implicit-def: $vgpr22
	s_delay_alu instid0(SALU_CYCLE_1) | instskip(NEXT) | instid1(SALU_CYCLE_1)
	s_mul_i32 s17, s17, s46
	s_sub_i32 s17, s7, s17
	s_delay_alu instid0(SALU_CYCLE_1) | instskip(SKIP_2) | instid1(SALU_CYCLE_1)
	s_sub_i32 s24, s17, s46
	s_cmp_ge_u32 s17, s46
	s_cselect_b32 s17, s24, s17
	s_sub_i32 s24, s17, s46
	s_cmp_ge_u32 s17, s46
	s_cselect_b32 s17, s24, s17
	s_delay_alu instid0(SALU_CYCLE_1)
	s_sub_i32 s24, s7, s17
	s_mov_b32 s17, exec_lo
	v_cmpx_gt_u32_e64 s24, v0
	s_cbranch_execz .LBB73_203
; %bb.194:                              ;   in Loop: Header=BB73_12 Depth=1
	v_mov_b32_e32 v1, v0
                                        ; implicit-def: $sgpr26
	s_set_inst_prefetch_distance 0x1
	s_branch .LBB73_196
	.p2align	6
.LBB73_195:                             ;   in Loop: Header=BB73_196 Depth=2
	s_or_b32 exec_lo, exec_lo, s7
	s_waitcnt lgkmcnt(0)
	s_barrier
	buffer_gl0_inv
	ds_load_u16 v2, v21 offset:3072
	v_add_nc_u32_e32 v1, s46, v1
	s_waitcnt lgkmcnt(0)
	s_barrier
	buffer_gl0_inv
	v_cmp_le_u32_e32 vcc_lo, s24, v1
	v_and_b32_e32 v3, 0xff, v2
	s_delay_alu instid0(VALU_DEP_1) | instskip(NEXT) | instid1(VALU_DEP_1)
	v_cmp_ne_u16_e64 s7, 0, v3
	s_or_b32 s74, vcc_lo, s7
	s_delay_alu instid0(SALU_CYCLE_1) | instskip(NEXT) | instid1(SALU_CYCLE_1)
	s_and_b32 s74, exec_lo, s74
	s_or_b32 s25, s74, s25
	s_and_not1_b32 s26, s26, exec_lo
	s_and_b32 s7, s7, exec_lo
	s_delay_alu instid0(SALU_CYCLE_1)
	s_or_b32 s26, s26, s7
	s_and_not1_b32 exec_lo, exec_lo, s25
	s_cbranch_execz .LBB73_202
.LBB73_196:                             ;   Parent Loop BB73_12 Depth=1
                                        ; =>  This Inner Loop Header: Depth=2
	s_delay_alu instid0(VALU_DEP_1)
	v_cmp_gt_u32_e32 vcc_lo, s16, v1
	v_mov_b32_e32 v2, 0
	s_and_saveexec_b32 s7, vcc_lo
	s_cbranch_execz .LBB73_198
; %bb.197:                              ;   in Loop: Header=BB73_196 Depth=2
	ds_load_u8 v2, v1
.LBB73_198:                             ;   in Loop: Header=BB73_196 Depth=2
	s_or_b32 exec_lo, exec_lo, s7
	s_waitcnt lgkmcnt(0)
	v_and_b32_e32 v3, s73, v2
	s_delay_alu instid0(VALU_DEP_1) | instskip(NEXT) | instid1(VALU_DEP_1)
	v_and_b32_e32 v3, 0xff, v3
	v_cmp_eq_u32_e64 s7, s72, v3
	s_delay_alu instid0(VALU_DEP_1) | instskip(NEXT) | instid1(SALU_CYCLE_1)
	s_and_b32 s74, vcc_lo, s7
	s_and_saveexec_b32 s7, s74
	s_cbranch_execz .LBB73_195
; %bb.199:                              ;   in Loop: Header=BB73_196 Depth=2
	v_lshlrev_b16 v2, 8, v2
	s_delay_alu instid0(VALU_DEP_1)
	v_or_b32_e32 v2, 1, v2
	ds_store_b16 v21, v2 offset:3072
	s_branch .LBB73_195
.LBB73_200:                             ;   in Loop: Header=BB73_12 Depth=1
                                        ; implicit-def: $sgpr16
                                        ; implicit-def: $sgpr24
                                        ; implicit-def: $sgpr17
	s_branch .LBB73_213
.LBB73_201:                             ;   in Loop: Header=BB73_12 Depth=1
	s_mov_b32 s16, -1
	s_mov_b32 s25, 0
                                        ; implicit-def: $sgpr17
                                        ; implicit-def: $vgpr22
	s_mov_b32 s24, s16
	s_cbranch_execnz .LBB73_204
	s_branch .LBB73_213
.LBB73_202:                             ;   in Loop: Header=BB73_12 Depth=1
	s_set_inst_prefetch_distance 0x2
	s_or_b32 exec_lo, exec_lo, s25
	v_lshrrev_b16 v22, 8, v2
	s_and_b32 s25, s26, exec_lo
.LBB73_203:                             ;   in Loop: Header=BB73_12 Depth=1
	s_or_b32 exec_lo, exec_lo, s17
	s_mov_b32 s17, -1
	s_mov_b32 s16, 0
	s_delay_alu instid0(SALU_CYCLE_1)
	s_mov_b32 s24, s16
	s_branch .LBB73_213
.LBB73_204:                             ;   in Loop: Header=BB73_12 Depth=1
	s_mov_b32 s25, 0
                                        ; implicit-def: $vgpr22
	s_and_saveexec_b32 s16, s6
	s_cbranch_execz .LBB73_212
; %bb.205:                              ;   in Loop: Header=BB73_12 Depth=1
	v_dual_mov_b32 v1, v11 :: v_dual_mov_b32 v2, v0
	s_mov_b32 s17, 0
                                        ; implicit-def: $sgpr24
	s_set_inst_prefetch_distance 0x1
	s_branch .LBB73_207
	.p2align	6
.LBB73_206:                             ;   in Loop: Header=BB73_207 Depth=2
	s_or_b32 exec_lo, exec_lo, s7
	s_waitcnt lgkmcnt(0)
	s_barrier
	buffer_gl0_inv
	ds_load_u16 v3, v21 offset:3072
	v_add_nc_u32_e32 v2, s46, v2
	v_add_nc_u32_e32 v1, s49, v1
	s_waitcnt lgkmcnt(0)
	s_barrier
	buffer_gl0_inv
	v_cmp_le_u32_e32 vcc_lo, s63, v2
	v_and_b32_e32 v4, 0xff, v3
	s_delay_alu instid0(VALU_DEP_1) | instskip(NEXT) | instid1(VALU_DEP_1)
	v_cmp_ne_u16_e64 s7, 0, v4
	s_or_b32 s25, vcc_lo, s7
	s_delay_alu instid0(SALU_CYCLE_1) | instskip(NEXT) | instid1(SALU_CYCLE_1)
	s_and_b32 s25, exec_lo, s25
	s_or_b32 s17, s25, s17
	s_and_not1_b32 s24, s24, exec_lo
	s_and_b32 s7, s7, exec_lo
	s_delay_alu instid0(SALU_CYCLE_1)
	s_or_b32 s24, s24, s7
	s_and_not1_b32 exec_lo, exec_lo, s17
	s_cbranch_execz .LBB73_211
.LBB73_207:                             ;   Parent Loop BB73_12 Depth=1
                                        ; =>  This Inner Loop Header: Depth=2
	s_delay_alu instid0(VALU_DEP_1)
	v_cmp_gt_u32_e32 vcc_lo, s28, v2
	v_mov_b32_e32 v3, 0
	s_and_saveexec_b32 s7, vcc_lo
	s_cbranch_execz .LBB73_209
; %bb.208:                              ;   in Loop: Header=BB73_207 Depth=2
	global_load_u8 v3, v1, s[38:39]
.LBB73_209:                             ;   in Loop: Header=BB73_207 Depth=2
	s_or_b32 exec_lo, exec_lo, s7
	s_waitcnt vmcnt(0)
	v_and_b32_e32 v4, s73, v3
	s_delay_alu instid0(VALU_DEP_1) | instskip(NEXT) | instid1(VALU_DEP_1)
	v_and_b32_e32 v4, 0xff, v4
	v_cmp_eq_u32_e64 s7, s72, v4
	s_delay_alu instid0(VALU_DEP_1) | instskip(NEXT) | instid1(SALU_CYCLE_1)
	s_and_b32 s25, vcc_lo, s7
	s_and_saveexec_b32 s7, s25
	s_cbranch_execz .LBB73_206
; %bb.210:                              ;   in Loop: Header=BB73_207 Depth=2
	v_lshlrev_b16 v3, 8, v3
	s_delay_alu instid0(VALU_DEP_1)
	v_or_b32_e32 v3, 1, v3
	ds_store_b16 v21, v3 offset:3072
	s_branch .LBB73_206
.LBB73_211:                             ;   in Loop: Header=BB73_12 Depth=1
	s_set_inst_prefetch_distance 0x2
	s_or_b32 exec_lo, exec_lo, s17
	v_lshrrev_b16 v22, 8, v3
	s_and_b32 s25, s24, exec_lo
.LBB73_212:                             ;   in Loop: Header=BB73_12 Depth=1
	s_or_b32 exec_lo, exec_lo, s16
	s_mov_b32 s24, -1
	s_mov_b32 s16, 0
	s_mov_b32 s17, 0
.LBB73_213:                             ;   in Loop: Header=BB73_12 Depth=1
	s_mov_b32 s74, 0
                                        ; implicit-def: $sgpr7
	s_and_saveexec_b32 s26, s25
	s_cbranch_execz .LBB73_227
; %bb.214:                              ;   in Loop: Header=BB73_12 Depth=1
	s_xor_b32 s7, s15, -1
	s_delay_alu instid0(SALU_CYCLE_1)
	s_and_not1_b32 vcc_lo, exec_lo, s7
	s_mov_b32 s7, 1
	s_cbranch_vccnz .LBB73_221
; %bb.215:                              ;   in Loop: Header=BB73_12 Depth=1
	s_cmp_gt_u32 s23, s8
	s_cbranch_scc1 .LBB73_222
; %bb.216:                              ;   in Loop: Header=BB73_12 Depth=1
	ds_load_b32 v1, v21 offset:4104
	s_waitcnt lgkmcnt(0)
	v_cmp_ne_u32_e32 vcc_lo, 0, v1
	s_cbranch_vccnz .LBB73_220
; %bb.217:                              ;   in Loop: Header=BB73_12 Depth=1
	s_and_saveexec_b32 s7, s2
	s_cbranch_execz .LBB73_219
; %bb.218:                              ;   in Loop: Header=BB73_12 Depth=1
	v_mov_b32_e32 v1, s8
	ds_store_b32 v21, v1 offset:4108
.LBB73_219:                             ;   in Loop: Header=BB73_12 Depth=1
	s_or_b32 exec_lo, exec_lo, s7
	s_waitcnt lgkmcnt(0)
	s_barrier
	buffer_gl0_inv
.LBB73_220:                             ;   in Loop: Header=BB73_12 Depth=1
	s_or_b32 s15, s72, s10
	s_or_b32 s10, s73, s10
	s_mov_b32 s25, 0
	s_mov_b32 s7, 8
	s_branch .LBB73_223
.LBB73_221:                             ;   in Loop: Header=BB73_12 Depth=1
	s_mov_b32 s23, 1
	s_branch .LBB73_226
.LBB73_222:                             ;   in Loop: Header=BB73_12 Depth=1
	s_mov_b32 s25, -1
                                        ; implicit-def: $sgpr7
                                        ; implicit-def: $sgpr15
                                        ; implicit-def: $sgpr10
.LBB73_223:                             ;   in Loop: Header=BB73_12 Depth=1
	s_delay_alu instid0(SALU_CYCLE_1)
	s_and_not1_b32 vcc_lo, exec_lo, s25
	s_cbranch_vccnz .LBB73_225
; %bb.224:                              ;   in Loop: Header=BB73_12 Depth=1
	s_sub_i32 s23, s23, s8
	s_mov_b32 s7, 8
	s_mov_b32 s15, s72
	;; [unrolled: 1-line block ×3, first 2 shown]
.LBB73_225:                             ;   in Loop: Header=BB73_12 Depth=1
	s_mov_b32 s72, s15
	s_mov_b32 s73, s10
.LBB73_226:                             ;   in Loop: Header=BB73_12 Depth=1
	s_mov_b32 s74, exec_lo
.LBB73_227:                             ;   in Loop: Header=BB73_12 Depth=1
	s_or_b32 exec_lo, exec_lo, s26
.LBB73_228:                             ;   in Loop: Header=BB73_12 Depth=1
	s_delay_alu instid0(SALU_CYCLE_1)
	s_and_not1_b32 s8, s19, exec_lo
	s_and_b32 s10, s16, exec_lo
	s_and_not1_b32 s15, s20, exec_lo
	s_or_b32 s19, s8, s10
	s_and_not1_b32 s8, s21, exec_lo
	s_and_b32 s10, s24, exec_lo
	s_and_b32 s16, s17, exec_lo
	s_or_b32 s21, s8, s10
	s_or_b32 s20, s15, s16
	s_and_b32 s26, s74, exec_lo
	s_mov_b32 s24, s23
.LBB73_229:                             ;   in Loop: Header=BB73_12 Depth=1
	s_or_b32 exec_lo, exec_lo, s22
.LBB73_230:                             ;   in Loop: Header=BB73_12 Depth=1
	s_delay_alu instid0(SALU_CYCLE_1)
	s_and_not1_b32 s8, s13, exec_lo
	s_and_b32 s10, s19, exec_lo
	s_and_not1_b32 s12, s12, exec_lo
	s_or_b32 s13, s8, s10
	s_and_not1_b32 s8, s14, exec_lo
	s_and_b32 s10, s21, exec_lo
	s_and_b32 s15, s20, exec_lo
	s_or_b32 s14, s8, s10
	s_or_b32 s12, s12, s15
	s_and_b32 s23, s26, exec_lo
	s_mov_b32 s20, s24
.LBB73_231:                             ;   in Loop: Header=BB73_12 Depth=1
	s_or_b32 exec_lo, exec_lo, s18
                                        ; implicit-def: $sgpr74
	s_and_saveexec_b32 s8, s23
	s_delay_alu instid0(SALU_CYCLE_1)
	s_xor_b32 s8, exec_lo, s8
	s_cbranch_execz .LBB73_10
.LBB73_232:                             ;   in Loop: Header=BB73_12 Depth=1
	s_and_b32 s7, s7, -9
	s_delay_alu instid0(SALU_CYCLE_1)
	s_cmp_eq_u32 s7, 0
	s_cbranch_scc1 .LBB73_8
; %bb.233:                              ;   in Loop: Header=BB73_12 Depth=1
	s_mov_b32 s7, -1
	s_mov_b32 s10, -1
                                        ; implicit-def: $sgpr73
                                        ; implicit-def: $sgpr20
                                        ; implicit-def: $sgpr62
                                        ; implicit-def: $sgpr70
	s_branch .LBB73_9
.LBB73_234:
	s_or_b32 exec_lo, exec_lo, s58
	s_xor_b32 s4, s67, -1
	s_xor_b32 s1, s65, -1
	;; [unrolled: 1-line block ×3, first 2 shown]
	s_mov_b32 s2, 0
	s_and_saveexec_b32 s5, s1
	s_delay_alu instid0(SALU_CYCLE_1)
	s_xor_b32 s1, exec_lo, s5
	s_cbranch_execz .LBB73_248
; %bb.235:
	s_and_saveexec_b32 s2, s4
	s_delay_alu instid0(SALU_CYCLE_1)
	s_xor_b32 s2, exec_lo, s2
	s_cbranch_execz .LBB73_246
; %bb.236:
	s_and_saveexec_b32 s4, s3
	s_delay_alu instid0(SALU_CYCLE_1)
	s_xor_b32 s3, exec_lo, s4
; %bb.237:
	v_mov_b32_e32 v22, v1
; %bb.238:
	s_or_b32 exec_lo, exec_lo, s3
	s_mul_i32 s3, s47, s33
	s_add_i32 s4, s47, 1
	s_sub_i32 s3, s27, s3
	s_delay_alu instid0(SALU_CYCLE_1)
	s_sub_i32 s5, s3, s33
	s_cmp_ge_u32 s3, s33
	s_cselect_b32 s4, s4, s47
	s_cselect_b32 s3, s5, s3
	s_add_i32 s5, s4, 1
	s_cmp_ge_u32 s3, s33
	s_cselect_b32 s3, s5, s4
	s_delay_alu instid0(SALU_CYCLE_1) | instskip(SKIP_2) | instid1(SALU_CYCLE_1)
	s_mul_i32 s4, s3, s33
	s_mul_i32 s3, s3, s42
	s_sub_i32 s4, s27, s4
	s_mul_i32 s4, s4, s43
	s_delay_alu instid0(SALU_CYCLE_1) | instskip(NEXT) | instid1(SALU_CYCLE_1)
	s_add_i32 s3, s3, s4
	v_mov_b32_e32 v1, s3
	global_store_b8 v1, v22, s[40:41]
	s_and_saveexec_b32 s3, s0
	s_cbranch_execz .LBB73_245
; %bb.239:
	v_and_b32_e32 v2, 0xff, v22
	s_mov_b32 s0, 0
                                        ; implicit-def: $sgpr4
                                        ; implicit-def: $sgpr6
                                        ; implicit-def: $sgpr5
	s_set_inst_prefetch_distance 0x1
	s_branch .LBB73_241
	.p2align	6
.LBB73_240:                             ;   in Loop: Header=BB73_241 Depth=1
	s_or_b32 exec_lo, exec_lo, s7
	s_delay_alu instid0(SALU_CYCLE_1) | instskip(NEXT) | instid1(SALU_CYCLE_1)
	s_and_b32 s7, exec_lo, s6
	s_or_b32 s0, s7, s0
	s_and_not1_b32 s4, s4, exec_lo
	s_and_b32 s7, s5, exec_lo
	s_delay_alu instid0(SALU_CYCLE_1)
	s_or_b32 s4, s4, s7
	s_and_not1_b32 exec_lo, exec_lo, s0
	s_cbranch_execz .LBB73_243
.LBB73_241:                             ; =>This Inner Loop Header: Depth=1
	global_load_u8 v3, v11, s[38:39]
	v_mov_b32_e32 v1, v0
	s_or_b32 s5, s5, exec_lo
	s_or_b32 s6, s6, exec_lo
	s_mov_b32 s7, exec_lo
                                        ; implicit-def: $vgpr0
	s_waitcnt vmcnt(0)
	v_cmpx_ne_u16_e64 v3, v2
	s_cbranch_execz .LBB73_240
; %bb.242:                              ;   in Loop: Header=BB73_241 Depth=1
	v_add_nc_u32_e32 v0, s46, v1
	s_and_not1_b32 s6, s6, exec_lo
	v_add_nc_u32_e32 v11, s49, v11
	s_and_not1_b32 s5, s5, exec_lo
	s_delay_alu instid0(VALU_DEP_2) | instskip(SKIP_1) | instid1(SALU_CYCLE_1)
	v_cmp_le_u32_e32 vcc_lo, s28, v0
	s_and_b32 s8, vcc_lo, exec_lo
	s_or_b32 s6, s6, s8
	s_branch .LBB73_240
.LBB73_243:
	s_set_inst_prefetch_distance 0x2
	s_or_b32 exec_lo, exec_lo, s0
	s_and_saveexec_b32 s0, s4
	s_delay_alu instid0(SALU_CYCLE_1)
	s_xor_b32 s0, exec_lo, s0
	s_cbranch_execz .LBB73_245
; %bb.244:
	s_mul_i32 s0, s31, s29
	s_add_i32 s4, s31, 1
	s_sub_i32 s0, s27, s0
	v_mov_b32_e32 v2, 0
	s_sub_i32 s5, s0, s29
	s_cmp_ge_u32 s0, s29
	s_cselect_b32 s4, s4, s31
	s_cselect_b32 s0, s5, s0
	s_add_i32 s5, s4, 1
	s_cmp_ge_u32 s0, s29
	s_cselect_b32 s0, s5, s4
	s_mov_b32 s5, 0
	s_mul_i32 s4, s0, s29
	s_mul_i32 s0, s0, s36
	s_sub_i32 s4, s27, s4
	s_delay_alu instid0(SALU_CYCLE_1) | instskip(NEXT) | instid1(SALU_CYCLE_1)
	s_mul_i32 s4, s4, s37
	s_add_i32 s4, s0, s4
	s_delay_alu instid0(SALU_CYCLE_1) | instskip(NEXT) | instid1(SALU_CYCLE_1)
	s_lshl_b64 s[4:5], s[4:5], 3
	s_add_u32 s4, s34, s4
	s_addc_u32 s5, s35, s5
	global_store_b64 v2, v[1:2], s[4:5]
.LBB73_245:
	s_or_b32 exec_lo, exec_lo, s3
.LBB73_246:
	s_or_saveexec_b32 s0, s2
	s_mov_b32 s2, 0
	s_xor_b32 exec_lo, exec_lo, s0
	s_cbranch_execnz .LBB73_254
.LBB73_247:
	s_or_b32 exec_lo, exec_lo, s0
	s_delay_alu instid0(SALU_CYCLE_1)
	s_and_b32 s2, s2, exec_lo
.LBB73_248:
	s_and_not1_saveexec_b32 s0, s1
	s_cbranch_execnz .LBB73_252
; %bb.249:
	s_or_b32 exec_lo, exec_lo, s0
	s_and_saveexec_b32 s0, s2
.LBB73_250:
	; divergent unreachable
.LBB73_251:
	s_nop 0
	s_sendmsg sendmsg(MSG_DEALLOC_VGPRS)
	s_endpgm
.LBB73_252:
	s_cbranch_execnz .LBB73_256
; %bb.253:
	s_or_b32 s2, s2, exec_lo
	s_or_b32 exec_lo, exec_lo, s0
	s_and_saveexec_b32 s0, s2
	s_cbranch_execnz .LBB73_250
	s_branch .LBB73_251
.LBB73_254:
	s_cbranch_execnz .LBB73_258
; %bb.255:
	s_mov_b32 s2, exec_lo
	s_branch .LBB73_247
.LBB73_256:
	s_trap 2
	s_sendmsg_rtn_b32 s0, sendmsg(MSG_RTN_GET_DOORBELL)
	s_mov_b32 ttmp2, m0
	s_waitcnt lgkmcnt(0)
	s_and_b32 s0, s0, 0x3ff
	s_delay_alu instid0(SALU_CYCLE_1) | instskip(NEXT) | instid1(SALU_CYCLE_1)
	s_bitset1_b32 s0, 10
	s_mov_b32 m0, s0
	s_sendmsg sendmsg(MSG_INTERRUPT)
	s_mov_b32 m0, ttmp2
.LBB73_257:                             ; =>This Inner Loop Header: Depth=1
	s_sethalt 5
	s_branch .LBB73_257
.LBB73_258:
	s_trap 2
	s_sendmsg_rtn_b32 s0, sendmsg(MSG_RTN_GET_DOORBELL)
	s_mov_b32 ttmp2, m0
	s_waitcnt lgkmcnt(0)
	s_and_b32 s0, s0, 0x3ff
	s_delay_alu instid0(SALU_CYCLE_1) | instskip(NEXT) | instid1(SALU_CYCLE_1)
	s_bitset1_b32 s0, 10
	s_mov_b32 m0, s0
	s_sendmsg sendmsg(MSG_INTERRUPT)
	s_mov_b32 m0, ttmp2
.LBB73_259:                             ; =>This Inner Loop Header: Depth=1
	s_sethalt 5
	s_branch .LBB73_259
	.section	.rodata,"a",@progbits
	.p2align	6, 0x0
	.amdhsa_kernel _ZN2at6native12_GLOBAL__N_112gatherMedianIhjLi2EEEvNS_4cuda6detail10TensorInfoIT_T0_EENS5_IlS7_EENS5_IKS6_S7_EES7_S7_S7_b
		.amdhsa_group_segment_fixed_size 4120
		.amdhsa_private_segment_fixed_size 0
		.amdhsa_kernarg_size 920
		.amdhsa_user_sgpr_count 13
		.amdhsa_user_sgpr_dispatch_ptr 0
		.amdhsa_user_sgpr_queue_ptr 0
		.amdhsa_user_sgpr_kernarg_segment_ptr 1
		.amdhsa_user_sgpr_dispatch_id 0
		.amdhsa_user_sgpr_private_segment_size 0
		.amdhsa_wavefront_size32 1
		.amdhsa_uses_dynamic_stack 0
		.amdhsa_enable_private_segment 0
		.amdhsa_system_sgpr_workgroup_id_x 1
		.amdhsa_system_sgpr_workgroup_id_y 1
		.amdhsa_system_sgpr_workgroup_id_z 1
		.amdhsa_system_sgpr_workgroup_info 0
		.amdhsa_system_vgpr_workitem_id 0
		.amdhsa_next_free_vgpr 36
		.amdhsa_next_free_sgpr 84
		.amdhsa_reserve_vcc 1
		.amdhsa_float_round_mode_32 0
		.amdhsa_float_round_mode_16_64 0
		.amdhsa_float_denorm_mode_32 3
		.amdhsa_float_denorm_mode_16_64 3
		.amdhsa_dx10_clamp 1
		.amdhsa_ieee_mode 1
		.amdhsa_fp16_overflow 0
		.amdhsa_workgroup_processor_mode 1
		.amdhsa_memory_ordered 1
		.amdhsa_forward_progress 0
		.amdhsa_shared_vgpr_count 0
		.amdhsa_exception_fp_ieee_invalid_op 0
		.amdhsa_exception_fp_denorm_src 0
		.amdhsa_exception_fp_ieee_div_zero 0
		.amdhsa_exception_fp_ieee_overflow 0
		.amdhsa_exception_fp_ieee_underflow 0
		.amdhsa_exception_fp_ieee_inexact 0
		.amdhsa_exception_int_div_zero 0
	.end_amdhsa_kernel
	.section	.text._ZN2at6native12_GLOBAL__N_112gatherMedianIhjLi2EEEvNS_4cuda6detail10TensorInfoIT_T0_EENS5_IlS7_EENS5_IKS6_S7_EES7_S7_S7_b,"axG",@progbits,_ZN2at6native12_GLOBAL__N_112gatherMedianIhjLi2EEEvNS_4cuda6detail10TensorInfoIT_T0_EENS5_IlS7_EENS5_IKS6_S7_EES7_S7_S7_b,comdat
.Lfunc_end73:
	.size	_ZN2at6native12_GLOBAL__N_112gatherMedianIhjLi2EEEvNS_4cuda6detail10TensorInfoIT_T0_EENS5_IlS7_EENS5_IKS6_S7_EES7_S7_S7_b, .Lfunc_end73-_ZN2at6native12_GLOBAL__N_112gatherMedianIhjLi2EEEvNS_4cuda6detail10TensorInfoIT_T0_EENS5_IlS7_EENS5_IKS6_S7_EES7_S7_S7_b
                                        ; -- End function
	.section	.AMDGPU.csdata,"",@progbits
; Kernel info:
; codeLenInByte = 9548
; NumSgprs: 86
; NumVgprs: 36
; ScratchSize: 0
; MemoryBound: 0
; FloatMode: 240
; IeeeMode: 1
; LDSByteSize: 4120 bytes/workgroup (compile time only)
; SGPRBlocks: 10
; VGPRBlocks: 4
; NumSGPRsForWavesPerEU: 86
; NumVGPRsForWavesPerEU: 36
; Occupancy: 16
; WaveLimiterHint : 1
; COMPUTE_PGM_RSRC2:SCRATCH_EN: 0
; COMPUTE_PGM_RSRC2:USER_SGPR: 13
; COMPUTE_PGM_RSRC2:TRAP_HANDLER: 0
; COMPUTE_PGM_RSRC2:TGID_X_EN: 1
; COMPUTE_PGM_RSRC2:TGID_Y_EN: 1
; COMPUTE_PGM_RSRC2:TGID_Z_EN: 1
; COMPUTE_PGM_RSRC2:TIDIG_COMP_CNT: 0
	.section	.text._ZN2at6native12_GLOBAL__N_112gatherMedianIhjLi3EEEvNS_4cuda6detail10TensorInfoIT_T0_EENS5_IlS7_EENS5_IKS6_S7_EES7_S7_S7_b,"axG",@progbits,_ZN2at6native12_GLOBAL__N_112gatherMedianIhjLi3EEEvNS_4cuda6detail10TensorInfoIT_T0_EENS5_IlS7_EENS5_IKS6_S7_EES7_S7_S7_b,comdat
	.globl	_ZN2at6native12_GLOBAL__N_112gatherMedianIhjLi3EEEvNS_4cuda6detail10TensorInfoIT_T0_EENS5_IlS7_EENS5_IKS6_S7_EES7_S7_S7_b ; -- Begin function _ZN2at6native12_GLOBAL__N_112gatherMedianIhjLi3EEEvNS_4cuda6detail10TensorInfoIT_T0_EENS5_IlS7_EENS5_IKS6_S7_EES7_S7_S7_b
	.p2align	8
	.type	_ZN2at6native12_GLOBAL__N_112gatherMedianIhjLi3EEEvNS_4cuda6detail10TensorInfoIT_T0_EENS5_IlS7_EENS5_IKS6_S7_EES7_S7_S7_b,@function
_ZN2at6native12_GLOBAL__N_112gatherMedianIhjLi3EEEvNS_4cuda6detail10TensorInfoIT_T0_EENS5_IlS7_EENS5_IKS6_S7_EES7_S7_S7_b: ; @_ZN2at6native12_GLOBAL__N_112gatherMedianIhjLi3EEEvNS_4cuda6detail10TensorInfoIT_T0_EENS5_IlS7_EENS5_IKS6_S7_EES7_S7_S7_b
; %bb.0:
	s_clause 0x1
	s_load_b64 s[10:11], s[0:1], 0x298
	s_load_b128 s[28:31], s[0:1], 0x288
	s_add_u32 s8, s0, 0x298
	s_addc_u32 s9, s1, 0
	s_waitcnt lgkmcnt(0)
	s_mul_i32 s2, s11, s15
	s_delay_alu instid0(SALU_CYCLE_1) | instskip(NEXT) | instid1(SALU_CYCLE_1)
	s_add_i32 s2, s2, s14
	s_mul_i32 s27, s2, s10
	s_delay_alu instid0(SALU_CYCLE_1) | instskip(NEXT) | instid1(SALU_CYCLE_1)
	s_add_i32 s27, s27, s13
	s_cmp_ge_u32 s27, s29
	s_cbranch_scc1 .LBB74_251
; %bb.1:
	s_clause 0x2
	s_load_b64 s[44:45], s[0:1], 0xc
	s_load_b64 s[34:35], s[0:1], 0xe4
	;; [unrolled: 1-line block ×3, first 2 shown]
	s_waitcnt lgkmcnt(0)
	v_cvt_f32_u32_e32 v1, s45
	v_cvt_f32_u32_e32 v2, s35
	s_sub_i32 s2, 0, s45
	v_cvt_f32_u32_e32 v3, s44
	s_delay_alu instid0(VALU_DEP_3) | instskip(NEXT) | instid1(VALU_DEP_2)
	v_rcp_iflag_f32_e32 v1, v1
	v_rcp_iflag_f32_e32 v2, v2
	s_delay_alu instid0(VALU_DEP_1) | instskip(SKIP_2) | instid1(VALU_DEP_1)
	v_rcp_iflag_f32_e32 v3, v3
	s_waitcnt_depctr 0xfff
	v_dual_mul_f32 v1, 0x4f7ffffe, v1 :: v_dual_mul_f32 v2, 0x4f7ffffe, v2
	v_cvt_u32_f32_e32 v1, v1
	s_delay_alu instid0(VALU_DEP_2) | instskip(NEXT) | instid1(VALU_DEP_2)
	v_cvt_u32_f32_e32 v2, v2
	v_readfirstlane_b32 s3, v1
	s_delay_alu instid0(VALU_DEP_2) | instskip(SKIP_1) | instid1(VALU_DEP_3)
	v_readfirstlane_b32 s11, v2
	v_cvt_f32_u32_e32 v1, s34
	s_mul_i32 s2, s2, s3
	s_delay_alu instid0(VALU_DEP_1) | instskip(SKIP_1) | instid1(SALU_CYCLE_1)
	v_rcp_iflag_f32_e32 v1, v1
	s_mul_hi_u32 s2, s3, s2
	s_add_i32 s3, s3, s2
	s_delay_alu instid0(SALU_CYCLE_1) | instskip(NEXT) | instid1(SALU_CYCLE_1)
	s_mul_hi_u32 s2, s27, s3
	s_mul_i32 s3, s2, s45
	s_add_i32 s4, s2, 1
	s_sub_i32 s3, s27, s3
	s_waitcnt_depctr 0xfff
	v_mul_f32_e32 v1, 0x4f7ffffe, v1
	s_sub_i32 s5, s3, s45
	s_cmp_ge_u32 s3, s45
	s_cselect_b32 s2, s4, s2
	s_cselect_b32 s3, s5, s3
	s_load_b128 s[4:7], s[0:1], 0x21c
	v_cvt_f32_u32_e32 v4, s15
	s_add_i32 s12, s2, 1
	s_cmp_ge_u32 s3, s45
	v_cvt_f32_u32_e32 v5, s14
	s_cselect_b32 s33, s12, s2
	v_rcp_iflag_f32_e32 v4, v4
	s_sub_i32 s2, 0, s35
	v_mul_f32_e32 v2, 0x4f7ffffe, v3
	s_mul_i32 s2, s2, s11
	s_sub_i32 s12, 0, s44
	s_mul_hi_u32 s2, s11, s2
	v_rcp_iflag_f32_e32 v5, v5
	s_add_i32 s11, s11, s2
	v_cvt_u32_f32_e32 v1, v1
	s_mul_hi_u32 s2, s27, s11
	s_waitcnt_depctr 0xfff
	v_mul_f32_e32 v3, 0x4f7ffffe, v4
	s_mul_i32 s3, s2, s35
	s_waitcnt lgkmcnt(0)
	s_add_i32 s7, s2, 1
	s_sub_i32 s3, s27, s3
	v_cvt_u32_f32_e32 v2, v2
	v_cvt_u32_f32_e32 v3, v3
	s_sub_i32 s11, s3, s35
	s_cmp_ge_u32 s3, s35
	v_mul_f32_e32 v4, 0x4f7ffffe, v5
	s_cselect_b32 s2, s7, s2
	s_cselect_b32 s3, s11, s3
	v_readfirstlane_b32 s16, v3
	s_add_i32 s7, s2, 1
	s_cmp_ge_u32 s3, s35
	v_cvt_u32_f32_e32 v3, v4
	s_cselect_b32 s29, s7, s2
	s_sub_i32 s2, 0, s15
	v_readfirstlane_b32 s11, v2
	s_mul_i32 s2, s2, s16
	v_readfirstlane_b32 s18, v3
	s_mul_hi_u32 s2, s16, s2
	v_readfirstlane_b32 s7, v1
	s_add_i32 s16, s16, s2
	s_mul_i32 s12, s12, s11
	s_mul_hi_u32 s2, s27, s16
	s_sub_i32 s16, 0, s34
	s_mul_i32 s3, s2, s15
	s_add_i32 s17, s2, 1
	s_sub_i32 s3, s27, s3
	s_mul_i32 s16, s16, s7
	s_sub_i32 s19, s3, s15
	s_cmp_ge_u32 s3, s15
	s_mul_hi_u32 s12, s11, s12
	s_cselect_b32 s2, s17, s2
	s_cselect_b32 s3, s19, s3
	s_add_i32 s17, s2, 1
	s_cmp_ge_u32 s3, s15
	s_mul_hi_u32 s19, s7, s16
	s_cselect_b32 s3, s17, s2
	s_sub_i32 s2, 0, s14
	s_delay_alu instid0(SALU_CYCLE_1) | instskip(SKIP_2) | instid1(SALU_CYCLE_1)
	s_mul_i32 s17, s2, s18
	v_cmp_eq_u32_e64 s2, 0, v0
	s_mul_hi_u32 s17, s18, s17
	s_add_i32 s18, s18, s17
	s_delay_alu instid0(VALU_DEP_1)
	s_and_saveexec_b32 s16, s2
	s_cbranch_execz .LBB74_3
; %bb.2:
	v_mov_b32_e32 v1, 0
	s_delay_alu instid0(VALU_DEP_1)
	v_mov_b32_e32 v2, v1
	ds_store_b64 v1, v[1:2] offset:4096
.LBB74_3:
	s_or_b32 exec_lo, exec_lo, s16
	v_mov_b32_e32 v1, 0
	s_waitcnt lgkmcnt(0)
	s_barrier
	buffer_gl0_inv
	s_barrier
	buffer_gl0_inv
	ds_load_b64 v[1:2], v1 offset:4096
	s_clause 0x2
	s_load_b128 s[36:39], s[0:1], 0x144
	s_load_b128 s[40:43], s[0:1], 0x6c
	s_load_b64 s[16:17], s[0:1], 0x1b0
	s_add_i32 s11, s11, s12
	s_add_i32 s12, s7, s19
	s_bitcmp1_b32 s31, 0
	s_mov_b32 s80, s28
	s_cselect_b32 s7, -1, 0
	s_waitcnt lgkmcnt(0)
	v_cmp_gt_i64_e32 vcc_lo, 1, v[1:2]
	s_or_b32 s19, s7, vcc_lo
	s_mul_hi_u32 s7, s3, s18
	s_and_not1_b32 vcc_lo, exec_lo, s19
	s_cbranch_vccnz .LBB74_5
; %bb.4:
	v_not_b32_e32 v1, v1
	v_not_b32_e32 v2, v2
	s_delay_alu instid0(VALU_DEP_2) | instskip(NEXT) | instid1(VALU_DEP_2)
	v_add_co_u32 v1, vcc_lo, v1, s28
	v_add_co_ci_u32_e32 v2, vcc_lo, 0, v2, vcc_lo
	s_delay_alu instid0(VALU_DEP_1) | instskip(NEXT) | instid1(VALU_DEP_1)
	v_lshrrev_b32_e32 v3, 31, v2
	v_add_co_u32 v1, vcc_lo, v1, v3
	v_add_co_ci_u32_e32 v2, vcc_lo, 0, v2, vcc_lo
	s_delay_alu instid0(VALU_DEP_1) | instskip(NEXT) | instid1(VALU_DEP_1)
	v_alignbit_b32 v1, v2, v1, 1
	v_readfirstlane_b32 s18, v1
	s_delay_alu instid0(VALU_DEP_1)
	s_add_i32 s80, s18, 1
.LBB74_5:
	s_clause 0x1
	s_load_b64 s[46:47], s[0:1], 0xd8
	s_load_b64 s[50:51], s[0:1], 0x0
	s_mul_hi_u32 s43, s33, s11
	s_mul_hi_u32 s31, s29, s12
	s_and_saveexec_b32 s0, s2
	s_cbranch_execz .LBB74_7
; %bb.6:
	v_dual_mov_b32 v1, 0 :: v_dual_mov_b32 v2, s28
	ds_store_b32 v1, v1 offset:4112
	ds_store_b64 v1, v[1:2] offset:4104
.LBB74_7:
	s_or_b32 exec_lo, exec_lo, s0
	s_mul_i32 s1, s7, s14
	s_mul_i32 s0, s3, s15
	s_sub_i32 s1, s3, s1
	s_sub_i32 s0, s27, s0
	s_add_i32 s11, s7, 1
	s_sub_i32 s12, s1, s14
	s_cmp_ge_u32 s1, s14
	s_waitcnt lgkmcnt(0)
	s_barrier
	buffer_gl0_inv
	s_load_b32 s15, s[8:9], 0xc
	s_cselect_b32 s7, s11, s7
	s_cselect_b32 s1, s12, s1
	s_add_i32 s11, s7, 1
	s_cmp_ge_u32 s1, s14
	s_mul_i32 s0, s0, s6
	s_cselect_b32 s1, s11, s7
	v_mbcnt_lo_u32_b32 v12, -1, 0
	s_mul_i32 s7, s1, s14
	s_mul_i32 s1, s1, s4
	s_sub_i32 s3, s3, s7
	v_cmp_gt_u32_e32 vcc_lo, 32, v0
	s_mul_i32 s3, s3, s5
	v_mul_lo_u32 v11, v0, s30
	s_add_i32 s0, s3, s0
	v_dual_mov_b32 v22, 0 :: v_dual_lshlrev_b32 v13, 2, v0
	s_add_i32 s0, s0, s1
	v_lshrrev_b32_e32 v3, 3, v0
	s_add_u32 s48, s16, s0
	s_addc_u32 s49, s17, 0
	s_waitcnt lgkmcnt(0)
	s_and_b32 s39, s15, 0xffff
	v_cmp_gt_i32_e64 s0, 4, v12
	s_lshl_b32 s54, s39, 2
	s_add_i32 s56, s39, -1
	v_cvt_f32_u32_e32 v1, s54
	s_bfe_u32 s1, s15, 0xb0005
	s_and_b32 s57, vcc_lo, s0
	s_add_i32 s6, s56, s28
	s_cmpk_gt_u32 s28, 0xc00
	v_rcp_iflag_f32_e32 v1, v1
	s_cselect_b32 s58, -1, 0
	s_cmp_gt_u32 s39, 31
	v_cvt_f32_u32_e32 v2, s39
	s_cselect_b32 s59, -1, 0
	s_cmp_lt_u32 s13, s10
	v_dual_mov_b32 v21, 0 :: v_dual_and_b32 v14, 0x7c, v3
	s_cselect_b32 s0, 12, 18
	v_rcp_iflag_f32_e32 v2, v2
	s_waitcnt_depctr 0xfff
	v_mul_f32_e32 v1, 0x4f7ffffe, v1
	s_add_u32 s52, s8, s0
	s_addc_u32 s53, s9, 0
	s_add_i32 s0, s1, -1
	s_bfe_u32 s60, s39, 0x30005
	v_cvt_u32_f32_e32 v1, v1
	s_cmp_gt_u32 s0, 6
	v_lshlrev_b32_e32 v18, 2, v11
	s_cselect_b32 s61, -1, 0
	s_and_b32 s62, s1, 0x7f8
	v_readfirstlane_b32 s1, v1
	s_cmp_lg_u32 s60, 0
	v_mul_f32_e32 v1, 0x4f7ffffe, v2
	s_cselect_b32 s63, -1, 0
	s_sub_i32 s0, 0, s54
	v_add_co_u32 v5, s8, s48, v11
	s_mul_i32 s0, s0, s1
	v_cvt_u32_f32_e32 v1, v1
	s_mul_hi_u32 s3, s1, s0
	v_add_co_ci_u32_e64 v6, null, s49, 0, s8
	s_add_i32 s65, s1, s3
	v_or_b32_e32 v3, 3, v13
	s_mul_hi_u32 s1, s28, s65
	v_mad_u64_u32 v[9:10], null, s30, v13, s[30:31]
	s_mul_i32 s3, s1, s54
	s_delay_alu instid0(VALU_DEP_2)
	v_mul_lo_u32 v17, s30, v3
	s_sub_i32 s3, s28, s3
	v_cmp_gt_u32_e64 s0, s28, v0
	s_sub_i32 s4, s3, s54
	s_cmp_ge_u32 s3, s54
	v_cmp_gt_u32_e64 s1, 2, v0
	s_cselect_b32 s3, s4, s3
	v_readfirstlane_b32 s4, v1
	s_sub_i32 s5, s3, s54
	s_cmp_ge_u32 s3, s54
	v_lshlrev_b64 v[1:2], v12, -1
	s_cselect_b32 s7, s5, s3
	s_sub_i32 s5, 0, s39
	s_sub_i32 s67, s28, s7
	s_mul_i32 s5, s5, s4
	v_add_nc_u32_e32 v16, s67, v0
	s_mul_hi_u32 s5, s4, s5
	v_not_b32_e32 v15, v1
	s_add_i32 s66, s4, s5
	v_or_b32_e32 v2, 2, v13
	s_mul_hi_u32 s4, s6, s66
	v_mul_lo_u32 v1, v16, s30
	s_mul_i32 s4, s4, s39
	v_cmp_eq_u32_e64 s3, 0, v12
	s_sub_i32 s4, s6, s4
	v_mul_lo_u32 v10, s30, v2
	s_sub_i32 s5, s4, s39
	s_cmp_ge_u32 s4, s39
	v_lshl_or_b32 v20, v12, 2, 0xc00
	s_cselect_b32 s5, s5, s4
	v_cmp_gt_u32_e64 s4, s67, v13
	s_sub_i32 s8, s5, s39
	s_cmp_ge_u32 s5, s39
	s_mul_i32 s55, s30, s39
	s_cselect_b32 s8, s8, s5
	v_cmp_gt_u32_e64 s5, s28, v16
	s_sub_i32 s68, s6, s8
	v_add_co_u32 v7, s6, s48, v1
	v_add3_u32 v1, s39, s28, v0
	v_add_co_ci_u32_e64 v8, null, s49, 0, s6
	v_cmp_gt_u32_e64 s6, s68, v0
	s_mov_b32 s64, 0
	s_delay_alu instid0(VALU_DEP_3)
	v_subrev_nc_u32_e32 v1, s7, v1
	s_mov_b32 s69, 6
	s_lshl_b32 s70, s55, 2
	s_mov_b32 s76, 0
	s_mov_b32 s78, 0
	v_mul_lo_u32 v19, s30, v1
	s_mov_b32 s79, 0
                                        ; implicit-def: $sgpr71
                                        ; implicit-def: $sgpr73
                                        ; implicit-def: $sgpr72
                                        ; implicit-def: $sgpr75
                                        ; implicit-def: $sgpr77
                                        ; implicit-def: $sgpr74
	s_branch .LBB74_12
.LBB74_8:                               ;   in Loop: Header=BB74_12 Depth=1
	s_xor_b32 s76, s76, 1
	s_add_i32 s11, s69, -2
	s_cmp_eq_u32 s69, 0
	s_mov_b32 s7, 0
	s_cselect_b32 s10, -1, 0
	s_mov_b32 s69, s11
.LBB74_9:                               ;   in Loop: Header=BB74_12 Depth=1
	s_and_not1_b32 s11, s13, exec_lo
	s_and_b32 s7, s7, exec_lo
	s_and_not1_b32 s14, s14, exec_lo
	s_or_b32 s13, s11, s7
	s_and_not1_b32 s12, s12, exec_lo
	s_or_not1_b32 s11, s10, exec_lo
	s_mov_b32 s80, s20
.LBB74_10:                              ;   in Loop: Header=BB74_12 Depth=1
	s_or_b32 exec_lo, exec_lo, s8
	s_delay_alu instid0(SALU_CYCLE_1)
	s_and_not1_b32 s7, s74, exec_lo
	s_and_b32 s8, s13, exec_lo
	s_and_not1_b32 s10, s75, exec_lo
	s_or_b32 s74, s7, s8
	s_and_not1_b32 s7, s77, exec_lo
	s_and_b32 s8, s14, exec_lo
	s_and_b32 s12, s12, exec_lo
	s_or_b32 s77, s7, s8
	s_or_b32 s75, s10, s12
	s_or_not1_b32 s12, s11, exec_lo
.LBB74_11:                              ;   in Loop: Header=BB74_12 Depth=1
	s_or_b32 exec_lo, exec_lo, s9
	s_delay_alu instid0(SALU_CYCLE_1)
	s_and_b32 s7, exec_lo, s12
	v_mov_b32_e32 v1, s78
	s_or_b32 s64, s7, s64
	s_and_not1_b32 s7, s72, exec_lo
	s_and_b32 s8, s74, exec_lo
	s_and_not1_b32 s9, s71, exec_lo
	s_or_b32 s72, s7, s8
	s_and_not1_b32 s7, s73, exec_lo
	s_and_b32 s8, s77, exec_lo
	s_and_b32 s10, s75, exec_lo
	s_or_b32 s73, s7, s8
	s_or_b32 s71, s9, s10
	s_and_not1_b32 exec_lo, exec_lo, s64
	s_cbranch_execz .LBB74_234
.LBB74_12:                              ; =>This Loop Header: Depth=1
                                        ;     Child Loop BB74_17 Depth 2
                                        ;     Child Loop BB74_32 Depth 2
	;; [unrolled: 1-line block ×16, first 2 shown]
	ds_load_b64 v[1:2], v21 offset:4104
	s_waitcnt lgkmcnt(0)
	v_readfirstlane_b32 s81, v1
	s_delay_alu instid0(VALU_DEP_1)
	s_cmp_lg_u32 s81, 0
	s_cbranch_scc1 .LBB74_39
; %bb.13:                               ;   in Loop: Header=BB74_12 Depth=1
	s_and_b32 vcc_lo, exec_lo, s58
	s_cbranch_vccz .LBB74_25
; %bb.14:                               ;   in Loop: Header=BB74_12 Depth=1
	v_cmp_gt_u32_e32 vcc_lo, 0xc01, v2
	s_mov_b32 s81, 0
	s_mov_b32 s7, 0
	s_cbranch_vccz .LBB74_26
; %bb.15:                               ;   in Loop: Header=BB74_12 Depth=1
	global_load_u16 v1, v21, s[52:53]
	global_load_u8 v4, v[5:6], off
	v_mov_b32_e32 v23, v0
	s_mov_b32 s9, 0
	s_waitcnt vmcnt(1)
	v_add_nc_u32_e32 v2, v0, v1
	v_mul_lo_u32 v3, s30, v1
	s_delay_alu instid0(VALU_DEP_2)
	v_mul_lo_u32 v2, s30, v2
	s_branch .LBB74_17
.LBB74_16:                              ;   in Loop: Header=BB74_17 Depth=2
	s_or_b32 exec_lo, exec_lo, s8
	v_add_nc_u32_e32 v2, v2, v3
	v_mov_b32_e32 v4, v24
	s_and_not1_b32 exec_lo, exec_lo, s9
	s_cbranch_execz .LBB74_124
.LBB74_17:                              ;   Parent Loop BB74_12 Depth=1
                                        ; =>  This Inner Loop Header: Depth=2
	v_dual_mov_b32 v24, 0 :: v_dual_add_nc_u32 v23, v23, v1
	s_waitcnt lgkmcnt(0)
	v_mov_b32_e32 v25, 0
	s_mov_b32 s8, exec_lo
	s_delay_alu instid0(VALU_DEP_2)
	v_cmp_le_u32_e32 vcc_lo, s28, v23
	v_cmpx_gt_u32_e64 s28, v23
	s_cbranch_execz .LBB74_19
; %bb.18:                               ;   in Loop: Header=BB74_17 Depth=2
	global_load_u8 v24, v2, s[48:49]
.LBB74_19:                              ;   in Loop: Header=BB74_17 Depth=2
	s_or_b32 exec_lo, exec_lo, s8
	s_waitcnt vmcnt(0)
	v_and_b32_e32 v26, s79, v4
	s_delay_alu instid0(VALU_DEP_1) | instskip(NEXT) | instid1(VALU_DEP_1)
	v_and_b32_e32 v26, 0xff, v26
	v_cmp_eq_u32_e64 s7, s78, v26
	s_delay_alu instid0(VALU_DEP_1) | instskip(SKIP_1) | instid1(SALU_CYCLE_1)
	s_cmp_lg_u32 s7, 0
	s_cselect_b32 s8, -1, 0
	s_and_b32 s8, s3, s8
	s_delay_alu instid0(SALU_CYCLE_1)
	s_and_saveexec_b32 s10, s8
	s_cbranch_execz .LBB74_23
; %bb.20:                               ;   in Loop: Header=BB74_17 Depth=2
	s_mov_b32 s13, exec_lo
	s_bcnt1_i32_b32 s11, s7
	v_mbcnt_lo_u32_b32 v25, s13, 0
	s_mov_b32 s12, exec_lo
                                        ; implicit-def: $vgpr26
	s_delay_alu instid0(VALU_DEP_1)
	v_cmpx_eq_u32_e32 0, v25
	s_cbranch_execz .LBB74_22
; %bb.21:                               ;   in Loop: Header=BB74_17 Depth=2
	s_bcnt1_i32_b32 s8, s13
	s_delay_alu instid0(SALU_CYCLE_1) | instskip(NEXT) | instid1(SALU_CYCLE_1)
	s_mul_i32 s8, s11, s8
	v_mov_b32_e32 v26, s8
	ds_add_rtn_u32 v26, v21, v26 offset:4112
.LBB74_22:                              ;   in Loop: Header=BB74_17 Depth=2
	s_or_b32 exec_lo, exec_lo, s12
	s_waitcnt lgkmcnt(0)
	v_readfirstlane_b32 s8, v26
	s_delay_alu instid0(VALU_DEP_1)
	v_mad_u32_u24 v25, s11, v25, s8
.LBB74_23:                              ;   in Loop: Header=BB74_17 Depth=2
	s_or_b32 exec_lo, exec_lo, s10
	ds_bpermute_b32 v25, v21, v25
	s_and_b32 s8, exec_lo, vcc_lo
	s_delay_alu instid0(SALU_CYCLE_1)
	s_or_b32 s9, s8, s9
	s_and_saveexec_b32 s8, s7
	s_cbranch_execz .LBB74_16
; %bb.24:                               ;   in Loop: Header=BB74_17 Depth=2
	v_and_b32_e32 v26, s7, v15
	s_waitcnt lgkmcnt(0)
	s_delay_alu instid0(VALU_DEP_1)
	v_bcnt_u32_b32 v25, v26, v25
	ds_store_b8 v25, v4
	s_branch .LBB74_16
.LBB74_25:                              ;   in Loop: Header=BB74_12 Depth=1
	s_mov_b32 s81, -1
	s_mov_b32 s7, 0
.LBB74_26:                              ;   in Loop: Header=BB74_12 Depth=1
	s_and_b32 vcc_lo, exec_lo, s81
	s_cbranch_vccz .LBB74_37
.LBB74_27:                              ;   in Loop: Header=BB74_12 Depth=1
	v_mov_b32_e32 v1, 0
	s_and_saveexec_b32 s7, s0
	s_cbranch_execz .LBB74_29
; %bb.28:                               ;   in Loop: Header=BB74_12 Depth=1
	global_load_u8 v1, v[5:6], off
.LBB74_29:                              ;   in Loop: Header=BB74_12 Depth=1
	s_or_b32 exec_lo, exec_lo, s7
	s_and_saveexec_b32 s8, s0
	s_cbranch_execz .LBB74_34
; %bb.30:                               ;   in Loop: Header=BB74_12 Depth=1
	global_load_u16 v2, v21, s[52:53]
	v_mov_b32_e32 v23, v0
	s_mov_b32 s9, 0
	s_waitcnt vmcnt(0)
	v_add_nc_u32_e32 v3, v0, v2
	v_mul_lo_u32 v4, s30, v2
	s_delay_alu instid0(VALU_DEP_2)
	v_mul_lo_u32 v3, s30, v3
	s_branch .LBB74_32
	.p2align	6
.LBB74_31:                              ;   in Loop: Header=BB74_32 Depth=2
	s_or_b32 exec_lo, exec_lo, s10
	ds_store_b8 v23, v1
	v_add_nc_u32_e32 v3, v3, v4
	s_waitcnt vmcnt(0)
	v_mov_b32_e32 v1, v25
	v_mov_b32_e32 v23, v24
	s_and_b32 s7, exec_lo, vcc_lo
	s_delay_alu instid0(SALU_CYCLE_1) | instskip(NEXT) | instid1(SALU_CYCLE_1)
	s_or_b32 s9, s7, s9
	s_and_not1_b32 exec_lo, exec_lo, s9
	s_cbranch_execz .LBB74_34
.LBB74_32:                              ;   Parent Loop BB74_12 Depth=1
                                        ; =>  This Inner Loop Header: Depth=2
	v_dual_mov_b32 v25, 0 :: v_dual_add_nc_u32 v24, v23, v2
	s_mov_b32 s10, exec_lo
	s_delay_alu instid0(VALU_DEP_1)
	v_cmp_le_u32_e32 vcc_lo, s28, v24
	v_cmpx_gt_u32_e64 s28, v24
	s_cbranch_execz .LBB74_31
; %bb.33:                               ;   in Loop: Header=BB74_32 Depth=2
	global_load_u8 v25, v3, s[48:49]
	s_branch .LBB74_31
.LBB74_34:                              ;   in Loop: Header=BB74_12 Depth=1
	s_or_b32 exec_lo, exec_lo, s8
	s_waitcnt vmcnt(0) lgkmcnt(0)
	s_barrier
	buffer_gl0_inv
	s_and_saveexec_b32 s7, s2
	s_cbranch_execz .LBB74_36
; %bb.35:                               ;   in Loop: Header=BB74_12 Depth=1
	v_mov_b32_e32 v1, s28
	ds_store_b32 v21, v1 offset:4104
.LBB74_36:                              ;   in Loop: Header=BB74_12 Depth=1
	s_or_b32 exec_lo, exec_lo, s7
	s_mov_b32 s7, -1
	s_waitcnt lgkmcnt(0)
	s_barrier
                                        ; implicit-def: $sgpr81
.LBB74_37:                              ;   in Loop: Header=BB74_12 Depth=1
	s_and_b32 vcc_lo, exec_lo, s7
	s_cbranch_vccz .LBB74_39
; %bb.38:                               ;   in Loop: Header=BB74_12 Depth=1
	buffer_gl0_inv
	ds_load_b32 v1, v21 offset:4104
	s_waitcnt lgkmcnt(0)
	v_readfirstlane_b32 s81, v1
.LBB74_39:                              ;   in Loop: Header=BB74_12 Depth=1
	s_delay_alu instid0(VALU_DEP_1)
	s_cmp_lt_i32 s81, 1
	s_cbranch_scc0 .LBB74_43
; %bb.40:                               ;   in Loop: Header=BB74_12 Depth=1
	v_dual_mov_b32 v1, 0 :: v_dual_mov_b32 v2, 0
	v_dual_mov_b32 v3, 0 :: v_dual_mov_b32 v4, 0
	s_mov_b32 s83, 0
	s_and_saveexec_b32 s82, s4
	s_cbranch_execnz .LBB74_44
; %bb.41:                               ;   in Loop: Header=BB74_12 Depth=1
	s_or_b32 exec_lo, exec_lo, s82
	v_mov_b32_e32 v26, 0
	s_and_saveexec_b32 s7, s5
	s_cbranch_execnz .LBB74_47
.LBB74_42:                              ;   in Loop: Header=BB74_12 Depth=1
	s_or_b32 exec_lo, exec_lo, s7
	s_and_saveexec_b32 s11, s5
	s_cbranch_execnz .LBB74_48
	s_branch .LBB74_53
.LBB74_43:                              ;   in Loop: Header=BB74_12 Depth=1
                                        ; implicit-def: $vgpr4
	s_cbranch_execnz .LBB74_54
	s_branch .LBB74_63
.LBB74_44:                              ;   in Loop: Header=BB74_12 Depth=1
	v_mov_b32_e32 v23, v13
	s_and_b32 s84, s69, 0xfe
	s_mov_b32 s85, 0
	s_mov_b32 s86, 0
	;; [unrolled: 1-line block ×5, first 2 shown]
.LBB74_45:                              ;   Parent Loop BB74_12 Depth=1
                                        ; =>  This Inner Loop Header: Depth=2
	v_add_nc_u32_e32 v1, s85, v18
	v_add_nc_u32_e32 v2, s85, v9
	;; [unrolled: 1-line block ×5, first 2 shown]
	s_clause 0x3
	global_load_u8 v1, v1, s[48:49]
	global_load_u8 v2, v2, s[48:49]
	;; [unrolled: 1-line block ×4, first 2 shown]
	s_add_i32 s85, s85, s70
	v_cmp_le_u32_e32 vcc_lo, s67, v23
	s_waitcnt vmcnt(3)
	v_and_b32_e32 v24, s79, v1
	v_bfe_u32 v1, v1, s84, 2
	s_waitcnt vmcnt(2)
	v_and_b32_e32 v25, s79, v2
	v_bfe_u32 v2, v2, s84, 2
	;; [unrolled: 3-line block ×3, first 2 shown]
	v_cmp_eq_u32_e64 s7, s78, v24
	v_cmp_eq_u32_e64 s11, 0, v1
	s_waitcnt vmcnt(0)
	v_and_b32_e32 v27, s79, v4
	v_bfe_u32 v4, v4, s84, 2
	v_cmp_eq_u32_e64 s8, s78, v25
	v_cmp_eq_u32_e64 s12, 0, v2
	;; [unrolled: 1-line block ×4, first 2 shown]
	s_and_b32 s11, s7, s11
	v_cmp_eq_u32_e64 s10, s78, v27
	v_cmp_eq_u32_e64 s14, 0, v4
	;; [unrolled: 1-line block ×5, first 2 shown]
	v_cndmask_b32_e64 v1, 0, 1, s11
	s_and_b32 s11, s8, s12
	v_cmp_eq_u32_e64 s16, 1, v2
	v_cmp_eq_u32_e64 s20, 2, v2
	v_cmp_eq_u32_e64 s24, 3, v2
	v_cndmask_b32_e64 v2, 0, 1, s11
	s_and_b32 s11, s9, s13
	v_cmp_eq_u32_e64 s17, 1, v3
	v_cmp_eq_u32_e64 s21, 2, v3
	v_cmp_eq_u32_e64 s25, 3, v3
	;; [unrolled: 5-line block ×3, first 2 shown]
	v_cndmask_b32_e64 v4, 0, 1, s11
	s_and_b32 s11, s7, s15
	s_delay_alu instid0(SALU_CYCLE_1) | instskip(SKIP_1) | instid1(SALU_CYCLE_1)
	v_cndmask_b32_e64 v24, 0, 1, s11
	s_and_b32 s11, s8, s16
	v_cndmask_b32_e64 v25, 0, 1, s11
	s_and_b32 s11, s9, s17
	s_delay_alu instid0(SALU_CYCLE_1) | instskip(SKIP_1) | instid1(VALU_DEP_2)
	v_cndmask_b32_e64 v26, 0, 1, s11
	s_and_b32 s11, s10, s18
	v_cmp_ne_u32_e64 s12, 0, v25
	v_cndmask_b32_e64 v27, 0, 1, s11
	s_and_b32 s11, s7, s19
	s_and_b32 s7, s7, s23
	v_cndmask_b32_e64 v28, 0, 1, s11
	s_and_b32 s11, s8, s20
	v_cndmask_b32_e64 v32, 0, 1, s7
	;; [unrolled: 2-line block ×7, first 2 shown]
	v_cndmask_b32_e64 v35, 0, 1, s7
	v_cmp_ne_u32_e64 s7, 0, v1
	v_cmp_ne_u32_e64 s11, 0, v24
	;; [unrolled: 1-line block ×11, first 2 shown]
	s_bcnt1_i32_b32 s7, s7
	s_bcnt1_i32_b32 s11, s11
	;; [unrolled: 1-line block ×4, first 2 shown]
	v_cmp_ne_u32_e64 s10, 0, v4
	v_cmp_ne_u32_e64 s14, 0, v27
	;; [unrolled: 1-line block ×4, first 2 shown]
	s_bcnt1_i32_b32 s8, s8
	s_bcnt1_i32_b32 s12, s12
	s_bcnt1_i32_b32 s16, s16
	s_bcnt1_i32_b32 s20, s20
	s_add_i32 s7, s7, s89
	s_add_i32 s11, s11, s88
	s_add_i32 s15, s15, s87
	s_add_i32 s19, s19, s86
	s_bcnt1_i32_b32 s9, s9
	s_bcnt1_i32_b32 s13, s13
	s_bcnt1_i32_b32 s17, s17
	s_bcnt1_i32_b32 s21, s21
	s_add_i32 s7, s7, s8
	s_add_i32 s8, s11, s12
	s_add_i32 s11, s15, s16
	s_add_i32 s12, s19, s20
	;; [unrolled: 8-line block ×3, first 2 shown]
	s_add_i32 s89, s7, s10
	s_add_i32 s88, s8, s14
	;; [unrolled: 1-line block ×4, first 2 shown]
	v_mov_b32_e32 v3, s87
	v_dual_mov_b32 v1, s89 :: v_dual_mov_b32 v2, s88
	v_mov_b32_e32 v4, s86
	s_or_b32 s83, vcc_lo, s83
	s_delay_alu instid0(SALU_CYCLE_1)
	s_and_not1_b32 exec_lo, exec_lo, s83
	s_cbranch_execnz .LBB74_45
; %bb.46:                               ;   in Loop: Header=BB74_12 Depth=1
	s_or_b32 exec_lo, exec_lo, s83
	s_delay_alu instid0(SALU_CYCLE_1)
	s_or_b32 exec_lo, exec_lo, s82
	v_mov_b32_e32 v26, 0
	s_and_saveexec_b32 s7, s5
	s_cbranch_execz .LBB74_42
.LBB74_47:                              ;   in Loop: Header=BB74_12 Depth=1
	global_load_u8 v26, v[7:8], off
	s_or_b32 exec_lo, exec_lo, s7
	s_and_saveexec_b32 s11, s5
	s_cbranch_execz .LBB74_53
.LBB74_48:                              ;   in Loop: Header=BB74_12 Depth=1
	v_dual_mov_b32 v23, v19 :: v_dual_mov_b32 v24, v16
	s_and_b32 s13, s69, 0xfe
	s_mov_b32 s12, 0
	s_branch .LBB74_50
.LBB74_49:                              ;   in Loop: Header=BB74_50 Depth=2
	s_or_b32 exec_lo, exec_lo, s8
	s_waitcnt vmcnt(0)
	v_and_b32_e32 v26, 0xff, v26
	s_and_b32 s8, exec_lo, vcc_lo
	v_add_nc_u32_e32 v23, s55, v23
	s_or_b32 s12, s8, s12
	s_delay_alu instid0(VALU_DEP_2) | instskip(SKIP_1) | instid1(VALU_DEP_2)
	v_and_b32_e32 v27, s79, v26
	v_bfe_u32 v26, v26, s13, 2
	v_cmp_eq_u32_e32 vcc_lo, s78, v27
	s_delay_alu instid0(VALU_DEP_2) | instskip(SKIP_3) | instid1(VALU_DEP_4)
	v_cmp_eq_u32_e64 s7, 0, v26
	v_cmp_eq_u32_e64 s8, 1, v26
	;; [unrolled: 1-line block ×4, first 2 shown]
	s_and_b32 s7, vcc_lo, s7
	s_delay_alu instid0(SALU_CYCLE_1) | instskip(SKIP_1) | instid1(SALU_CYCLE_1)
	v_cndmask_b32_e64 v26, 0, 1, s7
	s_and_b32 s7, vcc_lo, s8
	v_cndmask_b32_e64 v27, 0, 1, s7
	s_and_b32 s7, vcc_lo, s9
	s_delay_alu instid0(SALU_CYCLE_1)
	v_cndmask_b32_e64 v28, 0, 1, s7
	s_and_b32 s7, vcc_lo, s10
	v_cmp_ne_u32_e32 vcc_lo, 0, v26
	v_mov_b32_e32 v26, v25
	v_cndmask_b32_e64 v29, 0, 1, s7
	v_cmp_ne_u32_e64 s7, 0, v27
	v_cmp_ne_u32_e64 s8, 0, v28
	s_bcnt1_i32_b32 s10, vcc_lo
	s_delay_alu instid0(VALU_DEP_3) | instskip(NEXT) | instid1(VALU_DEP_3)
	v_cmp_ne_u32_e64 s9, 0, v29
	s_bcnt1_i32_b32 s7, s7
	s_delay_alu instid0(VALU_DEP_2)
	s_bcnt1_i32_b32 s8, s8
	v_add_nc_u32_e32 v1, s10, v1
	v_add_nc_u32_e32 v2, s7, v2
	s_bcnt1_i32_b32 s9, s9
	v_add_nc_u32_e32 v3, s8, v3
	v_add_nc_u32_e32 v4, s9, v4
	s_and_not1_b32 exec_lo, exec_lo, s12
	s_cbranch_execz .LBB74_52
.LBB74_50:                              ;   Parent Loop BB74_12 Depth=1
                                        ; =>  This Inner Loop Header: Depth=2
	s_delay_alu instid0(VALU_DEP_1) | instskip(SKIP_1) | instid1(VALU_DEP_1)
	v_dual_mov_b32 v25, 0 :: v_dual_add_nc_u32 v24, s39, v24
	s_mov_b32 s8, exec_lo
	v_cmp_le_u32_e32 vcc_lo, s28, v24
	v_cmpx_gt_u32_e64 s28, v24
	s_cbranch_execz .LBB74_49
; %bb.51:                               ;   in Loop: Header=BB74_50 Depth=2
	global_load_u8 v25, v23, s[48:49]
	s_branch .LBB74_49
.LBB74_52:                              ;   in Loop: Header=BB74_12 Depth=1
	s_or_b32 exec_lo, exec_lo, s12
.LBB74_53:                              ;   in Loop: Header=BB74_12 Depth=1
	s_delay_alu instid0(SALU_CYCLE_1)
	s_or_b32 exec_lo, exec_lo, s11
	s_branch .LBB74_63
.LBB74_54:                              ;   in Loop: Header=BB74_12 Depth=1
	s_mul_hi_u32 s7, s81, s65
	v_dual_mov_b32 v1, 0 :: v_dual_mov_b32 v2, 0
	s_mul_i32 s7, s7, s54
	v_dual_mov_b32 v3, 0 :: v_dual_mov_b32 v4, 0
	s_sub_i32 s7, s81, s7
	s_mov_b32 s84, 0
	s_sub_i32 s8, s7, s54
	s_cmp_ge_u32 s7, s54
	s_mov_b32 s83, exec_lo
	s_cselect_b32 s7, s8, s7
	s_delay_alu instid0(SALU_CYCLE_1) | instskip(SKIP_2) | instid1(SALU_CYCLE_1)
	s_sub_i32 s8, s7, s54
	s_cmp_ge_u32 s7, s54
	s_cselect_b32 s7, s8, s7
	s_sub_i32 s82, s81, s7
	s_delay_alu instid0(SALU_CYCLE_1)
	v_cmpx_gt_u32_e64 s82, v13
	s_cbranch_execz .LBB74_58
; %bb.55:                               ;   in Loop: Header=BB74_12 Depth=1
	v_mov_b32_e32 v23, v13
	s_and_b32 s85, s69, 0xfe
	s_mov_b32 s86, 0
	s_mov_b32 s87, 0
	;; [unrolled: 1-line block ×4, first 2 shown]
.LBB74_56:                              ;   Parent Loop BB74_12 Depth=1
                                        ; =>  This Inner Loop Header: Depth=2
	ds_load_b32 v1, v23
	s_waitcnt lgkmcnt(0)
	v_and_b32_e32 v2, 0xff, v1
	v_bfe_u32 v3, v1, 8, 8
	v_bfe_u32 v4, v1, 16, 8
	v_lshrrev_b32_e32 v1, 24, v1
	s_delay_alu instid0(VALU_DEP_4)
	v_and_b32_e32 v24, s79, v2
	v_bfe_u32 v2, v2, s85, 2
	v_and_b32_e32 v25, s79, v3
	v_bfe_u32 v3, v3, s85, 2
	s_waitcnt vmcnt(0)
	v_and_b32_e32 v26, s79, v4
	v_bfe_u32 v4, v4, s85, 2
	v_cmp_eq_u32_e64 s7, s78, v24
	v_cmp_eq_u32_e64 s11, 0, v2
	v_and_b32_e32 v27, s79, v1
	v_bfe_u32 v1, v1, s85, 2
	v_cmp_eq_u32_e64 s8, s78, v25
	v_cmp_eq_u32_e64 s12, 0, v3
	;; [unrolled: 1-line block ×4, first 2 shown]
	s_and_b32 s11, s7, s11
	v_cmp_eq_u32_e64 s10, s78, v27
	v_cmp_eq_u32_e64 s14, 0, v1
	;; [unrolled: 1-line block ×5, first 2 shown]
	v_cndmask_b32_e64 v1, 0, 1, s11
	s_and_b32 s11, s8, s12
	v_cmp_eq_u32_e64 s15, 1, v2
	v_cmp_eq_u32_e64 s19, 2, v2
	v_cmp_eq_u32_e64 s23, 3, v2
	v_cndmask_b32_e64 v2, 0, 1, s11
	s_and_b32 s11, s9, s13
	v_cmp_eq_u32_e64 s16, 1, v3
	v_cmp_eq_u32_e64 s20, 2, v3
	v_cmp_eq_u32_e64 s24, 3, v3
	;; [unrolled: 5-line block ×3, first 2 shown]
	v_cndmask_b32_e64 v4, 0, 1, s11
	s_and_b32 s11, s7, s15
	s_delay_alu instid0(SALU_CYCLE_1) | instskip(SKIP_1) | instid1(SALU_CYCLE_1)
	v_cndmask_b32_e64 v24, 0, 1, s11
	s_and_b32 s11, s8, s16
	v_cndmask_b32_e64 v25, 0, 1, s11
	s_and_b32 s11, s9, s17
	s_delay_alu instid0(SALU_CYCLE_1) | instskip(SKIP_1) | instid1(VALU_DEP_2)
	v_cndmask_b32_e64 v26, 0, 1, s11
	s_and_b32 s11, s10, s18
	v_cmp_ne_u32_e64 s12, 0, v25
	v_cndmask_b32_e64 v27, 0, 1, s11
	s_and_b32 s11, s7, s19
	s_and_b32 s7, s7, s23
	v_cndmask_b32_e64 v28, 0, 1, s11
	s_and_b32 s11, s8, s20
	v_cndmask_b32_e64 v32, 0, 1, s7
	;; [unrolled: 2-line block ×7, first 2 shown]
	v_cndmask_b32_e64 v35, 0, 1, s7
	v_cmp_ne_u32_e64 s7, 0, v1
	v_cmp_ne_u32_e64 s11, 0, v24
	;; [unrolled: 1-line block ×6, first 2 shown]
	s_bcnt1_i32_b32 s7, s7
	s_bcnt1_i32_b32 s11, s11
	v_cmp_ne_u32_e64 s14, 0, v27
	v_cmp_ne_u32_e64 s16, 0, v29
	;; [unrolled: 1-line block ×3, first 2 shown]
	s_bcnt1_i32_b32 s8, s8
	s_bcnt1_i32_b32 s12, s12
	s_add_i32 s7, s7, s89
	s_add_i32 s11, s11, s88
	v_cmp_ne_u32_e64 s9, 0, v3
	v_cmp_ne_u32_e64 s17, 0, v30
	v_cmp_ne_u32_e64 s21, 0, v34
	s_bcnt1_i32_b32 s13, s13
	s_add_i32 s7, s7, s8
	s_add_i32 s8, s11, s12
	s_bcnt1_i32_b32 s15, s15
	s_bcnt1_i32_b32 s19, s19
	v_cmp_ne_u32_e64 s10, 0, v4
	v_cmp_ne_u32_e64 s18, 0, v31
	v_cmp_ne_u32_e64 s22, 0, v35
	s_bcnt1_i32_b32 s14, s14
	s_add_i32 s8, s8, s13
	s_bcnt1_i32_b32 s16, s16
	s_bcnt1_i32_b32 s20, s20
	s_add_i32 s15, s15, s87
	s_add_i32 s19, s19, s86
	;; [unrolled: 1-line block ×3, first 2 shown]
	s_delay_alu instid0(SALU_CYCLE_1)
	v_dual_mov_b32 v2, s88 :: v_dual_add_nc_u32 v23, s54, v23
	s_bcnt1_i32_b32 s9, s9
	s_bcnt1_i32_b32 s17, s17
	;; [unrolled: 1-line block ×3, first 2 shown]
	s_add_i32 s11, s15, s16
	s_add_i32 s12, s19, s20
	s_bcnt1_i32_b32 s10, s10
	s_bcnt1_i32_b32 s18, s18
	;; [unrolled: 1-line block ×3, first 2 shown]
	s_add_i32 s7, s7, s9
	s_add_i32 s9, s11, s17
	;; [unrolled: 1-line block ×3, first 2 shown]
	v_cmp_le_u32_e32 vcc_lo, s82, v23
	s_add_i32 s89, s7, s10
	s_add_i32 s87, s9, s18
	;; [unrolled: 1-line block ×3, first 2 shown]
	v_mov_b32_e32 v1, s89
	v_dual_mov_b32 v3, s87 :: v_dual_mov_b32 v4, s86
	s_or_b32 s84, vcc_lo, s84
	s_delay_alu instid0(SALU_CYCLE_1)
	s_and_not1_b32 exec_lo, exec_lo, s84
	s_cbranch_execnz .LBB74_56
; %bb.57:                               ;   in Loop: Header=BB74_12 Depth=1
	s_or_b32 exec_lo, exec_lo, s84
.LBB74_58:                              ;   in Loop: Header=BB74_12 Depth=1
	s_delay_alu instid0(SALU_CYCLE_1) | instskip(SKIP_2) | instid1(VALU_DEP_1)
	s_or_b32 exec_lo, exec_lo, s83
	v_add_nc_u32_e32 v23, s82, v0
	s_mov_b32 s12, exec_lo
	v_cmpx_gt_u32_e64 s81, v23
	s_cbranch_execz .LBB74_62
; %bb.59:                               ;   in Loop: Header=BB74_12 Depth=1
	s_and_b32 s14, s69, 0xfe
	s_mov_b32 s13, 0
	s_set_inst_prefetch_distance 0x1
	.p2align	6
.LBB74_60:                              ;   Parent Loop BB74_12 Depth=1
                                        ; =>  This Inner Loop Header: Depth=2
	ds_load_u8 v24, v23
	v_add_nc_u32_e32 v23, s39, v23
	s_delay_alu instid0(VALU_DEP_1) | instskip(SKIP_3) | instid1(VALU_DEP_2)
	v_cmp_le_u32_e32 vcc_lo, s81, v23
	s_waitcnt lgkmcnt(0)
	v_and_b32_e32 v25, s79, v24
	v_bfe_u32 v24, v24, s14, 2
	v_cmp_eq_u32_e64 s7, s78, v25
	s_delay_alu instid0(VALU_DEP_2) | instskip(SKIP_3) | instid1(VALU_DEP_4)
	v_cmp_eq_u32_e64 s8, 0, v24
	v_cmp_eq_u32_e64 s9, 1, v24
	;; [unrolled: 1-line block ×4, first 2 shown]
	s_and_b32 s8, s7, s8
	s_delay_alu instid0(SALU_CYCLE_1) | instskip(SKIP_1) | instid1(SALU_CYCLE_1)
	v_cndmask_b32_e64 v24, 0, 1, s8
	s_and_b32 s8, s7, s9
	v_cndmask_b32_e64 v25, 0, 1, s8
	s_and_b32 s8, s7, s10
	s_and_b32 s7, s7, s11
	s_waitcnt vmcnt(0)
	v_cndmask_b32_e64 v26, 0, 1, s8
	v_cndmask_b32_e64 v27, 0, 1, s7
	v_cmp_ne_u32_e64 s7, 0, v24
	v_cmp_ne_u32_e64 s8, 0, v25
	s_delay_alu instid0(VALU_DEP_4) | instskip(NEXT) | instid1(VALU_DEP_4)
	v_cmp_ne_u32_e64 s9, 0, v26
	v_cmp_ne_u32_e64 s10, 0, v27
	s_delay_alu instid0(VALU_DEP_4) | instskip(NEXT) | instid1(VALU_DEP_3)
	s_bcnt1_i32_b32 s7, s7
	s_bcnt1_i32_b32 s8, s8
	v_add_nc_u32_e32 v1, s7, v1
	s_bcnt1_i32_b32 s9, s9
	s_bcnt1_i32_b32 s10, s10
	v_add_nc_u32_e32 v2, s8, v2
	v_add_nc_u32_e32 v3, s9, v3
	;; [unrolled: 1-line block ×3, first 2 shown]
	s_or_b32 s13, vcc_lo, s13
	s_delay_alu instid0(SALU_CYCLE_1)
	s_and_not1_b32 exec_lo, exec_lo, s13
	s_cbranch_execnz .LBB74_60
; %bb.61:                               ;   in Loop: Header=BB74_12 Depth=1
	s_set_inst_prefetch_distance 0x2
	s_or_b32 exec_lo, exec_lo, s13
.LBB74_62:                              ;   in Loop: Header=BB74_12 Depth=1
	s_delay_alu instid0(SALU_CYCLE_1)
	s_or_b32 exec_lo, exec_lo, s12
.LBB74_63:                              ;   in Loop: Header=BB74_12 Depth=1
	s_lshl_b32 s7, s76, 7
	s_and_saveexec_b32 s8, s3
	s_cbranch_execz .LBB74_65
; %bb.64:                               ;   in Loop: Header=BB74_12 Depth=1
	v_or_b32_e32 v23, s7, v14
	s_delay_alu instid0(VALU_DEP_1)
	v_lshlrev_b32_e32 v23, 2, v23
	ds_store_b128 v23, v[1:4] offset:3072
.LBB74_65:                              ;   in Loop: Header=BB74_12 Depth=1
	s_or_b32 exec_lo, exec_lo, s8
	s_waitcnt vmcnt(0) lgkmcnt(0)
	s_barrier
	buffer_gl0_inv
	s_and_saveexec_b32 s8, s57
	s_cbranch_execz .LBB74_75
; %bb.66:                               ;   in Loop: Header=BB74_12 Depth=1
	v_mov_b32_e32 v1, 0
	s_and_not1_b32 vcc_lo, exec_lo, s59
	s_cbranch_vccnz .LBB74_74
; %bb.67:                               ;   in Loop: Header=BB74_12 Depth=1
	v_mov_b32_e32 v1, 0
	s_and_not1_b32 vcc_lo, exec_lo, s61
	s_mov_b32 s9, 0
	s_cbranch_vccnz .LBB74_71
; %bb.68:                               ;   in Loop: Header=BB74_12 Depth=1
	v_lshl_add_u32 v2, s76, 9, v20
	v_mov_b32_e32 v1, 0
	.p2align	6
.LBB74_69:                              ;   Parent Loop BB74_12 Depth=1
                                        ; =>  This Inner Loop Header: Depth=2
	ds_load_2addr_b32 v[3:4], v2 offset1:4
	ds_load_2addr_b32 v[23:24], v2 offset0:8 offset1:12
	ds_load_2addr_b32 v[25:26], v2 offset0:16 offset1:20
	;; [unrolled: 1-line block ×3, first 2 shown]
	v_add_nc_u32_e32 v2, 0x80, v2
	s_add_i32 s9, s9, 8
	s_delay_alu instid0(SALU_CYCLE_1) | instskip(SKIP_3) | instid1(VALU_DEP_1)
	s_cmp_eq_u32 s62, s9
	s_waitcnt lgkmcnt(3)
	v_add3_u32 v1, v3, v1, v4
	s_waitcnt lgkmcnt(2)
	v_add3_u32 v1, v23, v1, v24
	s_waitcnt lgkmcnt(1)
	s_delay_alu instid0(VALU_DEP_1) | instskip(SKIP_1) | instid1(VALU_DEP_1)
	v_add3_u32 v1, v25, v1, v26
	s_waitcnt lgkmcnt(0)
	v_add3_u32 v1, v27, v1, v28
	s_cbranch_scc0 .LBB74_69
; %bb.70:                               ;   in Loop: Header=BB74_12 Depth=1
	s_mov_b32 s9, s62
.LBB74_71:                              ;   in Loop: Header=BB74_12 Depth=1
	s_and_not1_b32 vcc_lo, exec_lo, s63
	s_cbranch_vccnz .LBB74_74
; %bb.72:                               ;   in Loop: Header=BB74_12 Depth=1
	s_lshl_b32 s10, s76, 9
	s_lshl_b32 s9, s9, 4
	s_delay_alu instid0(SALU_CYCLE_1)
	v_add3_u32 v2, s10, s9, v20
	s_mov_b32 s9, s60
.LBB74_73:                              ;   Parent Loop BB74_12 Depth=1
                                        ; =>  This Inner Loop Header: Depth=2
	ds_load_b32 v3, v2
	v_add_nc_u32_e32 v2, 16, v2
	s_add_i32 s9, s9, -1
	s_delay_alu instid0(SALU_CYCLE_1)
	s_cmp_lg_u32 s9, 0
	s_waitcnt lgkmcnt(0)
	v_add_nc_u32_e32 v1, v3, v1
	s_cbranch_scc1 .LBB74_73
.LBB74_74:                              ;   in Loop: Header=BB74_12 Depth=1
	v_add_lshl_u32 v2, s7, v12, 2
	ds_store_b32 v2, v1 offset:3072
.LBB74_75:                              ;   in Loop: Header=BB74_12 Depth=1
	s_or_b32 exec_lo, exec_lo, s8
	s_lshl_b32 s7, s7, 2
	s_waitcnt lgkmcnt(0)
	v_mov_b32_e32 v1, s7
	s_barrier
	buffer_gl0_inv
	s_and_b32 s16, s69, 0xfe
	s_mov_b32 s12, -1
	ds_load_b128 v[1:4], v1 offset:3072
	s_lshl_b32 s10, 3, s16
	s_delay_alu instid0(SALU_CYCLE_1) | instskip(SKIP_4) | instid1(VALU_DEP_3)
	s_not_b32 s17, s10
	s_waitcnt lgkmcnt(0)
	v_readfirstlane_b32 s11, v1
	v_readfirstlane_b32 s19, v2
	;; [unrolled: 1-line block ×3, first 2 shown]
	s_cmp_eq_u32 s11, 1
	s_cselect_b32 s7, -1, 0
	s_cmp_eq_u32 s80, 1
	s_cselect_b32 s8, -1, 0
	s_delay_alu instid0(SALU_CYCLE_1)
	s_and_b32 s13, s7, s8
	v_readfirstlane_b32 s8, v4
	s_and_b32 vcc_lo, exec_lo, s13
	s_cbranch_vccz .LBB74_86
; %bb.76:                               ;   in Loop: Header=BB74_12 Depth=1
	ds_load_b32 v1, v21 offset:4104
	s_waitcnt lgkmcnt(0)
	s_barrier
	buffer_gl0_inv
	v_readfirstlane_b32 s9, v1
	s_and_saveexec_b32 s7, s1
	s_cbranch_execz .LBB74_78
; %bb.77:                               ;   in Loop: Header=BB74_12 Depth=1
	ds_store_b8 v0, v21 offset:3072
.LBB74_78:                              ;   in Loop: Header=BB74_12 Depth=1
	s_or_b32 exec_lo, exec_lo, s7
	s_and_b32 s78, s78, s17
	s_or_b32 s79, s79, s10
	s_cmp_eq_u32 s9, 0
	s_waitcnt lgkmcnt(0)
	s_barrier
	buffer_gl0_inv
	s_cbranch_scc1 .LBB74_87
; %bb.79:                               ;   in Loop: Header=BB74_12 Depth=1
	s_add_i32 s7, s9, s56
                                        ; implicit-def: $vgpr22
	s_delay_alu instid0(SALU_CYCLE_1) | instskip(NEXT) | instid1(SALU_CYCLE_1)
	s_mul_hi_u32 s14, s7, s66
	s_mul_i32 s14, s14, s39
	s_delay_alu instid0(SALU_CYCLE_1) | instskip(NEXT) | instid1(SALU_CYCLE_1)
	s_sub_i32 s14, s7, s14
	s_sub_i32 s18, s14, s39
	s_cmp_ge_u32 s14, s39
	s_cselect_b32 s14, s18, s14
	s_delay_alu instid0(SALU_CYCLE_1) | instskip(SKIP_2) | instid1(SALU_CYCLE_1)
	s_sub_i32 s18, s14, s39
	s_cmp_ge_u32 s14, s39
	s_cselect_b32 s14, s18, s14
	s_sub_i32 s18, s7, s14
	s_mov_b32 s7, 0
	s_mov_b32 s14, exec_lo
	v_cmpx_gt_u32_e64 s18, v0
	s_cbranch_execz .LBB74_89
; %bb.80:                               ;   in Loop: Header=BB74_12 Depth=1
	v_mov_b32_e32 v1, v0
	s_mov_b32 s20, 0
                                        ; implicit-def: $sgpr21
	s_set_inst_prefetch_distance 0x1
	s_branch .LBB74_82
	.p2align	6
.LBB74_81:                              ;   in Loop: Header=BB74_82 Depth=2
	s_or_b32 exec_lo, exec_lo, s7
	s_waitcnt lgkmcnt(0)
	s_barrier
	buffer_gl0_inv
	ds_load_u16 v2, v21 offset:3072
	v_add_nc_u32_e32 v1, s39, v1
	s_waitcnt lgkmcnt(0)
	s_barrier
	buffer_gl0_inv
	v_cmp_le_u32_e32 vcc_lo, s18, v1
	v_and_b32_e32 v3, 0xff, v2
	s_delay_alu instid0(VALU_DEP_1) | instskip(NEXT) | instid1(VALU_DEP_1)
	v_cmp_ne_u16_e64 s7, 0, v3
	s_or_b32 s22, vcc_lo, s7
	s_delay_alu instid0(SALU_CYCLE_1) | instskip(NEXT) | instid1(SALU_CYCLE_1)
	s_and_b32 s22, exec_lo, s22
	s_or_b32 s20, s22, s20
	s_and_not1_b32 s21, s21, exec_lo
	s_and_b32 s7, s7, exec_lo
	s_delay_alu instid0(SALU_CYCLE_1)
	s_or_b32 s21, s21, s7
	s_and_not1_b32 exec_lo, exec_lo, s20
	s_cbranch_execz .LBB74_88
.LBB74_82:                              ;   Parent Loop BB74_12 Depth=1
                                        ; =>  This Inner Loop Header: Depth=2
	s_delay_alu instid0(VALU_DEP_1)
	v_cmp_gt_u32_e32 vcc_lo, s9, v1
	v_mov_b32_e32 v2, 0
	s_and_saveexec_b32 s7, vcc_lo
	s_cbranch_execz .LBB74_84
; %bb.83:                               ;   in Loop: Header=BB74_82 Depth=2
	ds_load_u8 v2, v1
.LBB74_84:                              ;   in Loop: Header=BB74_82 Depth=2
	s_or_b32 exec_lo, exec_lo, s7
	s_waitcnt lgkmcnt(0)
	v_and_b32_e32 v3, s79, v2
	s_delay_alu instid0(VALU_DEP_1) | instskip(NEXT) | instid1(VALU_DEP_1)
	v_and_b32_e32 v3, 0xff, v3
	v_cmp_eq_u32_e64 s7, s78, v3
	s_delay_alu instid0(VALU_DEP_1) | instskip(NEXT) | instid1(SALU_CYCLE_1)
	s_and_b32 s22, vcc_lo, s7
	s_and_saveexec_b32 s7, s22
	s_cbranch_execz .LBB74_81
; %bb.85:                               ;   in Loop: Header=BB74_82 Depth=2
	v_lshlrev_b16 v2, 8, v2
	s_delay_alu instid0(VALU_DEP_1)
	v_or_b32_e32 v2, 1, v2
	ds_store_b16 v21, v2 offset:3072
	s_branch .LBB74_81
.LBB74_86:                              ;   in Loop: Header=BB74_12 Depth=1
	s_mov_b32 s7, -1
                                        ; implicit-def: $sgpr9
                                        ; implicit-def: $sgpr18
                                        ; implicit-def: $sgpr14
	s_branch .LBB74_99
.LBB74_87:                              ;   in Loop: Header=BB74_12 Depth=1
	s_mov_b32 s9, -1
	s_mov_b32 s7, 0
                                        ; implicit-def: $sgpr14
                                        ; implicit-def: $vgpr22
	s_mov_b32 s18, s9
	s_cbranch_execnz .LBB74_90
	s_branch .LBB74_99
.LBB74_88:                              ;   in Loop: Header=BB74_12 Depth=1
	s_set_inst_prefetch_distance 0x2
	s_or_b32 exec_lo, exec_lo, s20
	v_lshrrev_b16 v22, 8, v2
	s_and_b32 s7, s21, exec_lo
.LBB74_89:                              ;   in Loop: Header=BB74_12 Depth=1
	s_or_b32 exec_lo, exec_lo, s14
	s_mov_b32 s14, -1
	s_mov_b32 s9, 0
	s_delay_alu instid0(SALU_CYCLE_1)
	s_mov_b32 s18, s9
	s_branch .LBB74_99
.LBB74_90:                              ;   in Loop: Header=BB74_12 Depth=1
	s_mov_b32 s7, 0
                                        ; implicit-def: $vgpr22
	s_and_saveexec_b32 s9, s6
	s_cbranch_execz .LBB74_98
; %bb.91:                               ;   in Loop: Header=BB74_12 Depth=1
	v_dual_mov_b32 v1, v11 :: v_dual_mov_b32 v2, v0
	s_mov_b32 s14, 0
                                        ; implicit-def: $sgpr18
	s_set_inst_prefetch_distance 0x1
	s_branch .LBB74_93
	.p2align	6
.LBB74_92:                              ;   in Loop: Header=BB74_93 Depth=2
	s_or_b32 exec_lo, exec_lo, s7
	s_waitcnt lgkmcnt(0)
	s_barrier
	buffer_gl0_inv
	ds_load_u16 v3, v21 offset:3072
	v_add_nc_u32_e32 v2, s39, v2
	v_add_nc_u32_e32 v1, s55, v1
	s_waitcnt lgkmcnt(0)
	s_barrier
	buffer_gl0_inv
	v_cmp_le_u32_e32 vcc_lo, s68, v2
	v_and_b32_e32 v4, 0xff, v3
	s_delay_alu instid0(VALU_DEP_1) | instskip(NEXT) | instid1(VALU_DEP_1)
	v_cmp_ne_u16_e64 s7, 0, v4
	s_or_b32 s20, vcc_lo, s7
	s_delay_alu instid0(SALU_CYCLE_1) | instskip(NEXT) | instid1(SALU_CYCLE_1)
	s_and_b32 s20, exec_lo, s20
	s_or_b32 s14, s20, s14
	s_and_not1_b32 s18, s18, exec_lo
	s_and_b32 s7, s7, exec_lo
	s_delay_alu instid0(SALU_CYCLE_1)
	s_or_b32 s18, s18, s7
	s_and_not1_b32 exec_lo, exec_lo, s14
	s_cbranch_execz .LBB74_97
.LBB74_93:                              ;   Parent Loop BB74_12 Depth=1
                                        ; =>  This Inner Loop Header: Depth=2
	s_delay_alu instid0(VALU_DEP_1)
	v_cmp_gt_u32_e32 vcc_lo, s28, v2
	v_mov_b32_e32 v3, 0
	s_and_saveexec_b32 s7, vcc_lo
	s_cbranch_execz .LBB74_95
; %bb.94:                               ;   in Loop: Header=BB74_93 Depth=2
	global_load_u8 v3, v1, s[48:49]
.LBB74_95:                              ;   in Loop: Header=BB74_93 Depth=2
	s_or_b32 exec_lo, exec_lo, s7
	s_waitcnt vmcnt(0)
	v_and_b32_e32 v4, s79, v3
	s_delay_alu instid0(VALU_DEP_1) | instskip(NEXT) | instid1(VALU_DEP_1)
	v_and_b32_e32 v4, 0xff, v4
	v_cmp_eq_u32_e64 s7, s78, v4
	s_delay_alu instid0(VALU_DEP_1) | instskip(NEXT) | instid1(SALU_CYCLE_1)
	s_and_b32 s20, vcc_lo, s7
	s_and_saveexec_b32 s7, s20
	s_cbranch_execz .LBB74_92
; %bb.96:                               ;   in Loop: Header=BB74_93 Depth=2
	v_lshlrev_b16 v3, 8, v3
	s_delay_alu instid0(VALU_DEP_1)
	v_or_b32_e32 v3, 1, v3
	ds_store_b16 v21, v3 offset:3072
	s_branch .LBB74_92
.LBB74_97:                              ;   in Loop: Header=BB74_12 Depth=1
	s_set_inst_prefetch_distance 0x2
	s_or_b32 exec_lo, exec_lo, s14
	v_lshrrev_b16 v22, 8, v3
	s_and_b32 s7, s18, exec_lo
.LBB74_98:                              ;   in Loop: Header=BB74_12 Depth=1
	s_or_b32 exec_lo, exec_lo, s9
	s_mov_b32 s18, -1
	s_mov_b32 s9, 0
	s_mov_b32 s14, 0
.LBB74_99:                              ;   in Loop: Header=BB74_12 Depth=1
	s_and_not1_b32 s20, s74, exec_lo
	s_and_b32 s9, s9, exec_lo
	s_and_b32 s18, s18, exec_lo
	s_or_b32 s74, s20, s9
	s_and_not1_b32 s9, s77, exec_lo
	s_and_not1_b32 s20, s75, exec_lo
	s_and_b32 s14, s14, exec_lo
	s_or_b32 s77, s9, s18
	s_or_b32 s75, s20, s14
	s_and_saveexec_b32 s9, s7
	s_cbranch_execz .LBB74_11
; %bb.100:                              ;   in Loop: Header=BB74_12 Depth=1
	s_xor_b32 s7, s13, -1
	s_mov_b32 s12, 0
	s_and_not1_b32 vcc_lo, exec_lo, s7
	s_mov_b32 s20, 1
	s_cbranch_vccnz .LBB74_111
; %bb.101:                              ;   in Loop: Header=BB74_12 Depth=1
	s_cmp_gt_u32 s80, s11
	s_mov_b32 s12, -1
                                        ; implicit-def: $sgpr7
                                        ; implicit-def: $sgpr13
                                        ; implicit-def: $sgpr14
	s_cbranch_scc1 .LBB74_107
; %bb.102:                              ;   in Loop: Header=BB74_12 Depth=1
	ds_load_b32 v1, v21 offset:4104
	s_waitcnt lgkmcnt(0)
	v_cmp_ne_u32_e32 vcc_lo, 0, v1
	s_cbranch_vccnz .LBB74_106
; %bb.103:                              ;   in Loop: Header=BB74_12 Depth=1
	s_and_saveexec_b32 s7, s2
	s_cbranch_execz .LBB74_105
; %bb.104:                              ;   in Loop: Header=BB74_12 Depth=1
	v_mov_b32_e32 v1, s11
	ds_store_b32 v21, v1 offset:4108
.LBB74_105:                             ;   in Loop: Header=BB74_12 Depth=1
	s_or_b32 exec_lo, exec_lo, s7
	s_waitcnt lgkmcnt(0)
	s_barrier
	buffer_gl0_inv
.LBB74_106:                             ;   in Loop: Header=BB74_12 Depth=1
	s_and_b32 s13, s78, s17
	s_or_b32 s14, s79, s10
	s_mov_b32 s12, 0
	s_mov_b32 s7, 8
.LBB74_107:                             ;   in Loop: Header=BB74_12 Depth=1
	s_and_not1_b32 vcc_lo, exec_lo, s12
	s_cbranch_vccnz .LBB74_109
; %bb.108:                              ;   in Loop: Header=BB74_12 Depth=1
	s_sub_i32 s80, s80, s11
	s_mov_b32 s12, -1
	s_mov_b32 s7, 0
	s_mov_b32 s13, s78
	;; [unrolled: 1-line block ×3, first 2 shown]
.LBB74_109:                             ;   in Loop: Header=BB74_12 Depth=1
	s_delay_alu instid0(SALU_CYCLE_1)
	s_mov_b32 s79, s14
	s_mov_b32 s78, s13
	;; [unrolled: 1-line block ×3, first 2 shown]
	s_and_b32 vcc_lo, exec_lo, s12
	s_mov_b32 s11, -1
	s_cbranch_vccnz .LBB74_112
.LBB74_110:                             ;   in Loop: Header=BB74_12 Depth=1
	s_mov_b32 s23, -1
                                        ; implicit-def: $sgpr12
                                        ; implicit-def: $sgpr14
                                        ; implicit-def: $sgpr13
                                        ; implicit-def: $sgpr80
	s_delay_alu instid0(SALU_CYCLE_1) | instskip(NEXT) | instid1(SALU_CYCLE_1)
	s_and_saveexec_b32 s8, s23
	s_xor_b32 s8, exec_lo, s8
	s_cbranch_execz .LBB74_10
	s_branch .LBB74_232
.LBB74_111:                             ;   in Loop: Header=BB74_12 Depth=1
	s_mov_b32 s7, 1
	s_and_b32 vcc_lo, exec_lo, s12
	s_mov_b32 s11, -1
	s_cbranch_vccz .LBB74_110
.LBB74_112:                             ;   in Loop: Header=BB74_12 Depth=1
	s_cmp_eq_u32 s19, 1
	s_mov_b32 s22, -1
	s_cselect_b32 s7, -1, 0
	s_cmp_eq_u32 s20, 1
	s_cselect_b32 s12, -1, 0
	s_delay_alu instid0(SALU_CYCLE_1) | instskip(NEXT) | instid1(SALU_CYCLE_1)
	s_and_b32 s21, s7, s12
	s_and_b32 vcc_lo, exec_lo, s21
	s_cbranch_vccz .LBB74_123
; %bb.113:                              ;   in Loop: Header=BB74_12 Depth=1
	ds_load_b32 v1, v21 offset:4104
	s_waitcnt lgkmcnt(0)
	s_barrier
	buffer_gl0_inv
	v_readfirstlane_b32 s12, v1
	s_and_saveexec_b32 s7, s1
	s_cbranch_execz .LBB74_115
; %bb.114:                              ;   in Loop: Header=BB74_12 Depth=1
	ds_store_b8 v0, v21 offset:3072
.LBB74_115:                             ;   in Loop: Header=BB74_12 Depth=1
	s_or_b32 exec_lo, exec_lo, s7
	s_lshl_b32 s7, 1, s16
	s_and_b32 s13, s78, s17
	s_or_b32 s79, s79, s10
	s_or_b32 s78, s13, s7
	s_cmp_eq_u32 s12, 0
	s_waitcnt lgkmcnt(0)
	s_barrier
	buffer_gl0_inv
	s_cbranch_scc1 .LBB74_127
; %bb.116:                              ;   in Loop: Header=BB74_12 Depth=1
	s_add_i32 s7, s12, s56
	s_mov_b32 s22, 0
	s_mul_hi_u32 s13, s7, s66
                                        ; implicit-def: $vgpr22
	s_delay_alu instid0(SALU_CYCLE_1) | instskip(NEXT) | instid1(SALU_CYCLE_1)
	s_mul_i32 s13, s13, s39
	s_sub_i32 s13, s7, s13
	s_delay_alu instid0(SALU_CYCLE_1) | instskip(SKIP_2) | instid1(SALU_CYCLE_1)
	s_sub_i32 s14, s13, s39
	s_cmp_ge_u32 s13, s39
	s_cselect_b32 s13, s14, s13
	s_sub_i32 s14, s13, s39
	s_cmp_ge_u32 s13, s39
	s_cselect_b32 s13, s14, s13
	s_delay_alu instid0(SALU_CYCLE_1)
	s_sub_i32 s14, s7, s13
	s_mov_b32 s13, exec_lo
	v_cmpx_gt_u32_e64 s14, v0
	s_cbranch_execz .LBB74_129
; %bb.117:                              ;   in Loop: Header=BB74_12 Depth=1
	v_mov_b32_e32 v1, v0
	s_mov_b32 s18, 0
                                        ; implicit-def: $sgpr22
	s_set_inst_prefetch_distance 0x1
	s_branch .LBB74_119
	.p2align	6
.LBB74_118:                             ;   in Loop: Header=BB74_119 Depth=2
	s_or_b32 exec_lo, exec_lo, s7
	s_waitcnt lgkmcnt(0)
	s_barrier
	buffer_gl0_inv
	ds_load_u16 v2, v21 offset:3072
	v_add_nc_u32_e32 v1, s39, v1
	s_waitcnt lgkmcnt(0)
	s_barrier
	buffer_gl0_inv
	v_cmp_le_u32_e32 vcc_lo, s14, v1
	v_and_b32_e32 v3, 0xff, v2
	s_delay_alu instid0(VALU_DEP_1) | instskip(NEXT) | instid1(VALU_DEP_1)
	v_cmp_ne_u16_e64 s7, 0, v3
	s_or_b32 s23, vcc_lo, s7
	s_delay_alu instid0(SALU_CYCLE_1) | instskip(NEXT) | instid1(SALU_CYCLE_1)
	s_and_b32 s23, exec_lo, s23
	s_or_b32 s18, s23, s18
	s_and_not1_b32 s22, s22, exec_lo
	s_and_b32 s7, s7, exec_lo
	s_delay_alu instid0(SALU_CYCLE_1)
	s_or_b32 s22, s22, s7
	s_and_not1_b32 exec_lo, exec_lo, s18
	s_cbranch_execz .LBB74_128
.LBB74_119:                             ;   Parent Loop BB74_12 Depth=1
                                        ; =>  This Inner Loop Header: Depth=2
	s_delay_alu instid0(VALU_DEP_1)
	v_cmp_gt_u32_e32 vcc_lo, s12, v1
	v_mov_b32_e32 v2, 0
	s_and_saveexec_b32 s7, vcc_lo
	s_cbranch_execz .LBB74_121
; %bb.120:                              ;   in Loop: Header=BB74_119 Depth=2
	ds_load_u8 v2, v1
.LBB74_121:                             ;   in Loop: Header=BB74_119 Depth=2
	s_or_b32 exec_lo, exec_lo, s7
	s_waitcnt lgkmcnt(0)
	v_and_b32_e32 v3, s79, v2
	s_delay_alu instid0(VALU_DEP_1) | instskip(NEXT) | instid1(VALU_DEP_1)
	v_and_b32_e32 v3, 0xff, v3
	v_cmp_eq_u32_e64 s7, s78, v3
	s_delay_alu instid0(VALU_DEP_1) | instskip(NEXT) | instid1(SALU_CYCLE_1)
	s_and_b32 s23, vcc_lo, s7
	s_and_saveexec_b32 s7, s23
	s_cbranch_execz .LBB74_118
; %bb.122:                              ;   in Loop: Header=BB74_119 Depth=2
	v_lshlrev_b16 v2, 8, v2
	s_delay_alu instid0(VALU_DEP_1)
	v_or_b32_e32 v2, 1, v2
	ds_store_b16 v21, v2 offset:3072
	s_branch .LBB74_118
.LBB74_123:                             ;   in Loop: Header=BB74_12 Depth=1
                                        ; implicit-def: $sgpr13
                                        ; implicit-def: $sgpr14
                                        ; implicit-def: $sgpr12
	s_branch .LBB74_139
.LBB74_124:                             ;   in Loop: Header=BB74_12 Depth=1
	s_or_b32 exec_lo, exec_lo, s9
	s_waitcnt lgkmcnt(0)
	s_barrier
	buffer_gl0_inv
	s_and_saveexec_b32 s7, s2
	s_cbranch_execz .LBB74_126
; %bb.125:                              ;   in Loop: Header=BB74_12 Depth=1
	ds_load_b32 v1, v21 offset:4112
	s_waitcnt lgkmcnt(0)
	ds_store_b32 v21, v1 offset:4104
.LBB74_126:                             ;   in Loop: Header=BB74_12 Depth=1
	s_or_b32 exec_lo, exec_lo, s7
	s_waitcnt lgkmcnt(0)
	s_mov_b32 s7, -1
	s_barrier
	s_and_b32 vcc_lo, exec_lo, s81
	s_cbranch_vccnz .LBB74_27
	s_branch .LBB74_37
.LBB74_127:                             ;   in Loop: Header=BB74_12 Depth=1
	s_mov_b32 s13, -1
	s_mov_b32 s22, 0
                                        ; implicit-def: $sgpr12
                                        ; implicit-def: $vgpr22
	s_mov_b32 s14, s13
	s_cbranch_execnz .LBB74_130
	s_branch .LBB74_139
.LBB74_128:                             ;   in Loop: Header=BB74_12 Depth=1
	s_set_inst_prefetch_distance 0x2
	s_or_b32 exec_lo, exec_lo, s18
	v_lshrrev_b16 v22, 8, v2
	s_and_b32 s22, s22, exec_lo
.LBB74_129:                             ;   in Loop: Header=BB74_12 Depth=1
	s_or_b32 exec_lo, exec_lo, s13
	s_mov_b32 s12, -1
	s_mov_b32 s13, 0
	s_delay_alu instid0(SALU_CYCLE_1)
	s_mov_b32 s14, s13
	s_branch .LBB74_139
.LBB74_130:                             ;   in Loop: Header=BB74_12 Depth=1
	s_mov_b32 s22, 0
                                        ; implicit-def: $vgpr22
	s_and_saveexec_b32 s12, s6
	s_cbranch_execz .LBB74_138
; %bb.131:                              ;   in Loop: Header=BB74_12 Depth=1
	v_dual_mov_b32 v1, v11 :: v_dual_mov_b32 v2, v0
	s_mov_b32 s13, 0
                                        ; implicit-def: $sgpr14
	s_set_inst_prefetch_distance 0x1
	s_branch .LBB74_133
	.p2align	6
.LBB74_132:                             ;   in Loop: Header=BB74_133 Depth=2
	s_or_b32 exec_lo, exec_lo, s7
	s_waitcnt lgkmcnt(0)
	s_barrier
	buffer_gl0_inv
	ds_load_u16 v3, v21 offset:3072
	v_add_nc_u32_e32 v2, s39, v2
	v_add_nc_u32_e32 v1, s55, v1
	s_waitcnt lgkmcnt(0)
	s_barrier
	buffer_gl0_inv
	v_cmp_le_u32_e32 vcc_lo, s68, v2
	v_and_b32_e32 v4, 0xff, v3
	s_delay_alu instid0(VALU_DEP_1) | instskip(NEXT) | instid1(VALU_DEP_1)
	v_cmp_ne_u16_e64 s7, 0, v4
	s_or_b32 s18, vcc_lo, s7
	s_delay_alu instid0(SALU_CYCLE_1) | instskip(NEXT) | instid1(SALU_CYCLE_1)
	s_and_b32 s18, exec_lo, s18
	s_or_b32 s13, s18, s13
	s_and_not1_b32 s14, s14, exec_lo
	s_and_b32 s7, s7, exec_lo
	s_delay_alu instid0(SALU_CYCLE_1)
	s_or_b32 s14, s14, s7
	s_and_not1_b32 exec_lo, exec_lo, s13
	s_cbranch_execz .LBB74_137
.LBB74_133:                             ;   Parent Loop BB74_12 Depth=1
                                        ; =>  This Inner Loop Header: Depth=2
	s_delay_alu instid0(VALU_DEP_1)
	v_cmp_gt_u32_e32 vcc_lo, s28, v2
	v_mov_b32_e32 v3, 0
	s_and_saveexec_b32 s7, vcc_lo
	s_cbranch_execz .LBB74_135
; %bb.134:                              ;   in Loop: Header=BB74_133 Depth=2
	global_load_u8 v3, v1, s[48:49]
.LBB74_135:                             ;   in Loop: Header=BB74_133 Depth=2
	s_or_b32 exec_lo, exec_lo, s7
	s_waitcnt vmcnt(0)
	v_and_b32_e32 v4, s79, v3
	s_delay_alu instid0(VALU_DEP_1) | instskip(NEXT) | instid1(VALU_DEP_1)
	v_and_b32_e32 v4, 0xff, v4
	v_cmp_eq_u32_e64 s7, s78, v4
	s_delay_alu instid0(VALU_DEP_1) | instskip(NEXT) | instid1(SALU_CYCLE_1)
	s_and_b32 s18, vcc_lo, s7
	s_and_saveexec_b32 s7, s18
	s_cbranch_execz .LBB74_132
; %bb.136:                              ;   in Loop: Header=BB74_133 Depth=2
	v_lshlrev_b16 v3, 8, v3
	s_delay_alu instid0(VALU_DEP_1)
	v_or_b32_e32 v3, 1, v3
	ds_store_b16 v21, v3 offset:3072
	s_branch .LBB74_132
.LBB74_137:                             ;   in Loop: Header=BB74_12 Depth=1
	s_set_inst_prefetch_distance 0x2
	s_or_b32 exec_lo, exec_lo, s13
	v_lshrrev_b16 v22, 8, v3
	s_and_b32 s22, s14, exec_lo
.LBB74_138:                             ;   in Loop: Header=BB74_12 Depth=1
	s_or_b32 exec_lo, exec_lo, s12
	s_mov_b32 s14, -1
	s_mov_b32 s13, 0
	s_mov_b32 s12, 0
.LBB74_139:                             ;   in Loop: Header=BB74_12 Depth=1
	s_mov_b32 s23, 0
                                        ; implicit-def: $sgpr7
	s_and_saveexec_b32 s18, s22
	s_cbranch_execz .LBB74_231
; %bb.140:                              ;   in Loop: Header=BB74_12 Depth=1
	s_xor_b32 s7, s21, -1
	s_mov_b32 s21, 0
	s_and_not1_b32 vcc_lo, exec_lo, s7
	s_mov_b32 s24, 1
	s_cbranch_vccnz .LBB74_151
; %bb.141:                              ;   in Loop: Header=BB74_12 Depth=1
	s_cmp_gt_u32 s20, s19
	s_mov_b32 s21, -1
                                        ; implicit-def: $sgpr7
                                        ; implicit-def: $sgpr22
                                        ; implicit-def: $sgpr23
	s_cbranch_scc1 .LBB74_147
; %bb.142:                              ;   in Loop: Header=BB74_12 Depth=1
	ds_load_b32 v1, v21 offset:4104
	s_waitcnt lgkmcnt(0)
	v_cmp_ne_u32_e32 vcc_lo, 0, v1
	s_cbranch_vccnz .LBB74_146
; %bb.143:                              ;   in Loop: Header=BB74_12 Depth=1
	s_and_saveexec_b32 s7, s2
	s_cbranch_execz .LBB74_145
; %bb.144:                              ;   in Loop: Header=BB74_12 Depth=1
	v_mov_b32_e32 v1, s19
	ds_store_b32 v21, v1 offset:4108
.LBB74_145:                             ;   in Loop: Header=BB74_12 Depth=1
	s_or_b32 exec_lo, exec_lo, s7
	s_waitcnt lgkmcnt(0)
	s_barrier
	buffer_gl0_inv
.LBB74_146:                             ;   in Loop: Header=BB74_12 Depth=1
	s_lshl_b32 s7, 1, s16
	s_and_b32 s21, s78, s17
	s_or_b32 s23, s79, s10
	s_or_b32 s22, s21, s7
	s_mov_b32 s21, 0
	s_mov_b32 s7, 8
.LBB74_147:                             ;   in Loop: Header=BB74_12 Depth=1
	s_and_not1_b32 vcc_lo, exec_lo, s21
	s_cbranch_vccnz .LBB74_149
; %bb.148:                              ;   in Loop: Header=BB74_12 Depth=1
	s_sub_i32 s20, s20, s19
	s_mov_b32 s21, -1
	s_mov_b32 s7, 0
	s_mov_b32 s22, s78
	;; [unrolled: 1-line block ×3, first 2 shown]
.LBB74_149:                             ;   in Loop: Header=BB74_12 Depth=1
	s_delay_alu instid0(SALU_CYCLE_1)
	s_mov_b32 s79, s23
	s_mov_b32 s78, s22
	;; [unrolled: 1-line block ×3, first 2 shown]
	s_and_not1_b32 vcc_lo, exec_lo, s21
	s_mov_b32 s26, -1
	s_cbranch_vccz .LBB74_152
.LBB74_150:                             ;   in Loop: Header=BB74_12 Depth=1
                                        ; implicit-def: $sgpr20
                                        ; implicit-def: $sgpr21
                                        ; implicit-def: $sgpr19
	s_branch .LBB74_230
.LBB74_151:                             ;   in Loop: Header=BB74_12 Depth=1
	s_mov_b32 s7, 1
	s_and_not1_b32 vcc_lo, exec_lo, s21
	s_mov_b32 s26, -1
	s_cbranch_vccnz .LBB74_150
.LBB74_152:                             ;   in Loop: Header=BB74_12 Depth=1
	s_cmp_eq_u32 s15, 1
	s_mov_b32 s25, -1
	s_cselect_b32 s7, -1, 0
	s_cmp_eq_u32 s24, 1
	s_cselect_b32 s19, -1, 0
	s_delay_alu instid0(SALU_CYCLE_1) | instskip(NEXT) | instid1(SALU_CYCLE_1)
	s_and_b32 s23, s7, s19
	s_and_b32 vcc_lo, exec_lo, s23
	s_cbranch_vccz .LBB74_163
; %bb.153:                              ;   in Loop: Header=BB74_12 Depth=1
	ds_load_b32 v1, v21 offset:4104
	s_waitcnt lgkmcnt(0)
	s_barrier
	buffer_gl0_inv
	v_readfirstlane_b32 s19, v1
	s_and_saveexec_b32 s7, s1
	s_cbranch_execz .LBB74_155
; %bb.154:                              ;   in Loop: Header=BB74_12 Depth=1
	ds_store_b8 v0, v21 offset:3072
.LBB74_155:                             ;   in Loop: Header=BB74_12 Depth=1
	s_or_b32 exec_lo, exec_lo, s7
	s_lshl_b32 s7, 2, s16
	s_and_b32 s20, s78, s17
	s_or_b32 s79, s79, s10
	s_or_b32 s78, s20, s7
	s_cmp_eq_u32 s19, 0
	s_waitcnt lgkmcnt(0)
	s_barrier
	buffer_gl0_inv
	s_cbranch_scc1 .LBB74_164
; %bb.156:                              ;   in Loop: Header=BB74_12 Depth=1
	s_add_i32 s7, s19, s56
	s_mov_b32 s25, 0
	s_mul_hi_u32 s20, s7, s66
                                        ; implicit-def: $vgpr22
	s_delay_alu instid0(SALU_CYCLE_1) | instskip(NEXT) | instid1(SALU_CYCLE_1)
	s_mul_i32 s20, s20, s39
	s_sub_i32 s20, s7, s20
	s_delay_alu instid0(SALU_CYCLE_1) | instskip(SKIP_2) | instid1(SALU_CYCLE_1)
	s_sub_i32 s21, s20, s39
	s_cmp_ge_u32 s20, s39
	s_cselect_b32 s20, s21, s20
	s_sub_i32 s21, s20, s39
	s_cmp_ge_u32 s20, s39
	s_cselect_b32 s20, s21, s20
	s_delay_alu instid0(SALU_CYCLE_1)
	s_sub_i32 s21, s7, s20
	s_mov_b32 s20, exec_lo
	v_cmpx_gt_u32_e64 s21, v0
	s_cbranch_execz .LBB74_166
; %bb.157:                              ;   in Loop: Header=BB74_12 Depth=1
	v_mov_b32_e32 v1, v0
	s_mov_b32 s22, 0
                                        ; implicit-def: $sgpr25
	s_set_inst_prefetch_distance 0x1
	s_branch .LBB74_159
	.p2align	6
.LBB74_158:                             ;   in Loop: Header=BB74_159 Depth=2
	s_or_b32 exec_lo, exec_lo, s7
	s_waitcnt lgkmcnt(0)
	s_barrier
	buffer_gl0_inv
	ds_load_u16 v2, v21 offset:3072
	v_add_nc_u32_e32 v1, s39, v1
	s_waitcnt lgkmcnt(0)
	s_barrier
	buffer_gl0_inv
	v_cmp_le_u32_e32 vcc_lo, s21, v1
	v_and_b32_e32 v3, 0xff, v2
	s_delay_alu instid0(VALU_DEP_1) | instskip(NEXT) | instid1(VALU_DEP_1)
	v_cmp_ne_u16_e64 s7, 0, v3
	s_or_b32 s26, vcc_lo, s7
	s_delay_alu instid0(SALU_CYCLE_1) | instskip(NEXT) | instid1(SALU_CYCLE_1)
	s_and_b32 s26, exec_lo, s26
	s_or_b32 s22, s26, s22
	s_and_not1_b32 s25, s25, exec_lo
	s_and_b32 s7, s7, exec_lo
	s_delay_alu instid0(SALU_CYCLE_1)
	s_or_b32 s25, s25, s7
	s_and_not1_b32 exec_lo, exec_lo, s22
	s_cbranch_execz .LBB74_165
.LBB74_159:                             ;   Parent Loop BB74_12 Depth=1
                                        ; =>  This Inner Loop Header: Depth=2
	s_delay_alu instid0(VALU_DEP_1)
	v_cmp_gt_u32_e32 vcc_lo, s19, v1
	v_mov_b32_e32 v2, 0
	s_and_saveexec_b32 s7, vcc_lo
	s_cbranch_execz .LBB74_161
; %bb.160:                              ;   in Loop: Header=BB74_159 Depth=2
	ds_load_u8 v2, v1
.LBB74_161:                             ;   in Loop: Header=BB74_159 Depth=2
	s_or_b32 exec_lo, exec_lo, s7
	s_waitcnt lgkmcnt(0)
	v_and_b32_e32 v3, s79, v2
	s_delay_alu instid0(VALU_DEP_1) | instskip(NEXT) | instid1(VALU_DEP_1)
	v_and_b32_e32 v3, 0xff, v3
	v_cmp_eq_u32_e64 s7, s78, v3
	s_delay_alu instid0(VALU_DEP_1) | instskip(NEXT) | instid1(SALU_CYCLE_1)
	s_and_b32 s26, vcc_lo, s7
	s_and_saveexec_b32 s7, s26
	s_cbranch_execz .LBB74_158
; %bb.162:                              ;   in Loop: Header=BB74_159 Depth=2
	v_lshlrev_b16 v2, 8, v2
	s_delay_alu instid0(VALU_DEP_1)
	v_or_b32_e32 v2, 1, v2
	ds_store_b16 v21, v2 offset:3072
	s_branch .LBB74_158
.LBB74_163:                             ;   in Loop: Header=BB74_12 Depth=1
                                        ; implicit-def: $sgpr19
                                        ; implicit-def: $sgpr21
                                        ; implicit-def: $sgpr20
	s_branch .LBB74_176
.LBB74_164:                             ;   in Loop: Header=BB74_12 Depth=1
	s_mov_b32 s19, -1
	s_mov_b32 s25, 0
                                        ; implicit-def: $sgpr20
                                        ; implicit-def: $vgpr22
	s_mov_b32 s21, s19
	s_cbranch_execnz .LBB74_167
	s_branch .LBB74_176
.LBB74_165:                             ;   in Loop: Header=BB74_12 Depth=1
	s_set_inst_prefetch_distance 0x2
	s_or_b32 exec_lo, exec_lo, s22
	v_lshrrev_b16 v22, 8, v2
	s_and_b32 s25, s25, exec_lo
.LBB74_166:                             ;   in Loop: Header=BB74_12 Depth=1
	s_or_b32 exec_lo, exec_lo, s20
	s_mov_b32 s20, -1
	s_mov_b32 s19, 0
	s_delay_alu instid0(SALU_CYCLE_1)
	s_mov_b32 s21, s19
	s_branch .LBB74_176
.LBB74_167:                             ;   in Loop: Header=BB74_12 Depth=1
	s_mov_b32 s25, 0
                                        ; implicit-def: $vgpr22
	s_and_saveexec_b32 s19, s6
	s_cbranch_execz .LBB74_175
; %bb.168:                              ;   in Loop: Header=BB74_12 Depth=1
	v_dual_mov_b32 v1, v11 :: v_dual_mov_b32 v2, v0
	s_mov_b32 s20, 0
                                        ; implicit-def: $sgpr21
	s_set_inst_prefetch_distance 0x1
	s_branch .LBB74_170
	.p2align	6
.LBB74_169:                             ;   in Loop: Header=BB74_170 Depth=2
	s_or_b32 exec_lo, exec_lo, s7
	s_waitcnt lgkmcnt(0)
	s_barrier
	buffer_gl0_inv
	ds_load_u16 v3, v21 offset:3072
	v_add_nc_u32_e32 v2, s39, v2
	v_add_nc_u32_e32 v1, s55, v1
	s_waitcnt lgkmcnt(0)
	s_barrier
	buffer_gl0_inv
	v_cmp_le_u32_e32 vcc_lo, s68, v2
	v_and_b32_e32 v4, 0xff, v3
	s_delay_alu instid0(VALU_DEP_1) | instskip(NEXT) | instid1(VALU_DEP_1)
	v_cmp_ne_u16_e64 s7, 0, v4
	s_or_b32 s22, vcc_lo, s7
	s_delay_alu instid0(SALU_CYCLE_1) | instskip(NEXT) | instid1(SALU_CYCLE_1)
	s_and_b32 s22, exec_lo, s22
	s_or_b32 s20, s22, s20
	s_and_not1_b32 s21, s21, exec_lo
	s_and_b32 s7, s7, exec_lo
	s_delay_alu instid0(SALU_CYCLE_1)
	s_or_b32 s21, s21, s7
	s_and_not1_b32 exec_lo, exec_lo, s20
	s_cbranch_execz .LBB74_174
.LBB74_170:                             ;   Parent Loop BB74_12 Depth=1
                                        ; =>  This Inner Loop Header: Depth=2
	s_delay_alu instid0(VALU_DEP_1)
	v_cmp_gt_u32_e32 vcc_lo, s28, v2
	v_mov_b32_e32 v3, 0
	s_and_saveexec_b32 s7, vcc_lo
	s_cbranch_execz .LBB74_172
; %bb.171:                              ;   in Loop: Header=BB74_170 Depth=2
	global_load_u8 v3, v1, s[48:49]
.LBB74_172:                             ;   in Loop: Header=BB74_170 Depth=2
	s_or_b32 exec_lo, exec_lo, s7
	s_waitcnt vmcnt(0)
	v_and_b32_e32 v4, s79, v3
	s_delay_alu instid0(VALU_DEP_1) | instskip(NEXT) | instid1(VALU_DEP_1)
	v_and_b32_e32 v4, 0xff, v4
	v_cmp_eq_u32_e64 s7, s78, v4
	s_delay_alu instid0(VALU_DEP_1) | instskip(NEXT) | instid1(SALU_CYCLE_1)
	s_and_b32 s22, vcc_lo, s7
	s_and_saveexec_b32 s7, s22
	s_cbranch_execz .LBB74_169
; %bb.173:                              ;   in Loop: Header=BB74_170 Depth=2
	v_lshlrev_b16 v3, 8, v3
	s_delay_alu instid0(VALU_DEP_1)
	v_or_b32_e32 v3, 1, v3
	ds_store_b16 v21, v3 offset:3072
	s_branch .LBB74_169
.LBB74_174:                             ;   in Loop: Header=BB74_12 Depth=1
	s_set_inst_prefetch_distance 0x2
	s_or_b32 exec_lo, exec_lo, s20
	v_lshrrev_b16 v22, 8, v3
	s_and_b32 s25, s21, exec_lo
.LBB74_175:                             ;   in Loop: Header=BB74_12 Depth=1
	s_or_b32 exec_lo, exec_lo, s19
	s_mov_b32 s21, -1
	s_mov_b32 s19, 0
	s_mov_b32 s20, 0
.LBB74_176:                             ;   in Loop: Header=BB74_12 Depth=1
	s_mov_b32 s26, 0
                                        ; implicit-def: $sgpr7
	s_and_saveexec_b32 s22, s25
	s_cbranch_execz .LBB74_229
; %bb.177:                              ;   in Loop: Header=BB74_12 Depth=1
	s_xor_b32 s7, s23, -1
	s_mov_b32 s25, 0
	s_and_not1_b32 vcc_lo, exec_lo, s7
	s_mov_b32 s23, 1
	s_cbranch_vccnz .LBB74_188
; %bb.178:                              ;   in Loop: Header=BB74_12 Depth=1
	s_cmp_gt_u32 s24, s15
	s_mov_b32 s25, -1
                                        ; implicit-def: $sgpr7
                                        ; implicit-def: $sgpr23
                                        ; implicit-def: $sgpr26
	s_cbranch_scc1 .LBB74_184
; %bb.179:                              ;   in Loop: Header=BB74_12 Depth=1
	ds_load_b32 v1, v21 offset:4104
	s_waitcnt lgkmcnt(0)
	v_cmp_ne_u32_e32 vcc_lo, 0, v1
	s_cbranch_vccnz .LBB74_183
; %bb.180:                              ;   in Loop: Header=BB74_12 Depth=1
	s_and_saveexec_b32 s7, s2
	s_cbranch_execz .LBB74_182
; %bb.181:                              ;   in Loop: Header=BB74_12 Depth=1
	v_mov_b32_e32 v1, s15
	ds_store_b32 v21, v1 offset:4108
.LBB74_182:                             ;   in Loop: Header=BB74_12 Depth=1
	s_or_b32 exec_lo, exec_lo, s7
	s_waitcnt lgkmcnt(0)
	s_barrier
	buffer_gl0_inv
.LBB74_183:                             ;   in Loop: Header=BB74_12 Depth=1
	s_lshl_b32 s7, 2, s16
	s_and_b32 s16, s78, s17
	s_or_b32 s26, s79, s10
	s_or_b32 s23, s16, s7
	s_mov_b32 s25, 0
	s_mov_b32 s7, 8
.LBB74_184:                             ;   in Loop: Header=BB74_12 Depth=1
	s_and_not1_b32 vcc_lo, exec_lo, s25
	s_cbranch_vccnz .LBB74_186
; %bb.185:                              ;   in Loop: Header=BB74_12 Depth=1
	s_sub_i32 s24, s24, s15
	s_mov_b32 s25, -1
	s_mov_b32 s7, 0
	s_mov_b32 s23, s78
	s_mov_b32 s26, s79
.LBB74_186:                             ;   in Loop: Header=BB74_12 Depth=1
	s_delay_alu instid0(SALU_CYCLE_1)
	s_mov_b32 s79, s26
	s_mov_b32 s78, s23
	;; [unrolled: 1-line block ×3, first 2 shown]
	s_and_not1_b32 vcc_lo, exec_lo, s25
	s_mov_b32 s80, -1
	s_cbranch_vccz .LBB74_189
.LBB74_187:                             ;   in Loop: Header=BB74_12 Depth=1
                                        ; implicit-def: $sgpr16
                                        ; implicit-def: $sgpr24
                                        ; implicit-def: $sgpr17
	s_branch .LBB74_228
.LBB74_188:                             ;   in Loop: Header=BB74_12 Depth=1
	s_mov_b32 s7, 1
	s_and_not1_b32 vcc_lo, exec_lo, s25
	s_mov_b32 s80, -1
	s_cbranch_vccnz .LBB74_187
.LBB74_189:                             ;   in Loop: Header=BB74_12 Depth=1
	s_cmp_eq_u32 s8, 1
	s_mov_b32 s25, -1
	s_cselect_b32 s7, -1, 0
	s_cmp_eq_u32 s23, 1
	s_cselect_b32 s15, -1, 0
	s_delay_alu instid0(SALU_CYCLE_1) | instskip(NEXT) | instid1(SALU_CYCLE_1)
	s_and_b32 s15, s7, s15
	s_and_b32 vcc_lo, exec_lo, s15
	s_cbranch_vccz .LBB74_200
; %bb.190:                              ;   in Loop: Header=BB74_12 Depth=1
	ds_load_b32 v1, v21 offset:4104
	s_waitcnt lgkmcnt(0)
	s_barrier
	buffer_gl0_inv
	v_readfirstlane_b32 s16, v1
	s_and_saveexec_b32 s7, s1
	s_cbranch_execz .LBB74_192
; %bb.191:                              ;   in Loop: Header=BB74_12 Depth=1
	ds_store_b8 v0, v21 offset:3072
.LBB74_192:                             ;   in Loop: Header=BB74_12 Depth=1
	s_or_b32 exec_lo, exec_lo, s7
	s_or_b32 s78, s78, s10
	s_or_b32 s79, s79, s10
	s_cmp_eq_u32 s16, 0
	s_waitcnt lgkmcnt(0)
	s_barrier
	buffer_gl0_inv
	s_cbranch_scc1 .LBB74_201
; %bb.193:                              ;   in Loop: Header=BB74_12 Depth=1
	s_add_i32 s7, s16, s56
	s_mov_b32 s25, 0
	s_mul_hi_u32 s17, s7, s66
                                        ; implicit-def: $vgpr22
	s_delay_alu instid0(SALU_CYCLE_1) | instskip(NEXT) | instid1(SALU_CYCLE_1)
	s_mul_i32 s17, s17, s39
	s_sub_i32 s17, s7, s17
	s_delay_alu instid0(SALU_CYCLE_1) | instskip(SKIP_2) | instid1(SALU_CYCLE_1)
	s_sub_i32 s24, s17, s39
	s_cmp_ge_u32 s17, s39
	s_cselect_b32 s17, s24, s17
	s_sub_i32 s24, s17, s39
	s_cmp_ge_u32 s17, s39
	s_cselect_b32 s17, s24, s17
	s_delay_alu instid0(SALU_CYCLE_1)
	s_sub_i32 s24, s7, s17
	s_mov_b32 s17, exec_lo
	v_cmpx_gt_u32_e64 s24, v0
	s_cbranch_execz .LBB74_203
; %bb.194:                              ;   in Loop: Header=BB74_12 Depth=1
	v_mov_b32_e32 v1, v0
                                        ; implicit-def: $sgpr26
	s_set_inst_prefetch_distance 0x1
	s_branch .LBB74_196
	.p2align	6
.LBB74_195:                             ;   in Loop: Header=BB74_196 Depth=2
	s_or_b32 exec_lo, exec_lo, s7
	s_waitcnt lgkmcnt(0)
	s_barrier
	buffer_gl0_inv
	ds_load_u16 v2, v21 offset:3072
	v_add_nc_u32_e32 v1, s39, v1
	s_waitcnt lgkmcnt(0)
	s_barrier
	buffer_gl0_inv
	v_cmp_le_u32_e32 vcc_lo, s24, v1
	v_and_b32_e32 v3, 0xff, v2
	s_delay_alu instid0(VALU_DEP_1) | instskip(NEXT) | instid1(VALU_DEP_1)
	v_cmp_ne_u16_e64 s7, 0, v3
	s_or_b32 s80, vcc_lo, s7
	s_delay_alu instid0(SALU_CYCLE_1) | instskip(NEXT) | instid1(SALU_CYCLE_1)
	s_and_b32 s80, exec_lo, s80
	s_or_b32 s25, s80, s25
	s_and_not1_b32 s26, s26, exec_lo
	s_and_b32 s7, s7, exec_lo
	s_delay_alu instid0(SALU_CYCLE_1)
	s_or_b32 s26, s26, s7
	s_and_not1_b32 exec_lo, exec_lo, s25
	s_cbranch_execz .LBB74_202
.LBB74_196:                             ;   Parent Loop BB74_12 Depth=1
                                        ; =>  This Inner Loop Header: Depth=2
	s_delay_alu instid0(VALU_DEP_1)
	v_cmp_gt_u32_e32 vcc_lo, s16, v1
	v_mov_b32_e32 v2, 0
	s_and_saveexec_b32 s7, vcc_lo
	s_cbranch_execz .LBB74_198
; %bb.197:                              ;   in Loop: Header=BB74_196 Depth=2
	ds_load_u8 v2, v1
.LBB74_198:                             ;   in Loop: Header=BB74_196 Depth=2
	s_or_b32 exec_lo, exec_lo, s7
	s_waitcnt lgkmcnt(0)
	v_and_b32_e32 v3, s79, v2
	s_delay_alu instid0(VALU_DEP_1) | instskip(NEXT) | instid1(VALU_DEP_1)
	v_and_b32_e32 v3, 0xff, v3
	v_cmp_eq_u32_e64 s7, s78, v3
	s_delay_alu instid0(VALU_DEP_1) | instskip(NEXT) | instid1(SALU_CYCLE_1)
	s_and_b32 s80, vcc_lo, s7
	s_and_saveexec_b32 s7, s80
	s_cbranch_execz .LBB74_195
; %bb.199:                              ;   in Loop: Header=BB74_196 Depth=2
	v_lshlrev_b16 v2, 8, v2
	s_delay_alu instid0(VALU_DEP_1)
	v_or_b32_e32 v2, 1, v2
	ds_store_b16 v21, v2 offset:3072
	s_branch .LBB74_195
.LBB74_200:                             ;   in Loop: Header=BB74_12 Depth=1
                                        ; implicit-def: $sgpr16
                                        ; implicit-def: $sgpr24
                                        ; implicit-def: $sgpr17
	s_branch .LBB74_213
.LBB74_201:                             ;   in Loop: Header=BB74_12 Depth=1
	s_mov_b32 s16, -1
	s_mov_b32 s25, 0
                                        ; implicit-def: $sgpr17
                                        ; implicit-def: $vgpr22
	s_mov_b32 s24, s16
	s_cbranch_execnz .LBB74_204
	s_branch .LBB74_213
.LBB74_202:                             ;   in Loop: Header=BB74_12 Depth=1
	s_set_inst_prefetch_distance 0x2
	s_or_b32 exec_lo, exec_lo, s25
	v_lshrrev_b16 v22, 8, v2
	s_and_b32 s25, s26, exec_lo
.LBB74_203:                             ;   in Loop: Header=BB74_12 Depth=1
	s_or_b32 exec_lo, exec_lo, s17
	s_mov_b32 s17, -1
	s_mov_b32 s16, 0
	s_delay_alu instid0(SALU_CYCLE_1)
	s_mov_b32 s24, s16
	s_branch .LBB74_213
.LBB74_204:                             ;   in Loop: Header=BB74_12 Depth=1
	s_mov_b32 s25, 0
                                        ; implicit-def: $vgpr22
	s_and_saveexec_b32 s16, s6
	s_cbranch_execz .LBB74_212
; %bb.205:                              ;   in Loop: Header=BB74_12 Depth=1
	v_dual_mov_b32 v1, v11 :: v_dual_mov_b32 v2, v0
	s_mov_b32 s17, 0
                                        ; implicit-def: $sgpr24
	s_set_inst_prefetch_distance 0x1
	s_branch .LBB74_207
	.p2align	6
.LBB74_206:                             ;   in Loop: Header=BB74_207 Depth=2
	s_or_b32 exec_lo, exec_lo, s7
	s_waitcnt lgkmcnt(0)
	s_barrier
	buffer_gl0_inv
	ds_load_u16 v3, v21 offset:3072
	v_add_nc_u32_e32 v2, s39, v2
	v_add_nc_u32_e32 v1, s55, v1
	s_waitcnt lgkmcnt(0)
	s_barrier
	buffer_gl0_inv
	v_cmp_le_u32_e32 vcc_lo, s68, v2
	v_and_b32_e32 v4, 0xff, v3
	s_delay_alu instid0(VALU_DEP_1) | instskip(NEXT) | instid1(VALU_DEP_1)
	v_cmp_ne_u16_e64 s7, 0, v4
	s_or_b32 s25, vcc_lo, s7
	s_delay_alu instid0(SALU_CYCLE_1) | instskip(NEXT) | instid1(SALU_CYCLE_1)
	s_and_b32 s25, exec_lo, s25
	s_or_b32 s17, s25, s17
	s_and_not1_b32 s24, s24, exec_lo
	s_and_b32 s7, s7, exec_lo
	s_delay_alu instid0(SALU_CYCLE_1)
	s_or_b32 s24, s24, s7
	s_and_not1_b32 exec_lo, exec_lo, s17
	s_cbranch_execz .LBB74_211
.LBB74_207:                             ;   Parent Loop BB74_12 Depth=1
                                        ; =>  This Inner Loop Header: Depth=2
	s_delay_alu instid0(VALU_DEP_1)
	v_cmp_gt_u32_e32 vcc_lo, s28, v2
	v_mov_b32_e32 v3, 0
	s_and_saveexec_b32 s7, vcc_lo
	s_cbranch_execz .LBB74_209
; %bb.208:                              ;   in Loop: Header=BB74_207 Depth=2
	global_load_u8 v3, v1, s[48:49]
.LBB74_209:                             ;   in Loop: Header=BB74_207 Depth=2
	s_or_b32 exec_lo, exec_lo, s7
	s_waitcnt vmcnt(0)
	v_and_b32_e32 v4, s79, v3
	s_delay_alu instid0(VALU_DEP_1) | instskip(NEXT) | instid1(VALU_DEP_1)
	v_and_b32_e32 v4, 0xff, v4
	v_cmp_eq_u32_e64 s7, s78, v4
	s_delay_alu instid0(VALU_DEP_1) | instskip(NEXT) | instid1(SALU_CYCLE_1)
	s_and_b32 s25, vcc_lo, s7
	s_and_saveexec_b32 s7, s25
	s_cbranch_execz .LBB74_206
; %bb.210:                              ;   in Loop: Header=BB74_207 Depth=2
	v_lshlrev_b16 v3, 8, v3
	s_delay_alu instid0(VALU_DEP_1)
	v_or_b32_e32 v3, 1, v3
	ds_store_b16 v21, v3 offset:3072
	s_branch .LBB74_206
.LBB74_211:                             ;   in Loop: Header=BB74_12 Depth=1
	s_set_inst_prefetch_distance 0x2
	s_or_b32 exec_lo, exec_lo, s17
	v_lshrrev_b16 v22, 8, v3
	s_and_b32 s25, s24, exec_lo
.LBB74_212:                             ;   in Loop: Header=BB74_12 Depth=1
	s_or_b32 exec_lo, exec_lo, s16
	s_mov_b32 s24, -1
	s_mov_b32 s16, 0
	s_mov_b32 s17, 0
.LBB74_213:                             ;   in Loop: Header=BB74_12 Depth=1
	s_mov_b32 s80, 0
                                        ; implicit-def: $sgpr7
	s_and_saveexec_b32 s26, s25
	s_cbranch_execz .LBB74_227
; %bb.214:                              ;   in Loop: Header=BB74_12 Depth=1
	s_xor_b32 s7, s15, -1
	s_delay_alu instid0(SALU_CYCLE_1)
	s_and_not1_b32 vcc_lo, exec_lo, s7
	s_mov_b32 s7, 1
	s_cbranch_vccnz .LBB74_221
; %bb.215:                              ;   in Loop: Header=BB74_12 Depth=1
	s_cmp_gt_u32 s23, s8
	s_cbranch_scc1 .LBB74_222
; %bb.216:                              ;   in Loop: Header=BB74_12 Depth=1
	ds_load_b32 v1, v21 offset:4104
	s_waitcnt lgkmcnt(0)
	v_cmp_ne_u32_e32 vcc_lo, 0, v1
	s_cbranch_vccnz .LBB74_220
; %bb.217:                              ;   in Loop: Header=BB74_12 Depth=1
	s_and_saveexec_b32 s7, s2
	s_cbranch_execz .LBB74_219
; %bb.218:                              ;   in Loop: Header=BB74_12 Depth=1
	v_mov_b32_e32 v1, s8
	ds_store_b32 v21, v1 offset:4108
.LBB74_219:                             ;   in Loop: Header=BB74_12 Depth=1
	s_or_b32 exec_lo, exec_lo, s7
	s_waitcnt lgkmcnt(0)
	s_barrier
	buffer_gl0_inv
.LBB74_220:                             ;   in Loop: Header=BB74_12 Depth=1
	s_or_b32 s15, s78, s10
	s_or_b32 s10, s79, s10
	s_mov_b32 s25, 0
	s_mov_b32 s7, 8
	s_branch .LBB74_223
.LBB74_221:                             ;   in Loop: Header=BB74_12 Depth=1
	s_mov_b32 s23, 1
	s_branch .LBB74_226
.LBB74_222:                             ;   in Loop: Header=BB74_12 Depth=1
	s_mov_b32 s25, -1
                                        ; implicit-def: $sgpr7
                                        ; implicit-def: $sgpr15
                                        ; implicit-def: $sgpr10
.LBB74_223:                             ;   in Loop: Header=BB74_12 Depth=1
	s_delay_alu instid0(SALU_CYCLE_1)
	s_and_not1_b32 vcc_lo, exec_lo, s25
	s_cbranch_vccnz .LBB74_225
; %bb.224:                              ;   in Loop: Header=BB74_12 Depth=1
	s_sub_i32 s23, s23, s8
	s_mov_b32 s7, 8
	s_mov_b32 s15, s78
	;; [unrolled: 1-line block ×3, first 2 shown]
.LBB74_225:                             ;   in Loop: Header=BB74_12 Depth=1
	s_mov_b32 s78, s15
	s_mov_b32 s79, s10
.LBB74_226:                             ;   in Loop: Header=BB74_12 Depth=1
	s_mov_b32 s80, exec_lo
.LBB74_227:                             ;   in Loop: Header=BB74_12 Depth=1
	s_or_b32 exec_lo, exec_lo, s26
.LBB74_228:                             ;   in Loop: Header=BB74_12 Depth=1
	s_delay_alu instid0(SALU_CYCLE_1)
	s_and_not1_b32 s8, s19, exec_lo
	s_and_b32 s10, s16, exec_lo
	s_and_not1_b32 s15, s20, exec_lo
	s_or_b32 s19, s8, s10
	s_and_not1_b32 s8, s21, exec_lo
	s_and_b32 s10, s24, exec_lo
	s_and_b32 s16, s17, exec_lo
	s_or_b32 s21, s8, s10
	s_or_b32 s20, s15, s16
	s_and_b32 s26, s80, exec_lo
	s_mov_b32 s24, s23
.LBB74_229:                             ;   in Loop: Header=BB74_12 Depth=1
	s_or_b32 exec_lo, exec_lo, s22
.LBB74_230:                             ;   in Loop: Header=BB74_12 Depth=1
	s_delay_alu instid0(SALU_CYCLE_1)
	s_and_not1_b32 s8, s13, exec_lo
	s_and_b32 s10, s19, exec_lo
	s_and_not1_b32 s12, s12, exec_lo
	s_or_b32 s13, s8, s10
	s_and_not1_b32 s8, s14, exec_lo
	s_and_b32 s10, s21, exec_lo
	s_and_b32 s15, s20, exec_lo
	s_or_b32 s14, s8, s10
	s_or_b32 s12, s12, s15
	s_and_b32 s23, s26, exec_lo
	s_mov_b32 s20, s24
.LBB74_231:                             ;   in Loop: Header=BB74_12 Depth=1
	s_or_b32 exec_lo, exec_lo, s18
                                        ; implicit-def: $sgpr80
	s_and_saveexec_b32 s8, s23
	s_delay_alu instid0(SALU_CYCLE_1)
	s_xor_b32 s8, exec_lo, s8
	s_cbranch_execz .LBB74_10
.LBB74_232:                             ;   in Loop: Header=BB74_12 Depth=1
	s_and_b32 s7, s7, -9
	s_delay_alu instid0(SALU_CYCLE_1)
	s_cmp_eq_u32 s7, 0
	s_cbranch_scc1 .LBB74_8
; %bb.233:                              ;   in Loop: Header=BB74_12 Depth=1
	s_mov_b32 s7, -1
	s_mov_b32 s10, -1
                                        ; implicit-def: $sgpr79
                                        ; implicit-def: $sgpr20
                                        ; implicit-def: $sgpr69
                                        ; implicit-def: $sgpr76
	s_branch .LBB74_9
.LBB74_234:
	s_or_b32 exec_lo, exec_lo, s64
	s_xor_b32 s4, s73, -1
	s_xor_b32 s1, s71, -1
	;; [unrolled: 1-line block ×3, first 2 shown]
	s_mov_b32 s2, 0
	s_and_saveexec_b32 s5, s1
	s_delay_alu instid0(SALU_CYCLE_1)
	s_xor_b32 s1, exec_lo, s5
	s_cbranch_execz .LBB74_248
; %bb.235:
	s_and_saveexec_b32 s2, s4
	s_delay_alu instid0(SALU_CYCLE_1)
	s_xor_b32 s2, exec_lo, s2
	s_cbranch_execz .LBB74_246
; %bb.236:
	s_and_saveexec_b32 s4, s3
	s_delay_alu instid0(SALU_CYCLE_1)
	s_xor_b32 s3, exec_lo, s4
; %bb.237:
	v_mov_b32_e32 v22, v1
; %bb.238:
	s_or_b32 exec_lo, exec_lo, s3
	s_mul_i32 s4, s43, s44
	s_mul_i32 s3, s33, s45
	s_sub_i32 s4, s33, s4
	s_sub_i32 s3, s27, s3
	s_add_i32 s5, s43, 1
	s_sub_i32 s6, s4, s44
	s_cmp_ge_u32 s4, s44
	s_mul_i32 s3, s3, s42
	s_cselect_b32 s5, s5, s43
	s_cselect_b32 s4, s6, s4
	s_add_i32 s6, s5, 1
	s_cmp_ge_u32 s4, s44
	s_cselect_b32 s4, s6, s5
	s_delay_alu instid0(SALU_CYCLE_1) | instskip(SKIP_2) | instid1(SALU_CYCLE_1)
	s_mul_i32 s5, s4, s44
	s_mul_i32 s4, s4, s40
	s_sub_i32 s5, s33, s5
	s_mul_i32 s5, s5, s41
	s_delay_alu instid0(SALU_CYCLE_1) | instskip(NEXT) | instid1(SALU_CYCLE_1)
	s_add_i32 s3, s5, s3
	s_add_i32 s3, s3, s4
	s_delay_alu instid0(SALU_CYCLE_1)
	v_mov_b32_e32 v1, s3
	global_store_b8 v1, v22, s[50:51]
	s_and_saveexec_b32 s3, s0
	s_cbranch_execz .LBB74_245
; %bb.239:
	v_and_b32_e32 v2, 0xff, v22
	s_mov_b32 s0, 0
                                        ; implicit-def: $sgpr4
                                        ; implicit-def: $sgpr6
                                        ; implicit-def: $sgpr5
	s_set_inst_prefetch_distance 0x1
	s_branch .LBB74_241
	.p2align	6
.LBB74_240:                             ;   in Loop: Header=BB74_241 Depth=1
	s_or_b32 exec_lo, exec_lo, s7
	s_delay_alu instid0(SALU_CYCLE_1) | instskip(NEXT) | instid1(SALU_CYCLE_1)
	s_and_b32 s7, exec_lo, s6
	s_or_b32 s0, s7, s0
	s_and_not1_b32 s4, s4, exec_lo
	s_and_b32 s7, s5, exec_lo
	s_delay_alu instid0(SALU_CYCLE_1)
	s_or_b32 s4, s4, s7
	s_and_not1_b32 exec_lo, exec_lo, s0
	s_cbranch_execz .LBB74_243
.LBB74_241:                             ; =>This Inner Loop Header: Depth=1
	global_load_u8 v3, v11, s[48:49]
	v_mov_b32_e32 v1, v0
	s_or_b32 s5, s5, exec_lo
	s_or_b32 s6, s6, exec_lo
	s_mov_b32 s7, exec_lo
                                        ; implicit-def: $vgpr0
	s_waitcnt vmcnt(0)
	v_cmpx_ne_u16_e64 v3, v2
	s_cbranch_execz .LBB74_240
; %bb.242:                              ;   in Loop: Header=BB74_241 Depth=1
	v_add_nc_u32_e32 v0, s39, v1
	s_and_not1_b32 s6, s6, exec_lo
	v_add_nc_u32_e32 v11, s55, v11
	s_and_not1_b32 s5, s5, exec_lo
	s_delay_alu instid0(VALU_DEP_2) | instskip(SKIP_1) | instid1(SALU_CYCLE_1)
	v_cmp_le_u32_e32 vcc_lo, s28, v0
	s_and_b32 s8, vcc_lo, exec_lo
	s_or_b32 s6, s6, s8
	s_branch .LBB74_240
.LBB74_243:
	s_set_inst_prefetch_distance 0x2
	s_or_b32 exec_lo, exec_lo, s0
	s_and_saveexec_b32 s0, s4
	s_delay_alu instid0(SALU_CYCLE_1)
	s_xor_b32 s0, exec_lo, s0
	s_cbranch_execz .LBB74_245
; %bb.244:
	s_mul_i32 s4, s31, s34
	s_mul_i32 s0, s29, s35
	s_sub_i32 s4, s29, s4
	s_sub_i32 s0, s27, s0
	s_add_i32 s5, s31, 1
	s_sub_i32 s6, s4, s34
	s_cmp_ge_u32 s4, s34
	s_mul_i32 s0, s0, s38
	s_cselect_b32 s5, s5, s31
	s_cselect_b32 s4, s6, s4
	s_add_i32 s6, s5, 1
	s_cmp_ge_u32 s4, s34
	v_mov_b32_e32 v2, 0
	s_cselect_b32 s4, s6, s5
	s_delay_alu instid0(SALU_CYCLE_1) | instskip(SKIP_2) | instid1(SALU_CYCLE_1)
	s_mul_i32 s5, s4, s34
	s_mul_i32 s4, s4, s36
	s_sub_i32 s5, s29, s5
	s_mul_i32 s5, s5, s37
	s_delay_alu instid0(SALU_CYCLE_1) | instskip(SKIP_2) | instid1(SALU_CYCLE_1)
	s_add_i32 s0, s5, s0
	s_mov_b32 s5, 0
	s_add_i32 s4, s0, s4
	s_lshl_b64 s[4:5], s[4:5], 3
	s_delay_alu instid0(SALU_CYCLE_1)
	s_add_u32 s4, s46, s4
	s_addc_u32 s5, s47, s5
	global_store_b64 v2, v[1:2], s[4:5]
.LBB74_245:
	s_or_b32 exec_lo, exec_lo, s3
.LBB74_246:
	s_or_saveexec_b32 s0, s2
	s_mov_b32 s2, 0
	s_xor_b32 exec_lo, exec_lo, s0
	s_cbranch_execnz .LBB74_254
.LBB74_247:
	s_or_b32 exec_lo, exec_lo, s0
	s_delay_alu instid0(SALU_CYCLE_1)
	s_and_b32 s2, s2, exec_lo
.LBB74_248:
	s_and_not1_saveexec_b32 s0, s1
	s_cbranch_execnz .LBB74_252
; %bb.249:
	s_or_b32 exec_lo, exec_lo, s0
	s_and_saveexec_b32 s0, s2
.LBB74_250:
	; divergent unreachable
.LBB74_251:
	s_nop 0
	s_sendmsg sendmsg(MSG_DEALLOC_VGPRS)
	s_endpgm
.LBB74_252:
	s_cbranch_execnz .LBB74_256
; %bb.253:
	s_or_b32 s2, s2, exec_lo
	s_or_b32 exec_lo, exec_lo, s0
	s_and_saveexec_b32 s0, s2
	s_cbranch_execnz .LBB74_250
	s_branch .LBB74_251
.LBB74_254:
	s_cbranch_execnz .LBB74_258
; %bb.255:
	s_mov_b32 s2, exec_lo
	s_branch .LBB74_247
.LBB74_256:
	s_trap 2
	s_sendmsg_rtn_b32 s0, sendmsg(MSG_RTN_GET_DOORBELL)
	s_mov_b32 ttmp2, m0
	s_waitcnt lgkmcnt(0)
	s_and_b32 s0, s0, 0x3ff
	s_delay_alu instid0(SALU_CYCLE_1) | instskip(NEXT) | instid1(SALU_CYCLE_1)
	s_bitset1_b32 s0, 10
	s_mov_b32 m0, s0
	s_sendmsg sendmsg(MSG_INTERRUPT)
	s_mov_b32 m0, ttmp2
.LBB74_257:                             ; =>This Inner Loop Header: Depth=1
	s_sethalt 5
	s_branch .LBB74_257
.LBB74_258:
	s_trap 2
	s_sendmsg_rtn_b32 s0, sendmsg(MSG_RTN_GET_DOORBELL)
	s_mov_b32 ttmp2, m0
	s_waitcnt lgkmcnt(0)
	s_and_b32 s0, s0, 0x3ff
	s_delay_alu instid0(SALU_CYCLE_1) | instskip(NEXT) | instid1(SALU_CYCLE_1)
	s_bitset1_b32 s0, 10
	s_mov_b32 m0, s0
	s_sendmsg sendmsg(MSG_INTERRUPT)
	s_mov_b32 m0, ttmp2
.LBB74_259:                             ; =>This Inner Loop Header: Depth=1
	s_sethalt 5
	s_branch .LBB74_259
	.section	.rodata,"a",@progbits
	.p2align	6, 0x0
	.amdhsa_kernel _ZN2at6native12_GLOBAL__N_112gatherMedianIhjLi3EEEvNS_4cuda6detail10TensorInfoIT_T0_EENS5_IlS7_EENS5_IKS6_S7_EES7_S7_S7_b
		.amdhsa_group_segment_fixed_size 4120
		.amdhsa_private_segment_fixed_size 0
		.amdhsa_kernarg_size 920
		.amdhsa_user_sgpr_count 13
		.amdhsa_user_sgpr_dispatch_ptr 0
		.amdhsa_user_sgpr_queue_ptr 0
		.amdhsa_user_sgpr_kernarg_segment_ptr 1
		.amdhsa_user_sgpr_dispatch_id 0
		.amdhsa_user_sgpr_private_segment_size 0
		.amdhsa_wavefront_size32 1
		.amdhsa_uses_dynamic_stack 0
		.amdhsa_enable_private_segment 0
		.amdhsa_system_sgpr_workgroup_id_x 1
		.amdhsa_system_sgpr_workgroup_id_y 1
		.amdhsa_system_sgpr_workgroup_id_z 1
		.amdhsa_system_sgpr_workgroup_info 0
		.amdhsa_system_vgpr_workitem_id 0
		.amdhsa_next_free_vgpr 36
		.amdhsa_next_free_sgpr 90
		.amdhsa_reserve_vcc 1
		.amdhsa_float_round_mode_32 0
		.amdhsa_float_round_mode_16_64 0
		.amdhsa_float_denorm_mode_32 3
		.amdhsa_float_denorm_mode_16_64 3
		.amdhsa_dx10_clamp 1
		.amdhsa_ieee_mode 1
		.amdhsa_fp16_overflow 0
		.amdhsa_workgroup_processor_mode 1
		.amdhsa_memory_ordered 1
		.amdhsa_forward_progress 0
		.amdhsa_shared_vgpr_count 0
		.amdhsa_exception_fp_ieee_invalid_op 0
		.amdhsa_exception_fp_denorm_src 0
		.amdhsa_exception_fp_ieee_div_zero 0
		.amdhsa_exception_fp_ieee_overflow 0
		.amdhsa_exception_fp_ieee_underflow 0
		.amdhsa_exception_fp_ieee_inexact 0
		.amdhsa_exception_int_div_zero 0
	.end_amdhsa_kernel
	.section	.text._ZN2at6native12_GLOBAL__N_112gatherMedianIhjLi3EEEvNS_4cuda6detail10TensorInfoIT_T0_EENS5_IlS7_EENS5_IKS6_S7_EES7_S7_S7_b,"axG",@progbits,_ZN2at6native12_GLOBAL__N_112gatherMedianIhjLi3EEEvNS_4cuda6detail10TensorInfoIT_T0_EENS5_IlS7_EENS5_IKS6_S7_EES7_S7_S7_b,comdat
.Lfunc_end74:
	.size	_ZN2at6native12_GLOBAL__N_112gatherMedianIhjLi3EEEvNS_4cuda6detail10TensorInfoIT_T0_EENS5_IlS7_EENS5_IKS6_S7_EES7_S7_S7_b, .Lfunc_end74-_ZN2at6native12_GLOBAL__N_112gatherMedianIhjLi3EEEvNS_4cuda6detail10TensorInfoIT_T0_EENS5_IlS7_EENS5_IKS6_S7_EES7_S7_S7_b
                                        ; -- End function
	.section	.AMDGPU.csdata,"",@progbits
; Kernel info:
; codeLenInByte = 9876
; NumSgprs: 92
; NumVgprs: 36
; ScratchSize: 0
; MemoryBound: 0
; FloatMode: 240
; IeeeMode: 1
; LDSByteSize: 4120 bytes/workgroup (compile time only)
; SGPRBlocks: 11
; VGPRBlocks: 4
; NumSGPRsForWavesPerEU: 92
; NumVGPRsForWavesPerEU: 36
; Occupancy: 16
; WaveLimiterHint : 1
; COMPUTE_PGM_RSRC2:SCRATCH_EN: 0
; COMPUTE_PGM_RSRC2:USER_SGPR: 13
; COMPUTE_PGM_RSRC2:TRAP_HANDLER: 0
; COMPUTE_PGM_RSRC2:TGID_X_EN: 1
; COMPUTE_PGM_RSRC2:TGID_Y_EN: 1
; COMPUTE_PGM_RSRC2:TGID_Z_EN: 1
; COMPUTE_PGM_RSRC2:TIDIG_COMP_CNT: 0
	.section	.text._ZN2at6native12_GLOBAL__N_112gatherMedianIhjLin1EEEvNS_4cuda6detail10TensorInfoIT_T0_EENS5_IlS7_EENS5_IKS6_S7_EES7_S7_S7_b,"axG",@progbits,_ZN2at6native12_GLOBAL__N_112gatherMedianIhjLin1EEEvNS_4cuda6detail10TensorInfoIT_T0_EENS5_IlS7_EENS5_IKS6_S7_EES7_S7_S7_b,comdat
	.globl	_ZN2at6native12_GLOBAL__N_112gatherMedianIhjLin1EEEvNS_4cuda6detail10TensorInfoIT_T0_EENS5_IlS7_EENS5_IKS6_S7_EES7_S7_S7_b ; -- Begin function _ZN2at6native12_GLOBAL__N_112gatherMedianIhjLin1EEEvNS_4cuda6detail10TensorInfoIT_T0_EENS5_IlS7_EENS5_IKS6_S7_EES7_S7_S7_b
	.p2align	8
	.type	_ZN2at6native12_GLOBAL__N_112gatherMedianIhjLin1EEEvNS_4cuda6detail10TensorInfoIT_T0_EENS5_IlS7_EENS5_IKS6_S7_EES7_S7_S7_b,@function
_ZN2at6native12_GLOBAL__N_112gatherMedianIhjLin1EEEvNS_4cuda6detail10TensorInfoIT_T0_EENS5_IlS7_EENS5_IKS6_S7_EES7_S7_S7_b: ; @_ZN2at6native12_GLOBAL__N_112gatherMedianIhjLin1EEEvNS_4cuda6detail10TensorInfoIT_T0_EENS5_IlS7_EENS5_IKS6_S7_EES7_S7_S7_b
; %bb.0:
	s_clause 0x1
	s_load_b64 s[6:7], s[0:1], 0x298
	s_load_b128 s[28:31], s[0:1], 0x288
	s_add_u32 s4, s0, 0x298
	s_addc_u32 s5, s1, 0
	s_waitcnt lgkmcnt(0)
	s_mul_i32 s2, s7, s15
	s_delay_alu instid0(SALU_CYCLE_1) | instskip(NEXT) | instid1(SALU_CYCLE_1)
	s_add_i32 s2, s2, s14
	s_mul_i32 s2, s2, s6
	s_delay_alu instid0(SALU_CYCLE_1) | instskip(NEXT) | instid1(SALU_CYCLE_1)
	s_add_i32 s7, s2, s13
	s_cmp_ge_u32 s7, s29
	s_cbranch_scc1 .LBB75_260
; %bb.1:
	s_load_b32 s2, s[0:1], 0xd0
	s_mov_b32 s27, 0
	s_mov_b32 s29, s7
	s_waitcnt lgkmcnt(0)
	s_cmp_lt_i32 s2, 2
	s_cbranch_scc1 .LBB75_4
; %bb.2:
	s_add_i32 s26, s2, -1
	s_add_i32 s8, s2, 1
	s_lshl_b64 s[10:11], s[26:27], 2
	s_mov_b32 s29, s7
	s_add_u32 s2, s10, s0
	s_addc_u32 s3, s11, s1
	s_add_u32 s2, s2, 8
	s_addc_u32 s3, s3, 0
	s_set_inst_prefetch_distance 0x1
	.p2align	6
.LBB75_3:                               ; =>This Inner Loop Header: Depth=1
	s_clause 0x1
	s_load_b32 s9, s[2:3], 0x0
	s_load_b32 s10, s[2:3], 0x64
	s_mov_b32 s14, s29
	s_waitcnt lgkmcnt(0)
	v_cvt_f32_u32_e32 v1, s9
	s_sub_i32 s12, 0, s9
	s_waitcnt_depctr 0xfff
	v_rcp_iflag_f32_e32 v1, v1
	s_waitcnt_depctr 0xfff
	v_mul_f32_e32 v1, 0x4f7ffffe, v1
	s_delay_alu instid0(VALU_DEP_1) | instskip(NEXT) | instid1(VALU_DEP_1)
	v_cvt_u32_f32_e32 v1, v1
	v_readfirstlane_b32 s11, v1
	s_delay_alu instid0(VALU_DEP_1) | instskip(NEXT) | instid1(SALU_CYCLE_1)
	s_mul_i32 s12, s12, s11
	s_mul_hi_u32 s12, s11, s12
	s_delay_alu instid0(SALU_CYCLE_1) | instskip(NEXT) | instid1(SALU_CYCLE_1)
	s_add_i32 s11, s11, s12
	s_mul_hi_u32 s11, s29, s11
	s_delay_alu instid0(SALU_CYCLE_1) | instskip(SKIP_2) | instid1(SALU_CYCLE_1)
	s_mul_i32 s12, s11, s9
	s_add_i32 s15, s11, 1
	s_sub_i32 s12, s29, s12
	s_sub_i32 s16, s12, s9
	s_cmp_ge_u32 s12, s9
	s_cselect_b32 s11, s15, s11
	s_cselect_b32 s12, s16, s12
	s_add_i32 s15, s11, 1
	s_cmp_ge_u32 s12, s9
	s_cselect_b32 s29, s15, s11
	s_add_i32 s8, s8, -1
	s_mul_i32 s9, s29, s9
	s_delay_alu instid0(SALU_CYCLE_1) | instskip(NEXT) | instid1(SALU_CYCLE_1)
	s_sub_i32 s9, s14, s9
	s_mul_i32 s9, s10, s9
	s_delay_alu instid0(SALU_CYCLE_1)
	s_add_i32 s27, s9, s27
	s_add_u32 s2, s2, -4
	s_addc_u32 s3, s3, -1
	s_cmp_gt_u32 s8, 2
	s_cbranch_scc1 .LBB75_3
.LBB75_4:
	s_set_inst_prefetch_distance 0x2
	s_load_b32 s8, s[0:1], 0x1a8
	s_add_u32 s2, s0, 0xd8
	s_addc_u32 s3, s1, 0
	s_mov_b32 s35, 0
	s_mov_b32 s33, s7
	s_waitcnt lgkmcnt(0)
	s_cmp_lt_i32 s8, 2
	s_cbranch_scc1 .LBB75_7
; %bb.5:
	s_add_i32 s34, s8, -1
	s_add_i32 s10, s8, 1
	s_lshl_b64 s[14:15], s[34:35], 2
	s_mov_b32 s33, s7
	s_add_u32 s8, s14, s2
	s_addc_u32 s9, s15, s3
	s_add_u32 s8, s8, 8
	s_addc_u32 s9, s9, 0
	s_set_inst_prefetch_distance 0x1
	.p2align	6
.LBB75_6:                               ; =>This Inner Loop Header: Depth=1
	s_clause 0x1
	s_load_b32 s11, s[8:9], 0x0
	s_load_b32 s12, s[8:9], 0x64
	s_mov_b32 s16, s33
	s_waitcnt lgkmcnt(0)
	v_cvt_f32_u32_e32 v1, s11
	s_sub_i32 s15, 0, s11
	s_waitcnt_depctr 0xfff
	v_rcp_iflag_f32_e32 v1, v1
	s_waitcnt_depctr 0xfff
	v_mul_f32_e32 v1, 0x4f7ffffe, v1
	s_delay_alu instid0(VALU_DEP_1) | instskip(NEXT) | instid1(VALU_DEP_1)
	v_cvt_u32_f32_e32 v1, v1
	v_readfirstlane_b32 s14, v1
	s_delay_alu instid0(VALU_DEP_1) | instskip(NEXT) | instid1(SALU_CYCLE_1)
	s_mul_i32 s15, s15, s14
	s_mul_hi_u32 s15, s14, s15
	s_delay_alu instid0(SALU_CYCLE_1) | instskip(NEXT) | instid1(SALU_CYCLE_1)
	s_add_i32 s14, s14, s15
	s_mul_hi_u32 s14, s33, s14
	s_delay_alu instid0(SALU_CYCLE_1) | instskip(SKIP_2) | instid1(SALU_CYCLE_1)
	s_mul_i32 s15, s14, s11
	s_add_i32 s17, s14, 1
	s_sub_i32 s15, s33, s15
	s_sub_i32 s18, s15, s11
	s_cmp_ge_u32 s15, s11
	s_cselect_b32 s14, s17, s14
	s_cselect_b32 s15, s18, s15
	s_add_i32 s17, s14, 1
	s_cmp_ge_u32 s15, s11
	s_cselect_b32 s33, s17, s14
	s_add_i32 s10, s10, -1
	s_mul_i32 s11, s33, s11
	s_delay_alu instid0(SALU_CYCLE_1) | instskip(NEXT) | instid1(SALU_CYCLE_1)
	s_sub_i32 s11, s16, s11
	s_mul_i32 s11, s12, s11
	s_delay_alu instid0(SALU_CYCLE_1)
	s_add_i32 s35, s11, s35
	s_add_u32 s8, s8, -4
	s_addc_u32 s9, s9, -1
	s_cmp_gt_u32 s10, 2
	s_cbranch_scc1 .LBB75_6
.LBB75_7:
	s_set_inst_prefetch_distance 0x2
	s_clause 0x1
	s_load_b32 s34, s[0:1], 0x6c
	s_load_b32 s10, s[0:1], 0x280
	s_add_u32 s11, s0, 0x1b0
	s_addc_u32 s12, s1, 0
	s_mov_b32 s9, 0
	s_waitcnt lgkmcnt(0)
	s_cmp_lt_i32 s10, 2
	s_cbranch_scc1 .LBB75_10
; %bb.8:
	s_add_i32 s8, s10, -1
	s_delay_alu instid0(SALU_CYCLE_1)
	s_lshl_b64 s[14:15], s[8:9], 2
	s_add_i32 s8, s10, 1
	s_add_u32 s10, s14, s11
	s_addc_u32 s11, s15, s12
	s_add_u32 s10, s10, 8
	s_addc_u32 s11, s11, 0
	s_set_inst_prefetch_distance 0x1
	.p2align	6
.LBB75_9:                               ; =>This Inner Loop Header: Depth=1
	s_clause 0x1
	s_load_b32 s12, s[10:11], 0x0
	s_load_b32 s14, s[10:11], 0x64
	s_mov_b32 s17, s7
	s_waitcnt lgkmcnt(0)
	v_cvt_f32_u32_e32 v1, s12
	s_sub_i32 s16, 0, s12
	s_waitcnt_depctr 0xfff
	v_rcp_iflag_f32_e32 v1, v1
	s_waitcnt_depctr 0xfff
	v_mul_f32_e32 v1, 0x4f7ffffe, v1
	s_delay_alu instid0(VALU_DEP_1) | instskip(NEXT) | instid1(VALU_DEP_1)
	v_cvt_u32_f32_e32 v1, v1
	v_readfirstlane_b32 s15, v1
	s_delay_alu instid0(VALU_DEP_1) | instskip(NEXT) | instid1(SALU_CYCLE_1)
	s_mul_i32 s16, s16, s15
	s_mul_hi_u32 s16, s15, s16
	s_delay_alu instid0(SALU_CYCLE_1) | instskip(NEXT) | instid1(SALU_CYCLE_1)
	s_add_i32 s15, s15, s16
	s_mul_hi_u32 s7, s7, s15
	s_delay_alu instid0(SALU_CYCLE_1) | instskip(SKIP_2) | instid1(SALU_CYCLE_1)
	s_mul_i32 s15, s7, s12
	s_add_i32 s16, s7, 1
	s_sub_i32 s15, s17, s15
	s_sub_i32 s18, s15, s12
	s_cmp_ge_u32 s15, s12
	s_cselect_b32 s7, s16, s7
	s_cselect_b32 s15, s18, s15
	s_add_i32 s16, s7, 1
	s_cmp_ge_u32 s15, s12
	s_cselect_b32 s7, s16, s7
	s_add_i32 s8, s8, -1
	s_mul_i32 s12, s7, s12
	s_delay_alu instid0(SALU_CYCLE_1) | instskip(NEXT) | instid1(SALU_CYCLE_1)
	s_sub_i32 s12, s17, s12
	s_mul_i32 s12, s14, s12
	s_delay_alu instid0(SALU_CYCLE_1)
	s_add_i32 s9, s12, s9
	s_add_u32 s10, s10, -4
	s_addc_u32 s11, s11, -1
	s_cmp_gt_u32 s8, 2
	s_cbranch_scc1 .LBB75_9
.LBB75_10:
	s_set_inst_prefetch_distance 0x2
	s_load_b32 s44, s[2:3], 0x6c
	v_cmp_eq_u32_e64 s2, 0, v0
	s_delay_alu instid0(VALU_DEP_1)
	s_and_saveexec_b32 s3, s2
	s_cbranch_execz .LBB75_12
; %bb.11:
	v_mov_b32_e32 v1, 0
	s_delay_alu instid0(VALU_DEP_1)
	v_mov_b32_e32 v2, v1
	ds_store_b64 v1, v[1:2] offset:4096
.LBB75_12:
	s_or_b32 exec_lo, exec_lo, s3
	v_mov_b32_e32 v1, 0
	s_waitcnt lgkmcnt(0)
	s_barrier
	buffer_gl0_inv
	s_barrier
	buffer_gl0_inv
	ds_load_b64 v[1:2], v1 offset:4096
	s_load_b64 s[10:11], s[0:1], 0x1b0
	s_bitcmp1_b32 s31, 0
	s_mov_b32 s71, s28
	s_cselect_b32 s3, -1, 0
	s_waitcnt lgkmcnt(0)
	v_cmp_gt_i64_e32 vcc_lo, 1, v[1:2]
	s_or_b32 s3, s3, vcc_lo
	s_delay_alu instid0(SALU_CYCLE_1)
	s_and_not1_b32 vcc_lo, exec_lo, s3
	s_cbranch_vccnz .LBB75_14
; %bb.13:
	v_not_b32_e32 v1, v1
	v_not_b32_e32 v2, v2
	s_delay_alu instid0(VALU_DEP_2) | instskip(NEXT) | instid1(VALU_DEP_2)
	v_add_co_u32 v1, vcc_lo, v1, s28
	v_add_co_ci_u32_e32 v2, vcc_lo, 0, v2, vcc_lo
	s_delay_alu instid0(VALU_DEP_1) | instskip(NEXT) | instid1(VALU_DEP_1)
	v_lshrrev_b32_e32 v3, 31, v2
	v_add_co_u32 v1, vcc_lo, v1, v3
	v_add_co_ci_u32_e32 v2, vcc_lo, 0, v2, vcc_lo
	s_delay_alu instid0(VALU_DEP_1) | instskip(NEXT) | instid1(VALU_DEP_1)
	v_alignbit_b32 v1, v2, v1, 1
	v_readfirstlane_b32 s3, v1
	s_delay_alu instid0(VALU_DEP_1)
	s_add_i32 s71, s3, 1
.LBB75_14:
	s_clause 0x2
	s_load_b64 s[40:41], s[0:1], 0x0
	s_load_b64 s[36:37], s[0:1], 0xd8
	s_load_b32 s0, s[0:1], 0x21c
	s_and_saveexec_b32 s1, s2
	s_cbranch_execz .LBB75_16
; %bb.15:
	v_dual_mov_b32 v1, 0 :: v_dual_mov_b32 v2, s28
	ds_store_b32 v1, v1 offset:4112
	ds_store_b64 v1, v[1:2] offset:4104
.LBB75_16:
	s_or_b32 exec_lo, exec_lo, s1
	s_waitcnt lgkmcnt(0)
	s_barrier
	buffer_gl0_inv
	s_load_b32 s3, s[4:5], 0xc
	s_mul_i32 s0, s0, s7
	v_mbcnt_lo_u32_b32 v11, -1, 0
	s_add_i32 s0, s0, s9
	v_cmp_gt_u32_e32 vcc_lo, 32, v0
	s_add_u32 s38, s10, s0
	s_addc_u32 s39, s11, 0
	v_cmp_gt_i32_e64 s1, 4, v11
	v_mul_lo_u32 v10, v0, s30
	v_cmp_gt_u32_e64 s0, s28, v0
	v_lshl_or_b32 v20, v11, 2, 0xc00
	v_mov_b32_e32 v21, 0
	s_and_b32 s47, vcc_lo, s1
	v_cmp_gt_u32_e64 s1, 2, v0
	s_mov_b32 s45, 0
	s_mov_b32 s57, 6
	v_lshlrev_b32_e32 v18, 2, v10
	s_mov_b32 s67, 0
	s_mov_b32 s69, 0
	s_mov_b32 s70, 0
	s_waitcnt lgkmcnt(0)
	s_and_b32 s31, s3, 0xffff
	s_bfe_u32 s3, s3, 0xb0005
	s_lshl_b32 s46, s31, 2
	s_add_i32 s49, s31, -1
	v_cvt_f32_u32_e32 v1, s46
	s_add_i32 s7, s49, s28
	s_cmpk_gt_u32 s28, 0xc00
	v_cvt_f32_u32_e32 v2, s31
	s_cselect_b32 s50, -1, 0
	v_rcp_iflag_f32_e32 v1, v1
	s_cmp_gt_u32 s31, 31
	v_lshlrev_b32_e32 v12, 2, v0
	s_cselect_b32 s51, -1, 0
	s_cmp_lt_u32 s13, s6
	v_rcp_iflag_f32_e32 v2, v2
	s_cselect_b32 s6, 12, 18
	v_mov_b32_e32 v22, 0
	s_add_u32 s42, s4, s6
	s_addc_u32 s43, s5, 0
	s_waitcnt_depctr 0xfff
	v_mul_f32_e32 v1, 0x4f7ffffe, v1
	s_add_i32 s4, s3, -1
	s_bfe_u32 s52, s31, 0x30005
	s_cmp_gt_u32 s4, 6
	v_mad_u64_u32 v[5:6], null, s30, v12, s[30:31]
	v_cvt_u32_f32_e32 v1, v1
	s_cselect_b32 s53, -1, 0
	s_and_b32 s54, s3, 0x7f8
	s_cmp_lg_u32 s52, 0
	v_mul_f32_e32 v3, 0x4f7ffffe, v2
	v_readfirstlane_b32 s4, v1
	s_cselect_b32 s55, -1, 0
	s_sub_i32 s3, 0, s46
	v_lshrrev_b32_e32 v1, 3, v0
	v_add_co_u32 v6, s8, s38, v10
	s_mul_i32 s3, s3, s4
	v_add_co_ci_u32_e64 v7, null, s39, 0, s8
	s_mul_hi_u32 s5, s4, s3
	v_and_b32_e32 v13, 0x7c, v1
	s_add_i32 s56, s4, s5
	v_lshlrev_b64 v[1:2], v11, -1
	s_mul_hi_u32 s4, s28, s56
	v_cvt_u32_f32_e32 v2, v3
	s_mul_i32 s4, s4, s46
	v_or_b32_e32 v3, 3, v12
	s_sub_i32 s4, s28, s4
	v_not_b32_e32 v14, v1
	s_sub_i32 s5, s4, s46
	s_cmp_ge_u32 s4, s46
	v_add3_u32 v1, s31, s28, v0
	s_cselect_b32 s4, s5, s4
	v_readfirstlane_b32 s5, v2
	s_sub_i32 s6, s4, s46
	s_cmp_ge_u32 s4, s46
	v_or_b32_e32 v2, 2, v12
	s_cselect_b32 s4, s6, s4
	s_sub_i32 s6, 0, s31
	s_sub_i32 s59, s28, s4
	s_mul_i32 s6, s6, s5
	v_add_nc_u32_e32 v15, s59, v0
	s_mul_hi_u32 s6, s5, s6
	v_subrev_nc_u32_e32 v1, s4, v1
	s_add_i32 s58, s5, s6
	v_mul_lo_u32 v16, s30, v2
	s_mul_hi_u32 s5, s7, s58
	v_mul_lo_u32 v4, v15, s30
	s_mul_i32 s5, s5, s31
	v_mul_lo_u32 v17, s30, v3
	s_sub_i32 s5, s7, s5
	v_mul_lo_u32 v19, s30, v1
	s_sub_i32 s6, s5, s31
	s_cmp_ge_u32 s5, s31
	v_cmp_eq_u32_e64 s3, 0, v11
	s_cselect_b32 s5, s6, s5
	v_cmp_gt_u32_e64 s4, s59, v12
	s_sub_i32 s6, s5, s31
	s_cmp_ge_u32 s5, s31
	s_mul_i32 s48, s30, s31
	s_cselect_b32 s6, s6, s5
	v_cmp_gt_u32_e64 s5, s28, v15
	s_sub_i32 s60, s7, s6
	v_add_co_u32 v8, s6, s38, v4
	s_delay_alu instid0(VALU_DEP_1)
	v_add_co_ci_u32_e64 v9, null, s39, 0, s6
	v_cmp_gt_u32_e64 s6, s60, v0
	s_lshl_b32 s61, s48, 2
                                        ; implicit-def: $sgpr62
                                        ; implicit-def: $sgpr64
                                        ; implicit-def: $sgpr63
                                        ; implicit-def: $sgpr66
                                        ; implicit-def: $sgpr68
                                        ; implicit-def: $sgpr65
	s_branch .LBB75_21
.LBB75_17:                              ;   in Loop: Header=BB75_21 Depth=1
	s_xor_b32 s67, s67, 1
	s_add_i32 s11, s57, -2
	s_cmp_eq_u32 s57, 0
	s_mov_b32 s7, 0
	s_cselect_b32 s10, -1, 0
	s_mov_b32 s57, s11
.LBB75_18:                              ;   in Loop: Header=BB75_21 Depth=1
	s_and_not1_b32 s11, s13, exec_lo
	s_and_b32 s7, s7, exec_lo
	s_and_not1_b32 s14, s14, exec_lo
	s_or_b32 s13, s11, s7
	s_and_not1_b32 s12, s12, exec_lo
	s_or_not1_b32 s11, s10, exec_lo
	s_mov_b32 s71, s20
.LBB75_19:                              ;   in Loop: Header=BB75_21 Depth=1
	s_or_b32 exec_lo, exec_lo, s8
	s_delay_alu instid0(SALU_CYCLE_1)
	s_and_not1_b32 s7, s65, exec_lo
	s_and_b32 s8, s13, exec_lo
	s_and_not1_b32 s10, s66, exec_lo
	s_or_b32 s65, s7, s8
	s_and_not1_b32 s7, s68, exec_lo
	s_and_b32 s8, s14, exec_lo
	s_and_b32 s12, s12, exec_lo
	s_or_b32 s68, s7, s8
	s_or_b32 s66, s10, s12
	s_or_not1_b32 s12, s11, exec_lo
.LBB75_20:                              ;   in Loop: Header=BB75_21 Depth=1
	s_or_b32 exec_lo, exec_lo, s9
	s_delay_alu instid0(SALU_CYCLE_1)
	s_and_b32 s7, exec_lo, s12
	v_mov_b32_e32 v1, s69
	s_or_b32 s45, s7, s45
	s_and_not1_b32 s7, s63, exec_lo
	s_and_b32 s8, s65, exec_lo
	s_and_not1_b32 s9, s62, exec_lo
	s_or_b32 s63, s7, s8
	s_and_not1_b32 s7, s64, exec_lo
	s_and_b32 s8, s68, exec_lo
	s_and_b32 s10, s66, exec_lo
	s_or_b32 s64, s7, s8
	s_or_b32 s62, s9, s10
	s_and_not1_b32 exec_lo, exec_lo, s45
	s_cbranch_execz .LBB75_243
.LBB75_21:                              ; =>This Loop Header: Depth=1
                                        ;     Child Loop BB75_26 Depth 2
                                        ;     Child Loop BB75_41 Depth 2
	;; [unrolled: 1-line block ×16, first 2 shown]
	ds_load_b64 v[1:2], v21 offset:4104
	s_waitcnt lgkmcnt(0)
	v_readfirstlane_b32 s72, v1
	s_delay_alu instid0(VALU_DEP_1)
	s_cmp_lg_u32 s72, 0
	s_cbranch_scc1 .LBB75_48
; %bb.22:                               ;   in Loop: Header=BB75_21 Depth=1
	s_and_b32 vcc_lo, exec_lo, s50
	s_cbranch_vccz .LBB75_34
; %bb.23:                               ;   in Loop: Header=BB75_21 Depth=1
	v_cmp_gt_u32_e32 vcc_lo, 0xc01, v2
	s_mov_b32 s72, 0
	s_mov_b32 s7, 0
	s_cbranch_vccz .LBB75_35
; %bb.24:                               ;   in Loop: Header=BB75_21 Depth=1
	global_load_u16 v1, v21, s[42:43]
	global_load_u8 v4, v[6:7], off
	v_mov_b32_e32 v23, v0
	s_mov_b32 s9, 0
	s_waitcnt vmcnt(1)
	v_add_nc_u32_e32 v2, v0, v1
	v_mul_lo_u32 v3, s30, v1
	s_delay_alu instid0(VALU_DEP_2)
	v_mul_lo_u32 v2, s30, v2
	s_branch .LBB75_26
.LBB75_25:                              ;   in Loop: Header=BB75_26 Depth=2
	s_or_b32 exec_lo, exec_lo, s8
	v_add_nc_u32_e32 v2, v2, v3
	v_mov_b32_e32 v4, v24
	s_and_not1_b32 exec_lo, exec_lo, s9
	s_cbranch_execz .LBB75_133
.LBB75_26:                              ;   Parent Loop BB75_21 Depth=1
                                        ; =>  This Inner Loop Header: Depth=2
	v_dual_mov_b32 v24, 0 :: v_dual_add_nc_u32 v23, v23, v1
	s_waitcnt lgkmcnt(0)
	v_mov_b32_e32 v25, 0
	s_mov_b32 s8, exec_lo
	s_delay_alu instid0(VALU_DEP_2)
	v_cmp_le_u32_e32 vcc_lo, s28, v23
	v_cmpx_gt_u32_e64 s28, v23
	s_cbranch_execz .LBB75_28
; %bb.27:                               ;   in Loop: Header=BB75_26 Depth=2
	global_load_u8 v24, v2, s[38:39]
.LBB75_28:                              ;   in Loop: Header=BB75_26 Depth=2
	s_or_b32 exec_lo, exec_lo, s8
	s_waitcnt vmcnt(0)
	v_and_b32_e32 v26, s70, v4
	s_delay_alu instid0(VALU_DEP_1) | instskip(NEXT) | instid1(VALU_DEP_1)
	v_and_b32_e32 v26, 0xff, v26
	v_cmp_eq_u32_e64 s7, s69, v26
	s_delay_alu instid0(VALU_DEP_1) | instskip(SKIP_1) | instid1(SALU_CYCLE_1)
	s_cmp_lg_u32 s7, 0
	s_cselect_b32 s8, -1, 0
	s_and_b32 s8, s3, s8
	s_delay_alu instid0(SALU_CYCLE_1)
	s_and_saveexec_b32 s10, s8
	s_cbranch_execz .LBB75_32
; %bb.29:                               ;   in Loop: Header=BB75_26 Depth=2
	s_mov_b32 s13, exec_lo
	s_bcnt1_i32_b32 s11, s7
	v_mbcnt_lo_u32_b32 v25, s13, 0
	s_mov_b32 s12, exec_lo
                                        ; implicit-def: $vgpr26
	s_delay_alu instid0(VALU_DEP_1)
	v_cmpx_eq_u32_e32 0, v25
	s_cbranch_execz .LBB75_31
; %bb.30:                               ;   in Loop: Header=BB75_26 Depth=2
	s_bcnt1_i32_b32 s8, s13
	s_delay_alu instid0(SALU_CYCLE_1) | instskip(NEXT) | instid1(SALU_CYCLE_1)
	s_mul_i32 s8, s11, s8
	v_mov_b32_e32 v26, s8
	ds_add_rtn_u32 v26, v21, v26 offset:4112
.LBB75_31:                              ;   in Loop: Header=BB75_26 Depth=2
	s_or_b32 exec_lo, exec_lo, s12
	s_waitcnt lgkmcnt(0)
	v_readfirstlane_b32 s8, v26
	s_delay_alu instid0(VALU_DEP_1)
	v_mad_u32_u24 v25, s11, v25, s8
.LBB75_32:                              ;   in Loop: Header=BB75_26 Depth=2
	s_or_b32 exec_lo, exec_lo, s10
	ds_bpermute_b32 v25, v21, v25
	s_and_b32 s8, exec_lo, vcc_lo
	s_delay_alu instid0(SALU_CYCLE_1)
	s_or_b32 s9, s8, s9
	s_and_saveexec_b32 s8, s7
	s_cbranch_execz .LBB75_25
; %bb.33:                               ;   in Loop: Header=BB75_26 Depth=2
	v_and_b32_e32 v26, s7, v14
	s_waitcnt lgkmcnt(0)
	s_delay_alu instid0(VALU_DEP_1)
	v_bcnt_u32_b32 v25, v26, v25
	ds_store_b8 v25, v4
	s_branch .LBB75_25
.LBB75_34:                              ;   in Loop: Header=BB75_21 Depth=1
	s_mov_b32 s72, -1
	s_mov_b32 s7, 0
.LBB75_35:                              ;   in Loop: Header=BB75_21 Depth=1
	s_and_b32 vcc_lo, exec_lo, s72
	s_cbranch_vccz .LBB75_46
.LBB75_36:                              ;   in Loop: Header=BB75_21 Depth=1
	v_mov_b32_e32 v1, 0
	s_and_saveexec_b32 s7, s0
	s_cbranch_execz .LBB75_38
; %bb.37:                               ;   in Loop: Header=BB75_21 Depth=1
	global_load_u8 v1, v[6:7], off
.LBB75_38:                              ;   in Loop: Header=BB75_21 Depth=1
	s_or_b32 exec_lo, exec_lo, s7
	s_and_saveexec_b32 s8, s0
	s_cbranch_execz .LBB75_43
; %bb.39:                               ;   in Loop: Header=BB75_21 Depth=1
	global_load_u16 v2, v21, s[42:43]
	v_mov_b32_e32 v23, v0
	s_mov_b32 s9, 0
	s_waitcnt vmcnt(0)
	v_add_nc_u32_e32 v3, v0, v2
	v_mul_lo_u32 v4, s30, v2
	s_delay_alu instid0(VALU_DEP_2)
	v_mul_lo_u32 v3, s30, v3
	s_branch .LBB75_41
	.p2align	6
.LBB75_40:                              ;   in Loop: Header=BB75_41 Depth=2
	s_or_b32 exec_lo, exec_lo, s10
	ds_store_b8 v23, v1
	v_add_nc_u32_e32 v3, v3, v4
	s_waitcnt vmcnt(0)
	v_mov_b32_e32 v1, v25
	v_mov_b32_e32 v23, v24
	s_and_b32 s7, exec_lo, vcc_lo
	s_delay_alu instid0(SALU_CYCLE_1) | instskip(NEXT) | instid1(SALU_CYCLE_1)
	s_or_b32 s9, s7, s9
	s_and_not1_b32 exec_lo, exec_lo, s9
	s_cbranch_execz .LBB75_43
.LBB75_41:                              ;   Parent Loop BB75_21 Depth=1
                                        ; =>  This Inner Loop Header: Depth=2
	v_dual_mov_b32 v25, 0 :: v_dual_add_nc_u32 v24, v23, v2
	s_mov_b32 s10, exec_lo
	s_delay_alu instid0(VALU_DEP_1)
	v_cmp_le_u32_e32 vcc_lo, s28, v24
	v_cmpx_gt_u32_e64 s28, v24
	s_cbranch_execz .LBB75_40
; %bb.42:                               ;   in Loop: Header=BB75_41 Depth=2
	global_load_u8 v25, v3, s[38:39]
	s_branch .LBB75_40
.LBB75_43:                              ;   in Loop: Header=BB75_21 Depth=1
	s_or_b32 exec_lo, exec_lo, s8
	s_waitcnt vmcnt(0) lgkmcnt(0)
	s_barrier
	buffer_gl0_inv
	s_and_saveexec_b32 s7, s2
	s_cbranch_execz .LBB75_45
; %bb.44:                               ;   in Loop: Header=BB75_21 Depth=1
	v_mov_b32_e32 v1, s28
	ds_store_b32 v21, v1 offset:4104
.LBB75_45:                              ;   in Loop: Header=BB75_21 Depth=1
	s_or_b32 exec_lo, exec_lo, s7
	s_mov_b32 s7, -1
	s_waitcnt lgkmcnt(0)
	s_barrier
                                        ; implicit-def: $sgpr72
.LBB75_46:                              ;   in Loop: Header=BB75_21 Depth=1
	s_and_b32 vcc_lo, exec_lo, s7
	s_cbranch_vccz .LBB75_48
; %bb.47:                               ;   in Loop: Header=BB75_21 Depth=1
	buffer_gl0_inv
	ds_load_b32 v1, v21 offset:4104
	s_waitcnt lgkmcnt(0)
	v_readfirstlane_b32 s72, v1
.LBB75_48:                              ;   in Loop: Header=BB75_21 Depth=1
	s_delay_alu instid0(VALU_DEP_1)
	s_cmp_lt_i32 s72, 1
	s_cbranch_scc0 .LBB75_52
; %bb.49:                               ;   in Loop: Header=BB75_21 Depth=1
	v_dual_mov_b32 v1, 0 :: v_dual_mov_b32 v2, 0
	v_dual_mov_b32 v3, 0 :: v_dual_mov_b32 v4, 0
	s_mov_b32 s74, 0
	s_and_saveexec_b32 s73, s4
	s_cbranch_execnz .LBB75_53
; %bb.50:                               ;   in Loop: Header=BB75_21 Depth=1
	s_or_b32 exec_lo, exec_lo, s73
	v_mov_b32_e32 v26, 0
	s_and_saveexec_b32 s7, s5
	s_cbranch_execnz .LBB75_56
.LBB75_51:                              ;   in Loop: Header=BB75_21 Depth=1
	s_or_b32 exec_lo, exec_lo, s7
	s_and_saveexec_b32 s11, s5
	s_cbranch_execnz .LBB75_57
	s_branch .LBB75_62
.LBB75_52:                              ;   in Loop: Header=BB75_21 Depth=1
                                        ; implicit-def: $vgpr4
	s_cbranch_execnz .LBB75_63
	s_branch .LBB75_72
.LBB75_53:                              ;   in Loop: Header=BB75_21 Depth=1
	v_mov_b32_e32 v23, v12
	s_and_b32 s75, s57, 0xfe
	s_mov_b32 s76, 0
	s_mov_b32 s77, 0
	;; [unrolled: 1-line block ×5, first 2 shown]
.LBB75_54:                              ;   Parent Loop BB75_21 Depth=1
                                        ; =>  This Inner Loop Header: Depth=2
	v_add_nc_u32_e32 v1, s76, v18
	v_add_nc_u32_e32 v2, s76, v5
	;; [unrolled: 1-line block ×5, first 2 shown]
	s_clause 0x3
	global_load_u8 v1, v1, s[38:39]
	global_load_u8 v2, v2, s[38:39]
	;; [unrolled: 1-line block ×4, first 2 shown]
	s_add_i32 s76, s76, s61
	v_cmp_le_u32_e32 vcc_lo, s59, v23
	s_waitcnt vmcnt(3)
	v_and_b32_e32 v24, s70, v1
	v_bfe_u32 v1, v1, s75, 2
	s_waitcnt vmcnt(2)
	v_and_b32_e32 v25, s70, v2
	v_bfe_u32 v2, v2, s75, 2
	s_waitcnt vmcnt(1)
	v_and_b32_e32 v26, s70, v3
	v_bfe_u32 v3, v3, s75, 2
	v_cmp_eq_u32_e64 s7, s69, v24
	v_cmp_eq_u32_e64 s11, 0, v1
	s_waitcnt vmcnt(0)
	v_and_b32_e32 v27, s70, v4
	v_bfe_u32 v4, v4, s75, 2
	v_cmp_eq_u32_e64 s8, s69, v25
	v_cmp_eq_u32_e64 s12, 0, v2
	;; [unrolled: 1-line block ×4, first 2 shown]
	s_and_b32 s11, s7, s11
	v_cmp_eq_u32_e64 s10, s69, v27
	v_cmp_eq_u32_e64 s14, 0, v4
	;; [unrolled: 1-line block ×5, first 2 shown]
	v_cndmask_b32_e64 v1, 0, 1, s11
	s_and_b32 s11, s8, s12
	v_cmp_eq_u32_e64 s16, 1, v2
	v_cmp_eq_u32_e64 s20, 2, v2
	v_cmp_eq_u32_e64 s24, 3, v2
	v_cndmask_b32_e64 v2, 0, 1, s11
	s_and_b32 s11, s9, s13
	v_cmp_eq_u32_e64 s17, 1, v3
	v_cmp_eq_u32_e64 s21, 2, v3
	v_cmp_eq_u32_e64 s25, 3, v3
	;; [unrolled: 5-line block ×3, first 2 shown]
	v_cndmask_b32_e64 v4, 0, 1, s11
	s_and_b32 s11, s7, s15
	s_delay_alu instid0(SALU_CYCLE_1) | instskip(SKIP_1) | instid1(SALU_CYCLE_1)
	v_cndmask_b32_e64 v24, 0, 1, s11
	s_and_b32 s11, s8, s16
	v_cndmask_b32_e64 v25, 0, 1, s11
	s_and_b32 s11, s9, s17
	s_delay_alu instid0(SALU_CYCLE_1) | instskip(SKIP_1) | instid1(VALU_DEP_2)
	v_cndmask_b32_e64 v26, 0, 1, s11
	s_and_b32 s11, s10, s18
	v_cmp_ne_u32_e64 s12, 0, v25
	v_cndmask_b32_e64 v27, 0, 1, s11
	s_and_b32 s11, s7, s19
	s_and_b32 s7, s7, s23
	v_cndmask_b32_e64 v28, 0, 1, s11
	s_and_b32 s11, s8, s20
	v_cndmask_b32_e64 v32, 0, 1, s7
	;; [unrolled: 2-line block ×7, first 2 shown]
	v_cndmask_b32_e64 v35, 0, 1, s7
	v_cmp_ne_u32_e64 s7, 0, v1
	v_cmp_ne_u32_e64 s11, 0, v24
	;; [unrolled: 1-line block ×11, first 2 shown]
	s_bcnt1_i32_b32 s7, s7
	s_bcnt1_i32_b32 s11, s11
	;; [unrolled: 1-line block ×4, first 2 shown]
	v_cmp_ne_u32_e64 s10, 0, v4
	v_cmp_ne_u32_e64 s14, 0, v27
	;; [unrolled: 1-line block ×4, first 2 shown]
	s_bcnt1_i32_b32 s8, s8
	s_bcnt1_i32_b32 s12, s12
	s_bcnt1_i32_b32 s16, s16
	s_bcnt1_i32_b32 s20, s20
	s_add_i32 s7, s7, s80
	s_add_i32 s11, s11, s79
	s_add_i32 s15, s15, s78
	s_add_i32 s19, s19, s77
	s_bcnt1_i32_b32 s9, s9
	s_bcnt1_i32_b32 s13, s13
	s_bcnt1_i32_b32 s17, s17
	s_bcnt1_i32_b32 s21, s21
	s_add_i32 s7, s7, s8
	s_add_i32 s8, s11, s12
	s_add_i32 s11, s15, s16
	s_add_i32 s12, s19, s20
	;; [unrolled: 8-line block ×3, first 2 shown]
	s_add_i32 s80, s7, s10
	s_add_i32 s79, s8, s14
	;; [unrolled: 1-line block ×4, first 2 shown]
	v_mov_b32_e32 v3, s78
	v_dual_mov_b32 v1, s80 :: v_dual_mov_b32 v2, s79
	v_mov_b32_e32 v4, s77
	s_or_b32 s74, vcc_lo, s74
	s_delay_alu instid0(SALU_CYCLE_1)
	s_and_not1_b32 exec_lo, exec_lo, s74
	s_cbranch_execnz .LBB75_54
; %bb.55:                               ;   in Loop: Header=BB75_21 Depth=1
	s_or_b32 exec_lo, exec_lo, s74
	s_delay_alu instid0(SALU_CYCLE_1)
	s_or_b32 exec_lo, exec_lo, s73
	v_mov_b32_e32 v26, 0
	s_and_saveexec_b32 s7, s5
	s_cbranch_execz .LBB75_51
.LBB75_56:                              ;   in Loop: Header=BB75_21 Depth=1
	global_load_u8 v26, v[8:9], off
	s_or_b32 exec_lo, exec_lo, s7
	s_and_saveexec_b32 s11, s5
	s_cbranch_execz .LBB75_62
.LBB75_57:                              ;   in Loop: Header=BB75_21 Depth=1
	v_mov_b32_e32 v23, v19
	v_mov_b32_e32 v24, v15
	s_and_b32 s13, s57, 0xfe
	s_mov_b32 s12, 0
	s_branch .LBB75_59
.LBB75_58:                              ;   in Loop: Header=BB75_59 Depth=2
	s_or_b32 exec_lo, exec_lo, s8
	s_waitcnt vmcnt(0)
	v_and_b32_e32 v26, 0xff, v26
	s_and_b32 s8, exec_lo, vcc_lo
	v_add_nc_u32_e32 v23, s48, v23
	s_or_b32 s12, s8, s12
	s_delay_alu instid0(VALU_DEP_2) | instskip(SKIP_1) | instid1(VALU_DEP_2)
	v_and_b32_e32 v27, s70, v26
	v_bfe_u32 v26, v26, s13, 2
	v_cmp_eq_u32_e32 vcc_lo, s69, v27
	s_delay_alu instid0(VALU_DEP_2) | instskip(SKIP_3) | instid1(VALU_DEP_4)
	v_cmp_eq_u32_e64 s7, 0, v26
	v_cmp_eq_u32_e64 s8, 1, v26
	;; [unrolled: 1-line block ×4, first 2 shown]
	s_and_b32 s7, vcc_lo, s7
	s_delay_alu instid0(SALU_CYCLE_1) | instskip(SKIP_1) | instid1(SALU_CYCLE_1)
	v_cndmask_b32_e64 v26, 0, 1, s7
	s_and_b32 s7, vcc_lo, s8
	v_cndmask_b32_e64 v27, 0, 1, s7
	s_and_b32 s7, vcc_lo, s9
	s_delay_alu instid0(SALU_CYCLE_1)
	v_cndmask_b32_e64 v28, 0, 1, s7
	s_and_b32 s7, vcc_lo, s10
	v_cmp_ne_u32_e32 vcc_lo, 0, v26
	v_mov_b32_e32 v26, v25
	v_cndmask_b32_e64 v29, 0, 1, s7
	v_cmp_ne_u32_e64 s7, 0, v27
	v_cmp_ne_u32_e64 s8, 0, v28
	s_bcnt1_i32_b32 s10, vcc_lo
	s_delay_alu instid0(VALU_DEP_3) | instskip(NEXT) | instid1(VALU_DEP_3)
	v_cmp_ne_u32_e64 s9, 0, v29
	s_bcnt1_i32_b32 s7, s7
	s_delay_alu instid0(VALU_DEP_2)
	s_bcnt1_i32_b32 s8, s8
	v_add_nc_u32_e32 v1, s10, v1
	v_add_nc_u32_e32 v2, s7, v2
	s_bcnt1_i32_b32 s9, s9
	v_add_nc_u32_e32 v3, s8, v3
	v_add_nc_u32_e32 v4, s9, v4
	s_and_not1_b32 exec_lo, exec_lo, s12
	s_cbranch_execz .LBB75_61
.LBB75_59:                              ;   Parent Loop BB75_21 Depth=1
                                        ; =>  This Inner Loop Header: Depth=2
	s_delay_alu instid0(VALU_DEP_1) | instskip(SKIP_1) | instid1(VALU_DEP_1)
	v_dual_mov_b32 v25, 0 :: v_dual_add_nc_u32 v24, s31, v24
	s_mov_b32 s8, exec_lo
	v_cmp_le_u32_e32 vcc_lo, s28, v24
	v_cmpx_gt_u32_e64 s28, v24
	s_cbranch_execz .LBB75_58
; %bb.60:                               ;   in Loop: Header=BB75_59 Depth=2
	global_load_u8 v25, v23, s[38:39]
	s_branch .LBB75_58
.LBB75_61:                              ;   in Loop: Header=BB75_21 Depth=1
	s_or_b32 exec_lo, exec_lo, s12
.LBB75_62:                              ;   in Loop: Header=BB75_21 Depth=1
	s_delay_alu instid0(SALU_CYCLE_1)
	s_or_b32 exec_lo, exec_lo, s11
	s_branch .LBB75_72
.LBB75_63:                              ;   in Loop: Header=BB75_21 Depth=1
	s_mul_hi_u32 s7, s72, s56
	v_dual_mov_b32 v1, 0 :: v_dual_mov_b32 v2, 0
	s_mul_i32 s7, s7, s46
	v_dual_mov_b32 v3, 0 :: v_dual_mov_b32 v4, 0
	s_sub_i32 s7, s72, s7
	s_mov_b32 s75, 0
	s_sub_i32 s8, s7, s46
	s_cmp_ge_u32 s7, s46
	s_mov_b32 s74, exec_lo
	s_cselect_b32 s7, s8, s7
	s_delay_alu instid0(SALU_CYCLE_1) | instskip(SKIP_2) | instid1(SALU_CYCLE_1)
	s_sub_i32 s8, s7, s46
	s_cmp_ge_u32 s7, s46
	s_cselect_b32 s7, s8, s7
	s_sub_i32 s73, s72, s7
	s_delay_alu instid0(SALU_CYCLE_1)
	v_cmpx_gt_u32_e64 s73, v12
	s_cbranch_execz .LBB75_67
; %bb.64:                               ;   in Loop: Header=BB75_21 Depth=1
	v_mov_b32_e32 v23, v12
	s_and_b32 s76, s57, 0xfe
	s_mov_b32 s77, 0
	s_mov_b32 s78, 0
	;; [unrolled: 1-line block ×4, first 2 shown]
.LBB75_65:                              ;   Parent Loop BB75_21 Depth=1
                                        ; =>  This Inner Loop Header: Depth=2
	ds_load_b32 v1, v23
	s_waitcnt lgkmcnt(0)
	v_and_b32_e32 v2, 0xff, v1
	v_bfe_u32 v3, v1, 8, 8
	v_bfe_u32 v4, v1, 16, 8
	v_lshrrev_b32_e32 v1, 24, v1
	s_delay_alu instid0(VALU_DEP_4)
	v_and_b32_e32 v24, s70, v2
	v_bfe_u32 v2, v2, s76, 2
	v_and_b32_e32 v25, s70, v3
	v_bfe_u32 v3, v3, s76, 2
	s_waitcnt vmcnt(0)
	v_and_b32_e32 v26, s70, v4
	v_bfe_u32 v4, v4, s76, 2
	v_cmp_eq_u32_e64 s7, s69, v24
	v_cmp_eq_u32_e64 s11, 0, v2
	v_and_b32_e32 v27, s70, v1
	v_bfe_u32 v1, v1, s76, 2
	v_cmp_eq_u32_e64 s8, s69, v25
	v_cmp_eq_u32_e64 s12, 0, v3
	;; [unrolled: 1-line block ×4, first 2 shown]
	s_and_b32 s11, s7, s11
	v_cmp_eq_u32_e64 s10, s69, v27
	v_cmp_eq_u32_e64 s14, 0, v1
	;; [unrolled: 1-line block ×5, first 2 shown]
	v_cndmask_b32_e64 v1, 0, 1, s11
	s_and_b32 s11, s8, s12
	v_cmp_eq_u32_e64 s15, 1, v2
	v_cmp_eq_u32_e64 s19, 2, v2
	v_cmp_eq_u32_e64 s23, 3, v2
	v_cndmask_b32_e64 v2, 0, 1, s11
	s_and_b32 s11, s9, s13
	v_cmp_eq_u32_e64 s16, 1, v3
	v_cmp_eq_u32_e64 s20, 2, v3
	v_cmp_eq_u32_e64 s24, 3, v3
	v_cndmask_b32_e64 v3, 0, 1, s11
	s_and_b32 s11, s10, s14
	v_cmp_eq_u32_e64 s17, 1, v4
	v_cmp_eq_u32_e64 s21, 2, v4
	v_cmp_eq_u32_e64 s25, 3, v4
	v_cndmask_b32_e64 v4, 0, 1, s11
	s_and_b32 s11, s7, s15
	s_delay_alu instid0(SALU_CYCLE_1) | instskip(SKIP_1) | instid1(SALU_CYCLE_1)
	v_cndmask_b32_e64 v24, 0, 1, s11
	s_and_b32 s11, s8, s16
	v_cndmask_b32_e64 v25, 0, 1, s11
	s_and_b32 s11, s9, s17
	s_delay_alu instid0(SALU_CYCLE_1) | instskip(SKIP_1) | instid1(VALU_DEP_2)
	v_cndmask_b32_e64 v26, 0, 1, s11
	s_and_b32 s11, s10, s18
	v_cmp_ne_u32_e64 s12, 0, v25
	v_cndmask_b32_e64 v27, 0, 1, s11
	s_and_b32 s11, s7, s19
	s_and_b32 s7, s7, s23
	v_cndmask_b32_e64 v28, 0, 1, s11
	s_and_b32 s11, s8, s20
	v_cndmask_b32_e64 v32, 0, 1, s7
	;; [unrolled: 2-line block ×7, first 2 shown]
	v_cndmask_b32_e64 v35, 0, 1, s7
	v_cmp_ne_u32_e64 s7, 0, v1
	v_cmp_ne_u32_e64 s11, 0, v24
	;; [unrolled: 1-line block ×6, first 2 shown]
	s_bcnt1_i32_b32 s7, s7
	s_bcnt1_i32_b32 s11, s11
	v_cmp_ne_u32_e64 s14, 0, v27
	v_cmp_ne_u32_e64 s16, 0, v29
	;; [unrolled: 1-line block ×3, first 2 shown]
	s_bcnt1_i32_b32 s8, s8
	s_bcnt1_i32_b32 s12, s12
	s_add_i32 s7, s7, s80
	s_add_i32 s11, s11, s79
	v_cmp_ne_u32_e64 s9, 0, v3
	v_cmp_ne_u32_e64 s17, 0, v30
	v_cmp_ne_u32_e64 s21, 0, v34
	s_bcnt1_i32_b32 s13, s13
	s_add_i32 s7, s7, s8
	s_add_i32 s8, s11, s12
	s_bcnt1_i32_b32 s15, s15
	s_bcnt1_i32_b32 s19, s19
	v_cmp_ne_u32_e64 s10, 0, v4
	v_cmp_ne_u32_e64 s18, 0, v31
	;; [unrolled: 1-line block ×3, first 2 shown]
	s_bcnt1_i32_b32 s14, s14
	s_add_i32 s8, s8, s13
	s_bcnt1_i32_b32 s16, s16
	s_bcnt1_i32_b32 s20, s20
	s_add_i32 s15, s15, s78
	s_add_i32 s19, s19, s77
	;; [unrolled: 1-line block ×3, first 2 shown]
	s_delay_alu instid0(SALU_CYCLE_1)
	v_dual_mov_b32 v2, s79 :: v_dual_add_nc_u32 v23, s46, v23
	s_bcnt1_i32_b32 s9, s9
	s_bcnt1_i32_b32 s17, s17
	;; [unrolled: 1-line block ×3, first 2 shown]
	s_add_i32 s11, s15, s16
	s_add_i32 s12, s19, s20
	s_bcnt1_i32_b32 s10, s10
	s_bcnt1_i32_b32 s18, s18
	;; [unrolled: 1-line block ×3, first 2 shown]
	s_add_i32 s7, s7, s9
	s_add_i32 s9, s11, s17
	;; [unrolled: 1-line block ×3, first 2 shown]
	v_cmp_le_u32_e32 vcc_lo, s73, v23
	s_add_i32 s80, s7, s10
	s_add_i32 s78, s9, s18
	;; [unrolled: 1-line block ×3, first 2 shown]
	v_mov_b32_e32 v1, s80
	v_dual_mov_b32 v3, s78 :: v_dual_mov_b32 v4, s77
	s_or_b32 s75, vcc_lo, s75
	s_delay_alu instid0(SALU_CYCLE_1)
	s_and_not1_b32 exec_lo, exec_lo, s75
	s_cbranch_execnz .LBB75_65
; %bb.66:                               ;   in Loop: Header=BB75_21 Depth=1
	s_or_b32 exec_lo, exec_lo, s75
.LBB75_67:                              ;   in Loop: Header=BB75_21 Depth=1
	s_delay_alu instid0(SALU_CYCLE_1) | instskip(SKIP_2) | instid1(VALU_DEP_1)
	s_or_b32 exec_lo, exec_lo, s74
	v_add_nc_u32_e32 v23, s73, v0
	s_mov_b32 s12, exec_lo
	v_cmpx_gt_u32_e64 s72, v23
	s_cbranch_execz .LBB75_71
; %bb.68:                               ;   in Loop: Header=BB75_21 Depth=1
	s_and_b32 s14, s57, 0xfe
	s_mov_b32 s13, 0
	s_set_inst_prefetch_distance 0x1
	.p2align	6
.LBB75_69:                              ;   Parent Loop BB75_21 Depth=1
                                        ; =>  This Inner Loop Header: Depth=2
	ds_load_u8 v24, v23
	v_add_nc_u32_e32 v23, s31, v23
	s_delay_alu instid0(VALU_DEP_1) | instskip(SKIP_3) | instid1(VALU_DEP_2)
	v_cmp_le_u32_e32 vcc_lo, s72, v23
	s_waitcnt lgkmcnt(0)
	v_and_b32_e32 v25, s70, v24
	v_bfe_u32 v24, v24, s14, 2
	v_cmp_eq_u32_e64 s7, s69, v25
	s_delay_alu instid0(VALU_DEP_2) | instskip(SKIP_3) | instid1(VALU_DEP_4)
	v_cmp_eq_u32_e64 s8, 0, v24
	v_cmp_eq_u32_e64 s9, 1, v24
	;; [unrolled: 1-line block ×4, first 2 shown]
	s_and_b32 s8, s7, s8
	s_delay_alu instid0(SALU_CYCLE_1) | instskip(SKIP_1) | instid1(SALU_CYCLE_1)
	v_cndmask_b32_e64 v24, 0, 1, s8
	s_and_b32 s8, s7, s9
	v_cndmask_b32_e64 v25, 0, 1, s8
	s_and_b32 s8, s7, s10
	s_and_b32 s7, s7, s11
	s_waitcnt vmcnt(0)
	v_cndmask_b32_e64 v26, 0, 1, s8
	v_cndmask_b32_e64 v27, 0, 1, s7
	v_cmp_ne_u32_e64 s7, 0, v24
	v_cmp_ne_u32_e64 s8, 0, v25
	s_delay_alu instid0(VALU_DEP_4) | instskip(NEXT) | instid1(VALU_DEP_4)
	v_cmp_ne_u32_e64 s9, 0, v26
	v_cmp_ne_u32_e64 s10, 0, v27
	s_delay_alu instid0(VALU_DEP_4) | instskip(NEXT) | instid1(VALU_DEP_3)
	s_bcnt1_i32_b32 s7, s7
	s_bcnt1_i32_b32 s8, s8
	v_add_nc_u32_e32 v1, s7, v1
	s_bcnt1_i32_b32 s9, s9
	s_bcnt1_i32_b32 s10, s10
	v_add_nc_u32_e32 v2, s8, v2
	v_add_nc_u32_e32 v3, s9, v3
	;; [unrolled: 1-line block ×3, first 2 shown]
	s_or_b32 s13, vcc_lo, s13
	s_delay_alu instid0(SALU_CYCLE_1)
	s_and_not1_b32 exec_lo, exec_lo, s13
	s_cbranch_execnz .LBB75_69
; %bb.70:                               ;   in Loop: Header=BB75_21 Depth=1
	s_set_inst_prefetch_distance 0x2
	s_or_b32 exec_lo, exec_lo, s13
.LBB75_71:                              ;   in Loop: Header=BB75_21 Depth=1
	s_delay_alu instid0(SALU_CYCLE_1)
	s_or_b32 exec_lo, exec_lo, s12
.LBB75_72:                              ;   in Loop: Header=BB75_21 Depth=1
	s_lshl_b32 s7, s67, 7
	s_and_saveexec_b32 s8, s3
	s_cbranch_execz .LBB75_74
; %bb.73:                               ;   in Loop: Header=BB75_21 Depth=1
	v_or_b32_e32 v23, s7, v13
	s_delay_alu instid0(VALU_DEP_1)
	v_lshlrev_b32_e32 v23, 2, v23
	ds_store_b128 v23, v[1:4] offset:3072
.LBB75_74:                              ;   in Loop: Header=BB75_21 Depth=1
	s_or_b32 exec_lo, exec_lo, s8
	s_waitcnt vmcnt(0) lgkmcnt(0)
	s_barrier
	buffer_gl0_inv
	s_and_saveexec_b32 s8, s47
	s_cbranch_execz .LBB75_84
; %bb.75:                               ;   in Loop: Header=BB75_21 Depth=1
	v_mov_b32_e32 v1, 0
	s_and_not1_b32 vcc_lo, exec_lo, s51
	s_cbranch_vccnz .LBB75_83
; %bb.76:                               ;   in Loop: Header=BB75_21 Depth=1
	v_mov_b32_e32 v1, 0
	s_and_not1_b32 vcc_lo, exec_lo, s53
	s_mov_b32 s9, 0
	s_cbranch_vccnz .LBB75_80
; %bb.77:                               ;   in Loop: Header=BB75_21 Depth=1
	v_lshl_add_u32 v2, s67, 9, v20
	v_mov_b32_e32 v1, 0
	.p2align	6
.LBB75_78:                              ;   Parent Loop BB75_21 Depth=1
                                        ; =>  This Inner Loop Header: Depth=2
	ds_load_2addr_b32 v[3:4], v2 offset1:4
	ds_load_2addr_b32 v[23:24], v2 offset0:8 offset1:12
	ds_load_2addr_b32 v[25:26], v2 offset0:16 offset1:20
	;; [unrolled: 1-line block ×3, first 2 shown]
	v_add_nc_u32_e32 v2, 0x80, v2
	s_add_i32 s9, s9, 8
	s_delay_alu instid0(SALU_CYCLE_1) | instskip(SKIP_3) | instid1(VALU_DEP_1)
	s_cmp_eq_u32 s54, s9
	s_waitcnt lgkmcnt(3)
	v_add3_u32 v1, v3, v1, v4
	s_waitcnt lgkmcnt(2)
	v_add3_u32 v1, v23, v1, v24
	s_waitcnt lgkmcnt(1)
	s_delay_alu instid0(VALU_DEP_1) | instskip(SKIP_1) | instid1(VALU_DEP_1)
	v_add3_u32 v1, v25, v1, v26
	s_waitcnt lgkmcnt(0)
	v_add3_u32 v1, v27, v1, v28
	s_cbranch_scc0 .LBB75_78
; %bb.79:                               ;   in Loop: Header=BB75_21 Depth=1
	s_mov_b32 s9, s54
.LBB75_80:                              ;   in Loop: Header=BB75_21 Depth=1
	s_and_not1_b32 vcc_lo, exec_lo, s55
	s_cbranch_vccnz .LBB75_83
; %bb.81:                               ;   in Loop: Header=BB75_21 Depth=1
	s_lshl_b32 s10, s67, 9
	s_lshl_b32 s9, s9, 4
	s_delay_alu instid0(SALU_CYCLE_1)
	v_add3_u32 v2, s10, s9, v20
	s_mov_b32 s9, s52
.LBB75_82:                              ;   Parent Loop BB75_21 Depth=1
                                        ; =>  This Inner Loop Header: Depth=2
	ds_load_b32 v3, v2
	v_add_nc_u32_e32 v2, 16, v2
	s_add_i32 s9, s9, -1
	s_delay_alu instid0(SALU_CYCLE_1)
	s_cmp_lg_u32 s9, 0
	s_waitcnt lgkmcnt(0)
	v_add_nc_u32_e32 v1, v3, v1
	s_cbranch_scc1 .LBB75_82
.LBB75_83:                              ;   in Loop: Header=BB75_21 Depth=1
	v_add_lshl_u32 v2, s7, v11, 2
	ds_store_b32 v2, v1 offset:3072
.LBB75_84:                              ;   in Loop: Header=BB75_21 Depth=1
	s_or_b32 exec_lo, exec_lo, s8
	s_lshl_b32 s7, s7, 2
	s_waitcnt lgkmcnt(0)
	v_mov_b32_e32 v1, s7
	s_barrier
	buffer_gl0_inv
	s_and_b32 s16, s57, 0xfe
	s_mov_b32 s12, -1
	ds_load_b128 v[1:4], v1 offset:3072
	s_lshl_b32 s10, 3, s16
	s_delay_alu instid0(SALU_CYCLE_1) | instskip(SKIP_4) | instid1(VALU_DEP_3)
	s_not_b32 s17, s10
	s_waitcnt lgkmcnt(0)
	v_readfirstlane_b32 s11, v1
	v_readfirstlane_b32 s19, v2
	;; [unrolled: 1-line block ×3, first 2 shown]
	s_cmp_eq_u32 s11, 1
	s_cselect_b32 s7, -1, 0
	s_cmp_eq_u32 s71, 1
	s_cselect_b32 s8, -1, 0
	s_delay_alu instid0(SALU_CYCLE_1)
	s_and_b32 s13, s7, s8
	v_readfirstlane_b32 s8, v4
	s_and_b32 vcc_lo, exec_lo, s13
	s_cbranch_vccz .LBB75_95
; %bb.85:                               ;   in Loop: Header=BB75_21 Depth=1
	ds_load_b32 v1, v21 offset:4104
	s_waitcnt lgkmcnt(0)
	s_barrier
	buffer_gl0_inv
	v_readfirstlane_b32 s9, v1
	s_and_saveexec_b32 s7, s1
	s_cbranch_execz .LBB75_87
; %bb.86:                               ;   in Loop: Header=BB75_21 Depth=1
	ds_store_b8 v0, v21 offset:3072
.LBB75_87:                              ;   in Loop: Header=BB75_21 Depth=1
	s_or_b32 exec_lo, exec_lo, s7
	s_and_b32 s69, s69, s17
	s_or_b32 s70, s70, s10
	s_cmp_eq_u32 s9, 0
	s_waitcnt lgkmcnt(0)
	s_barrier
	buffer_gl0_inv
	s_cbranch_scc1 .LBB75_96
; %bb.88:                               ;   in Loop: Header=BB75_21 Depth=1
	s_add_i32 s7, s9, s49
                                        ; implicit-def: $vgpr22
	s_delay_alu instid0(SALU_CYCLE_1) | instskip(NEXT) | instid1(SALU_CYCLE_1)
	s_mul_hi_u32 s14, s7, s58
	s_mul_i32 s14, s14, s31
	s_delay_alu instid0(SALU_CYCLE_1) | instskip(NEXT) | instid1(SALU_CYCLE_1)
	s_sub_i32 s14, s7, s14
	s_sub_i32 s18, s14, s31
	s_cmp_ge_u32 s14, s31
	s_cselect_b32 s14, s18, s14
	s_delay_alu instid0(SALU_CYCLE_1) | instskip(SKIP_2) | instid1(SALU_CYCLE_1)
	s_sub_i32 s18, s14, s31
	s_cmp_ge_u32 s14, s31
	s_cselect_b32 s14, s18, s14
	s_sub_i32 s18, s7, s14
	s_mov_b32 s7, 0
	s_mov_b32 s14, exec_lo
	v_cmpx_gt_u32_e64 s18, v0
	s_cbranch_execz .LBB75_98
; %bb.89:                               ;   in Loop: Header=BB75_21 Depth=1
	v_mov_b32_e32 v1, v0
	s_mov_b32 s20, 0
                                        ; implicit-def: $sgpr21
	s_set_inst_prefetch_distance 0x1
	s_branch .LBB75_91
	.p2align	6
.LBB75_90:                              ;   in Loop: Header=BB75_91 Depth=2
	s_or_b32 exec_lo, exec_lo, s7
	s_waitcnt lgkmcnt(0)
	s_barrier
	buffer_gl0_inv
	ds_load_u16 v2, v21 offset:3072
	v_add_nc_u32_e32 v1, s31, v1
	s_waitcnt lgkmcnt(0)
	s_barrier
	buffer_gl0_inv
	v_cmp_le_u32_e32 vcc_lo, s18, v1
	v_and_b32_e32 v3, 0xff, v2
	s_delay_alu instid0(VALU_DEP_1) | instskip(NEXT) | instid1(VALU_DEP_1)
	v_cmp_ne_u16_e64 s7, 0, v3
	s_or_b32 s22, vcc_lo, s7
	s_delay_alu instid0(SALU_CYCLE_1) | instskip(NEXT) | instid1(SALU_CYCLE_1)
	s_and_b32 s22, exec_lo, s22
	s_or_b32 s20, s22, s20
	s_and_not1_b32 s21, s21, exec_lo
	s_and_b32 s7, s7, exec_lo
	s_delay_alu instid0(SALU_CYCLE_1)
	s_or_b32 s21, s21, s7
	s_and_not1_b32 exec_lo, exec_lo, s20
	s_cbranch_execz .LBB75_97
.LBB75_91:                              ;   Parent Loop BB75_21 Depth=1
                                        ; =>  This Inner Loop Header: Depth=2
	s_delay_alu instid0(VALU_DEP_1)
	v_cmp_gt_u32_e32 vcc_lo, s9, v1
	v_mov_b32_e32 v2, 0
	s_and_saveexec_b32 s7, vcc_lo
	s_cbranch_execz .LBB75_93
; %bb.92:                               ;   in Loop: Header=BB75_91 Depth=2
	ds_load_u8 v2, v1
.LBB75_93:                              ;   in Loop: Header=BB75_91 Depth=2
	s_or_b32 exec_lo, exec_lo, s7
	s_waitcnt lgkmcnt(0)
	v_and_b32_e32 v3, s70, v2
	s_delay_alu instid0(VALU_DEP_1) | instskip(NEXT) | instid1(VALU_DEP_1)
	v_and_b32_e32 v3, 0xff, v3
	v_cmp_eq_u32_e64 s7, s69, v3
	s_delay_alu instid0(VALU_DEP_1) | instskip(NEXT) | instid1(SALU_CYCLE_1)
	s_and_b32 s22, vcc_lo, s7
	s_and_saveexec_b32 s7, s22
	s_cbranch_execz .LBB75_90
; %bb.94:                               ;   in Loop: Header=BB75_91 Depth=2
	v_lshlrev_b16 v2, 8, v2
	s_delay_alu instid0(VALU_DEP_1)
	v_or_b32_e32 v2, 1, v2
	ds_store_b16 v21, v2 offset:3072
	s_branch .LBB75_90
.LBB75_95:                              ;   in Loop: Header=BB75_21 Depth=1
	s_mov_b32 s7, -1
                                        ; implicit-def: $sgpr9
                                        ; implicit-def: $sgpr18
                                        ; implicit-def: $sgpr14
	s_branch .LBB75_108
.LBB75_96:                              ;   in Loop: Header=BB75_21 Depth=1
	s_mov_b32 s9, -1
	s_mov_b32 s7, 0
                                        ; implicit-def: $sgpr14
                                        ; implicit-def: $vgpr22
	s_mov_b32 s18, s9
	s_cbranch_execnz .LBB75_99
	s_branch .LBB75_108
.LBB75_97:                              ;   in Loop: Header=BB75_21 Depth=1
	s_set_inst_prefetch_distance 0x2
	s_or_b32 exec_lo, exec_lo, s20
	v_lshrrev_b16 v22, 8, v2
	s_and_b32 s7, s21, exec_lo
.LBB75_98:                              ;   in Loop: Header=BB75_21 Depth=1
	s_or_b32 exec_lo, exec_lo, s14
	s_mov_b32 s14, -1
	s_mov_b32 s9, 0
	s_delay_alu instid0(SALU_CYCLE_1)
	s_mov_b32 s18, s9
	s_branch .LBB75_108
.LBB75_99:                              ;   in Loop: Header=BB75_21 Depth=1
	s_mov_b32 s7, 0
                                        ; implicit-def: $vgpr22
	s_and_saveexec_b32 s9, s6
	s_cbranch_execz .LBB75_107
; %bb.100:                              ;   in Loop: Header=BB75_21 Depth=1
	v_dual_mov_b32 v1, v10 :: v_dual_mov_b32 v2, v0
	s_mov_b32 s14, 0
                                        ; implicit-def: $sgpr18
	s_set_inst_prefetch_distance 0x1
	s_branch .LBB75_102
	.p2align	6
.LBB75_101:                             ;   in Loop: Header=BB75_102 Depth=2
	s_or_b32 exec_lo, exec_lo, s7
	s_waitcnt lgkmcnt(0)
	s_barrier
	buffer_gl0_inv
	ds_load_u16 v3, v21 offset:3072
	v_add_nc_u32_e32 v2, s31, v2
	v_add_nc_u32_e32 v1, s48, v1
	s_waitcnt lgkmcnt(0)
	s_barrier
	buffer_gl0_inv
	v_cmp_le_u32_e32 vcc_lo, s60, v2
	v_and_b32_e32 v4, 0xff, v3
	s_delay_alu instid0(VALU_DEP_1) | instskip(NEXT) | instid1(VALU_DEP_1)
	v_cmp_ne_u16_e64 s7, 0, v4
	s_or_b32 s20, vcc_lo, s7
	s_delay_alu instid0(SALU_CYCLE_1) | instskip(NEXT) | instid1(SALU_CYCLE_1)
	s_and_b32 s20, exec_lo, s20
	s_or_b32 s14, s20, s14
	s_and_not1_b32 s18, s18, exec_lo
	s_and_b32 s7, s7, exec_lo
	s_delay_alu instid0(SALU_CYCLE_1)
	s_or_b32 s18, s18, s7
	s_and_not1_b32 exec_lo, exec_lo, s14
	s_cbranch_execz .LBB75_106
.LBB75_102:                             ;   Parent Loop BB75_21 Depth=1
                                        ; =>  This Inner Loop Header: Depth=2
	s_delay_alu instid0(VALU_DEP_1)
	v_cmp_gt_u32_e32 vcc_lo, s28, v2
	v_mov_b32_e32 v3, 0
	s_and_saveexec_b32 s7, vcc_lo
	s_cbranch_execz .LBB75_104
; %bb.103:                              ;   in Loop: Header=BB75_102 Depth=2
	global_load_u8 v3, v1, s[38:39]
.LBB75_104:                             ;   in Loop: Header=BB75_102 Depth=2
	s_or_b32 exec_lo, exec_lo, s7
	s_waitcnt vmcnt(0)
	v_and_b32_e32 v4, s70, v3
	s_delay_alu instid0(VALU_DEP_1) | instskip(NEXT) | instid1(VALU_DEP_1)
	v_and_b32_e32 v4, 0xff, v4
	v_cmp_eq_u32_e64 s7, s69, v4
	s_delay_alu instid0(VALU_DEP_1) | instskip(NEXT) | instid1(SALU_CYCLE_1)
	s_and_b32 s20, vcc_lo, s7
	s_and_saveexec_b32 s7, s20
	s_cbranch_execz .LBB75_101
; %bb.105:                              ;   in Loop: Header=BB75_102 Depth=2
	v_lshlrev_b16 v3, 8, v3
	s_delay_alu instid0(VALU_DEP_1)
	v_or_b32_e32 v3, 1, v3
	ds_store_b16 v21, v3 offset:3072
	s_branch .LBB75_101
.LBB75_106:                             ;   in Loop: Header=BB75_21 Depth=1
	s_set_inst_prefetch_distance 0x2
	s_or_b32 exec_lo, exec_lo, s14
	v_lshrrev_b16 v22, 8, v3
	s_and_b32 s7, s18, exec_lo
.LBB75_107:                             ;   in Loop: Header=BB75_21 Depth=1
	s_or_b32 exec_lo, exec_lo, s9
	s_mov_b32 s18, -1
	s_mov_b32 s9, 0
	s_mov_b32 s14, 0
.LBB75_108:                             ;   in Loop: Header=BB75_21 Depth=1
	s_and_not1_b32 s20, s65, exec_lo
	s_and_b32 s9, s9, exec_lo
	s_and_b32 s18, s18, exec_lo
	s_or_b32 s65, s20, s9
	s_and_not1_b32 s9, s68, exec_lo
	s_and_not1_b32 s20, s66, exec_lo
	s_and_b32 s14, s14, exec_lo
	s_or_b32 s68, s9, s18
	s_or_b32 s66, s20, s14
	s_and_saveexec_b32 s9, s7
	s_cbranch_execz .LBB75_20
; %bb.109:                              ;   in Loop: Header=BB75_21 Depth=1
	s_xor_b32 s7, s13, -1
	s_mov_b32 s12, 0
	s_and_not1_b32 vcc_lo, exec_lo, s7
	s_mov_b32 s20, 1
	s_cbranch_vccnz .LBB75_120
; %bb.110:                              ;   in Loop: Header=BB75_21 Depth=1
	s_cmp_gt_u32 s71, s11
	s_mov_b32 s12, -1
                                        ; implicit-def: $sgpr7
                                        ; implicit-def: $sgpr13
                                        ; implicit-def: $sgpr14
	s_cbranch_scc1 .LBB75_116
; %bb.111:                              ;   in Loop: Header=BB75_21 Depth=1
	ds_load_b32 v1, v21 offset:4104
	s_waitcnt lgkmcnt(0)
	v_cmp_ne_u32_e32 vcc_lo, 0, v1
	s_cbranch_vccnz .LBB75_115
; %bb.112:                              ;   in Loop: Header=BB75_21 Depth=1
	s_and_saveexec_b32 s7, s2
	s_cbranch_execz .LBB75_114
; %bb.113:                              ;   in Loop: Header=BB75_21 Depth=1
	v_mov_b32_e32 v1, s11
	ds_store_b32 v21, v1 offset:4108
.LBB75_114:                             ;   in Loop: Header=BB75_21 Depth=1
	s_or_b32 exec_lo, exec_lo, s7
	s_waitcnt lgkmcnt(0)
	s_barrier
	buffer_gl0_inv
.LBB75_115:                             ;   in Loop: Header=BB75_21 Depth=1
	s_and_b32 s13, s69, s17
	s_or_b32 s14, s70, s10
	s_mov_b32 s12, 0
	s_mov_b32 s7, 8
.LBB75_116:                             ;   in Loop: Header=BB75_21 Depth=1
	s_and_not1_b32 vcc_lo, exec_lo, s12
	s_cbranch_vccnz .LBB75_118
; %bb.117:                              ;   in Loop: Header=BB75_21 Depth=1
	s_sub_i32 s71, s71, s11
	s_mov_b32 s12, -1
	s_mov_b32 s7, 0
	s_mov_b32 s13, s69
	;; [unrolled: 1-line block ×3, first 2 shown]
.LBB75_118:                             ;   in Loop: Header=BB75_21 Depth=1
	s_delay_alu instid0(SALU_CYCLE_1)
	s_mov_b32 s70, s14
	s_mov_b32 s69, s13
	;; [unrolled: 1-line block ×3, first 2 shown]
	s_and_b32 vcc_lo, exec_lo, s12
	s_mov_b32 s11, -1
	s_cbranch_vccnz .LBB75_121
.LBB75_119:                             ;   in Loop: Header=BB75_21 Depth=1
	s_mov_b32 s23, -1
                                        ; implicit-def: $sgpr12
                                        ; implicit-def: $sgpr14
                                        ; implicit-def: $sgpr13
                                        ; implicit-def: $sgpr71
	s_delay_alu instid0(SALU_CYCLE_1) | instskip(NEXT) | instid1(SALU_CYCLE_1)
	s_and_saveexec_b32 s8, s23
	s_xor_b32 s8, exec_lo, s8
	s_cbranch_execz .LBB75_19
	s_branch .LBB75_241
.LBB75_120:                             ;   in Loop: Header=BB75_21 Depth=1
	s_mov_b32 s7, 1
	s_and_b32 vcc_lo, exec_lo, s12
	s_mov_b32 s11, -1
	s_cbranch_vccz .LBB75_119
.LBB75_121:                             ;   in Loop: Header=BB75_21 Depth=1
	s_cmp_eq_u32 s19, 1
	s_mov_b32 s22, -1
	s_cselect_b32 s7, -1, 0
	s_cmp_eq_u32 s20, 1
	s_cselect_b32 s12, -1, 0
	s_delay_alu instid0(SALU_CYCLE_1) | instskip(NEXT) | instid1(SALU_CYCLE_1)
	s_and_b32 s21, s7, s12
	s_and_b32 vcc_lo, exec_lo, s21
	s_cbranch_vccz .LBB75_132
; %bb.122:                              ;   in Loop: Header=BB75_21 Depth=1
	ds_load_b32 v1, v21 offset:4104
	s_waitcnt lgkmcnt(0)
	s_barrier
	buffer_gl0_inv
	v_readfirstlane_b32 s12, v1
	s_and_saveexec_b32 s7, s1
	s_cbranch_execz .LBB75_124
; %bb.123:                              ;   in Loop: Header=BB75_21 Depth=1
	ds_store_b8 v0, v21 offset:3072
.LBB75_124:                             ;   in Loop: Header=BB75_21 Depth=1
	s_or_b32 exec_lo, exec_lo, s7
	s_lshl_b32 s7, 1, s16
	s_and_b32 s13, s69, s17
	s_or_b32 s70, s70, s10
	s_or_b32 s69, s13, s7
	s_cmp_eq_u32 s12, 0
	s_waitcnt lgkmcnt(0)
	s_barrier
	buffer_gl0_inv
	s_cbranch_scc1 .LBB75_136
; %bb.125:                              ;   in Loop: Header=BB75_21 Depth=1
	s_add_i32 s7, s12, s49
	s_mov_b32 s22, 0
	s_mul_hi_u32 s13, s7, s58
                                        ; implicit-def: $vgpr22
	s_delay_alu instid0(SALU_CYCLE_1) | instskip(NEXT) | instid1(SALU_CYCLE_1)
	s_mul_i32 s13, s13, s31
	s_sub_i32 s13, s7, s13
	s_delay_alu instid0(SALU_CYCLE_1) | instskip(SKIP_2) | instid1(SALU_CYCLE_1)
	s_sub_i32 s14, s13, s31
	s_cmp_ge_u32 s13, s31
	s_cselect_b32 s13, s14, s13
	s_sub_i32 s14, s13, s31
	s_cmp_ge_u32 s13, s31
	s_cselect_b32 s13, s14, s13
	s_delay_alu instid0(SALU_CYCLE_1)
	s_sub_i32 s14, s7, s13
	s_mov_b32 s13, exec_lo
	v_cmpx_gt_u32_e64 s14, v0
	s_cbranch_execz .LBB75_138
; %bb.126:                              ;   in Loop: Header=BB75_21 Depth=1
	v_mov_b32_e32 v1, v0
	s_mov_b32 s18, 0
                                        ; implicit-def: $sgpr22
	s_set_inst_prefetch_distance 0x1
	s_branch .LBB75_128
	.p2align	6
.LBB75_127:                             ;   in Loop: Header=BB75_128 Depth=2
	s_or_b32 exec_lo, exec_lo, s7
	s_waitcnt lgkmcnt(0)
	s_barrier
	buffer_gl0_inv
	ds_load_u16 v2, v21 offset:3072
	v_add_nc_u32_e32 v1, s31, v1
	s_waitcnt lgkmcnt(0)
	s_barrier
	buffer_gl0_inv
	v_cmp_le_u32_e32 vcc_lo, s14, v1
	v_and_b32_e32 v3, 0xff, v2
	s_delay_alu instid0(VALU_DEP_1) | instskip(NEXT) | instid1(VALU_DEP_1)
	v_cmp_ne_u16_e64 s7, 0, v3
	s_or_b32 s23, vcc_lo, s7
	s_delay_alu instid0(SALU_CYCLE_1) | instskip(NEXT) | instid1(SALU_CYCLE_1)
	s_and_b32 s23, exec_lo, s23
	s_or_b32 s18, s23, s18
	s_and_not1_b32 s22, s22, exec_lo
	s_and_b32 s7, s7, exec_lo
	s_delay_alu instid0(SALU_CYCLE_1)
	s_or_b32 s22, s22, s7
	s_and_not1_b32 exec_lo, exec_lo, s18
	s_cbranch_execz .LBB75_137
.LBB75_128:                             ;   Parent Loop BB75_21 Depth=1
                                        ; =>  This Inner Loop Header: Depth=2
	s_delay_alu instid0(VALU_DEP_1)
	v_cmp_gt_u32_e32 vcc_lo, s12, v1
	v_mov_b32_e32 v2, 0
	s_and_saveexec_b32 s7, vcc_lo
	s_cbranch_execz .LBB75_130
; %bb.129:                              ;   in Loop: Header=BB75_128 Depth=2
	ds_load_u8 v2, v1
.LBB75_130:                             ;   in Loop: Header=BB75_128 Depth=2
	s_or_b32 exec_lo, exec_lo, s7
	s_waitcnt lgkmcnt(0)
	v_and_b32_e32 v3, s70, v2
	s_delay_alu instid0(VALU_DEP_1) | instskip(NEXT) | instid1(VALU_DEP_1)
	v_and_b32_e32 v3, 0xff, v3
	v_cmp_eq_u32_e64 s7, s69, v3
	s_delay_alu instid0(VALU_DEP_1) | instskip(NEXT) | instid1(SALU_CYCLE_1)
	s_and_b32 s23, vcc_lo, s7
	s_and_saveexec_b32 s7, s23
	s_cbranch_execz .LBB75_127
; %bb.131:                              ;   in Loop: Header=BB75_128 Depth=2
	v_lshlrev_b16 v2, 8, v2
	s_delay_alu instid0(VALU_DEP_1)
	v_or_b32_e32 v2, 1, v2
	ds_store_b16 v21, v2 offset:3072
	s_branch .LBB75_127
.LBB75_132:                             ;   in Loop: Header=BB75_21 Depth=1
                                        ; implicit-def: $sgpr13
                                        ; implicit-def: $sgpr14
                                        ; implicit-def: $sgpr12
	s_branch .LBB75_148
.LBB75_133:                             ;   in Loop: Header=BB75_21 Depth=1
	s_or_b32 exec_lo, exec_lo, s9
	s_waitcnt lgkmcnt(0)
	s_barrier
	buffer_gl0_inv
	s_and_saveexec_b32 s7, s2
	s_cbranch_execz .LBB75_135
; %bb.134:                              ;   in Loop: Header=BB75_21 Depth=1
	ds_load_b32 v1, v21 offset:4112
	s_waitcnt lgkmcnt(0)
	ds_store_b32 v21, v1 offset:4104
.LBB75_135:                             ;   in Loop: Header=BB75_21 Depth=1
	s_or_b32 exec_lo, exec_lo, s7
	s_waitcnt lgkmcnt(0)
	s_mov_b32 s7, -1
	s_barrier
	s_and_b32 vcc_lo, exec_lo, s72
	s_cbranch_vccnz .LBB75_36
	s_branch .LBB75_46
.LBB75_136:                             ;   in Loop: Header=BB75_21 Depth=1
	s_mov_b32 s13, -1
	s_mov_b32 s22, 0
                                        ; implicit-def: $sgpr12
                                        ; implicit-def: $vgpr22
	s_mov_b32 s14, s13
	s_cbranch_execnz .LBB75_139
	s_branch .LBB75_148
.LBB75_137:                             ;   in Loop: Header=BB75_21 Depth=1
	s_set_inst_prefetch_distance 0x2
	s_or_b32 exec_lo, exec_lo, s18
	v_lshrrev_b16 v22, 8, v2
	s_and_b32 s22, s22, exec_lo
.LBB75_138:                             ;   in Loop: Header=BB75_21 Depth=1
	s_or_b32 exec_lo, exec_lo, s13
	s_mov_b32 s12, -1
	s_mov_b32 s13, 0
	s_delay_alu instid0(SALU_CYCLE_1)
	s_mov_b32 s14, s13
	s_branch .LBB75_148
.LBB75_139:                             ;   in Loop: Header=BB75_21 Depth=1
	s_mov_b32 s22, 0
                                        ; implicit-def: $vgpr22
	s_and_saveexec_b32 s12, s6
	s_cbranch_execz .LBB75_147
; %bb.140:                              ;   in Loop: Header=BB75_21 Depth=1
	v_dual_mov_b32 v1, v10 :: v_dual_mov_b32 v2, v0
	s_mov_b32 s13, 0
                                        ; implicit-def: $sgpr14
	s_set_inst_prefetch_distance 0x1
	s_branch .LBB75_142
	.p2align	6
.LBB75_141:                             ;   in Loop: Header=BB75_142 Depth=2
	s_or_b32 exec_lo, exec_lo, s7
	s_waitcnt lgkmcnt(0)
	s_barrier
	buffer_gl0_inv
	ds_load_u16 v3, v21 offset:3072
	v_add_nc_u32_e32 v2, s31, v2
	v_add_nc_u32_e32 v1, s48, v1
	s_waitcnt lgkmcnt(0)
	s_barrier
	buffer_gl0_inv
	v_cmp_le_u32_e32 vcc_lo, s60, v2
	v_and_b32_e32 v4, 0xff, v3
	s_delay_alu instid0(VALU_DEP_1) | instskip(NEXT) | instid1(VALU_DEP_1)
	v_cmp_ne_u16_e64 s7, 0, v4
	s_or_b32 s18, vcc_lo, s7
	s_delay_alu instid0(SALU_CYCLE_1) | instskip(NEXT) | instid1(SALU_CYCLE_1)
	s_and_b32 s18, exec_lo, s18
	s_or_b32 s13, s18, s13
	s_and_not1_b32 s14, s14, exec_lo
	s_and_b32 s7, s7, exec_lo
	s_delay_alu instid0(SALU_CYCLE_1)
	s_or_b32 s14, s14, s7
	s_and_not1_b32 exec_lo, exec_lo, s13
	s_cbranch_execz .LBB75_146
.LBB75_142:                             ;   Parent Loop BB75_21 Depth=1
                                        ; =>  This Inner Loop Header: Depth=2
	s_delay_alu instid0(VALU_DEP_1)
	v_cmp_gt_u32_e32 vcc_lo, s28, v2
	v_mov_b32_e32 v3, 0
	s_and_saveexec_b32 s7, vcc_lo
	s_cbranch_execz .LBB75_144
; %bb.143:                              ;   in Loop: Header=BB75_142 Depth=2
	global_load_u8 v3, v1, s[38:39]
.LBB75_144:                             ;   in Loop: Header=BB75_142 Depth=2
	s_or_b32 exec_lo, exec_lo, s7
	s_waitcnt vmcnt(0)
	v_and_b32_e32 v4, s70, v3
	s_delay_alu instid0(VALU_DEP_1) | instskip(NEXT) | instid1(VALU_DEP_1)
	v_and_b32_e32 v4, 0xff, v4
	v_cmp_eq_u32_e64 s7, s69, v4
	s_delay_alu instid0(VALU_DEP_1) | instskip(NEXT) | instid1(SALU_CYCLE_1)
	s_and_b32 s18, vcc_lo, s7
	s_and_saveexec_b32 s7, s18
	s_cbranch_execz .LBB75_141
; %bb.145:                              ;   in Loop: Header=BB75_142 Depth=2
	v_lshlrev_b16 v3, 8, v3
	s_delay_alu instid0(VALU_DEP_1)
	v_or_b32_e32 v3, 1, v3
	ds_store_b16 v21, v3 offset:3072
	s_branch .LBB75_141
.LBB75_146:                             ;   in Loop: Header=BB75_21 Depth=1
	s_set_inst_prefetch_distance 0x2
	s_or_b32 exec_lo, exec_lo, s13
	v_lshrrev_b16 v22, 8, v3
	s_and_b32 s22, s14, exec_lo
.LBB75_147:                             ;   in Loop: Header=BB75_21 Depth=1
	s_or_b32 exec_lo, exec_lo, s12
	s_mov_b32 s14, -1
	s_mov_b32 s13, 0
	s_mov_b32 s12, 0
.LBB75_148:                             ;   in Loop: Header=BB75_21 Depth=1
	s_mov_b32 s23, 0
                                        ; implicit-def: $sgpr7
	s_and_saveexec_b32 s18, s22
	s_cbranch_execz .LBB75_240
; %bb.149:                              ;   in Loop: Header=BB75_21 Depth=1
	s_xor_b32 s7, s21, -1
	s_mov_b32 s21, 0
	s_and_not1_b32 vcc_lo, exec_lo, s7
	s_mov_b32 s24, 1
	s_cbranch_vccnz .LBB75_160
; %bb.150:                              ;   in Loop: Header=BB75_21 Depth=1
	s_cmp_gt_u32 s20, s19
	s_mov_b32 s21, -1
                                        ; implicit-def: $sgpr7
                                        ; implicit-def: $sgpr22
                                        ; implicit-def: $sgpr23
	s_cbranch_scc1 .LBB75_156
; %bb.151:                              ;   in Loop: Header=BB75_21 Depth=1
	ds_load_b32 v1, v21 offset:4104
	s_waitcnt lgkmcnt(0)
	v_cmp_ne_u32_e32 vcc_lo, 0, v1
	s_cbranch_vccnz .LBB75_155
; %bb.152:                              ;   in Loop: Header=BB75_21 Depth=1
	s_and_saveexec_b32 s7, s2
	s_cbranch_execz .LBB75_154
; %bb.153:                              ;   in Loop: Header=BB75_21 Depth=1
	v_mov_b32_e32 v1, s19
	ds_store_b32 v21, v1 offset:4108
.LBB75_154:                             ;   in Loop: Header=BB75_21 Depth=1
	s_or_b32 exec_lo, exec_lo, s7
	s_waitcnt lgkmcnt(0)
	s_barrier
	buffer_gl0_inv
.LBB75_155:                             ;   in Loop: Header=BB75_21 Depth=1
	s_lshl_b32 s7, 1, s16
	s_and_b32 s21, s69, s17
	s_or_b32 s23, s70, s10
	s_or_b32 s22, s21, s7
	s_mov_b32 s21, 0
	s_mov_b32 s7, 8
.LBB75_156:                             ;   in Loop: Header=BB75_21 Depth=1
	s_and_not1_b32 vcc_lo, exec_lo, s21
	s_cbranch_vccnz .LBB75_158
; %bb.157:                              ;   in Loop: Header=BB75_21 Depth=1
	s_sub_i32 s20, s20, s19
	s_mov_b32 s21, -1
	s_mov_b32 s7, 0
	s_mov_b32 s22, s69
	;; [unrolled: 1-line block ×3, first 2 shown]
.LBB75_158:                             ;   in Loop: Header=BB75_21 Depth=1
	s_delay_alu instid0(SALU_CYCLE_1)
	s_mov_b32 s70, s23
	s_mov_b32 s69, s22
	;; [unrolled: 1-line block ×3, first 2 shown]
	s_and_not1_b32 vcc_lo, exec_lo, s21
	s_mov_b32 s26, -1
	s_cbranch_vccz .LBB75_161
.LBB75_159:                             ;   in Loop: Header=BB75_21 Depth=1
                                        ; implicit-def: $sgpr20
                                        ; implicit-def: $sgpr21
                                        ; implicit-def: $sgpr19
	s_branch .LBB75_239
.LBB75_160:                             ;   in Loop: Header=BB75_21 Depth=1
	s_mov_b32 s7, 1
	s_and_not1_b32 vcc_lo, exec_lo, s21
	s_mov_b32 s26, -1
	s_cbranch_vccnz .LBB75_159
.LBB75_161:                             ;   in Loop: Header=BB75_21 Depth=1
	s_cmp_eq_u32 s15, 1
	s_mov_b32 s25, -1
	s_cselect_b32 s7, -1, 0
	s_cmp_eq_u32 s24, 1
	s_cselect_b32 s19, -1, 0
	s_delay_alu instid0(SALU_CYCLE_1) | instskip(NEXT) | instid1(SALU_CYCLE_1)
	s_and_b32 s23, s7, s19
	s_and_b32 vcc_lo, exec_lo, s23
	s_cbranch_vccz .LBB75_172
; %bb.162:                              ;   in Loop: Header=BB75_21 Depth=1
	ds_load_b32 v1, v21 offset:4104
	s_waitcnt lgkmcnt(0)
	s_barrier
	buffer_gl0_inv
	v_readfirstlane_b32 s19, v1
	s_and_saveexec_b32 s7, s1
	s_cbranch_execz .LBB75_164
; %bb.163:                              ;   in Loop: Header=BB75_21 Depth=1
	ds_store_b8 v0, v21 offset:3072
.LBB75_164:                             ;   in Loop: Header=BB75_21 Depth=1
	s_or_b32 exec_lo, exec_lo, s7
	s_lshl_b32 s7, 2, s16
	s_and_b32 s20, s69, s17
	s_or_b32 s70, s70, s10
	s_or_b32 s69, s20, s7
	s_cmp_eq_u32 s19, 0
	s_waitcnt lgkmcnt(0)
	s_barrier
	buffer_gl0_inv
	s_cbranch_scc1 .LBB75_173
; %bb.165:                              ;   in Loop: Header=BB75_21 Depth=1
	s_add_i32 s7, s19, s49
	s_mov_b32 s25, 0
	s_mul_hi_u32 s20, s7, s58
                                        ; implicit-def: $vgpr22
	s_delay_alu instid0(SALU_CYCLE_1) | instskip(NEXT) | instid1(SALU_CYCLE_1)
	s_mul_i32 s20, s20, s31
	s_sub_i32 s20, s7, s20
	s_delay_alu instid0(SALU_CYCLE_1) | instskip(SKIP_2) | instid1(SALU_CYCLE_1)
	s_sub_i32 s21, s20, s31
	s_cmp_ge_u32 s20, s31
	s_cselect_b32 s20, s21, s20
	s_sub_i32 s21, s20, s31
	s_cmp_ge_u32 s20, s31
	s_cselect_b32 s20, s21, s20
	s_delay_alu instid0(SALU_CYCLE_1)
	s_sub_i32 s21, s7, s20
	s_mov_b32 s20, exec_lo
	v_cmpx_gt_u32_e64 s21, v0
	s_cbranch_execz .LBB75_175
; %bb.166:                              ;   in Loop: Header=BB75_21 Depth=1
	v_mov_b32_e32 v1, v0
	s_mov_b32 s22, 0
                                        ; implicit-def: $sgpr25
	s_set_inst_prefetch_distance 0x1
	s_branch .LBB75_168
	.p2align	6
.LBB75_167:                             ;   in Loop: Header=BB75_168 Depth=2
	s_or_b32 exec_lo, exec_lo, s7
	s_waitcnt lgkmcnt(0)
	s_barrier
	buffer_gl0_inv
	ds_load_u16 v2, v21 offset:3072
	v_add_nc_u32_e32 v1, s31, v1
	s_waitcnt lgkmcnt(0)
	s_barrier
	buffer_gl0_inv
	v_cmp_le_u32_e32 vcc_lo, s21, v1
	v_and_b32_e32 v3, 0xff, v2
	s_delay_alu instid0(VALU_DEP_1) | instskip(NEXT) | instid1(VALU_DEP_1)
	v_cmp_ne_u16_e64 s7, 0, v3
	s_or_b32 s26, vcc_lo, s7
	s_delay_alu instid0(SALU_CYCLE_1) | instskip(NEXT) | instid1(SALU_CYCLE_1)
	s_and_b32 s26, exec_lo, s26
	s_or_b32 s22, s26, s22
	s_and_not1_b32 s25, s25, exec_lo
	s_and_b32 s7, s7, exec_lo
	s_delay_alu instid0(SALU_CYCLE_1)
	s_or_b32 s25, s25, s7
	s_and_not1_b32 exec_lo, exec_lo, s22
	s_cbranch_execz .LBB75_174
.LBB75_168:                             ;   Parent Loop BB75_21 Depth=1
                                        ; =>  This Inner Loop Header: Depth=2
	s_delay_alu instid0(VALU_DEP_1)
	v_cmp_gt_u32_e32 vcc_lo, s19, v1
	v_mov_b32_e32 v2, 0
	s_and_saveexec_b32 s7, vcc_lo
	s_cbranch_execz .LBB75_170
; %bb.169:                              ;   in Loop: Header=BB75_168 Depth=2
	ds_load_u8 v2, v1
.LBB75_170:                             ;   in Loop: Header=BB75_168 Depth=2
	s_or_b32 exec_lo, exec_lo, s7
	s_waitcnt lgkmcnt(0)
	v_and_b32_e32 v3, s70, v2
	s_delay_alu instid0(VALU_DEP_1) | instskip(NEXT) | instid1(VALU_DEP_1)
	v_and_b32_e32 v3, 0xff, v3
	v_cmp_eq_u32_e64 s7, s69, v3
	s_delay_alu instid0(VALU_DEP_1) | instskip(NEXT) | instid1(SALU_CYCLE_1)
	s_and_b32 s26, vcc_lo, s7
	s_and_saveexec_b32 s7, s26
	s_cbranch_execz .LBB75_167
; %bb.171:                              ;   in Loop: Header=BB75_168 Depth=2
	v_lshlrev_b16 v2, 8, v2
	s_delay_alu instid0(VALU_DEP_1)
	v_or_b32_e32 v2, 1, v2
	ds_store_b16 v21, v2 offset:3072
	s_branch .LBB75_167
.LBB75_172:                             ;   in Loop: Header=BB75_21 Depth=1
                                        ; implicit-def: $sgpr19
                                        ; implicit-def: $sgpr21
                                        ; implicit-def: $sgpr20
	s_branch .LBB75_185
.LBB75_173:                             ;   in Loop: Header=BB75_21 Depth=1
	s_mov_b32 s19, -1
	s_mov_b32 s25, 0
                                        ; implicit-def: $sgpr20
                                        ; implicit-def: $vgpr22
	s_mov_b32 s21, s19
	s_cbranch_execnz .LBB75_176
	s_branch .LBB75_185
.LBB75_174:                             ;   in Loop: Header=BB75_21 Depth=1
	s_set_inst_prefetch_distance 0x2
	s_or_b32 exec_lo, exec_lo, s22
	v_lshrrev_b16 v22, 8, v2
	s_and_b32 s25, s25, exec_lo
.LBB75_175:                             ;   in Loop: Header=BB75_21 Depth=1
	s_or_b32 exec_lo, exec_lo, s20
	s_mov_b32 s20, -1
	s_mov_b32 s19, 0
	s_delay_alu instid0(SALU_CYCLE_1)
	s_mov_b32 s21, s19
	s_branch .LBB75_185
.LBB75_176:                             ;   in Loop: Header=BB75_21 Depth=1
	s_mov_b32 s25, 0
                                        ; implicit-def: $vgpr22
	s_and_saveexec_b32 s19, s6
	s_cbranch_execz .LBB75_184
; %bb.177:                              ;   in Loop: Header=BB75_21 Depth=1
	v_dual_mov_b32 v1, v10 :: v_dual_mov_b32 v2, v0
	s_mov_b32 s20, 0
                                        ; implicit-def: $sgpr21
	s_set_inst_prefetch_distance 0x1
	s_branch .LBB75_179
	.p2align	6
.LBB75_178:                             ;   in Loop: Header=BB75_179 Depth=2
	s_or_b32 exec_lo, exec_lo, s7
	s_waitcnt lgkmcnt(0)
	s_barrier
	buffer_gl0_inv
	ds_load_u16 v3, v21 offset:3072
	v_add_nc_u32_e32 v2, s31, v2
	v_add_nc_u32_e32 v1, s48, v1
	s_waitcnt lgkmcnt(0)
	s_barrier
	buffer_gl0_inv
	v_cmp_le_u32_e32 vcc_lo, s60, v2
	v_and_b32_e32 v4, 0xff, v3
	s_delay_alu instid0(VALU_DEP_1) | instskip(NEXT) | instid1(VALU_DEP_1)
	v_cmp_ne_u16_e64 s7, 0, v4
	s_or_b32 s22, vcc_lo, s7
	s_delay_alu instid0(SALU_CYCLE_1) | instskip(NEXT) | instid1(SALU_CYCLE_1)
	s_and_b32 s22, exec_lo, s22
	s_or_b32 s20, s22, s20
	s_and_not1_b32 s21, s21, exec_lo
	s_and_b32 s7, s7, exec_lo
	s_delay_alu instid0(SALU_CYCLE_1)
	s_or_b32 s21, s21, s7
	s_and_not1_b32 exec_lo, exec_lo, s20
	s_cbranch_execz .LBB75_183
.LBB75_179:                             ;   Parent Loop BB75_21 Depth=1
                                        ; =>  This Inner Loop Header: Depth=2
	s_delay_alu instid0(VALU_DEP_1)
	v_cmp_gt_u32_e32 vcc_lo, s28, v2
	v_mov_b32_e32 v3, 0
	s_and_saveexec_b32 s7, vcc_lo
	s_cbranch_execz .LBB75_181
; %bb.180:                              ;   in Loop: Header=BB75_179 Depth=2
	global_load_u8 v3, v1, s[38:39]
.LBB75_181:                             ;   in Loop: Header=BB75_179 Depth=2
	s_or_b32 exec_lo, exec_lo, s7
	s_waitcnt vmcnt(0)
	v_and_b32_e32 v4, s70, v3
	s_delay_alu instid0(VALU_DEP_1) | instskip(NEXT) | instid1(VALU_DEP_1)
	v_and_b32_e32 v4, 0xff, v4
	v_cmp_eq_u32_e64 s7, s69, v4
	s_delay_alu instid0(VALU_DEP_1) | instskip(NEXT) | instid1(SALU_CYCLE_1)
	s_and_b32 s22, vcc_lo, s7
	s_and_saveexec_b32 s7, s22
	s_cbranch_execz .LBB75_178
; %bb.182:                              ;   in Loop: Header=BB75_179 Depth=2
	v_lshlrev_b16 v3, 8, v3
	s_delay_alu instid0(VALU_DEP_1)
	v_or_b32_e32 v3, 1, v3
	ds_store_b16 v21, v3 offset:3072
	s_branch .LBB75_178
.LBB75_183:                             ;   in Loop: Header=BB75_21 Depth=1
	s_set_inst_prefetch_distance 0x2
	s_or_b32 exec_lo, exec_lo, s20
	v_lshrrev_b16 v22, 8, v3
	s_and_b32 s25, s21, exec_lo
.LBB75_184:                             ;   in Loop: Header=BB75_21 Depth=1
	s_or_b32 exec_lo, exec_lo, s19
	s_mov_b32 s21, -1
	s_mov_b32 s19, 0
	s_mov_b32 s20, 0
.LBB75_185:                             ;   in Loop: Header=BB75_21 Depth=1
	s_mov_b32 s26, 0
                                        ; implicit-def: $sgpr7
	s_and_saveexec_b32 s22, s25
	s_cbranch_execz .LBB75_238
; %bb.186:                              ;   in Loop: Header=BB75_21 Depth=1
	s_xor_b32 s7, s23, -1
	s_mov_b32 s25, 0
	s_and_not1_b32 vcc_lo, exec_lo, s7
	s_mov_b32 s23, 1
	s_cbranch_vccnz .LBB75_197
; %bb.187:                              ;   in Loop: Header=BB75_21 Depth=1
	s_cmp_gt_u32 s24, s15
	s_mov_b32 s25, -1
                                        ; implicit-def: $sgpr7
                                        ; implicit-def: $sgpr23
                                        ; implicit-def: $sgpr26
	s_cbranch_scc1 .LBB75_193
; %bb.188:                              ;   in Loop: Header=BB75_21 Depth=1
	ds_load_b32 v1, v21 offset:4104
	s_waitcnt lgkmcnt(0)
	v_cmp_ne_u32_e32 vcc_lo, 0, v1
	s_cbranch_vccnz .LBB75_192
; %bb.189:                              ;   in Loop: Header=BB75_21 Depth=1
	s_and_saveexec_b32 s7, s2
	s_cbranch_execz .LBB75_191
; %bb.190:                              ;   in Loop: Header=BB75_21 Depth=1
	v_mov_b32_e32 v1, s15
	ds_store_b32 v21, v1 offset:4108
.LBB75_191:                             ;   in Loop: Header=BB75_21 Depth=1
	s_or_b32 exec_lo, exec_lo, s7
	s_waitcnt lgkmcnt(0)
	s_barrier
	buffer_gl0_inv
.LBB75_192:                             ;   in Loop: Header=BB75_21 Depth=1
	s_lshl_b32 s7, 2, s16
	s_and_b32 s16, s69, s17
	s_or_b32 s26, s70, s10
	s_or_b32 s23, s16, s7
	s_mov_b32 s25, 0
	s_mov_b32 s7, 8
.LBB75_193:                             ;   in Loop: Header=BB75_21 Depth=1
	s_and_not1_b32 vcc_lo, exec_lo, s25
	s_cbranch_vccnz .LBB75_195
; %bb.194:                              ;   in Loop: Header=BB75_21 Depth=1
	s_sub_i32 s24, s24, s15
	s_mov_b32 s25, -1
	s_mov_b32 s7, 0
	s_mov_b32 s23, s69
	;; [unrolled: 1-line block ×3, first 2 shown]
.LBB75_195:                             ;   in Loop: Header=BB75_21 Depth=1
	s_delay_alu instid0(SALU_CYCLE_1)
	s_mov_b32 s70, s26
	s_mov_b32 s69, s23
	;; [unrolled: 1-line block ×3, first 2 shown]
	s_and_not1_b32 vcc_lo, exec_lo, s25
	s_mov_b32 s71, -1
	s_cbranch_vccz .LBB75_198
.LBB75_196:                             ;   in Loop: Header=BB75_21 Depth=1
                                        ; implicit-def: $sgpr16
                                        ; implicit-def: $sgpr24
                                        ; implicit-def: $sgpr17
	s_branch .LBB75_237
.LBB75_197:                             ;   in Loop: Header=BB75_21 Depth=1
	s_mov_b32 s7, 1
	s_and_not1_b32 vcc_lo, exec_lo, s25
	s_mov_b32 s71, -1
	s_cbranch_vccnz .LBB75_196
.LBB75_198:                             ;   in Loop: Header=BB75_21 Depth=1
	s_cmp_eq_u32 s8, 1
	s_mov_b32 s25, -1
	s_cselect_b32 s7, -1, 0
	s_cmp_eq_u32 s23, 1
	s_cselect_b32 s15, -1, 0
	s_delay_alu instid0(SALU_CYCLE_1) | instskip(NEXT) | instid1(SALU_CYCLE_1)
	s_and_b32 s15, s7, s15
	s_and_b32 vcc_lo, exec_lo, s15
	s_cbranch_vccz .LBB75_209
; %bb.199:                              ;   in Loop: Header=BB75_21 Depth=1
	ds_load_b32 v1, v21 offset:4104
	s_waitcnt lgkmcnt(0)
	s_barrier
	buffer_gl0_inv
	v_readfirstlane_b32 s16, v1
	s_and_saveexec_b32 s7, s1
	s_cbranch_execz .LBB75_201
; %bb.200:                              ;   in Loop: Header=BB75_21 Depth=1
	ds_store_b8 v0, v21 offset:3072
.LBB75_201:                             ;   in Loop: Header=BB75_21 Depth=1
	s_or_b32 exec_lo, exec_lo, s7
	s_or_b32 s69, s69, s10
	s_or_b32 s70, s70, s10
	s_cmp_eq_u32 s16, 0
	s_waitcnt lgkmcnt(0)
	s_barrier
	buffer_gl0_inv
	s_cbranch_scc1 .LBB75_210
; %bb.202:                              ;   in Loop: Header=BB75_21 Depth=1
	s_add_i32 s7, s16, s49
	s_mov_b32 s25, 0
	s_mul_hi_u32 s17, s7, s58
                                        ; implicit-def: $vgpr22
	s_delay_alu instid0(SALU_CYCLE_1) | instskip(NEXT) | instid1(SALU_CYCLE_1)
	s_mul_i32 s17, s17, s31
	s_sub_i32 s17, s7, s17
	s_delay_alu instid0(SALU_CYCLE_1) | instskip(SKIP_2) | instid1(SALU_CYCLE_1)
	s_sub_i32 s24, s17, s31
	s_cmp_ge_u32 s17, s31
	s_cselect_b32 s17, s24, s17
	s_sub_i32 s24, s17, s31
	s_cmp_ge_u32 s17, s31
	s_cselect_b32 s17, s24, s17
	s_delay_alu instid0(SALU_CYCLE_1)
	s_sub_i32 s24, s7, s17
	s_mov_b32 s17, exec_lo
	v_cmpx_gt_u32_e64 s24, v0
	s_cbranch_execz .LBB75_212
; %bb.203:                              ;   in Loop: Header=BB75_21 Depth=1
	v_mov_b32_e32 v1, v0
                                        ; implicit-def: $sgpr26
	s_set_inst_prefetch_distance 0x1
	s_branch .LBB75_205
	.p2align	6
.LBB75_204:                             ;   in Loop: Header=BB75_205 Depth=2
	s_or_b32 exec_lo, exec_lo, s7
	s_waitcnt lgkmcnt(0)
	s_barrier
	buffer_gl0_inv
	ds_load_u16 v2, v21 offset:3072
	v_add_nc_u32_e32 v1, s31, v1
	s_waitcnt lgkmcnt(0)
	s_barrier
	buffer_gl0_inv
	v_cmp_le_u32_e32 vcc_lo, s24, v1
	v_and_b32_e32 v3, 0xff, v2
	s_delay_alu instid0(VALU_DEP_1) | instskip(NEXT) | instid1(VALU_DEP_1)
	v_cmp_ne_u16_e64 s7, 0, v3
	s_or_b32 s71, vcc_lo, s7
	s_delay_alu instid0(SALU_CYCLE_1) | instskip(NEXT) | instid1(SALU_CYCLE_1)
	s_and_b32 s71, exec_lo, s71
	s_or_b32 s25, s71, s25
	s_and_not1_b32 s26, s26, exec_lo
	s_and_b32 s7, s7, exec_lo
	s_delay_alu instid0(SALU_CYCLE_1)
	s_or_b32 s26, s26, s7
	s_and_not1_b32 exec_lo, exec_lo, s25
	s_cbranch_execz .LBB75_211
.LBB75_205:                             ;   Parent Loop BB75_21 Depth=1
                                        ; =>  This Inner Loop Header: Depth=2
	s_delay_alu instid0(VALU_DEP_1)
	v_cmp_gt_u32_e32 vcc_lo, s16, v1
	v_mov_b32_e32 v2, 0
	s_and_saveexec_b32 s7, vcc_lo
	s_cbranch_execz .LBB75_207
; %bb.206:                              ;   in Loop: Header=BB75_205 Depth=2
	ds_load_u8 v2, v1
.LBB75_207:                             ;   in Loop: Header=BB75_205 Depth=2
	s_or_b32 exec_lo, exec_lo, s7
	s_waitcnt lgkmcnt(0)
	v_and_b32_e32 v3, s70, v2
	s_delay_alu instid0(VALU_DEP_1) | instskip(NEXT) | instid1(VALU_DEP_1)
	v_and_b32_e32 v3, 0xff, v3
	v_cmp_eq_u32_e64 s7, s69, v3
	s_delay_alu instid0(VALU_DEP_1) | instskip(NEXT) | instid1(SALU_CYCLE_1)
	s_and_b32 s71, vcc_lo, s7
	s_and_saveexec_b32 s7, s71
	s_cbranch_execz .LBB75_204
; %bb.208:                              ;   in Loop: Header=BB75_205 Depth=2
	v_lshlrev_b16 v2, 8, v2
	s_delay_alu instid0(VALU_DEP_1)
	v_or_b32_e32 v2, 1, v2
	ds_store_b16 v21, v2 offset:3072
	s_branch .LBB75_204
.LBB75_209:                             ;   in Loop: Header=BB75_21 Depth=1
                                        ; implicit-def: $sgpr16
                                        ; implicit-def: $sgpr24
                                        ; implicit-def: $sgpr17
	s_branch .LBB75_222
.LBB75_210:                             ;   in Loop: Header=BB75_21 Depth=1
	s_mov_b32 s16, -1
	s_mov_b32 s25, 0
                                        ; implicit-def: $sgpr17
                                        ; implicit-def: $vgpr22
	s_mov_b32 s24, s16
	s_cbranch_execnz .LBB75_213
	s_branch .LBB75_222
.LBB75_211:                             ;   in Loop: Header=BB75_21 Depth=1
	s_set_inst_prefetch_distance 0x2
	s_or_b32 exec_lo, exec_lo, s25
	v_lshrrev_b16 v22, 8, v2
	s_and_b32 s25, s26, exec_lo
.LBB75_212:                             ;   in Loop: Header=BB75_21 Depth=1
	s_or_b32 exec_lo, exec_lo, s17
	s_mov_b32 s17, -1
	s_mov_b32 s16, 0
	s_delay_alu instid0(SALU_CYCLE_1)
	s_mov_b32 s24, s16
	s_branch .LBB75_222
.LBB75_213:                             ;   in Loop: Header=BB75_21 Depth=1
	s_mov_b32 s25, 0
                                        ; implicit-def: $vgpr22
	s_and_saveexec_b32 s16, s6
	s_cbranch_execz .LBB75_221
; %bb.214:                              ;   in Loop: Header=BB75_21 Depth=1
	v_dual_mov_b32 v1, v10 :: v_dual_mov_b32 v2, v0
	s_mov_b32 s17, 0
                                        ; implicit-def: $sgpr24
	s_set_inst_prefetch_distance 0x1
	s_branch .LBB75_216
	.p2align	6
.LBB75_215:                             ;   in Loop: Header=BB75_216 Depth=2
	s_or_b32 exec_lo, exec_lo, s7
	s_waitcnt lgkmcnt(0)
	s_barrier
	buffer_gl0_inv
	ds_load_u16 v3, v21 offset:3072
	v_add_nc_u32_e32 v2, s31, v2
	v_add_nc_u32_e32 v1, s48, v1
	s_waitcnt lgkmcnt(0)
	s_barrier
	buffer_gl0_inv
	v_cmp_le_u32_e32 vcc_lo, s60, v2
	v_and_b32_e32 v4, 0xff, v3
	s_delay_alu instid0(VALU_DEP_1) | instskip(NEXT) | instid1(VALU_DEP_1)
	v_cmp_ne_u16_e64 s7, 0, v4
	s_or_b32 s25, vcc_lo, s7
	s_delay_alu instid0(SALU_CYCLE_1) | instskip(NEXT) | instid1(SALU_CYCLE_1)
	s_and_b32 s25, exec_lo, s25
	s_or_b32 s17, s25, s17
	s_and_not1_b32 s24, s24, exec_lo
	s_and_b32 s7, s7, exec_lo
	s_delay_alu instid0(SALU_CYCLE_1)
	s_or_b32 s24, s24, s7
	s_and_not1_b32 exec_lo, exec_lo, s17
	s_cbranch_execz .LBB75_220
.LBB75_216:                             ;   Parent Loop BB75_21 Depth=1
                                        ; =>  This Inner Loop Header: Depth=2
	s_delay_alu instid0(VALU_DEP_1)
	v_cmp_gt_u32_e32 vcc_lo, s28, v2
	v_mov_b32_e32 v3, 0
	s_and_saveexec_b32 s7, vcc_lo
	s_cbranch_execz .LBB75_218
; %bb.217:                              ;   in Loop: Header=BB75_216 Depth=2
	global_load_u8 v3, v1, s[38:39]
.LBB75_218:                             ;   in Loop: Header=BB75_216 Depth=2
	s_or_b32 exec_lo, exec_lo, s7
	s_waitcnt vmcnt(0)
	v_and_b32_e32 v4, s70, v3
	s_delay_alu instid0(VALU_DEP_1) | instskip(NEXT) | instid1(VALU_DEP_1)
	v_and_b32_e32 v4, 0xff, v4
	v_cmp_eq_u32_e64 s7, s69, v4
	s_delay_alu instid0(VALU_DEP_1) | instskip(NEXT) | instid1(SALU_CYCLE_1)
	s_and_b32 s25, vcc_lo, s7
	s_and_saveexec_b32 s7, s25
	s_cbranch_execz .LBB75_215
; %bb.219:                              ;   in Loop: Header=BB75_216 Depth=2
	v_lshlrev_b16 v3, 8, v3
	s_delay_alu instid0(VALU_DEP_1)
	v_or_b32_e32 v3, 1, v3
	ds_store_b16 v21, v3 offset:3072
	s_branch .LBB75_215
.LBB75_220:                             ;   in Loop: Header=BB75_21 Depth=1
	s_set_inst_prefetch_distance 0x2
	s_or_b32 exec_lo, exec_lo, s17
	v_lshrrev_b16 v22, 8, v3
	s_and_b32 s25, s24, exec_lo
.LBB75_221:                             ;   in Loop: Header=BB75_21 Depth=1
	s_or_b32 exec_lo, exec_lo, s16
	s_mov_b32 s24, -1
	s_mov_b32 s16, 0
	s_mov_b32 s17, 0
.LBB75_222:                             ;   in Loop: Header=BB75_21 Depth=1
	s_mov_b32 s71, 0
                                        ; implicit-def: $sgpr7
	s_and_saveexec_b32 s26, s25
	s_cbranch_execz .LBB75_236
; %bb.223:                              ;   in Loop: Header=BB75_21 Depth=1
	s_xor_b32 s7, s15, -1
	s_delay_alu instid0(SALU_CYCLE_1)
	s_and_not1_b32 vcc_lo, exec_lo, s7
	s_mov_b32 s7, 1
	s_cbranch_vccnz .LBB75_230
; %bb.224:                              ;   in Loop: Header=BB75_21 Depth=1
	s_cmp_gt_u32 s23, s8
	s_cbranch_scc1 .LBB75_231
; %bb.225:                              ;   in Loop: Header=BB75_21 Depth=1
	ds_load_b32 v1, v21 offset:4104
	s_waitcnt lgkmcnt(0)
	v_cmp_ne_u32_e32 vcc_lo, 0, v1
	s_cbranch_vccnz .LBB75_229
; %bb.226:                              ;   in Loop: Header=BB75_21 Depth=1
	s_and_saveexec_b32 s7, s2
	s_cbranch_execz .LBB75_228
; %bb.227:                              ;   in Loop: Header=BB75_21 Depth=1
	v_mov_b32_e32 v1, s8
	ds_store_b32 v21, v1 offset:4108
.LBB75_228:                             ;   in Loop: Header=BB75_21 Depth=1
	s_or_b32 exec_lo, exec_lo, s7
	s_waitcnt lgkmcnt(0)
	s_barrier
	buffer_gl0_inv
.LBB75_229:                             ;   in Loop: Header=BB75_21 Depth=1
	s_or_b32 s15, s69, s10
	s_or_b32 s10, s70, s10
	s_mov_b32 s25, 0
	s_mov_b32 s7, 8
	s_branch .LBB75_232
.LBB75_230:                             ;   in Loop: Header=BB75_21 Depth=1
	s_mov_b32 s23, 1
	s_branch .LBB75_235
.LBB75_231:                             ;   in Loop: Header=BB75_21 Depth=1
	s_mov_b32 s25, -1
                                        ; implicit-def: $sgpr7
                                        ; implicit-def: $sgpr15
                                        ; implicit-def: $sgpr10
.LBB75_232:                             ;   in Loop: Header=BB75_21 Depth=1
	s_delay_alu instid0(SALU_CYCLE_1)
	s_and_not1_b32 vcc_lo, exec_lo, s25
	s_cbranch_vccnz .LBB75_234
; %bb.233:                              ;   in Loop: Header=BB75_21 Depth=1
	s_sub_i32 s23, s23, s8
	s_mov_b32 s7, 8
	s_mov_b32 s15, s69
	;; [unrolled: 1-line block ×3, first 2 shown]
.LBB75_234:                             ;   in Loop: Header=BB75_21 Depth=1
	s_mov_b32 s69, s15
	s_mov_b32 s70, s10
.LBB75_235:                             ;   in Loop: Header=BB75_21 Depth=1
	s_mov_b32 s71, exec_lo
.LBB75_236:                             ;   in Loop: Header=BB75_21 Depth=1
	s_or_b32 exec_lo, exec_lo, s26
.LBB75_237:                             ;   in Loop: Header=BB75_21 Depth=1
	s_delay_alu instid0(SALU_CYCLE_1)
	s_and_not1_b32 s8, s19, exec_lo
	s_and_b32 s10, s16, exec_lo
	s_and_not1_b32 s15, s20, exec_lo
	s_or_b32 s19, s8, s10
	s_and_not1_b32 s8, s21, exec_lo
	s_and_b32 s10, s24, exec_lo
	s_and_b32 s16, s17, exec_lo
	s_or_b32 s21, s8, s10
	s_or_b32 s20, s15, s16
	s_and_b32 s26, s71, exec_lo
	s_mov_b32 s24, s23
.LBB75_238:                             ;   in Loop: Header=BB75_21 Depth=1
	s_or_b32 exec_lo, exec_lo, s22
.LBB75_239:                             ;   in Loop: Header=BB75_21 Depth=1
	s_delay_alu instid0(SALU_CYCLE_1)
	s_and_not1_b32 s8, s13, exec_lo
	s_and_b32 s10, s19, exec_lo
	s_and_not1_b32 s12, s12, exec_lo
	s_or_b32 s13, s8, s10
	s_and_not1_b32 s8, s14, exec_lo
	s_and_b32 s10, s21, exec_lo
	s_and_b32 s15, s20, exec_lo
	s_or_b32 s14, s8, s10
	s_or_b32 s12, s12, s15
	s_and_b32 s23, s26, exec_lo
	s_mov_b32 s20, s24
.LBB75_240:                             ;   in Loop: Header=BB75_21 Depth=1
	s_or_b32 exec_lo, exec_lo, s18
                                        ; implicit-def: $sgpr71
	s_and_saveexec_b32 s8, s23
	s_delay_alu instid0(SALU_CYCLE_1)
	s_xor_b32 s8, exec_lo, s8
	s_cbranch_execz .LBB75_19
.LBB75_241:                             ;   in Loop: Header=BB75_21 Depth=1
	s_and_b32 s7, s7, -9
	s_delay_alu instid0(SALU_CYCLE_1)
	s_cmp_eq_u32 s7, 0
	s_cbranch_scc1 .LBB75_17
; %bb.242:                              ;   in Loop: Header=BB75_21 Depth=1
	s_mov_b32 s7, -1
	s_mov_b32 s10, -1
                                        ; implicit-def: $sgpr70
                                        ; implicit-def: $sgpr20
                                        ; implicit-def: $sgpr57
                                        ; implicit-def: $sgpr67
	s_branch .LBB75_18
.LBB75_243:
	s_or_b32 exec_lo, exec_lo, s45
	s_xor_b32 s4, s64, -1
	s_xor_b32 s1, s62, -1
	s_xor_b32 s3, s63, -1
	s_mov_b32 s2, 0
	s_and_saveexec_b32 s5, s1
	s_delay_alu instid0(SALU_CYCLE_1)
	s_xor_b32 s1, exec_lo, s5
	s_cbranch_execz .LBB75_257
; %bb.244:
	s_and_saveexec_b32 s2, s4
	s_delay_alu instid0(SALU_CYCLE_1)
	s_xor_b32 s2, exec_lo, s2
	s_cbranch_execz .LBB75_255
; %bb.245:
	s_and_saveexec_b32 s4, s3
	s_delay_alu instid0(SALU_CYCLE_1)
	s_xor_b32 s3, exec_lo, s4
; %bb.246:
	v_mov_b32_e32 v22, v1
; %bb.247:
	s_or_b32 exec_lo, exec_lo, s3
	s_mul_i32 s3, s34, s29
	s_delay_alu instid0(SALU_CYCLE_1) | instskip(NEXT) | instid1(SALU_CYCLE_1)
	s_add_i32 s3, s3, s27
	v_mov_b32_e32 v1, s3
	global_store_b8 v1, v22, s[40:41]
	s_and_saveexec_b32 s3, s0
	s_cbranch_execz .LBB75_254
; %bb.248:
	v_and_b32_e32 v2, 0xff, v22
	s_mov_b32 s0, 0
                                        ; implicit-def: $sgpr4
                                        ; implicit-def: $sgpr6
                                        ; implicit-def: $sgpr5
	s_set_inst_prefetch_distance 0x1
	s_branch .LBB75_250
	.p2align	6
.LBB75_249:                             ;   in Loop: Header=BB75_250 Depth=1
	s_or_b32 exec_lo, exec_lo, s7
	s_delay_alu instid0(SALU_CYCLE_1) | instskip(NEXT) | instid1(SALU_CYCLE_1)
	s_and_b32 s7, exec_lo, s6
	s_or_b32 s0, s7, s0
	s_and_not1_b32 s4, s4, exec_lo
	s_and_b32 s7, s5, exec_lo
	s_delay_alu instid0(SALU_CYCLE_1)
	s_or_b32 s4, s4, s7
	s_and_not1_b32 exec_lo, exec_lo, s0
	s_cbranch_execz .LBB75_252
.LBB75_250:                             ; =>This Inner Loop Header: Depth=1
	global_load_u8 v3, v10, s[38:39]
	v_mov_b32_e32 v1, v0
	s_or_b32 s5, s5, exec_lo
	s_or_b32 s6, s6, exec_lo
	s_mov_b32 s7, exec_lo
                                        ; implicit-def: $vgpr0
	s_waitcnt vmcnt(0)
	v_cmpx_ne_u16_e64 v3, v2
	s_cbranch_execz .LBB75_249
; %bb.251:                              ;   in Loop: Header=BB75_250 Depth=1
	v_add_nc_u32_e32 v0, s31, v1
	s_and_not1_b32 s6, s6, exec_lo
	v_add_nc_u32_e32 v10, s48, v10
	s_and_not1_b32 s5, s5, exec_lo
	s_delay_alu instid0(VALU_DEP_2) | instskip(SKIP_1) | instid1(SALU_CYCLE_1)
	v_cmp_le_u32_e32 vcc_lo, s28, v0
	s_and_b32 s8, vcc_lo, exec_lo
	s_or_b32 s6, s6, s8
	s_branch .LBB75_249
.LBB75_252:
	s_set_inst_prefetch_distance 0x2
	s_or_b32 exec_lo, exec_lo, s0
	s_and_saveexec_b32 s0, s4
	s_delay_alu instid0(SALU_CYCLE_1)
	s_xor_b32 s0, exec_lo, s0
	s_cbranch_execz .LBB75_254
; %bb.253:
	s_mul_i32 s0, s44, s33
	s_mov_b32 s5, 0
	s_add_i32 s4, s0, s35
	v_mov_b32_e32 v2, 0
	s_lshl_b64 s[4:5], s[4:5], 3
	s_delay_alu instid0(SALU_CYCLE_1)
	s_add_u32 s4, s36, s4
	s_addc_u32 s5, s37, s5
	global_store_b64 v2, v[1:2], s[4:5]
.LBB75_254:
	s_or_b32 exec_lo, exec_lo, s3
.LBB75_255:
	s_or_saveexec_b32 s0, s2
	s_mov_b32 s2, 0
	s_xor_b32 exec_lo, exec_lo, s0
	s_cbranch_execnz .LBB75_263
.LBB75_256:
	s_or_b32 exec_lo, exec_lo, s0
	s_delay_alu instid0(SALU_CYCLE_1)
	s_and_b32 s2, s2, exec_lo
.LBB75_257:
	s_and_not1_saveexec_b32 s0, s1
	s_cbranch_execnz .LBB75_261
; %bb.258:
	s_or_b32 exec_lo, exec_lo, s0
	s_and_saveexec_b32 s0, s2
.LBB75_259:
	; divergent unreachable
.LBB75_260:
	s_nop 0
	s_sendmsg sendmsg(MSG_DEALLOC_VGPRS)
	s_endpgm
.LBB75_261:
	s_cbranch_execnz .LBB75_265
; %bb.262:
	s_or_b32 s2, s2, exec_lo
	s_or_b32 exec_lo, exec_lo, s0
	s_and_saveexec_b32 s0, s2
	s_cbranch_execnz .LBB75_259
	s_branch .LBB75_260
.LBB75_263:
	s_cbranch_execnz .LBB75_267
; %bb.264:
	s_mov_b32 s2, exec_lo
	s_branch .LBB75_256
.LBB75_265:
	s_trap 2
	s_sendmsg_rtn_b32 s0, sendmsg(MSG_RTN_GET_DOORBELL)
	s_mov_b32 ttmp2, m0
	s_waitcnt lgkmcnt(0)
	s_and_b32 s0, s0, 0x3ff
	s_delay_alu instid0(SALU_CYCLE_1) | instskip(NEXT) | instid1(SALU_CYCLE_1)
	s_bitset1_b32 s0, 10
	s_mov_b32 m0, s0
	s_sendmsg sendmsg(MSG_INTERRUPT)
	s_mov_b32 m0, ttmp2
.LBB75_266:                             ; =>This Inner Loop Header: Depth=1
	s_sethalt 5
	s_branch .LBB75_266
.LBB75_267:
	s_trap 2
	s_sendmsg_rtn_b32 s0, sendmsg(MSG_RTN_GET_DOORBELL)
	s_mov_b32 ttmp2, m0
	s_waitcnt lgkmcnt(0)
	s_and_b32 s0, s0, 0x3ff
	s_delay_alu instid0(SALU_CYCLE_1) | instskip(NEXT) | instid1(SALU_CYCLE_1)
	s_bitset1_b32 s0, 10
	s_mov_b32 m0, s0
	s_sendmsg sendmsg(MSG_INTERRUPT)
	s_mov_b32 m0, ttmp2
.LBB75_268:                             ; =>This Inner Loop Header: Depth=1
	s_sethalt 5
	s_branch .LBB75_268
	.section	.rodata,"a",@progbits
	.p2align	6, 0x0
	.amdhsa_kernel _ZN2at6native12_GLOBAL__N_112gatherMedianIhjLin1EEEvNS_4cuda6detail10TensorInfoIT_T0_EENS5_IlS7_EENS5_IKS6_S7_EES7_S7_S7_b
		.amdhsa_group_segment_fixed_size 4120
		.amdhsa_private_segment_fixed_size 0
		.amdhsa_kernarg_size 920
		.amdhsa_user_sgpr_count 13
		.amdhsa_user_sgpr_dispatch_ptr 0
		.amdhsa_user_sgpr_queue_ptr 0
		.amdhsa_user_sgpr_kernarg_segment_ptr 1
		.amdhsa_user_sgpr_dispatch_id 0
		.amdhsa_user_sgpr_private_segment_size 0
		.amdhsa_wavefront_size32 1
		.amdhsa_uses_dynamic_stack 0
		.amdhsa_enable_private_segment 0
		.amdhsa_system_sgpr_workgroup_id_x 1
		.amdhsa_system_sgpr_workgroup_id_y 1
		.amdhsa_system_sgpr_workgroup_id_z 1
		.amdhsa_system_sgpr_workgroup_info 0
		.amdhsa_system_vgpr_workitem_id 0
		.amdhsa_next_free_vgpr 36
		.amdhsa_next_free_sgpr 81
		.amdhsa_reserve_vcc 1
		.amdhsa_float_round_mode_32 0
		.amdhsa_float_round_mode_16_64 0
		.amdhsa_float_denorm_mode_32 3
		.amdhsa_float_denorm_mode_16_64 3
		.amdhsa_dx10_clamp 1
		.amdhsa_ieee_mode 1
		.amdhsa_fp16_overflow 0
		.amdhsa_workgroup_processor_mode 1
		.amdhsa_memory_ordered 1
		.amdhsa_forward_progress 0
		.amdhsa_shared_vgpr_count 0
		.amdhsa_exception_fp_ieee_invalid_op 0
		.amdhsa_exception_fp_denorm_src 0
		.amdhsa_exception_fp_ieee_div_zero 0
		.amdhsa_exception_fp_ieee_overflow 0
		.amdhsa_exception_fp_ieee_underflow 0
		.amdhsa_exception_fp_ieee_inexact 0
		.amdhsa_exception_int_div_zero 0
	.end_amdhsa_kernel
	.section	.text._ZN2at6native12_GLOBAL__N_112gatherMedianIhjLin1EEEvNS_4cuda6detail10TensorInfoIT_T0_EENS5_IlS7_EENS5_IKS6_S7_EES7_S7_S7_b,"axG",@progbits,_ZN2at6native12_GLOBAL__N_112gatherMedianIhjLin1EEEvNS_4cuda6detail10TensorInfoIT_T0_EENS5_IlS7_EENS5_IKS6_S7_EES7_S7_S7_b,comdat
.Lfunc_end75:
	.size	_ZN2at6native12_GLOBAL__N_112gatherMedianIhjLin1EEEvNS_4cuda6detail10TensorInfoIT_T0_EENS5_IlS7_EENS5_IKS6_S7_EES7_S7_S7_b, .Lfunc_end75-_ZN2at6native12_GLOBAL__N_112gatherMedianIhjLin1EEEvNS_4cuda6detail10TensorInfoIT_T0_EENS5_IlS7_EENS5_IKS6_S7_EES7_S7_S7_b
                                        ; -- End function
	.section	.AMDGPU.csdata,"",@progbits
; Kernel info:
; codeLenInByte = 9964
; NumSgprs: 83
; NumVgprs: 36
; ScratchSize: 0
; MemoryBound: 0
; FloatMode: 240
; IeeeMode: 1
; LDSByteSize: 4120 bytes/workgroup (compile time only)
; SGPRBlocks: 10
; VGPRBlocks: 4
; NumSGPRsForWavesPerEU: 83
; NumVGPRsForWavesPerEU: 36
; Occupancy: 16
; WaveLimiterHint : 1
; COMPUTE_PGM_RSRC2:SCRATCH_EN: 0
; COMPUTE_PGM_RSRC2:USER_SGPR: 13
; COMPUTE_PGM_RSRC2:TRAP_HANDLER: 0
; COMPUTE_PGM_RSRC2:TGID_X_EN: 1
; COMPUTE_PGM_RSRC2:TGID_Y_EN: 1
; COMPUTE_PGM_RSRC2:TGID_Z_EN: 1
; COMPUTE_PGM_RSRC2:TIDIG_COMP_CNT: 0
	.section	.text._ZN2at6native12_GLOBAL__N_112gatherMedianIhmLi1EEEvNS_4cuda6detail10TensorInfoIT_T0_EENS5_IlS7_EENS5_IKS6_S7_EES7_S7_S7_b,"axG",@progbits,_ZN2at6native12_GLOBAL__N_112gatherMedianIhmLi1EEEvNS_4cuda6detail10TensorInfoIT_T0_EENS5_IlS7_EENS5_IKS6_S7_EES7_S7_S7_b,comdat
	.globl	_ZN2at6native12_GLOBAL__N_112gatherMedianIhmLi1EEEvNS_4cuda6detail10TensorInfoIT_T0_EENS5_IlS7_EENS5_IKS6_S7_EES7_S7_S7_b ; -- Begin function _ZN2at6native12_GLOBAL__N_112gatherMedianIhmLi1EEEvNS_4cuda6detail10TensorInfoIT_T0_EENS5_IlS7_EENS5_IKS6_S7_EES7_S7_S7_b
	.p2align	8
	.type	_ZN2at6native12_GLOBAL__N_112gatherMedianIhmLi1EEEvNS_4cuda6detail10TensorInfoIT_T0_EENS5_IlS7_EENS5_IKS6_S7_EES7_S7_S7_b,@function
_ZN2at6native12_GLOBAL__N_112gatherMedianIhmLi1EEEvNS_4cuda6detail10TensorInfoIT_T0_EENS5_IlS7_EENS5_IKS6_S7_EES7_S7_S7_b: ; @_ZN2at6native12_GLOBAL__N_112gatherMedianIhmLi1EEEvNS_4cuda6detail10TensorInfoIT_T0_EENS5_IlS7_EENS5_IKS6_S7_EES7_S7_S7_b
; %bb.0:
	s_clause 0x1
	s_load_b64 s[6:7], s[0:1], 0x500
	s_load_b128 s[24:27], s[0:1], 0x4e0
	s_add_u32 s4, s0, 0x500
	s_addc_u32 s5, s1, 0
	s_mov_b32 s29, 0
	s_waitcnt lgkmcnt(0)
	s_mul_i32 s2, s7, s15
	s_delay_alu instid0(SALU_CYCLE_1) | instskip(NEXT) | instid1(SALU_CYCLE_1)
	s_add_i32 s2, s2, s14
	s_mul_i32 s2, s2, s6
	s_delay_alu instid0(SALU_CYCLE_1) | instskip(NEXT) | instid1(SALU_CYCLE_1)
	s_add_i32 s28, s2, s13
	v_cmp_ge_u64_e64 s2, s[28:29], s[26:27]
	s_delay_alu instid0(VALU_DEP_1)
	s_and_b32 vcc_lo, exec_lo, s2
	s_cbranch_vccnz .LBB76_286
; %bb.1:
	s_load_b64 s[34:35], s[0:1], 0x4f0
	v_cmp_eq_u32_e64 s2, 0, v0
	s_delay_alu instid0(VALU_DEP_1)
	s_and_saveexec_b32 s3, s2
	s_cbranch_execz .LBB76_3
; %bb.2:
	v_mov_b32_e32 v1, 0
	s_delay_alu instid0(VALU_DEP_1)
	v_mov_b32_e32 v2, v1
	ds_store_b64 v1, v[1:2] offset:5136
.LBB76_3:
	s_or_b32 exec_lo, exec_lo, s3
	v_mov_b32_e32 v1, 0
	s_waitcnt lgkmcnt(0)
	s_barrier
	buffer_gl0_inv
	s_barrier
	buffer_gl0_inv
	ds_load_b64 v[1:2], v1 offset:5136
	s_clause 0x2
	s_load_b32 s3, s[0:1], 0x4f8
	s_load_b64 s[10:11], s[0:1], 0x410
	s_load_b64 s[8:9], s[0:1], 0x340
	s_mov_b64 s[40:41], s[24:25]
	s_waitcnt lgkmcnt(0)
	v_readfirstlane_b32 s14, v1
	v_readfirstlane_b32 s15, v2
	s_bitcmp1_b32 s3, 0
	s_cselect_b32 s3, -1, 0
	s_delay_alu instid0(VALU_DEP_1) | instskip(NEXT) | instid1(VALU_DEP_1)
	v_cmp_lt_i64_e64 s7, s[14:15], 1
	s_or_b32 s3, s3, s7
	s_delay_alu instid0(SALU_CYCLE_1)
	s_and_not1_b32 vcc_lo, exec_lo, s3
	s_cbranch_vccnz .LBB76_5
; %bb.4:
	s_not_b64 s[14:15], s[14:15]
	s_delay_alu instid0(SALU_CYCLE_1) | instskip(SKIP_1) | instid1(SALU_CYCLE_1)
	s_add_u32 s14, s14, s24
	s_addc_u32 s15, s15, s25
	s_lshr_b64 s[14:15], s[14:15], 1
	s_delay_alu instid0(SALU_CYCLE_1)
	s_add_u32 s40, s14, 1
	s_addc_u32 s41, s15, 0
.LBB76_5:
	s_clause 0x3
	s_load_b64 s[30:31], s[0:1], 0x270
	s_load_b64 s[26:27], s[0:1], 0x1a0
	;; [unrolled: 1-line block ×4, first 2 shown]
	s_and_saveexec_b32 s0, s2
	s_cbranch_execz .LBB76_7
; %bb.6:
	v_dual_mov_b32 v1, 0 :: v_dual_mov_b32 v4, s25
	s_delay_alu instid0(VALU_DEP_1)
	v_dual_mov_b32 v3, s24 :: v_dual_mov_b32 v2, v1
	ds_store_b32 v1, v1 offset:5144
	ds_store_b128 v1, v[1:4] offset:5120
.LBB76_7:
	s_or_b32 exec_lo, exec_lo, s0
	v_mad_u64_u32 v[2:3], null, v0, s34, 0
	v_dual_mov_b32 v13, 0 :: v_dual_lshlrev_b32 v14, 2, v0
	s_waitcnt lgkmcnt(0)
	s_barrier
	buffer_gl0_inv
	s_load_b32 s7, s[4:5], 0xc
	v_mad_u64_u32 v[4:5], null, v0, s35, v[3:4]
	v_or_b32_e32 v9, 3, v14
	v_or_b32_e32 v12, 2, v14
	v_mbcnt_lo_u32_b32 v27, -1, 0
	v_mad_u64_u32 v[20:21], null, s34, v14, s[34:35]
	s_delay_alu instid0(VALU_DEP_4) | instskip(NEXT) | instid1(VALU_DEP_4)
	v_mad_u64_u32 v[16:17], null, s34, v9, 0
	v_mad_u64_u32 v[18:19], null, s34, v12, 0
	v_mov_b32_e32 v3, v4
	v_lshlrev_b64 v[4:5], v27, -1
	s_mul_i32 s0, s11, s28
	s_mul_hi_u32 s1, s10, s28
	s_mul_i32 s3, s10, s28
	v_lshrrev_b32_e32 v6, 3, v0
	s_delay_alu instid0(VALU_DEP_4)
	v_mov_b32_e32 v5, v19
	v_not_b32_e32 v29, v4
	v_mov_b32_e32 v4, v17
	s_add_i32 s1, s1, s0
	s_add_u32 s42, s8, s3
	v_cmp_gt_u32_e32 vcc_lo, 32, v0
	v_cmp_gt_i32_e64 s3, 4, v27
	v_dual_mov_b32 v1, v13 :: v_dual_and_b32 v28, 0x7c, v6
	v_mov_b32_e32 v6, v21
	v_mad_u64_u32 v[7:8], null, s35, v9, v[4:5]
	s_addc_u32 s43, s9, s1
	s_waitcnt lgkmcnt(0)
	s_and_b32 s29, s7, 0xffff
	s_and_b32 s65, vcc_lo, s3
	s_bfe_u32 s8, s7, 0xb0005
	s_add_u32 s68, s29, -1
	s_addc_u32 s69, 0, -1
	s_add_u32 s70, s68, s24
	s_addc_u32 s47, s69, s25
	s_cmp_lt_u32 s13, s6
	v_mad_u64_u32 v[8:9], null, s35, v12, v[5:6]
	v_mad_u64_u32 v[4:5], null, s35, v14, v[6:7]
	s_cselect_b32 s6, 12, 18
	v_add_co_u32 v10, vcc_lo, s42, v2
	s_add_u32 s48, s4, s6
	s_addc_u32 s49, s5, 0
	s_add_i32 s4, s8, -1
	s_bfe_u32 s71, s29, 0x30005
	s_cmp_gt_u32 s4, 6
	v_cmp_gt_u64_e64 s0, s[24:25], v[0:1]
	v_cmp_lt_u64_e64 s66, 0xc00, s[24:25]
	v_lshlrev_b64 v[21:22], 2, v[2:3]
	v_cmp_eq_u32_e64 s1, 0, v27
	v_cmp_gt_u32_e64 s3, 2, v0
	v_add_co_ci_u32_e32 v11, vcc_lo, s43, v3, vcc_lo
	v_dual_mov_b32 v15, v13 :: v_dual_mov_b32 v30, v4
	v_cmp_gt_u16_e64 s67, s7, 31
	s_cselect_b32 s72, -1, 0
	s_and_b32 s73, s8, 0x7f8
	v_dual_mov_b32 v17, v7 :: v_dual_mov_b32 v32, 0
	v_mov_b32_e32 v19, v8
	v_lshl_or_b32 v31, v27, 3, 0xc00
	s_cmp_lg_u32 s71, 0
	s_mul_i32 s4, s35, s29
	s_mul_hi_u32 s5, s34, s29
	s_mov_b32 s45, 0
	s_mov_b32 s75, 6
	s_cselect_b32 s74, -1, 0
	s_lshl_b64 s[50:51], s[34:35], 2
	s_add_i32 s33, s5, s4
	s_mul_i32 s64, s34, s29
	s_mov_b32 s76, 0
	s_mov_b32 s82, 0
	;; [unrolled: 1-line block ×4, first 2 shown]
                                        ; implicit-def: $sgpr77
                                        ; implicit-def: $sgpr79
                                        ; implicit-def: $sgpr78
                                        ; implicit-def: $sgpr81
                                        ; implicit-def: $sgpr83
                                        ; implicit-def: $sgpr80
	s_branch .LBB76_12
.LBB76_8:                               ;   in Loop: Header=BB76_12 Depth=1
	s_xor_b32 s82, s82, 1
	s_add_i32 s7, s75, -2
	s_cmp_eq_u32 s75, 0
	s_mov_b32 s5, 0
	s_cselect_b32 s6, -1, 0
	s_mov_b32 s75, s7
.LBB76_9:                               ;   in Loop: Header=BB76_12 Depth=1
	s_and_not1_b32 s7, s13, exec_lo
	s_and_b32 s5, s5, exec_lo
	s_and_not1_b32 s19, s19, exec_lo
	s_or_b32 s13, s7, s5
	s_and_not1_b32 s12, s12, exec_lo
	s_or_not1_b32 s15, s6, exec_lo
.LBB76_10:                              ;   in Loop: Header=BB76_12 Depth=1
	s_or_b32 exec_lo, exec_lo, s4
	s_delay_alu instid0(SALU_CYCLE_1)
	s_and_not1_b32 s4, s80, exec_lo
	s_and_b32 s5, s13, exec_lo
	s_and_not1_b32 s6, s81, exec_lo
	s_or_b32 s80, s4, s5
	s_and_not1_b32 s4, s83, exec_lo
	s_and_b32 s5, s19, exec_lo
	s_and_b32 s7, s12, exec_lo
	s_or_b32 s83, s4, s5
	s_or_b32 s81, s6, s7
	s_or_not1_b32 s19, s15, exec_lo
.LBB76_11:                              ;   in Loop: Header=BB76_12 Depth=1
	s_or_b32 exec_lo, exec_lo, s14
	s_delay_alu instid0(SALU_CYCLE_1)
	s_and_b32 s4, exec_lo, s19
	v_mov_b32_e32 v2, s84
	s_or_b32 s76, s4, s76
	s_and_not1_b32 s4, s78, exec_lo
	s_and_b32 s5, s80, exec_lo
	s_and_not1_b32 s6, s77, exec_lo
	s_or_b32 s78, s4, s5
	s_and_not1_b32 s4, s79, exec_lo
	s_and_b32 s5, s83, exec_lo
	s_and_b32 s7, s81, exec_lo
	s_or_b32 s79, s4, s5
	s_or_b32 s77, s6, s7
	s_and_not1_b32 exec_lo, exec_lo, s76
	s_cbranch_execz .LBB76_269
.LBB76_12:                              ; =>This Loop Header: Depth=1
                                        ;     Child Loop BB76_17 Depth 2
                                        ;     Child Loop BB76_35 Depth 2
	;; [unrolled: 1-line block ×16, first 2 shown]
	ds_load_b128 v[2:5], v13 offset:5120
	s_waitcnt lgkmcnt(0)
	v_readfirstlane_b32 s53, v3
	v_readfirstlane_b32 s52, v2
	s_delay_alu instid0(VALU_DEP_1)
	s_cmp_lg_u64 s[52:53], 0
	s_cbranch_scc1 .LBB76_42
; %bb.13:                               ;   in Loop: Header=BB76_12 Depth=1
	s_and_b32 vcc_lo, exec_lo, s66
	s_cbranch_vccz .LBB76_25
; %bb.14:                               ;   in Loop: Header=BB76_12 Depth=1
	v_cmp_gt_u64_e32 vcc_lo, 0xc01, v[4:5]
	s_mov_b32 s6, 0
	s_mov_b32 s4, 0
	s_cbranch_vccz .LBB76_26
; %bb.15:                               ;   in Loop: Header=BB76_12 Depth=1
	global_load_u16 v6, v13, s[48:49]
	global_load_u8 v7, v[10:11], off
	s_mov_b32 s8, 0
	s_waitcnt vmcnt(1)
	v_readfirstlane_b32 s4, v6
	v_and_b32_e32 v6, 0xffff, v6
	s_delay_alu instid0(VALU_DEP_2) | instskip(NEXT) | instid1(SALU_CYCLE_1)
	s_and_b32 s4, 0xffff, s4
	v_add_nc_u32_e32 v8, s4, v0
	s_mul_i32 s5, s35, s4
	s_mul_hi_u32 s7, s34, s4
	s_mul_i32 s9, s34, s4
	s_add_i32 s7, s7, s5
	v_mad_u64_u32 v[2:3], null, s34, v8, s[42:43]
	s_delay_alu instid0(VALU_DEP_1) | instskip(NEXT) | instid1(VALU_DEP_1)
	v_mad_u64_u32 v[4:5], null, s35, v8, v[3:4]
	v_mov_b32_e32 v3, v4
	v_dual_mov_b32 v5, v1 :: v_dual_mov_b32 v4, v0
	s_branch .LBB76_17
.LBB76_16:                              ;   in Loop: Header=BB76_17 Depth=2
	s_or_b32 exec_lo, exec_lo, s5
	v_add_co_u32 v2, vcc_lo, v2, s9
	v_add_co_ci_u32_e32 v3, vcc_lo, s7, v3, vcc_lo
	v_mov_b32_e32 v7, v8
	s_and_not1_b32 exec_lo, exec_lo, s8
	s_cbranch_execz .LBB76_27
.LBB76_17:                              ;   Parent Loop BB76_12 Depth=1
                                        ; =>  This Inner Loop Header: Depth=2
	s_delay_alu instid0(VALU_DEP_1) | instskip(NEXT) | instid1(VALU_DEP_2)
	v_add_co_u32 v4, vcc_lo, v4, v6
	v_add_co_ci_u32_e32 v5, vcc_lo, 0, v5, vcc_lo
	s_waitcnt lgkmcnt(0)
	v_dual_mov_b32 v9, 0 :: v_dual_mov_b32 v8, 0
	s_mov_b32 s5, exec_lo
	s_delay_alu instid0(VALU_DEP_2)
	v_cmp_le_u64_e32 vcc_lo, s[24:25], v[4:5]
	v_cmpx_gt_u64_e64 s[24:25], v[4:5]
	s_cbranch_execz .LBB76_19
; %bb.18:                               ;   in Loop: Header=BB76_17 Depth=2
	global_load_u8 v8, v[2:3], off
.LBB76_19:                              ;   in Loop: Header=BB76_17 Depth=2
	s_or_b32 exec_lo, exec_lo, s5
	s_waitcnt vmcnt(0)
	v_and_b32_e32 v12, s85, v7
	s_delay_alu instid0(VALU_DEP_1) | instskip(NEXT) | instid1(VALU_DEP_1)
	v_and_b32_e32 v12, 0xff, v12
	v_cmp_eq_u32_e64 s4, s84, v12
	s_delay_alu instid0(VALU_DEP_1) | instskip(SKIP_1) | instid1(SALU_CYCLE_1)
	s_cmp_lg_u32 s4, 0
	s_cselect_b32 s5, -1, 0
	s_and_b32 s5, s1, s5
	s_delay_alu instid0(SALU_CYCLE_1)
	s_and_saveexec_b32 s10, s5
	s_cbranch_execz .LBB76_23
; %bb.20:                               ;   in Loop: Header=BB76_17 Depth=2
	s_mov_b32 s13, exec_lo
	s_bcnt1_i32_b32 s11, s4
	v_mbcnt_lo_u32_b32 v9, s13, 0
	s_mov_b32 s12, exec_lo
                                        ; implicit-def: $vgpr12
	s_delay_alu instid0(VALU_DEP_1)
	v_cmpx_eq_u32_e32 0, v9
	s_cbranch_execz .LBB76_22
; %bb.21:                               ;   in Loop: Header=BB76_17 Depth=2
	s_bcnt1_i32_b32 s5, s13
	s_delay_alu instid0(SALU_CYCLE_1) | instskip(NEXT) | instid1(SALU_CYCLE_1)
	s_mul_i32 s5, s11, s5
	v_mov_b32_e32 v12, s5
	ds_add_rtn_u32 v12, v13, v12 offset:5144
.LBB76_22:                              ;   in Loop: Header=BB76_17 Depth=2
	s_or_b32 exec_lo, exec_lo, s12
	s_waitcnt lgkmcnt(0)
	v_readfirstlane_b32 s5, v12
	s_delay_alu instid0(VALU_DEP_1)
	v_mad_u32_u24 v9, s11, v9, s5
.LBB76_23:                              ;   in Loop: Header=BB76_17 Depth=2
	s_or_b32 exec_lo, exec_lo, s10
	ds_bpermute_b32 v9, v13, v9
	s_and_b32 s5, exec_lo, vcc_lo
	s_delay_alu instid0(SALU_CYCLE_1)
	s_or_b32 s8, s5, s8
	s_and_saveexec_b32 s5, s4
	s_cbranch_execz .LBB76_16
; %bb.24:                               ;   in Loop: Header=BB76_17 Depth=2
	v_and_b32_e32 v12, s4, v29
	s_waitcnt lgkmcnt(0)
	s_delay_alu instid0(VALU_DEP_1)
	v_bcnt_u32_b32 v9, v12, v9
	ds_store_b8 v9, v7
	s_branch .LBB76_16
.LBB76_25:                              ;   in Loop: Header=BB76_12 Depth=1
	s_mov_b32 s4, 0
                                        ; implicit-def: $sgpr52_sgpr53
	s_cbranch_execnz .LBB76_30
	s_branch .LBB76_40
.LBB76_26:                              ;   in Loop: Header=BB76_12 Depth=1
	s_mov_b64 s[52:53], 0
	s_and_b32 vcc_lo, exec_lo, s6
	s_cbranch_vccnz .LBB76_30
	s_branch .LBB76_40
.LBB76_27:                              ;   in Loop: Header=BB76_12 Depth=1
	s_or_b32 exec_lo, exec_lo, s8
	s_waitcnt lgkmcnt(0)
	s_barrier
	buffer_gl0_inv
	s_and_saveexec_b32 s4, s2
	s_cbranch_execz .LBB76_29
; %bb.28:                               ;   in Loop: Header=BB76_12 Depth=1
	ds_load_b32 v2, v13 offset:5144
	s_waitcnt lgkmcnt(0)
	v_ashrrev_i32_e32 v3, 31, v2
	ds_store_b64 v13, v[2:3] offset:5120
.LBB76_29:                              ;   in Loop: Header=BB76_12 Depth=1
	s_or_b32 exec_lo, exec_lo, s4
	s_waitcnt lgkmcnt(0)
	s_mov_b32 s4, -1
	s_barrier
	s_mov_b64 s[52:53], 0
	s_and_b32 vcc_lo, exec_lo, s6
	s_cbranch_vccz .LBB76_40
.LBB76_30:                              ;   in Loop: Header=BB76_12 Depth=1
	v_mov_b32_e32 v6, 0
	s_and_saveexec_b32 s4, s0
	s_cbranch_execz .LBB76_32
; %bb.31:                               ;   in Loop: Header=BB76_12 Depth=1
	global_load_u8 v6, v[10:11], off
.LBB76_32:                              ;   in Loop: Header=BB76_12 Depth=1
	s_or_b32 exec_lo, exec_lo, s4
	s_and_saveexec_b32 s5, s0
	s_cbranch_execz .LBB76_37
; %bb.33:                               ;   in Loop: Header=BB76_12 Depth=1
	global_load_u16 v8, v13, s[48:49]
	s_mov_b32 s9, 0
	s_waitcnt vmcnt(0)
	v_readfirstlane_b32 s4, v8
	v_and_b32_e32 v8, 0xffff, v8
	s_delay_alu instid0(VALU_DEP_2) | instskip(NEXT) | instid1(SALU_CYCLE_1)
	s_and_b32 s6, 0xffff, s4
	v_add_nc_u32_e32 v7, s6, v0
	s_mul_i32 s4, s35, s6
	s_mul_hi_u32 s7, s34, s6
	s_mul_i32 s8, s34, s6
	s_add_i32 s7, s7, s4
	v_mad_u64_u32 v[2:3], null, s34, v7, s[42:43]
	s_delay_alu instid0(VALU_DEP_1) | instskip(SKIP_1) | instid1(VALU_DEP_2)
	v_mad_u64_u32 v[4:5], null, s35, v7, v[3:4]
	v_mov_b32_e32 v7, v0
	v_mov_b32_e32 v3, v4
	v_dual_mov_b32 v5, v1 :: v_dual_mov_b32 v4, v0
	s_branch .LBB76_35
	.p2align	6
.LBB76_34:                              ;   in Loop: Header=BB76_35 Depth=2
	s_or_b32 exec_lo, exec_lo, s10
	s_delay_alu instid0(SALU_CYCLE_1)
	s_and_b32 s4, exec_lo, vcc_lo
	v_add_co_u32 v2, vcc_lo, v2, s8
	ds_store_b8 v7, v6
	s_waitcnt vmcnt(0)
	v_dual_mov_b32 v6, v9 :: v_dual_add_nc_u32 v7, s6, v7
	v_add_co_ci_u32_e32 v3, vcc_lo, s7, v3, vcc_lo
	s_or_b32 s9, s4, s9
	s_delay_alu instid0(SALU_CYCLE_1)
	s_and_not1_b32 exec_lo, exec_lo, s9
	s_cbranch_execz .LBB76_37
.LBB76_35:                              ;   Parent Loop BB76_12 Depth=1
                                        ; =>  This Inner Loop Header: Depth=2
	s_delay_alu instid0(VALU_DEP_1) | instskip(NEXT) | instid1(VALU_DEP_2)
	v_add_co_u32 v4, vcc_lo, v4, v8
	v_add_co_ci_u32_e32 v5, vcc_lo, 0, v5, vcc_lo
	v_mov_b32_e32 v9, 0
	s_mov_b32 s10, exec_lo
	s_delay_alu instid0(VALU_DEP_2)
	v_cmp_le_u64_e32 vcc_lo, s[24:25], v[4:5]
	v_cmpx_gt_u64_e64 s[24:25], v[4:5]
	s_cbranch_execz .LBB76_34
; %bb.36:                               ;   in Loop: Header=BB76_35 Depth=2
	global_load_u8 v9, v[2:3], off
	s_branch .LBB76_34
.LBB76_37:                              ;   in Loop: Header=BB76_12 Depth=1
	s_or_b32 exec_lo, exec_lo, s5
	s_waitcnt vmcnt(0) lgkmcnt(0)
	s_barrier
	buffer_gl0_inv
	s_and_saveexec_b32 s4, s2
	s_cbranch_execz .LBB76_39
; %bb.38:                               ;   in Loop: Header=BB76_12 Depth=1
	v_dual_mov_b32 v2, s24 :: v_dual_mov_b32 v3, s25
	ds_store_b64 v13, v[2:3] offset:5120
.LBB76_39:                              ;   in Loop: Header=BB76_12 Depth=1
	s_or_b32 exec_lo, exec_lo, s4
	s_mov_b32 s4, -1
	s_waitcnt lgkmcnt(0)
	s_barrier
                                        ; implicit-def: $sgpr52_sgpr53
.LBB76_40:                              ;   in Loop: Header=BB76_12 Depth=1
	s_and_b32 vcc_lo, exec_lo, s4
	s_cbranch_vccz .LBB76_42
; %bb.41:                               ;   in Loop: Header=BB76_12 Depth=1
	buffer_gl0_inv
	ds_load_b64 v[2:3], v13 offset:5120
	s_waitcnt lgkmcnt(0)
	v_readfirstlane_b32 s52, v2
.LBB76_42:                              ;   in Loop: Header=BB76_12 Depth=1
	s_delay_alu instid0(VALU_DEP_1)
	s_cmp_lt_i32 s52, 1
	s_cbranch_scc0 .LBB76_57
; %bb.43:                               ;   in Loop: Header=BB76_12 Depth=1
	global_load_u16 v2, v13, s[48:49]
	s_mov_b32 s5, s25
	s_waitcnt vmcnt(0)
	v_readfirstlane_b32 s4, v2
	s_delay_alu instid0(VALU_DEP_1)
	s_and_b32 s44, s4, 0xffff
	s_mov_b32 s4, s45
	s_lshl_b32 s46, s44, 2
	s_cmp_lg_u64 s[4:5], 0
	s_cbranch_scc0 .LBB76_77
; %bb.44:                               ;   in Loop: Header=BB76_12 Depth=1
	v_cvt_f32_u32_e32 v2, s46
	s_sub_u32 s6, 0, s46
	s_subb_u32 s7, 0, 0
	s_delay_alu instid0(VALU_DEP_1) | instskip(NEXT) | instid1(VALU_DEP_1)
	v_fmac_f32_e64 v2, 0, 0x4f800000
	v_rcp_f32_e32 v2, v2
	s_waitcnt_depctr 0xfff
	v_mul_f32_e32 v2, 0x5f7ffffc, v2
	s_delay_alu instid0(VALU_DEP_1) | instskip(NEXT) | instid1(VALU_DEP_1)
	v_mul_f32_e32 v3, 0x2f800000, v2
	v_trunc_f32_e32 v3, v3
	s_delay_alu instid0(VALU_DEP_1) | instskip(SKIP_1) | instid1(VALU_DEP_2)
	v_fmac_f32_e32 v2, 0xcf800000, v3
	v_cvt_u32_f32_e32 v3, v3
	v_cvt_u32_f32_e32 v2, v2
	s_delay_alu instid0(VALU_DEP_2) | instskip(NEXT) | instid1(VALU_DEP_2)
	v_readfirstlane_b32 s4, v3
	v_readfirstlane_b32 s5, v2
	s_delay_alu instid0(VALU_DEP_2) | instskip(NEXT) | instid1(VALU_DEP_1)
	s_mul_i32 s8, s6, s4
	s_mul_hi_u32 s10, s6, s5
	s_mul_i32 s9, s7, s5
	s_add_i32 s8, s10, s8
	s_mul_i32 s11, s6, s5
	s_add_i32 s8, s8, s9
	s_mul_hi_u32 s10, s5, s11
	s_mul_hi_u32 s12, s4, s11
	s_mul_i32 s9, s4, s11
	s_mul_hi_u32 s11, s5, s8
	s_mul_i32 s5, s5, s8
	s_mul_hi_u32 s13, s4, s8
	s_add_u32 s5, s10, s5
	s_addc_u32 s10, 0, s11
	s_add_u32 s5, s5, s9
	s_mul_i32 s8, s4, s8
	s_addc_u32 s5, s10, s12
	s_addc_u32 s9, s13, 0
	s_add_u32 s5, s5, s8
	s_addc_u32 s8, 0, s9
	v_add_co_u32 v2, s5, v2, s5
	s_delay_alu instid0(VALU_DEP_1) | instskip(SKIP_1) | instid1(VALU_DEP_1)
	s_cmp_lg_u32 s5, 0
	s_addc_u32 s4, s4, s8
	v_readfirstlane_b32 s5, v2
	s_mul_i32 s8, s6, s4
	s_delay_alu instid0(VALU_DEP_1)
	s_mul_hi_u32 s9, s6, s5
	s_mul_i32 s7, s7, s5
	s_add_i32 s8, s9, s8
	s_mul_i32 s6, s6, s5
	s_add_i32 s8, s8, s7
	s_mul_hi_u32 s9, s4, s6
	s_mul_i32 s10, s4, s6
	s_mul_hi_u32 s6, s5, s6
	s_mul_hi_u32 s11, s5, s8
	s_mul_i32 s5, s5, s8
	s_mul_hi_u32 s7, s4, s8
	s_add_u32 s5, s6, s5
	s_addc_u32 s6, 0, s11
	s_add_u32 s5, s5, s10
	s_mul_i32 s8, s4, s8
	s_addc_u32 s5, s6, s9
	s_addc_u32 s6, s7, 0
	s_add_u32 s5, s5, s8
	s_addc_u32 s6, 0, s6
	v_add_co_u32 v2, s5, v2, s5
	s_delay_alu instid0(VALU_DEP_1) | instskip(SKIP_1) | instid1(VALU_DEP_1)
	s_cmp_lg_u32 s5, 0
	s_addc_u32 s4, s4, s6
	v_readfirstlane_b32 s5, v2
	s_mul_i32 s7, s24, s4
	s_mul_hi_u32 s6, s24, s4
	s_mul_hi_u32 s8, s25, s4
	s_mul_i32 s4, s25, s4
	s_mul_hi_u32 s9, s24, s5
	s_mul_hi_u32 s10, s25, s5
	s_mul_i32 s5, s25, s5
	s_add_u32 s7, s9, s7
	s_addc_u32 s6, 0, s6
	s_add_u32 s5, s7, s5
	s_addc_u32 s5, s6, s10
	s_addc_u32 s6, s8, 0
	s_add_u32 s4, s5, s4
	s_addc_u32 s5, 0, s6
	s_mul_hi_u32 s6, s46, s4
	s_mul_i32 s4, s46, s4
	s_mul_i32 s5, s46, s5
	v_sub_co_u32 v2, s4, s24, s4
	s_add_i32 s6, s6, s5
	s_cmp_lg_u32 s4, 0
	s_delay_alu instid0(VALU_DEP_1) | instskip(SKIP_2) | instid1(VALU_DEP_1)
	v_sub_co_u32 v3, s4, v2, s46
	s_subb_u32 s5, s25, s6
	s_cmp_lg_u32 s4, 0
	v_cmp_le_u32_e32 vcc_lo, s46, v3
	v_sub_co_u32 v4, s4, v3, s46
	s_subb_u32 s6, s5, 0
	s_cmp_lg_u32 s4, 0
	v_cndmask_b32_e64 v5, 0, -1, vcc_lo
	s_subb_u32 s4, s6, 0
	s_cmp_eq_u32 s6, 0
	v_mov_b32_e32 v7, s4
	s_cselect_b32 vcc_lo, -1, 0
	s_cmp_eq_u32 s5, 0
	v_cndmask_b32_e32 v5, -1, v5, vcc_lo
	v_cmp_le_u32_e32 vcc_lo, s46, v2
	s_cselect_b32 s4, -1, 0
	v_cndmask_b32_e64 v6, 0, -1, vcc_lo
	s_delay_alu instid0(VALU_DEP_3) | instskip(NEXT) | instid1(VALU_DEP_2)
	v_cmp_ne_u32_e32 vcc_lo, 0, v5
	v_cndmask_b32_e64 v5, -1, v6, s4
	v_cndmask_b32_e32 v6, s6, v7, vcc_lo
	v_cndmask_b32_e32 v4, v3, v4, vcc_lo
	s_delay_alu instid0(VALU_DEP_3) | instskip(NEXT) | instid1(VALU_DEP_3)
	v_cmp_ne_u32_e32 vcc_lo, 0, v5
	v_cndmask_b32_e32 v3, s5, v6, vcc_lo
	s_delay_alu instid0(VALU_DEP_3)
	v_cndmask_b32_e32 v2, v2, v4, vcc_lo
	s_cbranch_execnz .LBB76_46
.LBB76_45:                              ;   in Loop: Header=BB76_12 Depth=1
	v_cvt_f32_u32_e32 v2, s46
	s_sub_i32 s4, 0, s46
	s_delay_alu instid0(VALU_DEP_1) | instskip(SKIP_2) | instid1(VALU_DEP_1)
	v_rcp_iflag_f32_e32 v2, v2
	s_waitcnt_depctr 0xfff
	v_mul_f32_e32 v2, 0x4f7ffffe, v2
	v_cvt_u32_f32_e32 v2, v2
	s_delay_alu instid0(VALU_DEP_1) | instskip(NEXT) | instid1(VALU_DEP_1)
	v_mul_lo_u32 v3, s4, v2
	v_mul_hi_u32 v3, v2, v3
	s_delay_alu instid0(VALU_DEP_1) | instskip(NEXT) | instid1(VALU_DEP_1)
	v_add_nc_u32_e32 v2, v2, v3
	v_mul_hi_u32 v2, s24, v2
	s_delay_alu instid0(VALU_DEP_1) | instskip(NEXT) | instid1(VALU_DEP_1)
	v_mul_lo_u32 v2, v2, s46
	v_sub_nc_u32_e32 v2, s24, v2
	s_delay_alu instid0(VALU_DEP_1) | instskip(SKIP_1) | instid1(VALU_DEP_2)
	v_subrev_nc_u32_e32 v3, s46, v2
	v_cmp_le_u32_e32 vcc_lo, s46, v2
	v_cndmask_b32_e32 v2, v2, v3, vcc_lo
	s_delay_alu instid0(VALU_DEP_1) | instskip(SKIP_1) | instid1(VALU_DEP_2)
	v_subrev_nc_u32_e32 v3, s46, v2
	v_cmp_le_u32_e32 vcc_lo, s46, v2
	v_cndmask_b32_e32 v12, v2, v3, vcc_lo
	s_delay_alu instid0(VALU_DEP_1)
	v_dual_mov_b32 v2, v12 :: v_dual_mov_b32 v3, v13
.LBB76_46:                              ;   in Loop: Header=BB76_12 Depth=1
	s_delay_alu instid0(VALU_DEP_1) | instskip(NEXT) | instid1(VALU_DEP_2)
	v_sub_co_u32 v23, vcc_lo, s24, v2
	v_sub_co_ci_u32_e32 v24, vcc_lo, s25, v3, vcc_lo
	v_mov_b32_e32 v2, 0
	v_mov_b32_e32 v3, 0
	s_mov_b64 s[54:55], 0
	s_mov_b32 s53, exec_lo
	s_delay_alu instid0(VALU_DEP_1)
	v_dual_mov_b32 v5, v3 :: v_dual_mov_b32 v4, v2
	v_dual_mov_b32 v7, v3 :: v_dual_mov_b32 v6, v2
	;; [unrolled: 1-line block ×3, first 2 shown]
	v_cmpx_gt_u64_e64 v[23:24], v[14:15]
	s_cbranch_execz .LBB76_50
; %bb.47:                               ;   in Loop: Header=BB76_12 Depth=1
	v_dual_mov_b32 v26, v15 :: v_dual_mov_b32 v25, v14
	s_mul_i32 s4, s51, s44
	s_mul_hi_u32 s5, s50, s44
	s_and_b32 s86, s75, 0xfe
	s_add_i32 s87, s5, s4
	s_mul_i32 s88, s50, s44
	s_mov_b32 s89, 0
	s_mov_b64 s[56:57], s[42:43]
	s_mov_b64 s[58:59], 0
	;; [unrolled: 1-line block ×4, first 2 shown]
.LBB76_48:                              ;   Parent Loop BB76_12 Depth=1
                                        ; =>  This Inner Loop Header: Depth=2
	v_add_co_u32 v2, vcc_lo, s56, v21
	v_add_co_ci_u32_e32 v3, vcc_lo, s57, v22, vcc_lo
	v_add_co_u32 v4, vcc_lo, s56, v20
	v_add_co_ci_u32_e32 v5, vcc_lo, s57, v30, vcc_lo
	;; [unrolled: 2-line block ×4, first 2 shown]
	s_clause 0x3
	global_load_u8 v2, v[2:3], off
	global_load_u8 v3, v[4:5], off
	;; [unrolled: 1-line block ×4, first 2 shown]
	v_add_co_u32 v25, vcc_lo, v25, s46
	v_add_co_ci_u32_e32 v26, vcc_lo, 0, v26, vcc_lo
	s_delay_alu instid0(VALU_DEP_1)
	v_cmp_ge_u64_e32 vcc_lo, v[25:26], v[23:24]
	s_waitcnt vmcnt(3)
	v_and_b32_e32 v6, s85, v2
	v_bfe_u32 v2, v2, s86, 2
	s_waitcnt vmcnt(2)
	v_and_b32_e32 v7, s85, v3
	v_bfe_u32 v3, v3, s86, 2
	;; [unrolled: 3-line block ×3, first 2 shown]
	v_cmp_eq_u32_e64 s4, s84, v6
	v_cmp_eq_u32_e64 s8, 0, v2
	s_waitcnt vmcnt(0)
	v_and_b32_e32 v9, s85, v5
	v_bfe_u32 v5, v5, s86, 2
	v_cmp_eq_u32_e64 s5, s84, v7
	v_cmp_eq_u32_e64 s9, 0, v3
	;; [unrolled: 1-line block ×4, first 2 shown]
	s_and_b32 s8, s4, s8
	v_cmp_eq_u32_e64 s7, s84, v9
	v_cmp_eq_u32_e64 s11, 0, v5
	;; [unrolled: 1-line block ×5, first 2 shown]
	v_cndmask_b32_e64 v2, 0, 1, s8
	s_and_b32 s8, s5, s9
	v_cmp_eq_u32_e64 s13, 1, v3
	v_cmp_eq_u32_e64 s17, 2, v3
	v_cmp_eq_u32_e64 s21, 3, v3
	v_cndmask_b32_e64 v3, 0, 1, s8
	s_and_b32 s8, s6, s10
	v_cmp_eq_u32_e64 s14, 1, v4
	v_cmp_eq_u32_e64 s18, 2, v4
	v_cmp_eq_u32_e64 s22, 3, v4
	;; [unrolled: 5-line block ×3, first 2 shown]
	v_cndmask_b32_e64 v5, 0, 1, s8
	v_cmp_ne_u32_e64 s8, 0, v2
	v_cmp_ne_u32_e64 s9, 0, v3
	;; [unrolled: 1-line block ×3, first 2 shown]
	s_delay_alu instid0(VALU_DEP_4) | instskip(NEXT) | instid1(VALU_DEP_4)
	v_cmp_ne_u32_e64 s11, 0, v5
	s_bcnt1_i32_b32 s8, s8
	s_delay_alu instid0(VALU_DEP_3) | instskip(NEXT) | instid1(VALU_DEP_2)
	s_bcnt1_i32_b32 s9, s9
	s_bcnt1_i32_b32 s10, s10
	s_add_i32 s8, s9, s8
	s_bcnt1_i32_b32 s11, s11
	s_add_i32 s8, s8, s10
	s_delay_alu instid0(SALU_CYCLE_1) | instskip(NEXT) | instid1(SALU_CYCLE_1)
	s_add_i32 s8, s8, s11
	s_add_u32 s62, s62, s8
	s_addc_u32 s63, s63, 0
	s_and_b32 s8, s4, s12
	v_mov_b32_e32 v2, s62
	v_cndmask_b32_e64 v4, 0, 1, s8
	s_and_b32 s8, s5, s13
	v_mov_b32_e32 v3, s63
	v_cndmask_b32_e64 v5, 0, 1, s8
	s_and_b32 s8, s6, s14
	s_delay_alu instid0(SALU_CYCLE_1) | instskip(SKIP_1) | instid1(VALU_DEP_2)
	v_cndmask_b32_e64 v6, 0, 1, s8
	s_and_b32 s8, s7, s15
	v_cmp_ne_u32_e64 s9, 0, v5
	v_cndmask_b32_e64 v7, 0, 1, s8
	v_cmp_ne_u32_e64 s8, 0, v4
	v_cmp_ne_u32_e64 s10, 0, v6
	s_delay_alu instid0(VALU_DEP_4) | instskip(NEXT) | instid1(VALU_DEP_3)
	s_bcnt1_i32_b32 s9, s9
	v_cmp_ne_u32_e64 s11, 0, v7
	s_delay_alu instid0(VALU_DEP_3) | instskip(NEXT) | instid1(VALU_DEP_2)
	s_bcnt1_i32_b32 s8, s8
	s_bcnt1_i32_b32 s10, s10
	s_add_i32 s8, s9, s8
	s_delay_alu instid0(VALU_DEP_1) | instskip(SKIP_1) | instid1(SALU_CYCLE_1)
	s_bcnt1_i32_b32 s11, s11
	s_add_i32 s8, s8, s10
	s_add_i32 s8, s8, s11
	s_delay_alu instid0(SALU_CYCLE_1) | instskip(SKIP_2) | instid1(SALU_CYCLE_1)
	s_add_u32 s60, s60, s8
	s_addc_u32 s61, s61, 0
	s_and_b32 s8, s4, s16
	v_cndmask_b32_e64 v4, 0, 1, s8
	s_and_b32 s8, s5, s17
	s_delay_alu instid0(SALU_CYCLE_1) | instskip(SKIP_1) | instid1(SALU_CYCLE_1)
	v_cndmask_b32_e64 v5, 0, 1, s8
	s_and_b32 s8, s6, s18
	v_cndmask_b32_e64 v6, 0, 1, s8
	s_and_b32 s8, s7, s19
	s_delay_alu instid0(VALU_DEP_2) | instskip(SKIP_3) | instid1(VALU_DEP_4)
	v_cmp_ne_u32_e64 s9, 0, v5
	v_cndmask_b32_e64 v7, 0, 1, s8
	v_cmp_ne_u32_e64 s8, 0, v4
	v_cmp_ne_u32_e64 s10, 0, v6
	s_bcnt1_i32_b32 s9, s9
	s_delay_alu instid0(VALU_DEP_3) | instskip(NEXT) | instid1(VALU_DEP_3)
	v_cmp_ne_u32_e64 s11, 0, v7
	s_bcnt1_i32_b32 s8, s8
	s_delay_alu instid0(VALU_DEP_2) | instskip(SKIP_1) | instid1(VALU_DEP_1)
	s_bcnt1_i32_b32 s10, s10
	s_add_i32 s8, s9, s8
	s_bcnt1_i32_b32 s11, s11
	s_add_i32 s8, s8, s10
	s_delay_alu instid0(SALU_CYCLE_1) | instskip(NEXT) | instid1(SALU_CYCLE_1)
	s_add_i32 s8, s8, s11
	s_add_u32 s58, s58, s8
	s_addc_u32 s59, s59, 0
	s_and_b32 s4, s4, s20
	s_delay_alu instid0(SALU_CYCLE_1) | instskip(SKIP_1) | instid1(SALU_CYCLE_1)
	v_cndmask_b32_e64 v4, 0, 1, s4
	s_and_b32 s4, s5, s21
	v_cndmask_b32_e64 v5, 0, 1, s4
	s_and_b32 s4, s6, s22
	s_delay_alu instid0(SALU_CYCLE_1) | instskip(SKIP_1) | instid1(VALU_DEP_2)
	v_cndmask_b32_e64 v6, 0, 1, s4
	s_and_b32 s4, s7, s23
	v_cmp_ne_u32_e64 s5, 0, v5
	v_cndmask_b32_e64 v7, 0, 1, s4
	v_cmp_ne_u32_e64 s4, 0, v4
	v_mov_b32_e32 v4, s60
	v_cmp_ne_u32_e64 s6, 0, v6
	s_bcnt1_i32_b32 s5, s5
	v_cmp_ne_u32_e64 s7, 0, v7
	s_bcnt1_i32_b32 s4, s4
	v_mov_b32_e32 v5, s61
	s_bcnt1_i32_b32 s6, s6
	s_add_i32 s4, s5, s4
	s_bcnt1_i32_b32 s5, s7
	s_add_i32 s4, s4, s6
	v_dual_mov_b32 v6, s58 :: v_dual_mov_b32 v7, s59
	s_add_i32 s4, s4, s5
	s_delay_alu instid0(SALU_CYCLE_1) | instskip(SKIP_1) | instid1(SALU_CYCLE_1)
	s_add_u32 s54, s54, s4
	s_addc_u32 s55, s55, 0
	v_dual_mov_b32 v8, s54 :: v_dual_mov_b32 v9, s55
	s_add_u32 s56, s56, s88
	s_addc_u32 s57, s57, s87
	s_or_b32 s89, vcc_lo, s89
	s_delay_alu instid0(SALU_CYCLE_1)
	s_and_not1_b32 exec_lo, exec_lo, s89
	s_cbranch_execnz .LBB76_48
; %bb.49:                               ;   in Loop: Header=BB76_12 Depth=1
	s_or_b32 exec_lo, exec_lo, s89
.LBB76_50:                              ;   in Loop: Header=BB76_12 Depth=1
	s_delay_alu instid0(SALU_CYCLE_1) | instskip(SKIP_3) | instid1(VALU_DEP_2)
	s_or_b32 exec_lo, exec_lo, s53
	v_add_co_u32 v23, vcc_lo, v23, v0
	v_add_co_ci_u32_e32 v24, vcc_lo, 0, v24, vcc_lo
	v_mov_b32_e32 v25, 0
	v_cmp_gt_u64_e32 vcc_lo, s[24:25], v[23:24]
	s_and_saveexec_b32 s4, vcc_lo
	s_cbranch_execz .LBB76_52
; %bb.51:                               ;   in Loop: Header=BB76_12 Depth=1
	v_mad_u64_u32 v[25:26], null, v23, s34, s[42:43]
	v_mul_lo_u32 v12, v23, s35
	v_mul_lo_u32 v33, v24, s34
	s_delay_alu instid0(VALU_DEP_1)
	v_add3_u32 v26, v33, v26, v12
	global_load_u8 v25, v[25:26], off
.LBB76_52:                              ;   in Loop: Header=BB76_12 Depth=1
	s_or_b32 exec_lo, exec_lo, s4
	s_and_saveexec_b32 s7, vcc_lo
	s_cbranch_execz .LBB76_59
; %bb.53:                               ;   in Loop: Header=BB76_12 Depth=1
	s_and_b32 s9, s75, 0xfe
	s_mov_b32 s8, 0
	s_branch .LBB76_55
.LBB76_54:                              ;   in Loop: Header=BB76_55 Depth=2
	s_or_b32 exec_lo, exec_lo, s5
	s_waitcnt vmcnt(0)
	v_and_b32_e32 v25, 0xff, v25
	s_and_b32 s6, exec_lo, vcc_lo
	s_delay_alu instid0(SALU_CYCLE_1) | instskip(NEXT) | instid1(VALU_DEP_1)
	s_or_b32 s8, s6, s8
	v_and_b32_e32 v26, s85, v25
	v_bfe_u32 v25, v25, s9, 2
	s_delay_alu instid0(VALU_DEP_2) | instskip(NEXT) | instid1(VALU_DEP_2)
	v_cmp_eq_u32_e64 s4, s84, v26
	v_cmp_eq_u32_e64 s5, 0, v25
	v_cmp_eq_u32_e32 vcc_lo, 1, v25
	v_cmp_eq_u32_e64 s6, 2, v25
	s_delay_alu instid0(VALU_DEP_3) | instskip(NEXT) | instid1(SALU_CYCLE_1)
	s_and_b32 s5, s4, s5
	v_cndmask_b32_e64 v26, 0, 1, s5
	s_and_b32 s5, s4, vcc_lo
	v_cmp_eq_u32_e32 vcc_lo, 3, v25
	v_cndmask_b32_e64 v33, 0, 1, s5
	s_and_b32 s5, s4, s6
	s_delay_alu instid0(SALU_CYCLE_1) | instskip(SKIP_1) | instid1(VALU_DEP_3)
	v_cndmask_b32_e64 v25, 0, 1, s5
	v_cmp_ne_u32_e64 s5, 0, v26
	v_cmp_ne_u32_e64 s6, 0, v33
	s_and_b32 s4, s4, vcc_lo
	s_delay_alu instid0(SALU_CYCLE_1) | instskip(NEXT) | instid1(VALU_DEP_3)
	v_cndmask_b32_e64 v26, 0, 1, s4
	s_bcnt1_i32_b32 s4, s5
	v_cmp_ne_u32_e32 vcc_lo, 0, v25
	v_mov_b32_e32 v25, v12
	v_add_co_u32 v2, s4, v2, s4
	s_bcnt1_i32_b32 s5, s6
	v_add_co_ci_u32_e64 v3, s4, 0, v3, s4
	v_add_co_u32 v4, s4, v4, s5
	s_delay_alu instid0(VALU_DEP_1) | instskip(SKIP_3) | instid1(VALU_DEP_1)
	v_add_co_ci_u32_e64 v5, s4, 0, v5, s4
	s_bcnt1_i32_b32 s4, vcc_lo
	v_cmp_ne_u32_e32 vcc_lo, 0, v26
	v_add_co_u32 v6, s4, v6, s4
	v_add_co_ci_u32_e64 v7, s4, 0, v7, s4
	s_bcnt1_i32_b32 s4, vcc_lo
	s_delay_alu instid0(SALU_CYCLE_1)
	v_add_co_u32 v8, vcc_lo, v8, s4
	v_add_co_ci_u32_e32 v9, vcc_lo, 0, v9, vcc_lo
	s_and_not1_b32 exec_lo, exec_lo, s8
	s_cbranch_execz .LBB76_58
.LBB76_55:                              ;   Parent Loop BB76_12 Depth=1
                                        ; =>  This Inner Loop Header: Depth=2
	v_add_co_u32 v23, vcc_lo, v23, s44
	v_add_co_ci_u32_e32 v24, vcc_lo, 0, v24, vcc_lo
	v_mov_b32_e32 v12, 0
	s_mov_b32 s5, exec_lo
	s_delay_alu instid0(VALU_DEP_2)
	v_cmp_le_u64_e32 vcc_lo, s[24:25], v[23:24]
	v_cmpx_gt_u64_e64 s[24:25], v[23:24]
	s_cbranch_execz .LBB76_54
; %bb.56:                               ;   in Loop: Header=BB76_55 Depth=2
	v_mad_u64_u32 v[33:34], null, v23, s34, s[42:43]
	v_mul_lo_u32 v12, v23, s35
	v_mul_lo_u32 v26, v24, s34
	s_delay_alu instid0(VALU_DEP_1)
	v_add3_u32 v34, v26, v34, v12
	global_load_u8 v12, v[33:34], off
	s_branch .LBB76_54
.LBB76_57:                              ;   in Loop: Header=BB76_12 Depth=1
                                        ; implicit-def: $vgpr8_vgpr9
                                        ; implicit-def: $vgpr4_vgpr5
	s_cbranch_execnz .LBB76_60
	s_branch .LBB76_69
.LBB76_58:                              ;   in Loop: Header=BB76_12 Depth=1
	s_or_b32 exec_lo, exec_lo, s8
.LBB76_59:                              ;   in Loop: Header=BB76_12 Depth=1
	s_delay_alu instid0(SALU_CYCLE_1)
	s_or_b32 exec_lo, exec_lo, s7
	s_branch .LBB76_69
.LBB76_60:                              ;   in Loop: Header=BB76_12 Depth=1
	global_load_u16 v12, v13, s[48:49]
	s_mov_b64 s[54:55], 0
	s_mov_b32 s53, exec_lo
	s_waitcnt vmcnt(0)
	v_readfirstlane_b32 s4, v12
	s_delay_alu instid0(VALU_DEP_1) | instskip(NEXT) | instid1(SALU_CYCLE_1)
	s_and_b32 s4, 0xffff, s4
	s_lshl_b32 s46, s4, 2
	s_delay_alu instid0(SALU_CYCLE_1) | instskip(SKIP_1) | instid1(VALU_DEP_1)
	v_cvt_f32_u32_e32 v2, s46
	s_sub_i32 s5, 0, s46
	v_rcp_iflag_f32_e32 v2, v2
	s_waitcnt_depctr 0xfff
	v_mul_f32_e32 v2, 0x4f7ffffe, v2
	s_delay_alu instid0(VALU_DEP_1) | instskip(NEXT) | instid1(VALU_DEP_1)
	v_cvt_u32_f32_e32 v2, v2
	v_readfirstlane_b32 s4, v2
	v_mov_b32_e32 v2, 0
	v_mov_b32_e32 v3, 0
	s_delay_alu instid0(VALU_DEP_3) | instskip(NEXT) | instid1(VALU_DEP_1)
	s_mul_i32 s5, s5, s4
	v_dual_mov_b32 v5, v3 :: v_dual_mov_b32 v4, v2
	s_mul_hi_u32 s5, s4, s5
	v_dual_mov_b32 v7, v3 :: v_dual_mov_b32 v6, v2
	s_add_i32 s4, s4, s5
	v_dual_mov_b32 v9, v3 :: v_dual_mov_b32 v8, v2
	s_mul_hi_u32 s4, s52, s4
	s_delay_alu instid0(SALU_CYCLE_1) | instskip(NEXT) | instid1(SALU_CYCLE_1)
	s_mul_i32 s4, s4, s46
	s_sub_i32 s4, s52, s4
	s_delay_alu instid0(SALU_CYCLE_1) | instskip(SKIP_2) | instid1(SALU_CYCLE_1)
	s_sub_i32 s5, s4, s46
	s_cmp_ge_u32 s4, s46
	s_cselect_b32 s4, s5, s4
	s_sub_i32 s5, s4, s46
	s_cmp_ge_u32 s4, s46
	s_cselect_b32 s4, s5, s4
	s_delay_alu instid0(SALU_CYCLE_1) | instskip(NEXT) | instid1(SALU_CYCLE_1)
	s_sub_i32 s44, s52, s4
	v_cmpx_gt_u32_e64 s44, v14
	s_cbranch_execz .LBB76_64
; %bb.61:                               ;   in Loop: Header=BB76_12 Depth=1
	v_dual_mov_b32 v25, v14 :: v_dual_mov_b32 v24, v15
	v_mov_b32_e32 v23, v14
	s_and_b32 s63, s75, 0xfe
	s_mov_b32 s62, 0
	s_mov_b64 s[56:57], 0
	s_mov_b64 s[58:59], 0
	;; [unrolled: 1-line block ×3, first 2 shown]
.LBB76_62:                              ;   Parent Loop BB76_12 Depth=1
                                        ; =>  This Inner Loop Header: Depth=2
	ds_load_b32 v2, v25
	v_add_co_u32 v23, vcc_lo, v23, s46
	v_add_co_ci_u32_e32 v24, vcc_lo, 0, v24, vcc_lo
	s_delay_alu instid0(VALU_DEP_1)
	v_cmp_le_u64_e32 vcc_lo, s[44:45], v[23:24]
	s_waitcnt lgkmcnt(0)
	v_and_b32_e32 v3, 0xff, v2
	v_bfe_u32 v4, v2, 8, 8
	v_bfe_u32 v5, v2, 16, 8
	v_lshrrev_b32_e32 v2, 24, v2
	s_delay_alu instid0(VALU_DEP_4)
	v_and_b32_e32 v6, s85, v3
	v_bfe_u32 v3, v3, s63, 2
	v_and_b32_e32 v7, s85, v4
	v_bfe_u32 v4, v4, s63, 2
	;; [unrolled: 2-line block ×3, first 2 shown]
	v_cmp_eq_u32_e64 s4, s84, v6
	v_cmp_eq_u32_e64 s8, 0, v3
	v_and_b32_e32 v9, s85, v2
	v_bfe_u32 v2, v2, s63, 2
	v_cmp_eq_u32_e64 s5, s84, v7
	v_cmp_eq_u32_e64 s9, 0, v4
	;; [unrolled: 1-line block ×4, first 2 shown]
	s_and_b32 s8, s4, s8
	v_cmp_eq_u32_e64 s7, s84, v9
	v_cmp_eq_u32_e64 s11, 0, v2
	;; [unrolled: 1-line block ×5, first 2 shown]
	v_cndmask_b32_e64 v2, 0, 1, s8
	s_and_b32 s8, s5, s9
	v_cmp_eq_u32_e64 s12, 1, v3
	v_cmp_eq_u32_e64 s16, 2, v3
	v_cmp_eq_u32_e64 s20, 3, v3
	v_cndmask_b32_e64 v3, 0, 1, s8
	s_and_b32 s8, s6, s10
	v_cmp_eq_u32_e64 s13, 1, v4
	v_cmp_eq_u32_e64 s17, 2, v4
	v_cmp_eq_u32_e64 s21, 3, v4
	v_cndmask_b32_e64 v4, 0, 1, s8
	s_and_b32 s8, s7, s11
	v_cmp_eq_u32_e64 s14, 1, v5
	v_cmp_eq_u32_e64 s18, 2, v5
	v_cmp_eq_u32_e64 s22, 3, v5
	v_cndmask_b32_e64 v5, 0, 1, s8
	v_cmp_ne_u32_e64 s8, 0, v2
	v_cmp_ne_u32_e64 s9, 0, v3
	;; [unrolled: 1-line block ×3, first 2 shown]
	s_delay_alu instid0(VALU_DEP_4) | instskip(NEXT) | instid1(VALU_DEP_4)
	v_cmp_ne_u32_e64 s11, 0, v5
	s_bcnt1_i32_b32 s8, s8
	s_delay_alu instid0(VALU_DEP_3) | instskip(NEXT) | instid1(VALU_DEP_2)
	s_bcnt1_i32_b32 s9, s9
	s_bcnt1_i32_b32 s10, s10
	s_add_i32 s8, s9, s8
	s_bcnt1_i32_b32 s11, s11
	s_add_i32 s8, s8, s10
	s_delay_alu instid0(SALU_CYCLE_1) | instskip(NEXT) | instid1(SALU_CYCLE_1)
	s_add_i32 s8, s8, s11
	s_add_u32 s60, s60, s8
	s_addc_u32 s61, s61, 0
	s_and_b32 s8, s4, s12
	v_add_nc_u32_e32 v25, s46, v25
	v_cndmask_b32_e64 v2, 0, 1, s8
	s_and_b32 s8, s5, s13
	s_delay_alu instid0(SALU_CYCLE_1) | instskip(SKIP_1) | instid1(SALU_CYCLE_1)
	v_cndmask_b32_e64 v3, 0, 1, s8
	s_and_b32 s8, s6, s14
	v_cndmask_b32_e64 v4, 0, 1, s8
	s_and_b32 s8, s7, s15
	s_delay_alu instid0(VALU_DEP_2) | instskip(SKIP_3) | instid1(VALU_DEP_4)
	v_cmp_ne_u32_e64 s9, 0, v3
	v_cndmask_b32_e64 v5, 0, 1, s8
	v_cmp_ne_u32_e64 s8, 0, v2
	v_cmp_ne_u32_e64 s10, 0, v4
	s_bcnt1_i32_b32 s9, s9
	s_delay_alu instid0(VALU_DEP_3) | instskip(NEXT) | instid1(VALU_DEP_3)
	v_cmp_ne_u32_e64 s11, 0, v5
	s_bcnt1_i32_b32 s8, s8
	s_delay_alu instid0(VALU_DEP_2) | instskip(SKIP_1) | instid1(VALU_DEP_1)
	s_bcnt1_i32_b32 s10, s10
	s_add_i32 s8, s9, s8
	s_bcnt1_i32_b32 s11, s11
	s_add_i32 s8, s8, s10
	s_delay_alu instid0(SALU_CYCLE_1) | instskip(NEXT) | instid1(SALU_CYCLE_1)
	s_add_i32 s8, s8, s11
	s_add_u32 s58, s58, s8
	s_addc_u32 s59, s59, 0
	s_and_b32 s8, s4, s16
	s_delay_alu instid0(SALU_CYCLE_1) | instskip(SKIP_1) | instid1(SALU_CYCLE_1)
	v_cndmask_b32_e64 v2, 0, 1, s8
	s_and_b32 s8, s5, s17
	v_cndmask_b32_e64 v3, 0, 1, s8
	s_and_b32 s8, s6, s18
	s_delay_alu instid0(SALU_CYCLE_1) | instskip(SKIP_1) | instid1(VALU_DEP_2)
	v_cndmask_b32_e64 v4, 0, 1, s8
	s_and_b32 s8, s7, s19
	v_cmp_ne_u32_e64 s9, 0, v3
	v_cndmask_b32_e64 v5, 0, 1, s8
	v_cmp_ne_u32_e64 s8, 0, v2
	v_cmp_ne_u32_e64 s10, 0, v4
	s_delay_alu instid0(VALU_DEP_4) | instskip(NEXT) | instid1(VALU_DEP_3)
	s_bcnt1_i32_b32 s9, s9
	v_cmp_ne_u32_e64 s11, 0, v5
	s_delay_alu instid0(VALU_DEP_3) | instskip(NEXT) | instid1(VALU_DEP_2)
	s_bcnt1_i32_b32 s8, s8
	s_bcnt1_i32_b32 s10, s10
	s_add_i32 s8, s9, s8
	s_delay_alu instid0(VALU_DEP_1) | instskip(SKIP_1) | instid1(SALU_CYCLE_1)
	s_bcnt1_i32_b32 s11, s11
	s_add_i32 s8, s8, s10
	s_add_i32 s8, s8, s11
	s_delay_alu instid0(SALU_CYCLE_1)
	s_add_u32 s56, s56, s8
	s_addc_u32 s57, s57, 0
	s_and_b32 s4, s4, s20
	v_mov_b32_e32 v6, s56
	v_cndmask_b32_e64 v2, 0, 1, s4
	s_and_b32 s4, s5, s21
	v_mov_b32_e32 v7, s57
	v_cndmask_b32_e64 v3, 0, 1, s4
	s_and_b32 s4, s6, s22
	s_delay_alu instid0(SALU_CYCLE_1) | instskip(SKIP_1) | instid1(VALU_DEP_2)
	v_cndmask_b32_e64 v4, 0, 1, s4
	s_and_b32 s4, s7, s23
	v_cmp_ne_u32_e64 s5, 0, v3
	v_cndmask_b32_e64 v5, 0, 1, s4
	v_cmp_ne_u32_e64 s4, 0, v2
	v_mov_b32_e32 v2, s60
	v_cmp_ne_u32_e64 s6, 0, v4
	s_bcnt1_i32_b32 s5, s5
	v_cmp_ne_u32_e64 s7, 0, v5
	s_bcnt1_i32_b32 s4, s4
	v_mov_b32_e32 v4, s58
	s_bcnt1_i32_b32 s6, s6
	s_add_i32 s4, s5, s4
	s_bcnt1_i32_b32 s5, s7
	s_add_i32 s4, s4, s6
	v_mov_b32_e32 v3, s61
	s_add_i32 s4, s4, s5
	v_mov_b32_e32 v5, s59
	s_add_u32 s54, s54, s4
	s_addc_u32 s55, s55, 0
	s_delay_alu instid0(SALU_CYCLE_1) | instskip(SKIP_1) | instid1(SALU_CYCLE_1)
	v_dual_mov_b32 v8, s54 :: v_dual_mov_b32 v9, s55
	s_or_b32 s62, vcc_lo, s62
	s_and_not1_b32 exec_lo, exec_lo, s62
	s_cbranch_execnz .LBB76_62
; %bb.63:                               ;   in Loop: Header=BB76_12 Depth=1
	s_or_b32 exec_lo, exec_lo, s62
.LBB76_64:                              ;   in Loop: Header=BB76_12 Depth=1
	s_delay_alu instid0(SALU_CYCLE_1) | instskip(SKIP_3) | instid1(VALU_DEP_1)
	s_or_b32 exec_lo, exec_lo, s53
	v_and_b32_e32 v25, 0xffff, v12
	v_add_nc_u32_e32 v12, s44, v0
	s_mov_b32 s9, exec_lo
	v_cmpx_gt_u32_e64 s52, v12
	s_cbranch_execz .LBB76_68
; %bb.65:                               ;   in Loop: Header=BB76_12 Depth=1
	v_mov_b32_e32 v24, v13
	v_dual_mov_b32 v23, v12 :: v_dual_add_nc_u32 v26, s44, v0
	s_mov_b32 s11, 0
	s_and_b32 s10, s52, 0x7fffffff
	s_and_b32 s13, s75, 0xfe
	s_mov_b32 s12, s11
.LBB76_66:                              ;   Parent Loop BB76_12 Depth=1
                                        ; =>  This Inner Loop Header: Depth=2
	ds_load_u8 v12, v26
	v_add_co_u32 v23, vcc_lo, v23, v25
	v_add_co_ci_u32_e32 v24, vcc_lo, 0, v24, vcc_lo
	v_add_nc_u32_e32 v26, v26, v25
	s_delay_alu instid0(VALU_DEP_2) | instskip(SKIP_3) | instid1(VALU_DEP_2)
	v_cmp_le_u64_e32 vcc_lo, s[10:11], v[23:24]
	s_waitcnt lgkmcnt(0)
	v_and_b32_e32 v33, s85, v12
	v_bfe_u32 v12, v12, s13, 2
	v_cmp_eq_u32_e64 s4, s84, v33
	s_delay_alu instid0(VALU_DEP_2) | instskip(SKIP_3) | instid1(VALU_DEP_4)
	v_cmp_eq_u32_e64 s5, 0, v12
	v_cmp_eq_u32_e64 s6, 1, v12
	;; [unrolled: 1-line block ×4, first 2 shown]
	s_and_b32 s5, s4, s5
	s_delay_alu instid0(SALU_CYCLE_1) | instskip(SKIP_1) | instid1(SALU_CYCLE_1)
	v_cndmask_b32_e64 v12, 0, 1, s5
	s_and_b32 s5, s4, s6
	v_cndmask_b32_e64 v33, 0, 1, s5
	s_and_b32 s5, s4, s7
	s_and_b32 s4, s4, s8
	v_cndmask_b32_e64 v34, 0, 1, s5
	v_cndmask_b32_e64 v35, 0, 1, s4
	v_cmp_ne_u32_e64 s4, 0, v12
	v_cmp_ne_u32_e64 s5, 0, v33
	s_delay_alu instid0(VALU_DEP_4) | instskip(NEXT) | instid1(VALU_DEP_4)
	v_cmp_ne_u32_e64 s6, 0, v34
	v_cmp_ne_u32_e64 s7, 0, v35
	s_delay_alu instid0(VALU_DEP_4) | instskip(NEXT) | instid1(VALU_DEP_3)
	s_bcnt1_i32_b32 s4, s4
	s_bcnt1_i32_b32 s5, s5
	v_add_co_u32 v2, s4, v2, s4
	s_delay_alu instid0(VALU_DEP_1)
	v_add_co_ci_u32_e64 v3, s4, 0, v3, s4
	v_add_co_u32 v4, s4, v4, s5
	s_bcnt1_i32_b32 s6, s6
	v_add_co_ci_u32_e64 v5, s4, 0, v5, s4
	v_add_co_u32 v6, s4, v6, s6
	s_bcnt1_i32_b32 s7, s7
	v_add_co_ci_u32_e64 v7, s4, 0, v7, s4
	v_add_co_u32 v8, s4, v8, s7
	s_delay_alu instid0(VALU_DEP_1) | instskip(SKIP_1) | instid1(SALU_CYCLE_1)
	v_add_co_ci_u32_e64 v9, s4, 0, v9, s4
	s_or_b32 s12, vcc_lo, s12
	s_and_not1_b32 exec_lo, exec_lo, s12
	s_cbranch_execnz .LBB76_66
; %bb.67:                               ;   in Loop: Header=BB76_12 Depth=1
	s_or_b32 exec_lo, exec_lo, s12
.LBB76_68:                              ;   in Loop: Header=BB76_12 Depth=1
	s_delay_alu instid0(SALU_CYCLE_1)
	s_or_b32 exec_lo, exec_lo, s9
.LBB76_69:                              ;   in Loop: Header=BB76_12 Depth=1
	s_lshl_b32 s4, s82, 7
	s_and_saveexec_b32 s5, s1
	s_cbranch_execz .LBB76_71
; %bb.70:                               ;   in Loop: Header=BB76_12 Depth=1
	v_or_b32_e32 v12, s4, v28
	s_delay_alu instid0(VALU_DEP_1)
	v_lshlrev_b32_e32 v12, 3, v12
	ds_store_b128 v12, v[2:5] offset:3072
	ds_store_b128 v12, v[6:9] offset:3088
.LBB76_71:                              ;   in Loop: Header=BB76_12 Depth=1
	s_or_b32 exec_lo, exec_lo, s5
	s_waitcnt vmcnt(0) lgkmcnt(0)
	s_barrier
	buffer_gl0_inv
	s_and_saveexec_b32 s5, s65
	s_cbranch_execz .LBB76_82
; %bb.72:                               ;   in Loop: Header=BB76_12 Depth=1
	v_mov_b32_e32 v2, 0
	v_mov_b32_e32 v3, 0
	s_and_not1_b32 vcc_lo, exec_lo, s67
	s_cbranch_vccnz .LBB76_81
; %bb.73:                               ;   in Loop: Header=BB76_12 Depth=1
	v_mov_b32_e32 v2, 0
	v_mov_b32_e32 v3, 0
	s_and_not1_b32 vcc_lo, exec_lo, s72
	s_cbranch_vccnz .LBB76_78
; %bb.74:                               ;   in Loop: Header=BB76_12 Depth=1
	v_lshl_add_u32 v4, s82, 10, v31
	s_mov_b32 s6, 0
	s_set_inst_prefetch_distance 0x1
	.p2align	6
.LBB76_75:                              ;   Parent Loop BB76_12 Depth=1
                                        ; =>  This Inner Loop Header: Depth=2
	ds_load_2addr_b64 v[5:8], v4 offset1:4
	ds_load_2addr_b64 v[23:26], v4 offset0:8 offset1:12
	ds_load_2addr_b64 v[33:36], v4 offset0:16 offset1:20
	s_add_i32 s6, s6, 8
	s_delay_alu instid0(SALU_CYCLE_1) | instskip(SKIP_3) | instid1(VALU_DEP_2)
	s_cmp_eq_u32 s73, s6
	s_waitcnt lgkmcnt(2)
	v_add_co_u32 v2, vcc_lo, v5, v2
	v_add_co_ci_u32_e32 v3, vcc_lo, v6, v3, vcc_lo
	v_add_co_u32 v2, vcc_lo, v7, v2
	s_delay_alu instid0(VALU_DEP_2)
	v_add_co_ci_u32_e32 v3, vcc_lo, v8, v3, vcc_lo
	ds_load_2addr_b64 v[5:8], v4 offset0:24 offset1:28
	s_waitcnt lgkmcnt(2)
	v_add_co_u32 v2, vcc_lo, v23, v2
	v_add_co_ci_u32_e32 v3, vcc_lo, v24, v3, vcc_lo
	v_add_nc_u32_e32 v4, 0x100, v4
	s_delay_alu instid0(VALU_DEP_3) | instskip(NEXT) | instid1(VALU_DEP_3)
	v_add_co_u32 v2, vcc_lo, v25, v2
	v_add_co_ci_u32_e32 v3, vcc_lo, v26, v3, vcc_lo
	s_waitcnt lgkmcnt(1)
	s_delay_alu instid0(VALU_DEP_2) | instskip(NEXT) | instid1(VALU_DEP_2)
	v_add_co_u32 v2, vcc_lo, v33, v2
	v_add_co_ci_u32_e32 v3, vcc_lo, v34, v3, vcc_lo
	s_delay_alu instid0(VALU_DEP_2) | instskip(NEXT) | instid1(VALU_DEP_2)
	v_add_co_u32 v2, vcc_lo, v35, v2
	v_add_co_ci_u32_e32 v3, vcc_lo, v36, v3, vcc_lo
	s_waitcnt lgkmcnt(0)
	s_delay_alu instid0(VALU_DEP_2) | instskip(NEXT) | instid1(VALU_DEP_2)
	v_add_co_u32 v2, vcc_lo, v5, v2
	v_add_co_ci_u32_e32 v3, vcc_lo, v6, v3, vcc_lo
	s_delay_alu instid0(VALU_DEP_2) | instskip(NEXT) | instid1(VALU_DEP_2)
	v_add_co_u32 v2, vcc_lo, v7, v2
	v_add_co_ci_u32_e32 v3, vcc_lo, v8, v3, vcc_lo
	s_cbranch_scc0 .LBB76_75
; %bb.76:                               ;   in Loop: Header=BB76_12 Depth=1
	s_set_inst_prefetch_distance 0x2
	s_mov_b32 s6, s73
	s_and_not1_b32 vcc_lo, exec_lo, s74
	s_cbranch_vccz .LBB76_79
	s_branch .LBB76_81
.LBB76_77:                              ;   in Loop: Header=BB76_12 Depth=1
                                        ; implicit-def: $vgpr2_vgpr3
	s_branch .LBB76_45
.LBB76_78:                              ;   in Loop: Header=BB76_12 Depth=1
	s_mov_b32 s6, 0
	s_and_not1_b32 vcc_lo, exec_lo, s74
	s_cbranch_vccnz .LBB76_81
.LBB76_79:                              ;   in Loop: Header=BB76_12 Depth=1
	s_lshl_b32 s7, s82, 10
	s_lshl_b32 s6, s6, 5
	s_delay_alu instid0(SALU_CYCLE_1)
	v_add3_u32 v4, s7, s6, v31
	s_mov_b32 s6, s71
.LBB76_80:                              ;   Parent Loop BB76_12 Depth=1
                                        ; =>  This Inner Loop Header: Depth=2
	ds_load_b64 v[5:6], v4
	v_add_nc_u32_e32 v4, 32, v4
	s_add_i32 s6, s6, -1
	s_delay_alu instid0(SALU_CYCLE_1)
	s_cmp_lg_u32 s6, 0
	s_waitcnt lgkmcnt(0)
	v_add_co_u32 v2, vcc_lo, v5, v2
	v_add_co_ci_u32_e32 v3, vcc_lo, v6, v3, vcc_lo
	s_cbranch_scc1 .LBB76_80
.LBB76_81:                              ;   in Loop: Header=BB76_12 Depth=1
	v_add_lshl_u32 v4, s4, v27, 3
	ds_store_b64 v4, v[2:3] offset:3072
.LBB76_82:                              ;   in Loop: Header=BB76_12 Depth=1
	s_or_b32 exec_lo, exec_lo, s5
	s_lshl_b32 s4, s4, 3
	s_waitcnt lgkmcnt(0)
	v_mov_b32_e32 v6, s4
	s_barrier
	buffer_gl0_inv
	s_and_b32 s17, s75, 0xfe
	s_mov_b32 s19, -1
	ds_load_b128 v[2:5], v6 offset:3072
	ds_load_b128 v[6:9], v6 offset:3088
	s_lshl_b32 s16, 3, s17
	s_delay_alu instid0(SALU_CYCLE_1)
	s_not_b32 s18, s16
	s_waitcnt lgkmcnt(1)
	v_readfirstlane_b32 s13, v3
	v_readfirstlane_b32 s12, v2
	;; [unrolled: 1-line block ×4, first 2 shown]
	s_waitcnt lgkmcnt(0)
	v_readfirstlane_b32 s8, v6
	v_readfirstlane_b32 s9, v7
	s_cmp_eq_u64 s[12:13], 1
	v_readfirstlane_b32 s6, v8
	s_cselect_b32 s4, -1, 0
	s_cmp_eq_u64 s[40:41], 1
	v_readfirstlane_b32 s7, v9
	s_cselect_b32 s5, -1, 0
	s_delay_alu instid0(SALU_CYCLE_1) | instskip(NEXT) | instid1(SALU_CYCLE_1)
	s_and_b32 s20, s4, s5
	s_and_b32 vcc_lo, exec_lo, s20
	s_cbranch_vccz .LBB76_96
; %bb.83:                               ;   in Loop: Header=BB76_12 Depth=1
	ds_load_b64 v[2:3], v13 offset:5120
	s_waitcnt lgkmcnt(0)
	s_barrier
	buffer_gl0_inv
	v_readfirstlane_b32 s14, v2
	v_readfirstlane_b32 s15, v3
	s_and_saveexec_b32 s4, s3
	s_cbranch_execz .LBB76_85
; %bb.84:                               ;   in Loop: Header=BB76_12 Depth=1
	ds_store_b8 v0, v13 offset:3072
.LBB76_85:                              ;   in Loop: Header=BB76_12 Depth=1
	s_or_b32 exec_lo, exec_lo, s4
	s_and_b32 s84, s84, s18
	s_or_b32 s85, s85, s16
	s_cmp_eq_u64 s[14:15], 0
	s_waitcnt lgkmcnt(0)
	s_barrier
	buffer_gl0_inv
	s_cbranch_scc1 .LBB76_97
; %bb.86:                               ;   in Loop: Header=BB76_12 Depth=1
	s_add_u32 s21, s68, s14
	s_addc_u32 s5, s69, s15
	s_mov_b32 s4, s45
	s_delay_alu instid0(SALU_CYCLE_1)
	s_cmp_lg_u64 s[4:5], 0
	s_cbranch_scc0 .LBB76_140
; %bb.87:                               ;   in Loop: Header=BB76_12 Depth=1
	v_cvt_f32_u32_e32 v2, s29
	s_sub_u32 s23, 0, s29
	s_subb_u32 s44, 0, 0
	s_delay_alu instid0(VALU_DEP_1) | instskip(NEXT) | instid1(VALU_DEP_1)
	v_fmac_f32_e64 v2, 0, 0x4f800000
	v_rcp_f32_e32 v2, v2
	s_waitcnt_depctr 0xfff
	v_mul_f32_e32 v2, 0x5f7ffffc, v2
	s_delay_alu instid0(VALU_DEP_1) | instskip(NEXT) | instid1(VALU_DEP_1)
	v_mul_f32_e32 v3, 0x2f800000, v2
	v_trunc_f32_e32 v3, v3
	s_delay_alu instid0(VALU_DEP_1) | instskip(SKIP_1) | instid1(VALU_DEP_2)
	v_fmac_f32_e32 v2, 0xcf800000, v3
	v_cvt_u32_f32_e32 v3, v3
	v_cvt_u32_f32_e32 v2, v2
	s_delay_alu instid0(VALU_DEP_2) | instskip(NEXT) | instid1(VALU_DEP_2)
	v_readfirstlane_b32 s4, v3
	v_readfirstlane_b32 s22, v2
	s_delay_alu instid0(VALU_DEP_2) | instskip(NEXT) | instid1(VALU_DEP_1)
	s_mul_i32 s46, s23, s4
	s_mul_hi_u32 s53, s23, s22
	s_mul_i32 s52, s44, s22
	s_add_i32 s46, s53, s46
	s_mul_i32 s54, s23, s22
	s_add_i32 s46, s46, s52
	s_mul_hi_u32 s53, s22, s54
	s_mul_hi_u32 s55, s4, s54
	s_mul_i32 s52, s4, s54
	s_mul_hi_u32 s54, s22, s46
	s_mul_i32 s22, s22, s46
	s_mul_hi_u32 s56, s4, s46
	s_add_u32 s22, s53, s22
	s_addc_u32 s53, 0, s54
	s_add_u32 s22, s22, s52
	s_mul_i32 s46, s4, s46
	s_addc_u32 s22, s53, s55
	s_addc_u32 s52, s56, 0
	s_add_u32 s22, s22, s46
	s_addc_u32 s46, 0, s52
	v_add_co_u32 v2, s22, v2, s22
	s_delay_alu instid0(VALU_DEP_1) | instskip(SKIP_1) | instid1(VALU_DEP_1)
	s_cmp_lg_u32 s22, 0
	s_addc_u32 s4, s4, s46
	v_readfirstlane_b32 s22, v2
	s_mul_i32 s46, s23, s4
	s_delay_alu instid0(VALU_DEP_1)
	s_mul_hi_u32 s52, s23, s22
	s_mul_i32 s44, s44, s22
	s_add_i32 s46, s52, s46
	s_mul_i32 s23, s23, s22
	s_add_i32 s46, s46, s44
	s_mul_hi_u32 s52, s4, s23
	s_mul_i32 s53, s4, s23
	s_mul_hi_u32 s23, s22, s23
	s_mul_hi_u32 s54, s22, s46
	s_mul_i32 s22, s22, s46
	s_mul_hi_u32 s44, s4, s46
	s_add_u32 s22, s23, s22
	s_addc_u32 s23, 0, s54
	s_add_u32 s22, s22, s53
	s_mul_i32 s46, s4, s46
	s_addc_u32 s22, s23, s52
	s_addc_u32 s23, s44, 0
	s_add_u32 s22, s22, s46
	s_addc_u32 s23, 0, s23
	v_add_co_u32 v2, s22, v2, s22
	s_delay_alu instid0(VALU_DEP_1) | instskip(SKIP_1) | instid1(VALU_DEP_1)
	s_cmp_lg_u32 s22, 0
	s_addc_u32 s4, s4, s23
	v_readfirstlane_b32 s22, v2
	s_mul_i32 s44, s21, s4
	s_mul_hi_u32 s23, s21, s4
	s_mul_hi_u32 s46, s5, s4
	s_mul_i32 s4, s5, s4
	s_mul_hi_u32 s52, s21, s22
	s_mul_hi_u32 s53, s5, s22
	s_mul_i32 s22, s5, s22
	s_add_u32 s44, s52, s44
	s_addc_u32 s23, 0, s23
	s_add_u32 s22, s44, s22
	s_addc_u32 s22, s23, s53
	s_addc_u32 s23, s46, 0
	s_add_u32 s4, s22, s4
	s_addc_u32 s22, 0, s23
	s_mul_hi_u32 s23, s29, s4
	s_mul_i32 s4, s29, s4
	s_mul_i32 s22, s29, s22
	v_sub_co_u32 v2, s4, s21, s4
	s_add_i32 s23, s23, s22
	s_cmp_lg_u32 s4, 0
	s_delay_alu instid0(VALU_DEP_1) | instskip(SKIP_2) | instid1(VALU_DEP_1)
	v_sub_co_u32 v3, s4, v2, s29
	s_subb_u32 s22, s5, s23
	s_cmp_lg_u32 s4, 0
	v_cmp_le_u32_e32 vcc_lo, s29, v3
	v_sub_co_u32 v4, s4, v3, s29
	s_subb_u32 s23, s22, 0
	s_cmp_lg_u32 s4, 0
	v_cndmask_b32_e64 v5, 0, -1, vcc_lo
	s_subb_u32 s4, s23, 0
	s_cmp_eq_u32 s23, 0
	v_mov_b32_e32 v7, s4
	s_cselect_b32 vcc_lo, -1, 0
	s_cmp_eq_u32 s22, 0
	v_cndmask_b32_e32 v5, -1, v5, vcc_lo
	v_cmp_le_u32_e32 vcc_lo, s29, v2
	s_cselect_b32 s4, -1, 0
	v_cndmask_b32_e64 v6, 0, -1, vcc_lo
	s_delay_alu instid0(VALU_DEP_3) | instskip(NEXT) | instid1(VALU_DEP_2)
	v_cmp_ne_u32_e32 vcc_lo, 0, v5
	v_cndmask_b32_e64 v5, -1, v6, s4
	v_cndmask_b32_e32 v6, s23, v7, vcc_lo
	v_cndmask_b32_e32 v4, v3, v4, vcc_lo
	s_delay_alu instid0(VALU_DEP_3) | instskip(NEXT) | instid1(VALU_DEP_3)
	v_cmp_ne_u32_e32 vcc_lo, 0, v5
	v_cndmask_b32_e32 v3, s22, v6, vcc_lo
	s_delay_alu instid0(VALU_DEP_3)
	v_cndmask_b32_e32 v2, v2, v4, vcc_lo
	s_cbranch_execnz .LBB76_89
.LBB76_88:                              ;   in Loop: Header=BB76_12 Depth=1
	v_cvt_f32_u32_e32 v2, s29
	s_sub_i32 s4, 0, s29
	s_delay_alu instid0(VALU_DEP_1) | instskip(SKIP_2) | instid1(VALU_DEP_1)
	v_rcp_iflag_f32_e32 v2, v2
	s_waitcnt_depctr 0xfff
	v_mul_f32_e32 v2, 0x4f7ffffe, v2
	v_cvt_u32_f32_e32 v2, v2
	s_delay_alu instid0(VALU_DEP_1) | instskip(NEXT) | instid1(VALU_DEP_1)
	v_mul_lo_u32 v3, s4, v2
	v_mul_hi_u32 v3, v2, v3
	s_delay_alu instid0(VALU_DEP_1) | instskip(NEXT) | instid1(VALU_DEP_1)
	v_add_nc_u32_e32 v2, v2, v3
	v_mul_hi_u32 v2, s21, v2
	s_delay_alu instid0(VALU_DEP_1) | instskip(NEXT) | instid1(VALU_DEP_1)
	v_mul_lo_u32 v2, v2, s29
	v_sub_nc_u32_e32 v2, s21, v2
	s_delay_alu instid0(VALU_DEP_1) | instskip(SKIP_1) | instid1(VALU_DEP_2)
	v_subrev_nc_u32_e32 v3, s29, v2
	v_cmp_le_u32_e32 vcc_lo, s29, v2
	v_cndmask_b32_e32 v2, v2, v3, vcc_lo
	s_delay_alu instid0(VALU_DEP_1) | instskip(SKIP_1) | instid1(VALU_DEP_2)
	v_subrev_nc_u32_e32 v3, s29, v2
	v_cmp_le_u32_e32 vcc_lo, s29, v2
	v_cndmask_b32_e32 v12, v2, v3, vcc_lo
	s_delay_alu instid0(VALU_DEP_1)
	v_dual_mov_b32 v2, v12 :: v_dual_mov_b32 v3, v13
.LBB76_89:                              ;   in Loop: Header=BB76_12 Depth=1
	s_delay_alu instid0(VALU_DEP_1) | instskip(NEXT) | instid1(VALU_DEP_2)
	v_sub_co_u32 v2, vcc_lo, s21, v2
	v_sub_co_ci_u32_e32 v3, vcc_lo, s5, v3, vcc_lo
	s_mov_b32 s4, 0
	s_mov_b32 s5, exec_lo
                                        ; implicit-def: $vgpr32
	s_delay_alu instid0(VALU_DEP_1)
	v_cmpx_gt_u64_e64 v[2:3], v[0:1]
	s_cbranch_execz .LBB76_99
; %bb.90:                               ;   in Loop: Header=BB76_12 Depth=1
	v_dual_mov_b32 v6, v0 :: v_dual_mov_b32 v5, v1
	v_mov_b32_e32 v4, v0
	s_mov_b32 s21, 0
                                        ; implicit-def: $sgpr22
	s_set_inst_prefetch_distance 0x1
	s_branch .LBB76_92
	.p2align	6
.LBB76_91:                              ;   in Loop: Header=BB76_92 Depth=2
	s_or_b32 exec_lo, exec_lo, s4
	s_waitcnt lgkmcnt(0)
	s_barrier
	buffer_gl0_inv
	ds_load_u16 v7, v13 offset:3072
	v_add_co_u32 v4, vcc_lo, v4, s29
	v_add_co_ci_u32_e32 v5, vcc_lo, 0, v5, vcc_lo
	v_add_nc_u32_e32 v6, s29, v6
	s_waitcnt lgkmcnt(0)
	s_barrier
	s_delay_alu instid0(VALU_DEP_2) | instskip(SKIP_2) | instid1(VALU_DEP_1)
	v_cmp_ge_u64_e32 vcc_lo, v[4:5], v[2:3]
	buffer_gl0_inv
	v_and_b32_e32 v8, 0xff, v7
	v_cmp_ne_u16_e64 s4, 0, v8
	s_delay_alu instid0(VALU_DEP_1) | instskip(NEXT) | instid1(SALU_CYCLE_1)
	s_or_b32 s23, vcc_lo, s4
	s_and_b32 s23, exec_lo, s23
	s_delay_alu instid0(SALU_CYCLE_1) | instskip(SKIP_2) | instid1(SALU_CYCLE_1)
	s_or_b32 s21, s23, s21
	s_and_not1_b32 s22, s22, exec_lo
	s_and_b32 s4, s4, exec_lo
	s_or_b32 s22, s22, s4
	s_and_not1_b32 exec_lo, exec_lo, s21
	s_cbranch_execz .LBB76_98
.LBB76_92:                              ;   Parent Loop BB76_12 Depth=1
                                        ; =>  This Inner Loop Header: Depth=2
	s_delay_alu instid0(VALU_DEP_1)
	v_cmp_gt_u64_e32 vcc_lo, s[14:15], v[4:5]
	v_mov_b32_e32 v7, 0
	s_and_saveexec_b32 s4, vcc_lo
	s_cbranch_execz .LBB76_94
; %bb.93:                               ;   in Loop: Header=BB76_92 Depth=2
	ds_load_u8 v7, v6
.LBB76_94:                              ;   in Loop: Header=BB76_92 Depth=2
	s_or_b32 exec_lo, exec_lo, s4
	s_waitcnt lgkmcnt(0)
	v_and_b32_e32 v8, s85, v7
	s_delay_alu instid0(VALU_DEP_1) | instskip(NEXT) | instid1(VALU_DEP_1)
	v_and_b32_e32 v8, 0xff, v8
	v_cmp_eq_u32_e64 s4, s84, v8
	s_delay_alu instid0(VALU_DEP_1) | instskip(NEXT) | instid1(SALU_CYCLE_1)
	s_and_b32 s23, vcc_lo, s4
	s_and_saveexec_b32 s4, s23
	s_cbranch_execz .LBB76_91
; %bb.95:                               ;   in Loop: Header=BB76_92 Depth=2
	v_lshlrev_b16 v7, 8, v7
	s_delay_alu instid0(VALU_DEP_1)
	v_or_b32_e32 v7, 1, v7
	ds_store_b16 v13, v7 offset:3072
	s_branch .LBB76_91
.LBB76_96:                              ;   in Loop: Header=BB76_12 Depth=1
	s_mov_b32 s4, -1
                                        ; implicit-def: $sgpr5
                                        ; implicit-def: $sgpr15
                                        ; implicit-def: $sgpr14
	s_branch .LBB76_112
.LBB76_97:                              ;   in Loop: Header=BB76_12 Depth=1
	s_mov_b32 s5, -1
	s_mov_b32 s4, 0
                                        ; implicit-def: $sgpr14
                                        ; implicit-def: $vgpr32
	s_mov_b32 s15, s5
	s_cbranch_execnz .LBB76_100
	s_branch .LBB76_112
.LBB76_98:                              ;   in Loop: Header=BB76_12 Depth=1
	s_set_inst_prefetch_distance 0x2
	s_or_b32 exec_lo, exec_lo, s21
	v_lshrrev_b16 v32, 8, v7
	s_and_b32 s4, s22, exec_lo
.LBB76_99:                              ;   in Loop: Header=BB76_12 Depth=1
	s_or_b32 exec_lo, exec_lo, s5
	s_mov_b32 s14, -1
	s_mov_b32 s5, 0
	s_delay_alu instid0(SALU_CYCLE_1)
	s_mov_b32 s15, s5
	s_branch .LBB76_112
.LBB76_100:                             ;   in Loop: Header=BB76_12 Depth=1
	s_mov_b32 s46, s45
	s_delay_alu instid0(SALU_CYCLE_1)
	s_cmp_lg_u64 s[46:47], 0
	s_cbranch_scc0 .LBB76_141
; %bb.101:                              ;   in Loop: Header=BB76_12 Depth=1
	v_cvt_f32_u32_e32 v2, s29
	s_sub_u32 s14, 0, s29
	s_subb_u32 s15, 0, 0
	s_delay_alu instid0(VALU_DEP_1) | instskip(NEXT) | instid1(VALU_DEP_1)
	v_fmac_f32_e64 v2, 0, 0x4f800000
	v_rcp_f32_e32 v2, v2
	s_waitcnt_depctr 0xfff
	v_mul_f32_e32 v2, 0x5f7ffffc, v2
	s_delay_alu instid0(VALU_DEP_1) | instskip(NEXT) | instid1(VALU_DEP_1)
	v_mul_f32_e32 v3, 0x2f800000, v2
	v_trunc_f32_e32 v3, v3
	s_delay_alu instid0(VALU_DEP_1) | instskip(SKIP_1) | instid1(VALU_DEP_2)
	v_fmac_f32_e32 v2, 0xcf800000, v3
	v_cvt_u32_f32_e32 v3, v3
	v_cvt_u32_f32_e32 v2, v2
	s_delay_alu instid0(VALU_DEP_2) | instskip(NEXT) | instid1(VALU_DEP_2)
	v_readfirstlane_b32 s4, v3
	v_readfirstlane_b32 s5, v2
	s_delay_alu instid0(VALU_DEP_2) | instskip(NEXT) | instid1(VALU_DEP_1)
	s_mul_i32 s21, s14, s4
	s_mul_hi_u32 s23, s14, s5
	s_mul_i32 s22, s15, s5
	s_add_i32 s21, s23, s21
	s_mul_i32 s44, s14, s5
	s_add_i32 s21, s21, s22
	s_mul_hi_u32 s23, s5, s44
	s_mul_hi_u32 s46, s4, s44
	s_mul_i32 s22, s4, s44
	s_mul_hi_u32 s44, s5, s21
	s_mul_i32 s5, s5, s21
	s_mul_hi_u32 s52, s4, s21
	s_add_u32 s5, s23, s5
	s_addc_u32 s23, 0, s44
	s_add_u32 s5, s5, s22
	s_mul_i32 s21, s4, s21
	s_addc_u32 s5, s23, s46
	s_addc_u32 s22, s52, 0
	s_add_u32 s5, s5, s21
	s_addc_u32 s21, 0, s22
	v_add_co_u32 v2, s5, v2, s5
	s_delay_alu instid0(VALU_DEP_1) | instskip(SKIP_1) | instid1(VALU_DEP_1)
	s_cmp_lg_u32 s5, 0
	s_addc_u32 s4, s4, s21
	v_readfirstlane_b32 s5, v2
	s_mul_i32 s21, s14, s4
	s_delay_alu instid0(VALU_DEP_1)
	s_mul_hi_u32 s22, s14, s5
	s_mul_i32 s15, s15, s5
	s_add_i32 s21, s22, s21
	s_mul_i32 s14, s14, s5
	s_add_i32 s21, s21, s15
	s_mul_hi_u32 s22, s4, s14
	s_mul_i32 s23, s4, s14
	s_mul_hi_u32 s14, s5, s14
	s_mul_hi_u32 s44, s5, s21
	s_mul_i32 s5, s5, s21
	s_mul_hi_u32 s15, s4, s21
	s_add_u32 s5, s14, s5
	s_addc_u32 s14, 0, s44
	s_add_u32 s5, s5, s23
	s_mul_i32 s21, s4, s21
	s_addc_u32 s5, s14, s22
	s_addc_u32 s14, s15, 0
	s_add_u32 s5, s5, s21
	s_addc_u32 s14, 0, s14
	v_add_co_u32 v2, s5, v2, s5
	s_delay_alu instid0(VALU_DEP_1) | instskip(SKIP_1) | instid1(VALU_DEP_1)
	s_cmp_lg_u32 s5, 0
	s_addc_u32 s4, s4, s14
	v_readfirstlane_b32 s5, v2
	s_mul_i32 s15, s70, s4
	s_mul_hi_u32 s14, s70, s4
	s_mul_hi_u32 s21, s47, s4
	s_mul_i32 s4, s47, s4
	s_mul_hi_u32 s22, s70, s5
	s_mul_hi_u32 s23, s47, s5
	s_mul_i32 s5, s47, s5
	s_add_u32 s15, s22, s15
	s_addc_u32 s14, 0, s14
	s_add_u32 s5, s15, s5
	s_addc_u32 s5, s14, s23
	s_addc_u32 s14, s21, 0
	s_add_u32 s4, s5, s4
	s_addc_u32 s5, 0, s14
	s_mul_hi_u32 s14, s29, s4
	s_mul_i32 s4, s29, s4
	s_mul_i32 s5, s29, s5
	v_sub_co_u32 v2, s4, s70, s4
	s_add_i32 s14, s14, s5
	s_cmp_lg_u32 s4, 0
	s_delay_alu instid0(VALU_DEP_1) | instskip(SKIP_2) | instid1(VALU_DEP_1)
	v_sub_co_u32 v3, s4, v2, s29
	s_subb_u32 s5, s47, s14
	s_cmp_lg_u32 s4, 0
	v_cmp_le_u32_e32 vcc_lo, s29, v3
	v_sub_co_u32 v4, s4, v3, s29
	s_subb_u32 s14, s5, 0
	s_cmp_lg_u32 s4, 0
	v_cndmask_b32_e64 v5, 0, -1, vcc_lo
	s_subb_u32 s4, s14, 0
	s_cmp_eq_u32 s14, 0
	v_mov_b32_e32 v7, s4
	s_cselect_b32 vcc_lo, -1, 0
	s_cmp_eq_u32 s5, 0
	v_cndmask_b32_e32 v5, -1, v5, vcc_lo
	v_cmp_le_u32_e32 vcc_lo, s29, v2
	s_cselect_b32 s4, -1, 0
	v_cndmask_b32_e64 v6, 0, -1, vcc_lo
	s_delay_alu instid0(VALU_DEP_3) | instskip(NEXT) | instid1(VALU_DEP_2)
	v_cmp_ne_u32_e32 vcc_lo, 0, v5
	v_cndmask_b32_e64 v5, -1, v6, s4
	v_cndmask_b32_e32 v6, s14, v7, vcc_lo
	v_cndmask_b32_e32 v4, v3, v4, vcc_lo
	s_delay_alu instid0(VALU_DEP_3) | instskip(NEXT) | instid1(VALU_DEP_3)
	v_cmp_ne_u32_e32 vcc_lo, 0, v5
	v_cndmask_b32_e32 v3, s5, v6, vcc_lo
	s_delay_alu instid0(VALU_DEP_3)
	v_cndmask_b32_e32 v2, v2, v4, vcc_lo
	s_cbranch_execnz .LBB76_103
.LBB76_102:                             ;   in Loop: Header=BB76_12 Depth=1
	v_cvt_f32_u32_e32 v2, s29
	s_sub_i32 s4, 0, s29
	s_delay_alu instid0(VALU_DEP_1) | instskip(SKIP_2) | instid1(VALU_DEP_1)
	v_rcp_iflag_f32_e32 v2, v2
	s_waitcnt_depctr 0xfff
	v_mul_f32_e32 v2, 0x4f7ffffe, v2
	v_cvt_u32_f32_e32 v2, v2
	s_delay_alu instid0(VALU_DEP_1) | instskip(NEXT) | instid1(VALU_DEP_1)
	v_mul_lo_u32 v3, s4, v2
	v_mul_hi_u32 v3, v2, v3
	s_delay_alu instid0(VALU_DEP_1) | instskip(NEXT) | instid1(VALU_DEP_1)
	v_add_nc_u32_e32 v2, v2, v3
	v_mul_hi_u32 v2, s70, v2
	s_delay_alu instid0(VALU_DEP_1) | instskip(NEXT) | instid1(VALU_DEP_1)
	v_mul_lo_u32 v2, v2, s29
	v_sub_nc_u32_e32 v2, s70, v2
	s_delay_alu instid0(VALU_DEP_1) | instskip(SKIP_1) | instid1(VALU_DEP_2)
	v_subrev_nc_u32_e32 v3, s29, v2
	v_cmp_le_u32_e32 vcc_lo, s29, v2
	v_cndmask_b32_e32 v2, v2, v3, vcc_lo
	s_delay_alu instid0(VALU_DEP_1) | instskip(SKIP_1) | instid1(VALU_DEP_2)
	v_subrev_nc_u32_e32 v3, s29, v2
	v_cmp_le_u32_e32 vcc_lo, s29, v2
	v_cndmask_b32_e32 v12, v2, v3, vcc_lo
	s_delay_alu instid0(VALU_DEP_1)
	v_dual_mov_b32 v2, v12 :: v_dual_mov_b32 v3, v13
.LBB76_103:                             ;   in Loop: Header=BB76_12 Depth=1
	s_delay_alu instid0(VALU_DEP_1) | instskip(NEXT) | instid1(VALU_DEP_2)
	v_sub_co_u32 v2, vcc_lo, s70, v2
	v_sub_co_ci_u32_e32 v3, vcc_lo, s47, v3, vcc_lo
	s_mov_b32 s4, 0
	s_mov_b32 s5, exec_lo
                                        ; implicit-def: $vgpr32
	s_delay_alu instid0(VALU_DEP_1)
	v_cmpx_gt_u64_e64 v[2:3], v[0:1]
	s_cbranch_execz .LBB76_111
; %bb.104:                              ;   in Loop: Header=BB76_12 Depth=1
	v_dual_mov_b32 v4, v10 :: v_dual_mov_b32 v5, v11
	v_dual_mov_b32 v7, v1 :: v_dual_mov_b32 v6, v0
	s_mov_b32 s14, 0
                                        ; implicit-def: $sgpr15
	s_set_inst_prefetch_distance 0x1
	s_branch .LBB76_106
	.p2align	6
.LBB76_105:                             ;   in Loop: Header=BB76_106 Depth=2
	s_or_b32 exec_lo, exec_lo, s4
	s_waitcnt lgkmcnt(0)
	s_barrier
	buffer_gl0_inv
	ds_load_u16 v8, v13 offset:3072
	v_add_co_u32 v6, vcc_lo, v6, s29
	v_add_co_ci_u32_e32 v7, vcc_lo, 0, v7, vcc_lo
	s_waitcnt lgkmcnt(0)
	s_barrier
	buffer_gl0_inv
	v_cmp_ge_u64_e32 vcc_lo, v[6:7], v[2:3]
	v_and_b32_e32 v9, 0xff, v8
	s_delay_alu instid0(VALU_DEP_1) | instskip(NEXT) | instid1(VALU_DEP_1)
	v_cmp_ne_u16_e64 s4, 0, v9
	s_or_b32 s21, vcc_lo, s4
	v_add_co_u32 v4, vcc_lo, v4, s64
	s_and_b32 s21, exec_lo, s21
	v_add_co_ci_u32_e32 v5, vcc_lo, s33, v5, vcc_lo
	s_or_b32 s14, s21, s14
	s_and_not1_b32 s15, s15, exec_lo
	s_and_b32 s4, s4, exec_lo
	s_delay_alu instid0(SALU_CYCLE_1)
	s_or_b32 s15, s15, s4
	s_and_not1_b32 exec_lo, exec_lo, s14
	s_cbranch_execz .LBB76_110
.LBB76_106:                             ;   Parent Loop BB76_12 Depth=1
                                        ; =>  This Inner Loop Header: Depth=2
	s_delay_alu instid0(VALU_DEP_1)
	v_cmp_gt_u64_e32 vcc_lo, s[24:25], v[6:7]
	v_mov_b32_e32 v8, 0
	s_and_saveexec_b32 s4, vcc_lo
	s_cbranch_execz .LBB76_108
; %bb.107:                              ;   in Loop: Header=BB76_106 Depth=2
	global_load_u8 v8, v[4:5], off
.LBB76_108:                             ;   in Loop: Header=BB76_106 Depth=2
	s_or_b32 exec_lo, exec_lo, s4
	s_waitcnt vmcnt(0)
	v_and_b32_e32 v9, s85, v8
	s_delay_alu instid0(VALU_DEP_1) | instskip(NEXT) | instid1(VALU_DEP_1)
	v_and_b32_e32 v9, 0xff, v9
	v_cmp_eq_u32_e64 s4, s84, v9
	s_delay_alu instid0(VALU_DEP_1) | instskip(NEXT) | instid1(SALU_CYCLE_1)
	s_and_b32 s21, vcc_lo, s4
	s_and_saveexec_b32 s4, s21
	s_cbranch_execz .LBB76_105
; %bb.109:                              ;   in Loop: Header=BB76_106 Depth=2
	v_lshlrev_b16 v8, 8, v8
	s_delay_alu instid0(VALU_DEP_1)
	v_or_b32_e32 v8, 1, v8
	ds_store_b16 v13, v8 offset:3072
	s_branch .LBB76_105
.LBB76_110:                             ;   in Loop: Header=BB76_12 Depth=1
	s_set_inst_prefetch_distance 0x2
	s_or_b32 exec_lo, exec_lo, s14
	v_lshrrev_b16 v32, 8, v8
	s_and_b32 s4, s15, exec_lo
.LBB76_111:                             ;   in Loop: Header=BB76_12 Depth=1
	s_or_b32 exec_lo, exec_lo, s5
	s_mov_b32 s15, -1
	s_mov_b32 s5, 0
	s_mov_b32 s14, 0
.LBB76_112:                             ;   in Loop: Header=BB76_12 Depth=1
	s_and_not1_b32 s21, s80, exec_lo
	s_and_b32 s5, s5, exec_lo
	s_and_b32 s15, s15, exec_lo
	s_or_b32 s80, s21, s5
	s_and_not1_b32 s5, s83, exec_lo
	s_and_not1_b32 s21, s81, exec_lo
	s_and_b32 s14, s14, exec_lo
	s_or_b32 s83, s5, s15
	s_or_b32 s81, s21, s14
	s_and_saveexec_b32 s14, s4
	s_cbranch_execz .LBB76_11
; %bb.113:                              ;   in Loop: Header=BB76_12 Depth=1
	s_xor_b32 s4, s20, -1
	s_mov_b32 s44, 1
	s_and_not1_b32 vcc_lo, exec_lo, s4
	s_cbranch_vccnz .LBB76_124
; %bb.114:                              ;   in Loop: Header=BB76_12 Depth=1
	v_cmp_gt_u64_e64 s4, s[40:41], s[12:13]
                                        ; implicit-def: $sgpr44
                                        ; implicit-def: $sgpr5
                                        ; implicit-def: $sgpr15
	s_delay_alu instid0(VALU_DEP_1)
	s_and_b32 vcc_lo, exec_lo, s4
	s_mov_b32 s4, -1
	s_cbranch_vccnz .LBB76_120
; %bb.115:                              ;   in Loop: Header=BB76_12 Depth=1
	ds_load_b64 v[2:3], v13 offset:5120
	s_waitcnt lgkmcnt(0)
	v_cmp_ne_u64_e32 vcc_lo, 0, v[2:3]
	s_cbranch_vccnz .LBB76_119
; %bb.116:                              ;   in Loop: Header=BB76_12 Depth=1
	s_and_saveexec_b32 s4, s2
	s_cbranch_execz .LBB76_118
; %bb.117:                              ;   in Loop: Header=BB76_12 Depth=1
	v_dual_mov_b32 v2, s12 :: v_dual_mov_b32 v3, s13
	ds_store_b64 v13, v[2:3] offset:5128
.LBB76_118:                             ;   in Loop: Header=BB76_12 Depth=1
	s_or_b32 exec_lo, exec_lo, s4
	s_waitcnt lgkmcnt(0)
	s_barrier
	buffer_gl0_inv
.LBB76_119:                             ;   in Loop: Header=BB76_12 Depth=1
	s_and_b32 s5, s84, s18
	s_or_b32 s15, s85, s16
	s_mov_b32 s4, 0
	s_mov_b32 s44, 8
.LBB76_120:                             ;   in Loop: Header=BB76_12 Depth=1
	s_and_not1_b32 vcc_lo, exec_lo, s4
	s_cbranch_vccnz .LBB76_122
; %bb.121:                              ;   in Loop: Header=BB76_12 Depth=1
	s_sub_u32 s40, s40, s12
	s_subb_u32 s41, s41, s13
	s_mov_b32 s4, -1
	s_mov_b32 s44, 0
	s_mov_b32 s5, s84
	;; [unrolled: 1-line block ×3, first 2 shown]
.LBB76_122:                             ;   in Loop: Header=BB76_12 Depth=1
	s_delay_alu instid0(SALU_CYCLE_1)
	s_mov_b32 s85, s15
	s_mov_b32 s84, s5
	s_and_b32 vcc_lo, exec_lo, s4
	s_mov_b32 s15, -1
	s_cbranch_vccnz .LBB76_125
.LBB76_123:                             ;   in Loop: Header=BB76_12 Depth=1
	s_mov_b32 s5, -1
                                        ; implicit-def: $sgpr12
                                        ; implicit-def: $sgpr19
                                        ; implicit-def: $sgpr13
	s_delay_alu instid0(SALU_CYCLE_1) | instskip(NEXT) | instid1(SALU_CYCLE_1)
	s_and_saveexec_b32 s4, s5
	s_xor_b32 s4, exec_lo, s4
	s_cbranch_execz .LBB76_10
	s_branch .LBB76_265
.LBB76_124:                             ;   in Loop: Header=BB76_12 Depth=1
	s_mov_b64 s[40:41], 1
	s_mov_b32 s15, -1
	s_branch .LBB76_123
.LBB76_125:                             ;   in Loop: Header=BB76_12 Depth=1
	s_cmp_eq_u64 s[10:11], 1
	s_cselect_b32 s4, -1, 0
	s_cmp_eq_u64 s[40:41], 1
	s_cselect_b32 s5, -1, 0
	s_delay_alu instid0(SALU_CYCLE_1)
	s_and_b32 s21, s4, s5
	s_mov_b32 s4, -1
	s_and_b32 vcc_lo, exec_lo, s21
	s_cbranch_vccz .LBB76_139
; %bb.126:                              ;   in Loop: Header=BB76_12 Depth=1
	ds_load_b64 v[2:3], v13 offset:5120
	s_waitcnt lgkmcnt(0)
	s_barrier
	buffer_gl0_inv
	v_readfirstlane_b32 s12, v2
	v_readfirstlane_b32 s13, v3
	s_and_saveexec_b32 s4, s3
	s_cbranch_execz .LBB76_128
; %bb.127:                              ;   in Loop: Header=BB76_12 Depth=1
	ds_store_b8 v0, v13 offset:3072
.LBB76_128:                             ;   in Loop: Header=BB76_12 Depth=1
	s_or_b32 exec_lo, exec_lo, s4
	s_lshl_b32 s4, 1, s17
	s_and_b32 s5, s84, s18
	s_or_b32 s85, s85, s16
	s_or_b32 s84, s5, s4
	s_cmp_eq_u64 s[12:13], 0
	s_waitcnt lgkmcnt(0)
	s_barrier
	buffer_gl0_inv
	s_cbranch_scc1 .LBB76_142
; %bb.129:                              ;   in Loop: Header=BB76_12 Depth=1
	s_add_u32 s19, s68, s12
	s_addc_u32 s5, s69, s13
	s_mov_b32 s4, s45
	s_delay_alu instid0(SALU_CYCLE_1)
	s_cmp_lg_u64 s[4:5], 0
	s_cbranch_scc0 .LBB76_185
; %bb.130:                              ;   in Loop: Header=BB76_12 Depth=1
	v_cvt_f32_u32_e32 v2, s29
	s_sub_u32 s22, 0, s29
	s_subb_u32 s23, 0, 0
	s_delay_alu instid0(VALU_DEP_1) | instskip(NEXT) | instid1(VALU_DEP_1)
	v_fmac_f32_e64 v2, 0, 0x4f800000
	v_rcp_f32_e32 v2, v2
	s_waitcnt_depctr 0xfff
	v_mul_f32_e32 v2, 0x5f7ffffc, v2
	s_delay_alu instid0(VALU_DEP_1) | instskip(NEXT) | instid1(VALU_DEP_1)
	v_mul_f32_e32 v3, 0x2f800000, v2
	v_trunc_f32_e32 v3, v3
	s_delay_alu instid0(VALU_DEP_1) | instskip(SKIP_1) | instid1(VALU_DEP_2)
	v_fmac_f32_e32 v2, 0xcf800000, v3
	v_cvt_u32_f32_e32 v3, v3
	v_cvt_u32_f32_e32 v2, v2
	s_delay_alu instid0(VALU_DEP_2) | instskip(NEXT) | instid1(VALU_DEP_2)
	v_readfirstlane_b32 s4, v3
	v_readfirstlane_b32 s20, v2
	s_delay_alu instid0(VALU_DEP_2) | instskip(NEXT) | instid1(VALU_DEP_1)
	s_mul_i32 s44, s22, s4
	s_mul_hi_u32 s52, s22, s20
	s_mul_i32 s46, s23, s20
	s_add_i32 s44, s52, s44
	s_mul_i32 s53, s22, s20
	s_add_i32 s44, s44, s46
	s_mul_hi_u32 s52, s20, s53
	s_mul_hi_u32 s54, s4, s53
	s_mul_i32 s46, s4, s53
	s_mul_hi_u32 s53, s20, s44
	s_mul_i32 s20, s20, s44
	s_mul_hi_u32 s55, s4, s44
	s_add_u32 s20, s52, s20
	s_addc_u32 s52, 0, s53
	s_add_u32 s20, s20, s46
	s_mul_i32 s44, s4, s44
	s_addc_u32 s20, s52, s54
	s_addc_u32 s46, s55, 0
	s_add_u32 s20, s20, s44
	s_addc_u32 s44, 0, s46
	v_add_co_u32 v2, s20, v2, s20
	s_delay_alu instid0(VALU_DEP_1) | instskip(SKIP_1) | instid1(VALU_DEP_1)
	s_cmp_lg_u32 s20, 0
	s_addc_u32 s4, s4, s44
	v_readfirstlane_b32 s20, v2
	s_mul_i32 s44, s22, s4
	s_delay_alu instid0(VALU_DEP_1)
	s_mul_hi_u32 s46, s22, s20
	s_mul_i32 s23, s23, s20
	s_add_i32 s44, s46, s44
	s_mul_i32 s22, s22, s20
	s_add_i32 s44, s44, s23
	s_mul_hi_u32 s46, s4, s22
	s_mul_i32 s52, s4, s22
	s_mul_hi_u32 s22, s20, s22
	s_mul_hi_u32 s53, s20, s44
	s_mul_i32 s20, s20, s44
	s_mul_hi_u32 s23, s4, s44
	s_add_u32 s20, s22, s20
	s_addc_u32 s22, 0, s53
	s_add_u32 s20, s20, s52
	s_mul_i32 s44, s4, s44
	s_addc_u32 s20, s22, s46
	s_addc_u32 s22, s23, 0
	s_add_u32 s20, s20, s44
	s_addc_u32 s22, 0, s22
	v_add_co_u32 v2, s20, v2, s20
	s_delay_alu instid0(VALU_DEP_1) | instskip(SKIP_1) | instid1(VALU_DEP_1)
	s_cmp_lg_u32 s20, 0
	s_addc_u32 s4, s4, s22
	v_readfirstlane_b32 s20, v2
	s_mul_i32 s23, s19, s4
	s_mul_hi_u32 s22, s19, s4
	s_mul_hi_u32 s44, s5, s4
	s_mul_i32 s4, s5, s4
	s_mul_hi_u32 s46, s19, s20
	s_mul_hi_u32 s52, s5, s20
	s_mul_i32 s20, s5, s20
	s_add_u32 s23, s46, s23
	s_addc_u32 s22, 0, s22
	s_add_u32 s20, s23, s20
	s_addc_u32 s20, s22, s52
	s_addc_u32 s22, s44, 0
	s_add_u32 s4, s20, s4
	s_addc_u32 s20, 0, s22
	s_mul_hi_u32 s22, s29, s4
	s_mul_i32 s4, s29, s4
	s_mul_i32 s20, s29, s20
	v_sub_co_u32 v2, s4, s19, s4
	s_add_i32 s22, s22, s20
	s_cmp_lg_u32 s4, 0
	s_delay_alu instid0(VALU_DEP_1) | instskip(SKIP_2) | instid1(VALU_DEP_1)
	v_sub_co_u32 v3, s4, v2, s29
	s_subb_u32 s20, s5, s22
	s_cmp_lg_u32 s4, 0
	v_cmp_le_u32_e32 vcc_lo, s29, v3
	v_sub_co_u32 v4, s4, v3, s29
	s_subb_u32 s22, s20, 0
	s_cmp_lg_u32 s4, 0
	v_cndmask_b32_e64 v5, 0, -1, vcc_lo
	s_subb_u32 s4, s22, 0
	s_cmp_eq_u32 s22, 0
	v_mov_b32_e32 v7, s4
	s_cselect_b32 vcc_lo, -1, 0
	s_cmp_eq_u32 s20, 0
	v_cndmask_b32_e32 v5, -1, v5, vcc_lo
	v_cmp_le_u32_e32 vcc_lo, s29, v2
	s_cselect_b32 s4, -1, 0
	v_cndmask_b32_e64 v6, 0, -1, vcc_lo
	s_delay_alu instid0(VALU_DEP_3) | instskip(NEXT) | instid1(VALU_DEP_2)
	v_cmp_ne_u32_e32 vcc_lo, 0, v5
	v_cndmask_b32_e64 v5, -1, v6, s4
	v_cndmask_b32_e32 v6, s22, v7, vcc_lo
	v_cndmask_b32_e32 v4, v3, v4, vcc_lo
	s_delay_alu instid0(VALU_DEP_3) | instskip(NEXT) | instid1(VALU_DEP_3)
	v_cmp_ne_u32_e32 vcc_lo, 0, v5
	v_cndmask_b32_e32 v3, s20, v6, vcc_lo
	s_delay_alu instid0(VALU_DEP_3)
	v_cndmask_b32_e32 v2, v2, v4, vcc_lo
	s_cbranch_execnz .LBB76_132
.LBB76_131:                             ;   in Loop: Header=BB76_12 Depth=1
	v_cvt_f32_u32_e32 v2, s29
	s_sub_i32 s4, 0, s29
	s_delay_alu instid0(VALU_DEP_1) | instskip(SKIP_2) | instid1(VALU_DEP_1)
	v_rcp_iflag_f32_e32 v2, v2
	s_waitcnt_depctr 0xfff
	v_mul_f32_e32 v2, 0x4f7ffffe, v2
	v_cvt_u32_f32_e32 v2, v2
	s_delay_alu instid0(VALU_DEP_1) | instskip(NEXT) | instid1(VALU_DEP_1)
	v_mul_lo_u32 v3, s4, v2
	v_mul_hi_u32 v3, v2, v3
	s_delay_alu instid0(VALU_DEP_1) | instskip(NEXT) | instid1(VALU_DEP_1)
	v_add_nc_u32_e32 v2, v2, v3
	v_mul_hi_u32 v2, s19, v2
	s_delay_alu instid0(VALU_DEP_1) | instskip(NEXT) | instid1(VALU_DEP_1)
	v_mul_lo_u32 v2, v2, s29
	v_sub_nc_u32_e32 v2, s19, v2
	s_delay_alu instid0(VALU_DEP_1) | instskip(SKIP_1) | instid1(VALU_DEP_2)
	v_subrev_nc_u32_e32 v3, s29, v2
	v_cmp_le_u32_e32 vcc_lo, s29, v2
	v_cndmask_b32_e32 v2, v2, v3, vcc_lo
	s_delay_alu instid0(VALU_DEP_1) | instskip(SKIP_1) | instid1(VALU_DEP_2)
	v_subrev_nc_u32_e32 v3, s29, v2
	v_cmp_le_u32_e32 vcc_lo, s29, v2
	v_cndmask_b32_e32 v12, v2, v3, vcc_lo
	s_delay_alu instid0(VALU_DEP_1)
	v_dual_mov_b32 v2, v12 :: v_dual_mov_b32 v3, v13
.LBB76_132:                             ;   in Loop: Header=BB76_12 Depth=1
	s_delay_alu instid0(VALU_DEP_1) | instskip(NEXT) | instid1(VALU_DEP_2)
	v_sub_co_u32 v2, vcc_lo, s19, v2
	v_sub_co_ci_u32_e32 v3, vcc_lo, s5, v3, vcc_lo
	s_mov_b32 s4, 0
	s_mov_b32 s5, exec_lo
                                        ; implicit-def: $vgpr32
	s_delay_alu instid0(VALU_DEP_1)
	v_cmpx_gt_u64_e64 v[2:3], v[0:1]
	s_cbranch_execz .LBB76_144
; %bb.133:                              ;   in Loop: Header=BB76_12 Depth=1
	v_dual_mov_b32 v6, v0 :: v_dual_mov_b32 v5, v1
	v_mov_b32_e32 v4, v0
	s_mov_b32 s19, 0
                                        ; implicit-def: $sgpr20
	s_set_inst_prefetch_distance 0x1
	s_branch .LBB76_135
	.p2align	6
.LBB76_134:                             ;   in Loop: Header=BB76_135 Depth=2
	s_or_b32 exec_lo, exec_lo, s4
	s_waitcnt lgkmcnt(0)
	s_barrier
	buffer_gl0_inv
	ds_load_u16 v7, v13 offset:3072
	v_add_co_u32 v4, vcc_lo, v4, s29
	v_add_co_ci_u32_e32 v5, vcc_lo, 0, v5, vcc_lo
	v_add_nc_u32_e32 v6, s29, v6
	s_waitcnt lgkmcnt(0)
	s_barrier
	s_delay_alu instid0(VALU_DEP_2) | instskip(SKIP_2) | instid1(VALU_DEP_1)
	v_cmp_ge_u64_e32 vcc_lo, v[4:5], v[2:3]
	buffer_gl0_inv
	v_and_b32_e32 v8, 0xff, v7
	v_cmp_ne_u16_e64 s4, 0, v8
	s_delay_alu instid0(VALU_DEP_1) | instskip(NEXT) | instid1(SALU_CYCLE_1)
	s_or_b32 s22, vcc_lo, s4
	s_and_b32 s22, exec_lo, s22
	s_delay_alu instid0(SALU_CYCLE_1) | instskip(SKIP_2) | instid1(SALU_CYCLE_1)
	s_or_b32 s19, s22, s19
	s_and_not1_b32 s20, s20, exec_lo
	s_and_b32 s4, s4, exec_lo
	s_or_b32 s20, s20, s4
	s_and_not1_b32 exec_lo, exec_lo, s19
	s_cbranch_execz .LBB76_143
.LBB76_135:                             ;   Parent Loop BB76_12 Depth=1
                                        ; =>  This Inner Loop Header: Depth=2
	s_delay_alu instid0(VALU_DEP_1)
	v_cmp_gt_u64_e32 vcc_lo, s[12:13], v[4:5]
	v_mov_b32_e32 v7, 0
	s_and_saveexec_b32 s4, vcc_lo
	s_cbranch_execz .LBB76_137
; %bb.136:                              ;   in Loop: Header=BB76_135 Depth=2
	ds_load_u8 v7, v6
.LBB76_137:                             ;   in Loop: Header=BB76_135 Depth=2
	s_or_b32 exec_lo, exec_lo, s4
	s_waitcnt lgkmcnt(0)
	v_and_b32_e32 v8, s85, v7
	s_delay_alu instid0(VALU_DEP_1) | instskip(NEXT) | instid1(VALU_DEP_1)
	v_and_b32_e32 v8, 0xff, v8
	v_cmp_eq_u32_e64 s4, s84, v8
	s_delay_alu instid0(VALU_DEP_1) | instskip(NEXT) | instid1(SALU_CYCLE_1)
	s_and_b32 s22, vcc_lo, s4
	s_and_saveexec_b32 s4, s22
	s_cbranch_execz .LBB76_134
; %bb.138:                              ;   in Loop: Header=BB76_135 Depth=2
	v_lshlrev_b16 v7, 8, v7
	s_delay_alu instid0(VALU_DEP_1)
	v_or_b32_e32 v7, 1, v7
	ds_store_b16 v13, v7 offset:3072
	s_branch .LBB76_134
.LBB76_139:                             ;   in Loop: Header=BB76_12 Depth=1
                                        ; implicit-def: $sgpr13
                                        ; implicit-def: $sgpr19
                                        ; implicit-def: $sgpr12
	s_branch .LBB76_157
.LBB76_140:                             ;   in Loop: Header=BB76_12 Depth=1
                                        ; implicit-def: $vgpr2_vgpr3
	s_branch .LBB76_88
.LBB76_141:                             ;   in Loop: Header=BB76_12 Depth=1
                                        ; implicit-def: $vgpr2_vgpr3
	s_branch .LBB76_102
.LBB76_142:                             ;   in Loop: Header=BB76_12 Depth=1
	s_mov_b32 s13, -1
	s_mov_b32 s4, 0
                                        ; implicit-def: $sgpr12
                                        ; implicit-def: $vgpr32
	s_mov_b32 s19, s13
	s_cbranch_execnz .LBB76_145
	s_branch .LBB76_157
.LBB76_143:                             ;   in Loop: Header=BB76_12 Depth=1
	s_set_inst_prefetch_distance 0x2
	s_or_b32 exec_lo, exec_lo, s19
	v_lshrrev_b16 v32, 8, v7
	s_and_b32 s4, s20, exec_lo
.LBB76_144:                             ;   in Loop: Header=BB76_12 Depth=1
	s_or_b32 exec_lo, exec_lo, s5
	s_mov_b32 s12, -1
	s_mov_b32 s13, 0
	s_delay_alu instid0(SALU_CYCLE_1)
	s_mov_b32 s19, s13
	s_branch .LBB76_157
.LBB76_145:                             ;   in Loop: Header=BB76_12 Depth=1
	s_mov_b32 s46, s45
	s_delay_alu instid0(SALU_CYCLE_1)
	s_cmp_lg_u64 s[46:47], 0
	s_cbranch_scc0 .LBB76_186
; %bb.146:                              ;   in Loop: Header=BB76_12 Depth=1
	v_cvt_f32_u32_e32 v2, s29
	s_sub_u32 s12, 0, s29
	s_subb_u32 s13, 0, 0
	s_delay_alu instid0(VALU_DEP_1) | instskip(NEXT) | instid1(VALU_DEP_1)
	v_fmac_f32_e64 v2, 0, 0x4f800000
	v_rcp_f32_e32 v2, v2
	s_waitcnt_depctr 0xfff
	v_mul_f32_e32 v2, 0x5f7ffffc, v2
	s_delay_alu instid0(VALU_DEP_1) | instskip(NEXT) | instid1(VALU_DEP_1)
	v_mul_f32_e32 v3, 0x2f800000, v2
	v_trunc_f32_e32 v3, v3
	s_delay_alu instid0(VALU_DEP_1) | instskip(SKIP_1) | instid1(VALU_DEP_2)
	v_fmac_f32_e32 v2, 0xcf800000, v3
	v_cvt_u32_f32_e32 v3, v3
	v_cvt_u32_f32_e32 v2, v2
	s_delay_alu instid0(VALU_DEP_2) | instskip(NEXT) | instid1(VALU_DEP_2)
	v_readfirstlane_b32 s4, v3
	v_readfirstlane_b32 s5, v2
	s_delay_alu instid0(VALU_DEP_2) | instskip(NEXT) | instid1(VALU_DEP_1)
	s_mul_i32 s19, s12, s4
	s_mul_hi_u32 s22, s12, s5
	s_mul_i32 s20, s13, s5
	s_add_i32 s19, s22, s19
	s_mul_i32 s23, s12, s5
	s_add_i32 s19, s19, s20
	s_mul_hi_u32 s22, s5, s23
	s_mul_hi_u32 s44, s4, s23
	s_mul_i32 s20, s4, s23
	s_mul_hi_u32 s23, s5, s19
	s_mul_i32 s5, s5, s19
	s_mul_hi_u32 s46, s4, s19
	s_add_u32 s5, s22, s5
	s_addc_u32 s22, 0, s23
	s_add_u32 s5, s5, s20
	s_mul_i32 s19, s4, s19
	s_addc_u32 s5, s22, s44
	s_addc_u32 s20, s46, 0
	s_add_u32 s5, s5, s19
	s_addc_u32 s19, 0, s20
	v_add_co_u32 v2, s5, v2, s5
	s_delay_alu instid0(VALU_DEP_1) | instskip(SKIP_1) | instid1(VALU_DEP_1)
	s_cmp_lg_u32 s5, 0
	s_addc_u32 s4, s4, s19
	v_readfirstlane_b32 s5, v2
	s_mul_i32 s19, s12, s4
	s_delay_alu instid0(VALU_DEP_1)
	s_mul_hi_u32 s20, s12, s5
	s_mul_i32 s13, s13, s5
	s_add_i32 s19, s20, s19
	s_mul_i32 s12, s12, s5
	s_add_i32 s19, s19, s13
	s_mul_hi_u32 s20, s4, s12
	s_mul_i32 s22, s4, s12
	s_mul_hi_u32 s12, s5, s12
	s_mul_hi_u32 s23, s5, s19
	s_mul_i32 s5, s5, s19
	s_mul_hi_u32 s13, s4, s19
	s_add_u32 s5, s12, s5
	s_addc_u32 s12, 0, s23
	s_add_u32 s5, s5, s22
	s_mul_i32 s19, s4, s19
	s_addc_u32 s5, s12, s20
	s_addc_u32 s12, s13, 0
	s_add_u32 s5, s5, s19
	s_addc_u32 s12, 0, s12
	v_add_co_u32 v2, s5, v2, s5
	s_delay_alu instid0(VALU_DEP_1) | instskip(SKIP_1) | instid1(VALU_DEP_1)
	s_cmp_lg_u32 s5, 0
	s_addc_u32 s4, s4, s12
	v_readfirstlane_b32 s5, v2
	s_mul_i32 s13, s70, s4
	s_mul_hi_u32 s12, s70, s4
	s_mul_hi_u32 s19, s47, s4
	s_mul_i32 s4, s47, s4
	s_mul_hi_u32 s20, s70, s5
	s_mul_hi_u32 s22, s47, s5
	s_mul_i32 s5, s47, s5
	s_add_u32 s13, s20, s13
	s_addc_u32 s12, 0, s12
	s_add_u32 s5, s13, s5
	s_addc_u32 s5, s12, s22
	s_addc_u32 s12, s19, 0
	s_add_u32 s4, s5, s4
	s_addc_u32 s5, 0, s12
	s_mul_hi_u32 s12, s29, s4
	s_mul_i32 s4, s29, s4
	s_mul_i32 s5, s29, s5
	v_sub_co_u32 v2, s4, s70, s4
	s_add_i32 s12, s12, s5
	s_cmp_lg_u32 s4, 0
	s_delay_alu instid0(VALU_DEP_1) | instskip(SKIP_2) | instid1(VALU_DEP_1)
	v_sub_co_u32 v3, s4, v2, s29
	s_subb_u32 s5, s47, s12
	s_cmp_lg_u32 s4, 0
	v_cmp_le_u32_e32 vcc_lo, s29, v3
	v_sub_co_u32 v4, s4, v3, s29
	s_subb_u32 s12, s5, 0
	s_cmp_lg_u32 s4, 0
	v_cndmask_b32_e64 v5, 0, -1, vcc_lo
	s_subb_u32 s4, s12, 0
	s_cmp_eq_u32 s12, 0
	v_mov_b32_e32 v7, s4
	s_cselect_b32 vcc_lo, -1, 0
	s_cmp_eq_u32 s5, 0
	v_cndmask_b32_e32 v5, -1, v5, vcc_lo
	v_cmp_le_u32_e32 vcc_lo, s29, v2
	s_cselect_b32 s4, -1, 0
	v_cndmask_b32_e64 v6, 0, -1, vcc_lo
	s_delay_alu instid0(VALU_DEP_3) | instskip(NEXT) | instid1(VALU_DEP_2)
	v_cmp_ne_u32_e32 vcc_lo, 0, v5
	v_cndmask_b32_e64 v5, -1, v6, s4
	v_cndmask_b32_e32 v6, s12, v7, vcc_lo
	v_cndmask_b32_e32 v4, v3, v4, vcc_lo
	s_delay_alu instid0(VALU_DEP_3) | instskip(NEXT) | instid1(VALU_DEP_3)
	v_cmp_ne_u32_e32 vcc_lo, 0, v5
	v_cndmask_b32_e32 v3, s5, v6, vcc_lo
	s_delay_alu instid0(VALU_DEP_3)
	v_cndmask_b32_e32 v2, v2, v4, vcc_lo
	s_cbranch_execnz .LBB76_148
.LBB76_147:                             ;   in Loop: Header=BB76_12 Depth=1
	v_cvt_f32_u32_e32 v2, s29
	s_sub_i32 s4, 0, s29
	s_delay_alu instid0(VALU_DEP_1) | instskip(SKIP_2) | instid1(VALU_DEP_1)
	v_rcp_iflag_f32_e32 v2, v2
	s_waitcnt_depctr 0xfff
	v_mul_f32_e32 v2, 0x4f7ffffe, v2
	v_cvt_u32_f32_e32 v2, v2
	s_delay_alu instid0(VALU_DEP_1) | instskip(NEXT) | instid1(VALU_DEP_1)
	v_mul_lo_u32 v3, s4, v2
	v_mul_hi_u32 v3, v2, v3
	s_delay_alu instid0(VALU_DEP_1) | instskip(NEXT) | instid1(VALU_DEP_1)
	v_add_nc_u32_e32 v2, v2, v3
	v_mul_hi_u32 v2, s70, v2
	s_delay_alu instid0(VALU_DEP_1) | instskip(NEXT) | instid1(VALU_DEP_1)
	v_mul_lo_u32 v2, v2, s29
	v_sub_nc_u32_e32 v2, s70, v2
	s_delay_alu instid0(VALU_DEP_1) | instskip(SKIP_1) | instid1(VALU_DEP_2)
	v_subrev_nc_u32_e32 v3, s29, v2
	v_cmp_le_u32_e32 vcc_lo, s29, v2
	v_cndmask_b32_e32 v2, v2, v3, vcc_lo
	s_delay_alu instid0(VALU_DEP_1) | instskip(SKIP_1) | instid1(VALU_DEP_2)
	v_subrev_nc_u32_e32 v3, s29, v2
	v_cmp_le_u32_e32 vcc_lo, s29, v2
	v_cndmask_b32_e32 v12, v2, v3, vcc_lo
	s_delay_alu instid0(VALU_DEP_1)
	v_dual_mov_b32 v2, v12 :: v_dual_mov_b32 v3, v13
.LBB76_148:                             ;   in Loop: Header=BB76_12 Depth=1
	s_delay_alu instid0(VALU_DEP_1) | instskip(NEXT) | instid1(VALU_DEP_2)
	v_sub_co_u32 v2, vcc_lo, s70, v2
	v_sub_co_ci_u32_e32 v3, vcc_lo, s47, v3, vcc_lo
	s_mov_b32 s4, 0
	s_mov_b32 s5, exec_lo
                                        ; implicit-def: $vgpr32
	s_delay_alu instid0(VALU_DEP_1)
	v_cmpx_gt_u64_e64 v[2:3], v[0:1]
	s_cbranch_execz .LBB76_156
; %bb.149:                              ;   in Loop: Header=BB76_12 Depth=1
	v_dual_mov_b32 v4, v10 :: v_dual_mov_b32 v5, v11
	v_dual_mov_b32 v7, v1 :: v_dual_mov_b32 v6, v0
	s_mov_b32 s12, 0
                                        ; implicit-def: $sgpr13
	s_set_inst_prefetch_distance 0x1
	s_branch .LBB76_151
	.p2align	6
.LBB76_150:                             ;   in Loop: Header=BB76_151 Depth=2
	s_or_b32 exec_lo, exec_lo, s4
	s_waitcnt lgkmcnt(0)
	s_barrier
	buffer_gl0_inv
	ds_load_u16 v8, v13 offset:3072
	v_add_co_u32 v6, vcc_lo, v6, s29
	v_add_co_ci_u32_e32 v7, vcc_lo, 0, v7, vcc_lo
	s_waitcnt lgkmcnt(0)
	s_barrier
	buffer_gl0_inv
	v_cmp_ge_u64_e32 vcc_lo, v[6:7], v[2:3]
	v_and_b32_e32 v9, 0xff, v8
	s_delay_alu instid0(VALU_DEP_1) | instskip(NEXT) | instid1(VALU_DEP_1)
	v_cmp_ne_u16_e64 s4, 0, v9
	s_or_b32 s19, vcc_lo, s4
	v_add_co_u32 v4, vcc_lo, v4, s64
	s_and_b32 s19, exec_lo, s19
	v_add_co_ci_u32_e32 v5, vcc_lo, s33, v5, vcc_lo
	s_or_b32 s12, s19, s12
	s_and_not1_b32 s13, s13, exec_lo
	s_and_b32 s4, s4, exec_lo
	s_delay_alu instid0(SALU_CYCLE_1)
	s_or_b32 s13, s13, s4
	s_and_not1_b32 exec_lo, exec_lo, s12
	s_cbranch_execz .LBB76_155
.LBB76_151:                             ;   Parent Loop BB76_12 Depth=1
                                        ; =>  This Inner Loop Header: Depth=2
	s_delay_alu instid0(VALU_DEP_1)
	v_cmp_gt_u64_e32 vcc_lo, s[24:25], v[6:7]
	v_mov_b32_e32 v8, 0
	s_and_saveexec_b32 s4, vcc_lo
	s_cbranch_execz .LBB76_153
; %bb.152:                              ;   in Loop: Header=BB76_151 Depth=2
	global_load_u8 v8, v[4:5], off
.LBB76_153:                             ;   in Loop: Header=BB76_151 Depth=2
	s_or_b32 exec_lo, exec_lo, s4
	s_waitcnt vmcnt(0)
	v_and_b32_e32 v9, s85, v8
	s_delay_alu instid0(VALU_DEP_1) | instskip(NEXT) | instid1(VALU_DEP_1)
	v_and_b32_e32 v9, 0xff, v9
	v_cmp_eq_u32_e64 s4, s84, v9
	s_delay_alu instid0(VALU_DEP_1) | instskip(NEXT) | instid1(SALU_CYCLE_1)
	s_and_b32 s19, vcc_lo, s4
	s_and_saveexec_b32 s4, s19
	s_cbranch_execz .LBB76_150
; %bb.154:                              ;   in Loop: Header=BB76_151 Depth=2
	v_lshlrev_b16 v8, 8, v8
	s_delay_alu instid0(VALU_DEP_1)
	v_or_b32_e32 v8, 1, v8
	ds_store_b16 v13, v8 offset:3072
	s_branch .LBB76_150
.LBB76_155:                             ;   in Loop: Header=BB76_12 Depth=1
	s_set_inst_prefetch_distance 0x2
	s_or_b32 exec_lo, exec_lo, s12
	v_lshrrev_b16 v32, 8, v8
	s_and_b32 s4, s13, exec_lo
.LBB76_156:                             ;   in Loop: Header=BB76_12 Depth=1
	s_or_b32 exec_lo, exec_lo, s5
	s_mov_b32 s19, -1
	s_mov_b32 s13, 0
	s_mov_b32 s12, 0
.LBB76_157:                             ;   in Loop: Header=BB76_12 Depth=1
	s_mov_b32 s5, 0
                                        ; implicit-def: $sgpr44
	s_and_saveexec_b32 s20, s4
	s_cbranch_execz .LBB76_264
; %bb.158:                              ;   in Loop: Header=BB76_12 Depth=1
	s_xor_b32 s4, s21, -1
	s_mov_b32 s44, 1
	s_and_not1_b32 vcc_lo, exec_lo, s4
	s_cbranch_vccnz .LBB76_169
; %bb.159:                              ;   in Loop: Header=BB76_12 Depth=1
	v_cmp_gt_u64_e64 s4, s[40:41], s[10:11]
                                        ; implicit-def: $sgpr44
                                        ; implicit-def: $sgpr5
                                        ; implicit-def: $sgpr21
	s_delay_alu instid0(VALU_DEP_1)
	s_and_b32 vcc_lo, exec_lo, s4
	s_mov_b32 s4, -1
	s_cbranch_vccnz .LBB76_165
; %bb.160:                              ;   in Loop: Header=BB76_12 Depth=1
	ds_load_b64 v[2:3], v13 offset:5120
	s_waitcnt lgkmcnt(0)
	v_cmp_ne_u64_e32 vcc_lo, 0, v[2:3]
	s_cbranch_vccnz .LBB76_164
; %bb.161:                              ;   in Loop: Header=BB76_12 Depth=1
	s_and_saveexec_b32 s4, s2
	s_cbranch_execz .LBB76_163
; %bb.162:                              ;   in Loop: Header=BB76_12 Depth=1
	v_dual_mov_b32 v2, s10 :: v_dual_mov_b32 v3, s11
	ds_store_b64 v13, v[2:3] offset:5128
.LBB76_163:                             ;   in Loop: Header=BB76_12 Depth=1
	s_or_b32 exec_lo, exec_lo, s4
	s_waitcnt lgkmcnt(0)
	s_barrier
	buffer_gl0_inv
.LBB76_164:                             ;   in Loop: Header=BB76_12 Depth=1
	s_lshl_b32 s4, 1, s17
	s_and_b32 s5, s84, s18
	s_or_b32 s21, s85, s16
	s_or_b32 s5, s5, s4
	s_mov_b32 s4, 0
	s_mov_b32 s44, 8
.LBB76_165:                             ;   in Loop: Header=BB76_12 Depth=1
	s_and_not1_b32 vcc_lo, exec_lo, s4
	s_cbranch_vccnz .LBB76_167
; %bb.166:                              ;   in Loop: Header=BB76_12 Depth=1
	s_sub_u32 s40, s40, s10
	s_subb_u32 s41, s41, s11
	s_mov_b32 s4, -1
	s_mov_b32 s44, 0
	s_mov_b32 s5, s84
	;; [unrolled: 1-line block ×3, first 2 shown]
.LBB76_167:                             ;   in Loop: Header=BB76_12 Depth=1
	s_delay_alu instid0(SALU_CYCLE_1)
	s_mov_b32 s85, s21
	s_mov_b32 s84, s5
	s_and_not1_b32 vcc_lo, exec_lo, s4
	s_mov_b32 s5, -1
	s_cbranch_vccz .LBB76_170
.LBB76_168:                             ;   in Loop: Header=BB76_12 Depth=1
                                        ; implicit-def: $sgpr11
                                        ; implicit-def: $sgpr21
                                        ; implicit-def: $sgpr10
	s_branch .LBB76_263
.LBB76_169:                             ;   in Loop: Header=BB76_12 Depth=1
	s_mov_b64 s[40:41], 1
	s_mov_b32 s5, -1
	s_cbranch_execnz .LBB76_168
.LBB76_170:                             ;   in Loop: Header=BB76_12 Depth=1
	s_cmp_eq_u64 s[8:9], 1
	s_cselect_b32 s4, -1, 0
	s_cmp_eq_u64 s[40:41], 1
	s_cselect_b32 s5, -1, 0
	s_delay_alu instid0(SALU_CYCLE_1)
	s_and_b32 s23, s4, s5
	s_mov_b32 s4, -1
	s_and_b32 vcc_lo, exec_lo, s23
	s_cbranch_vccz .LBB76_184
; %bb.171:                              ;   in Loop: Header=BB76_12 Depth=1
	ds_load_b64 v[2:3], v13 offset:5120
	s_waitcnt lgkmcnt(0)
	s_barrier
	buffer_gl0_inv
	v_readfirstlane_b32 s10, v2
	v_readfirstlane_b32 s11, v3
	s_and_saveexec_b32 s4, s3
	s_cbranch_execz .LBB76_173
; %bb.172:                              ;   in Loop: Header=BB76_12 Depth=1
	ds_store_b8 v0, v13 offset:3072
.LBB76_173:                             ;   in Loop: Header=BB76_12 Depth=1
	s_or_b32 exec_lo, exec_lo, s4
	s_lshl_b32 s4, 2, s17
	s_and_b32 s5, s84, s18
	s_or_b32 s85, s85, s16
	s_or_b32 s84, s5, s4
	s_cmp_eq_u64 s[10:11], 0
	s_waitcnt lgkmcnt(0)
	s_barrier
	buffer_gl0_inv
	s_cbranch_scc1 .LBB76_187
; %bb.174:                              ;   in Loop: Header=BB76_12 Depth=1
	s_add_u32 s21, s68, s10
	s_addc_u32 s5, s69, s11
	s_mov_b32 s4, s45
	s_delay_alu instid0(SALU_CYCLE_1)
	s_cmp_lg_u64 s[4:5], 0
	s_cbranch_scc0 .LBB76_230
; %bb.175:                              ;   in Loop: Header=BB76_12 Depth=1
	v_cvt_f32_u32_e32 v2, s29
	s_sub_u32 s44, 0, s29
	s_subb_u32 s46, 0, 0
	s_delay_alu instid0(VALU_DEP_1) | instskip(NEXT) | instid1(VALU_DEP_1)
	v_fmac_f32_e64 v2, 0, 0x4f800000
	v_rcp_f32_e32 v2, v2
	s_waitcnt_depctr 0xfff
	v_mul_f32_e32 v2, 0x5f7ffffc, v2
	s_delay_alu instid0(VALU_DEP_1) | instskip(NEXT) | instid1(VALU_DEP_1)
	v_mul_f32_e32 v3, 0x2f800000, v2
	v_trunc_f32_e32 v3, v3
	s_delay_alu instid0(VALU_DEP_1) | instskip(SKIP_1) | instid1(VALU_DEP_2)
	v_fmac_f32_e32 v2, 0xcf800000, v3
	v_cvt_u32_f32_e32 v3, v3
	v_cvt_u32_f32_e32 v2, v2
	s_delay_alu instid0(VALU_DEP_2) | instskip(NEXT) | instid1(VALU_DEP_2)
	v_readfirstlane_b32 s4, v3
	v_readfirstlane_b32 s22, v2
	s_delay_alu instid0(VALU_DEP_2) | instskip(NEXT) | instid1(VALU_DEP_1)
	s_mul_i32 s52, s44, s4
	s_mul_hi_u32 s54, s44, s22
	s_mul_i32 s53, s46, s22
	s_add_i32 s52, s54, s52
	s_mul_i32 s55, s44, s22
	s_add_i32 s52, s52, s53
	s_mul_hi_u32 s54, s22, s55
	s_mul_hi_u32 s56, s4, s55
	s_mul_i32 s53, s4, s55
	s_mul_hi_u32 s55, s22, s52
	s_mul_i32 s22, s22, s52
	s_mul_hi_u32 s57, s4, s52
	s_add_u32 s22, s54, s22
	s_addc_u32 s54, 0, s55
	s_add_u32 s22, s22, s53
	s_mul_i32 s52, s4, s52
	s_addc_u32 s22, s54, s56
	s_addc_u32 s53, s57, 0
	s_add_u32 s22, s22, s52
	s_addc_u32 s52, 0, s53
	v_add_co_u32 v2, s22, v2, s22
	s_delay_alu instid0(VALU_DEP_1) | instskip(SKIP_1) | instid1(VALU_DEP_1)
	s_cmp_lg_u32 s22, 0
	s_addc_u32 s4, s4, s52
	v_readfirstlane_b32 s22, v2
	s_mul_i32 s52, s44, s4
	s_delay_alu instid0(VALU_DEP_1)
	s_mul_hi_u32 s53, s44, s22
	s_mul_i32 s46, s46, s22
	s_add_i32 s52, s53, s52
	s_mul_i32 s44, s44, s22
	s_add_i32 s52, s52, s46
	s_mul_hi_u32 s53, s4, s44
	s_mul_i32 s54, s4, s44
	s_mul_hi_u32 s44, s22, s44
	s_mul_hi_u32 s55, s22, s52
	s_mul_i32 s22, s22, s52
	s_mul_hi_u32 s46, s4, s52
	s_add_u32 s22, s44, s22
	s_addc_u32 s44, 0, s55
	s_add_u32 s22, s22, s54
	s_mul_i32 s52, s4, s52
	s_addc_u32 s22, s44, s53
	s_addc_u32 s44, s46, 0
	s_add_u32 s22, s22, s52
	s_addc_u32 s44, 0, s44
	v_add_co_u32 v2, s22, v2, s22
	s_delay_alu instid0(VALU_DEP_1) | instskip(SKIP_1) | instid1(VALU_DEP_1)
	s_cmp_lg_u32 s22, 0
	s_addc_u32 s4, s4, s44
	v_readfirstlane_b32 s22, v2
	s_mul_i32 s46, s21, s4
	s_mul_hi_u32 s44, s21, s4
	s_mul_hi_u32 s52, s5, s4
	s_mul_i32 s4, s5, s4
	s_mul_hi_u32 s53, s21, s22
	s_mul_hi_u32 s54, s5, s22
	s_mul_i32 s22, s5, s22
	s_add_u32 s46, s53, s46
	s_addc_u32 s44, 0, s44
	s_add_u32 s22, s46, s22
	s_addc_u32 s22, s44, s54
	s_addc_u32 s44, s52, 0
	s_add_u32 s4, s22, s4
	s_addc_u32 s22, 0, s44
	s_mul_hi_u32 s44, s29, s4
	s_mul_i32 s4, s29, s4
	s_mul_i32 s22, s29, s22
	v_sub_co_u32 v2, s4, s21, s4
	s_add_i32 s44, s44, s22
	s_cmp_lg_u32 s4, 0
	s_delay_alu instid0(VALU_DEP_1) | instskip(SKIP_2) | instid1(VALU_DEP_1)
	v_sub_co_u32 v3, s4, v2, s29
	s_subb_u32 s22, s5, s44
	s_cmp_lg_u32 s4, 0
	v_cmp_le_u32_e32 vcc_lo, s29, v3
	v_sub_co_u32 v4, s4, v3, s29
	s_subb_u32 s44, s22, 0
	s_cmp_lg_u32 s4, 0
	v_cndmask_b32_e64 v5, 0, -1, vcc_lo
	s_subb_u32 s4, s44, 0
	s_cmp_eq_u32 s44, 0
	v_mov_b32_e32 v7, s4
	s_cselect_b32 vcc_lo, -1, 0
	s_cmp_eq_u32 s22, 0
	v_cndmask_b32_e32 v5, -1, v5, vcc_lo
	v_cmp_le_u32_e32 vcc_lo, s29, v2
	s_cselect_b32 s4, -1, 0
	v_cndmask_b32_e64 v6, 0, -1, vcc_lo
	s_delay_alu instid0(VALU_DEP_3) | instskip(NEXT) | instid1(VALU_DEP_2)
	v_cmp_ne_u32_e32 vcc_lo, 0, v5
	v_cndmask_b32_e64 v5, -1, v6, s4
	v_cndmask_b32_e32 v6, s44, v7, vcc_lo
	v_cndmask_b32_e32 v4, v3, v4, vcc_lo
	s_delay_alu instid0(VALU_DEP_3) | instskip(NEXT) | instid1(VALU_DEP_3)
	v_cmp_ne_u32_e32 vcc_lo, 0, v5
	v_cndmask_b32_e32 v3, s22, v6, vcc_lo
	s_delay_alu instid0(VALU_DEP_3)
	v_cndmask_b32_e32 v2, v2, v4, vcc_lo
	s_cbranch_execnz .LBB76_177
.LBB76_176:                             ;   in Loop: Header=BB76_12 Depth=1
	v_cvt_f32_u32_e32 v2, s29
	s_sub_i32 s4, 0, s29
	s_delay_alu instid0(VALU_DEP_1) | instskip(SKIP_2) | instid1(VALU_DEP_1)
	v_rcp_iflag_f32_e32 v2, v2
	s_waitcnt_depctr 0xfff
	v_mul_f32_e32 v2, 0x4f7ffffe, v2
	v_cvt_u32_f32_e32 v2, v2
	s_delay_alu instid0(VALU_DEP_1) | instskip(NEXT) | instid1(VALU_DEP_1)
	v_mul_lo_u32 v3, s4, v2
	v_mul_hi_u32 v3, v2, v3
	s_delay_alu instid0(VALU_DEP_1) | instskip(NEXT) | instid1(VALU_DEP_1)
	v_add_nc_u32_e32 v2, v2, v3
	v_mul_hi_u32 v2, s21, v2
	s_delay_alu instid0(VALU_DEP_1) | instskip(NEXT) | instid1(VALU_DEP_1)
	v_mul_lo_u32 v2, v2, s29
	v_sub_nc_u32_e32 v2, s21, v2
	s_delay_alu instid0(VALU_DEP_1) | instskip(SKIP_1) | instid1(VALU_DEP_2)
	v_subrev_nc_u32_e32 v3, s29, v2
	v_cmp_le_u32_e32 vcc_lo, s29, v2
	v_cndmask_b32_e32 v2, v2, v3, vcc_lo
	s_delay_alu instid0(VALU_DEP_1) | instskip(SKIP_1) | instid1(VALU_DEP_2)
	v_subrev_nc_u32_e32 v3, s29, v2
	v_cmp_le_u32_e32 vcc_lo, s29, v2
	v_cndmask_b32_e32 v12, v2, v3, vcc_lo
	s_delay_alu instid0(VALU_DEP_1)
	v_dual_mov_b32 v2, v12 :: v_dual_mov_b32 v3, v13
.LBB76_177:                             ;   in Loop: Header=BB76_12 Depth=1
	s_delay_alu instid0(VALU_DEP_1) | instskip(NEXT) | instid1(VALU_DEP_2)
	v_sub_co_u32 v2, vcc_lo, s21, v2
	v_sub_co_ci_u32_e32 v3, vcc_lo, s5, v3, vcc_lo
	s_mov_b32 s4, 0
	s_mov_b32 s5, exec_lo
                                        ; implicit-def: $vgpr32
	s_delay_alu instid0(VALU_DEP_1)
	v_cmpx_gt_u64_e64 v[2:3], v[0:1]
	s_cbranch_execz .LBB76_189
; %bb.178:                              ;   in Loop: Header=BB76_12 Depth=1
	v_dual_mov_b32 v6, v0 :: v_dual_mov_b32 v5, v1
	v_mov_b32_e32 v4, v0
	s_mov_b32 s21, 0
                                        ; implicit-def: $sgpr22
	s_set_inst_prefetch_distance 0x1
	s_branch .LBB76_180
	.p2align	6
.LBB76_179:                             ;   in Loop: Header=BB76_180 Depth=2
	s_or_b32 exec_lo, exec_lo, s4
	s_waitcnt lgkmcnt(0)
	s_barrier
	buffer_gl0_inv
	ds_load_u16 v7, v13 offset:3072
	v_add_co_u32 v4, vcc_lo, v4, s29
	v_add_co_ci_u32_e32 v5, vcc_lo, 0, v5, vcc_lo
	v_add_nc_u32_e32 v6, s29, v6
	s_waitcnt lgkmcnt(0)
	s_barrier
	s_delay_alu instid0(VALU_DEP_2) | instskip(SKIP_2) | instid1(VALU_DEP_1)
	v_cmp_ge_u64_e32 vcc_lo, v[4:5], v[2:3]
	buffer_gl0_inv
	v_and_b32_e32 v8, 0xff, v7
	v_cmp_ne_u16_e64 s4, 0, v8
	s_delay_alu instid0(VALU_DEP_1) | instskip(NEXT) | instid1(SALU_CYCLE_1)
	s_or_b32 s44, vcc_lo, s4
	s_and_b32 s44, exec_lo, s44
	s_delay_alu instid0(SALU_CYCLE_1) | instskip(SKIP_2) | instid1(SALU_CYCLE_1)
	s_or_b32 s21, s44, s21
	s_and_not1_b32 s22, s22, exec_lo
	s_and_b32 s4, s4, exec_lo
	s_or_b32 s22, s22, s4
	s_and_not1_b32 exec_lo, exec_lo, s21
	s_cbranch_execz .LBB76_188
.LBB76_180:                             ;   Parent Loop BB76_12 Depth=1
                                        ; =>  This Inner Loop Header: Depth=2
	s_delay_alu instid0(VALU_DEP_1)
	v_cmp_gt_u64_e32 vcc_lo, s[10:11], v[4:5]
	v_mov_b32_e32 v7, 0
	s_and_saveexec_b32 s4, vcc_lo
	s_cbranch_execz .LBB76_182
; %bb.181:                              ;   in Loop: Header=BB76_180 Depth=2
	ds_load_u8 v7, v6
.LBB76_182:                             ;   in Loop: Header=BB76_180 Depth=2
	s_or_b32 exec_lo, exec_lo, s4
	s_waitcnt lgkmcnt(0)
	v_and_b32_e32 v8, s85, v7
	s_delay_alu instid0(VALU_DEP_1) | instskip(NEXT) | instid1(VALU_DEP_1)
	v_and_b32_e32 v8, 0xff, v8
	v_cmp_eq_u32_e64 s4, s84, v8
	s_delay_alu instid0(VALU_DEP_1) | instskip(NEXT) | instid1(SALU_CYCLE_1)
	s_and_b32 s44, vcc_lo, s4
	s_and_saveexec_b32 s4, s44
	s_cbranch_execz .LBB76_179
; %bb.183:                              ;   in Loop: Header=BB76_180 Depth=2
	v_lshlrev_b16 v7, 8, v7
	s_delay_alu instid0(VALU_DEP_1)
	v_or_b32_e32 v7, 1, v7
	ds_store_b16 v13, v7 offset:3072
	s_branch .LBB76_179
.LBB76_184:                             ;   in Loop: Header=BB76_12 Depth=1
                                        ; implicit-def: $sgpr10
                                        ; implicit-def: $sgpr21
                                        ; implicit-def: $sgpr11
	s_branch .LBB76_202
.LBB76_185:                             ;   in Loop: Header=BB76_12 Depth=1
                                        ; implicit-def: $vgpr2_vgpr3
	s_branch .LBB76_131
.LBB76_186:                             ;   in Loop: Header=BB76_12 Depth=1
                                        ; implicit-def: $vgpr2_vgpr3
	s_branch .LBB76_147
.LBB76_187:                             ;   in Loop: Header=BB76_12 Depth=1
	s_mov_b32 s10, -1
	s_mov_b32 s4, 0
                                        ; implicit-def: $sgpr11
                                        ; implicit-def: $vgpr32
	s_mov_b32 s21, s10
	s_cbranch_execnz .LBB76_190
	s_branch .LBB76_202
.LBB76_188:                             ;   in Loop: Header=BB76_12 Depth=1
	s_set_inst_prefetch_distance 0x2
	s_or_b32 exec_lo, exec_lo, s21
	v_lshrrev_b16 v32, 8, v7
	s_and_b32 s4, s22, exec_lo
.LBB76_189:                             ;   in Loop: Header=BB76_12 Depth=1
	s_or_b32 exec_lo, exec_lo, s5
	s_mov_b32 s11, -1
	s_mov_b32 s10, 0
	s_delay_alu instid0(SALU_CYCLE_1)
	s_mov_b32 s21, s10
	s_branch .LBB76_202
.LBB76_190:                             ;   in Loop: Header=BB76_12 Depth=1
	s_mov_b32 s46, s45
	s_delay_alu instid0(SALU_CYCLE_1)
	s_cmp_lg_u64 s[46:47], 0
	s_cbranch_scc0 .LBB76_231
; %bb.191:                              ;   in Loop: Header=BB76_12 Depth=1
	v_cvt_f32_u32_e32 v2, s29
	s_sub_u32 s10, 0, s29
	s_subb_u32 s11, 0, 0
	s_delay_alu instid0(VALU_DEP_1) | instskip(NEXT) | instid1(VALU_DEP_1)
	v_fmac_f32_e64 v2, 0, 0x4f800000
	v_rcp_f32_e32 v2, v2
	s_waitcnt_depctr 0xfff
	v_mul_f32_e32 v2, 0x5f7ffffc, v2
	s_delay_alu instid0(VALU_DEP_1) | instskip(NEXT) | instid1(VALU_DEP_1)
	v_mul_f32_e32 v3, 0x2f800000, v2
	v_trunc_f32_e32 v3, v3
	s_delay_alu instid0(VALU_DEP_1) | instskip(SKIP_1) | instid1(VALU_DEP_2)
	v_fmac_f32_e32 v2, 0xcf800000, v3
	v_cvt_u32_f32_e32 v3, v3
	v_cvt_u32_f32_e32 v2, v2
	s_delay_alu instid0(VALU_DEP_2) | instskip(NEXT) | instid1(VALU_DEP_2)
	v_readfirstlane_b32 s4, v3
	v_readfirstlane_b32 s5, v2
	s_delay_alu instid0(VALU_DEP_2) | instskip(NEXT) | instid1(VALU_DEP_1)
	s_mul_i32 s21, s10, s4
	s_mul_hi_u32 s44, s10, s5
	s_mul_i32 s22, s11, s5
	s_add_i32 s21, s44, s21
	s_mul_i32 s46, s10, s5
	s_add_i32 s21, s21, s22
	s_mul_hi_u32 s44, s5, s46
	s_mul_hi_u32 s52, s4, s46
	s_mul_i32 s22, s4, s46
	s_mul_hi_u32 s46, s5, s21
	s_mul_i32 s5, s5, s21
	s_mul_hi_u32 s53, s4, s21
	s_add_u32 s5, s44, s5
	s_addc_u32 s44, 0, s46
	s_add_u32 s5, s5, s22
	s_mul_i32 s21, s4, s21
	s_addc_u32 s5, s44, s52
	s_addc_u32 s22, s53, 0
	s_add_u32 s5, s5, s21
	s_addc_u32 s21, 0, s22
	v_add_co_u32 v2, s5, v2, s5
	s_delay_alu instid0(VALU_DEP_1) | instskip(SKIP_1) | instid1(VALU_DEP_1)
	s_cmp_lg_u32 s5, 0
	s_addc_u32 s4, s4, s21
	v_readfirstlane_b32 s5, v2
	s_mul_i32 s21, s10, s4
	s_delay_alu instid0(VALU_DEP_1)
	s_mul_hi_u32 s22, s10, s5
	s_mul_i32 s11, s11, s5
	s_add_i32 s21, s22, s21
	s_mul_i32 s10, s10, s5
	s_add_i32 s21, s21, s11
	s_mul_hi_u32 s22, s4, s10
	s_mul_i32 s44, s4, s10
	s_mul_hi_u32 s10, s5, s10
	s_mul_hi_u32 s46, s5, s21
	s_mul_i32 s5, s5, s21
	s_mul_hi_u32 s11, s4, s21
	s_add_u32 s5, s10, s5
	s_addc_u32 s10, 0, s46
	s_add_u32 s5, s5, s44
	s_mul_i32 s21, s4, s21
	s_addc_u32 s5, s10, s22
	s_addc_u32 s10, s11, 0
	s_add_u32 s5, s5, s21
	s_addc_u32 s10, 0, s10
	v_add_co_u32 v2, s5, v2, s5
	s_delay_alu instid0(VALU_DEP_1) | instskip(SKIP_1) | instid1(VALU_DEP_1)
	s_cmp_lg_u32 s5, 0
	s_addc_u32 s4, s4, s10
	v_readfirstlane_b32 s5, v2
	s_mul_i32 s11, s70, s4
	s_mul_hi_u32 s10, s70, s4
	s_mul_hi_u32 s21, s47, s4
	s_mul_i32 s4, s47, s4
	s_mul_hi_u32 s22, s70, s5
	s_mul_hi_u32 s44, s47, s5
	s_mul_i32 s5, s47, s5
	s_add_u32 s11, s22, s11
	s_addc_u32 s10, 0, s10
	s_add_u32 s5, s11, s5
	s_addc_u32 s5, s10, s44
	s_addc_u32 s10, s21, 0
	s_add_u32 s4, s5, s4
	s_addc_u32 s5, 0, s10
	s_mul_hi_u32 s10, s29, s4
	s_mul_i32 s4, s29, s4
	s_mul_i32 s5, s29, s5
	v_sub_co_u32 v2, s4, s70, s4
	s_add_i32 s10, s10, s5
	s_cmp_lg_u32 s4, 0
	s_delay_alu instid0(VALU_DEP_1) | instskip(SKIP_2) | instid1(VALU_DEP_1)
	v_sub_co_u32 v3, s4, v2, s29
	s_subb_u32 s5, s47, s10
	s_cmp_lg_u32 s4, 0
	v_cmp_le_u32_e32 vcc_lo, s29, v3
	v_sub_co_u32 v4, s4, v3, s29
	s_subb_u32 s10, s5, 0
	s_cmp_lg_u32 s4, 0
	v_cndmask_b32_e64 v5, 0, -1, vcc_lo
	s_subb_u32 s4, s10, 0
	s_cmp_eq_u32 s10, 0
	v_mov_b32_e32 v7, s4
	s_cselect_b32 vcc_lo, -1, 0
	s_cmp_eq_u32 s5, 0
	v_cndmask_b32_e32 v5, -1, v5, vcc_lo
	v_cmp_le_u32_e32 vcc_lo, s29, v2
	s_cselect_b32 s4, -1, 0
	v_cndmask_b32_e64 v6, 0, -1, vcc_lo
	s_delay_alu instid0(VALU_DEP_3) | instskip(NEXT) | instid1(VALU_DEP_2)
	v_cmp_ne_u32_e32 vcc_lo, 0, v5
	v_cndmask_b32_e64 v5, -1, v6, s4
	v_cndmask_b32_e32 v6, s10, v7, vcc_lo
	v_cndmask_b32_e32 v4, v3, v4, vcc_lo
	s_delay_alu instid0(VALU_DEP_3) | instskip(NEXT) | instid1(VALU_DEP_3)
	v_cmp_ne_u32_e32 vcc_lo, 0, v5
	v_cndmask_b32_e32 v3, s5, v6, vcc_lo
	s_delay_alu instid0(VALU_DEP_3)
	v_cndmask_b32_e32 v2, v2, v4, vcc_lo
	s_cbranch_execnz .LBB76_193
.LBB76_192:                             ;   in Loop: Header=BB76_12 Depth=1
	v_cvt_f32_u32_e32 v2, s29
	s_sub_i32 s4, 0, s29
	s_delay_alu instid0(VALU_DEP_1) | instskip(SKIP_2) | instid1(VALU_DEP_1)
	v_rcp_iflag_f32_e32 v2, v2
	s_waitcnt_depctr 0xfff
	v_mul_f32_e32 v2, 0x4f7ffffe, v2
	v_cvt_u32_f32_e32 v2, v2
	s_delay_alu instid0(VALU_DEP_1) | instskip(NEXT) | instid1(VALU_DEP_1)
	v_mul_lo_u32 v3, s4, v2
	v_mul_hi_u32 v3, v2, v3
	s_delay_alu instid0(VALU_DEP_1) | instskip(NEXT) | instid1(VALU_DEP_1)
	v_add_nc_u32_e32 v2, v2, v3
	v_mul_hi_u32 v2, s70, v2
	s_delay_alu instid0(VALU_DEP_1) | instskip(NEXT) | instid1(VALU_DEP_1)
	v_mul_lo_u32 v2, v2, s29
	v_sub_nc_u32_e32 v2, s70, v2
	s_delay_alu instid0(VALU_DEP_1) | instskip(SKIP_1) | instid1(VALU_DEP_2)
	v_subrev_nc_u32_e32 v3, s29, v2
	v_cmp_le_u32_e32 vcc_lo, s29, v2
	v_cndmask_b32_e32 v2, v2, v3, vcc_lo
	s_delay_alu instid0(VALU_DEP_1) | instskip(SKIP_1) | instid1(VALU_DEP_2)
	v_subrev_nc_u32_e32 v3, s29, v2
	v_cmp_le_u32_e32 vcc_lo, s29, v2
	v_cndmask_b32_e32 v12, v2, v3, vcc_lo
	s_delay_alu instid0(VALU_DEP_1)
	v_dual_mov_b32 v2, v12 :: v_dual_mov_b32 v3, v13
.LBB76_193:                             ;   in Loop: Header=BB76_12 Depth=1
	s_delay_alu instid0(VALU_DEP_1) | instskip(NEXT) | instid1(VALU_DEP_2)
	v_sub_co_u32 v2, vcc_lo, s70, v2
	v_sub_co_ci_u32_e32 v3, vcc_lo, s47, v3, vcc_lo
	s_mov_b32 s4, 0
	s_mov_b32 s5, exec_lo
                                        ; implicit-def: $vgpr32
	s_delay_alu instid0(VALU_DEP_1)
	v_cmpx_gt_u64_e64 v[2:3], v[0:1]
	s_cbranch_execz .LBB76_201
; %bb.194:                              ;   in Loop: Header=BB76_12 Depth=1
	v_dual_mov_b32 v4, v10 :: v_dual_mov_b32 v5, v11
	v_dual_mov_b32 v7, v1 :: v_dual_mov_b32 v6, v0
	s_mov_b32 s10, 0
                                        ; implicit-def: $sgpr11
	s_set_inst_prefetch_distance 0x1
	s_branch .LBB76_196
	.p2align	6
.LBB76_195:                             ;   in Loop: Header=BB76_196 Depth=2
	s_or_b32 exec_lo, exec_lo, s4
	s_waitcnt lgkmcnt(0)
	s_barrier
	buffer_gl0_inv
	ds_load_u16 v8, v13 offset:3072
	v_add_co_u32 v6, vcc_lo, v6, s29
	v_add_co_ci_u32_e32 v7, vcc_lo, 0, v7, vcc_lo
	s_waitcnt lgkmcnt(0)
	s_barrier
	buffer_gl0_inv
	v_cmp_ge_u64_e32 vcc_lo, v[6:7], v[2:3]
	v_and_b32_e32 v9, 0xff, v8
	s_delay_alu instid0(VALU_DEP_1) | instskip(NEXT) | instid1(VALU_DEP_1)
	v_cmp_ne_u16_e64 s4, 0, v9
	s_or_b32 s21, vcc_lo, s4
	v_add_co_u32 v4, vcc_lo, v4, s64
	s_and_b32 s21, exec_lo, s21
	v_add_co_ci_u32_e32 v5, vcc_lo, s33, v5, vcc_lo
	s_or_b32 s10, s21, s10
	s_and_not1_b32 s11, s11, exec_lo
	s_and_b32 s4, s4, exec_lo
	s_delay_alu instid0(SALU_CYCLE_1)
	s_or_b32 s11, s11, s4
	s_and_not1_b32 exec_lo, exec_lo, s10
	s_cbranch_execz .LBB76_200
.LBB76_196:                             ;   Parent Loop BB76_12 Depth=1
                                        ; =>  This Inner Loop Header: Depth=2
	s_delay_alu instid0(VALU_DEP_1)
	v_cmp_gt_u64_e32 vcc_lo, s[24:25], v[6:7]
	v_mov_b32_e32 v8, 0
	s_and_saveexec_b32 s4, vcc_lo
	s_cbranch_execz .LBB76_198
; %bb.197:                              ;   in Loop: Header=BB76_196 Depth=2
	global_load_u8 v8, v[4:5], off
.LBB76_198:                             ;   in Loop: Header=BB76_196 Depth=2
	s_or_b32 exec_lo, exec_lo, s4
	s_waitcnt vmcnt(0)
	v_and_b32_e32 v9, s85, v8
	s_delay_alu instid0(VALU_DEP_1) | instskip(NEXT) | instid1(VALU_DEP_1)
	v_and_b32_e32 v9, 0xff, v9
	v_cmp_eq_u32_e64 s4, s84, v9
	s_delay_alu instid0(VALU_DEP_1) | instskip(NEXT) | instid1(SALU_CYCLE_1)
	s_and_b32 s21, vcc_lo, s4
	s_and_saveexec_b32 s4, s21
	s_cbranch_execz .LBB76_195
; %bb.199:                              ;   in Loop: Header=BB76_196 Depth=2
	v_lshlrev_b16 v8, 8, v8
	s_delay_alu instid0(VALU_DEP_1)
	v_or_b32_e32 v8, 1, v8
	ds_store_b16 v13, v8 offset:3072
	s_branch .LBB76_195
.LBB76_200:                             ;   in Loop: Header=BB76_12 Depth=1
	s_set_inst_prefetch_distance 0x2
	s_or_b32 exec_lo, exec_lo, s10
	v_lshrrev_b16 v32, 8, v8
	s_and_b32 s4, s11, exec_lo
.LBB76_201:                             ;   in Loop: Header=BB76_12 Depth=1
	s_or_b32 exec_lo, exec_lo, s5
	s_mov_b32 s21, -1
	s_mov_b32 s10, 0
	s_mov_b32 s11, 0
.LBB76_202:                             ;   in Loop: Header=BB76_12 Depth=1
	s_mov_b32 s5, 0
                                        ; implicit-def: $sgpr44
	s_and_saveexec_b32 s22, s4
	s_cbranch_execz .LBB76_262
; %bb.203:                              ;   in Loop: Header=BB76_12 Depth=1
	s_xor_b32 s4, s23, -1
	s_mov_b32 s44, 1
	s_and_not1_b32 vcc_lo, exec_lo, s4
	s_cbranch_vccnz .LBB76_214
; %bb.204:                              ;   in Loop: Header=BB76_12 Depth=1
	v_cmp_gt_u64_e64 s4, s[40:41], s[8:9]
                                        ; implicit-def: $sgpr44
                                        ; implicit-def: $sgpr5
                                        ; implicit-def: $sgpr23
	s_delay_alu instid0(VALU_DEP_1)
	s_and_b32 vcc_lo, exec_lo, s4
	s_mov_b32 s4, -1
	s_cbranch_vccnz .LBB76_210
; %bb.205:                              ;   in Loop: Header=BB76_12 Depth=1
	ds_load_b64 v[2:3], v13 offset:5120
	s_waitcnt lgkmcnt(0)
	v_cmp_ne_u64_e32 vcc_lo, 0, v[2:3]
	s_cbranch_vccnz .LBB76_209
; %bb.206:                              ;   in Loop: Header=BB76_12 Depth=1
	s_and_saveexec_b32 s4, s2
	s_cbranch_execz .LBB76_208
; %bb.207:                              ;   in Loop: Header=BB76_12 Depth=1
	v_dual_mov_b32 v2, s8 :: v_dual_mov_b32 v3, s9
	ds_store_b64 v13, v[2:3] offset:5128
.LBB76_208:                             ;   in Loop: Header=BB76_12 Depth=1
	s_or_b32 exec_lo, exec_lo, s4
	s_waitcnt lgkmcnt(0)
	s_barrier
	buffer_gl0_inv
.LBB76_209:                             ;   in Loop: Header=BB76_12 Depth=1
	s_lshl_b32 s4, 2, s17
	s_and_b32 s5, s84, s18
	s_or_b32 s23, s85, s16
	s_or_b32 s5, s5, s4
	s_mov_b32 s4, 0
	s_mov_b32 s44, 8
.LBB76_210:                             ;   in Loop: Header=BB76_12 Depth=1
	s_and_not1_b32 vcc_lo, exec_lo, s4
	s_cbranch_vccnz .LBB76_212
; %bb.211:                              ;   in Loop: Header=BB76_12 Depth=1
	s_sub_u32 s40, s40, s8
	s_subb_u32 s41, s41, s9
	s_mov_b32 s4, -1
	s_mov_b32 s44, 0
	s_mov_b32 s5, s84
	;; [unrolled: 1-line block ×3, first 2 shown]
.LBB76_212:                             ;   in Loop: Header=BB76_12 Depth=1
	s_delay_alu instid0(SALU_CYCLE_1)
	s_mov_b32 s85, s23
	s_mov_b32 s84, s5
	s_and_not1_b32 vcc_lo, exec_lo, s4
	s_mov_b32 s52, -1
	s_cbranch_vccz .LBB76_215
.LBB76_213:                             ;   in Loop: Header=BB76_12 Depth=1
                                        ; implicit-def: $sgpr8
                                        ; implicit-def: $sgpr18
                                        ; implicit-def: $sgpr9
	s_branch .LBB76_261
.LBB76_214:                             ;   in Loop: Header=BB76_12 Depth=1
	s_mov_b64 s[40:41], 1
	s_mov_b32 s52, -1
	s_cbranch_execnz .LBB76_213
.LBB76_215:                             ;   in Loop: Header=BB76_12 Depth=1
	s_cmp_eq_u64 s[6:7], 1
	s_mov_b32 s23, -1
	s_cselect_b32 s4, -1, 0
	s_cmp_eq_u64 s[40:41], 1
	s_cselect_b32 s5, -1, 0
	s_delay_alu instid0(SALU_CYCLE_1) | instskip(NEXT) | instid1(SALU_CYCLE_1)
	s_and_b32 s17, s4, s5
	s_and_b32 vcc_lo, exec_lo, s17
	s_cbranch_vccz .LBB76_229
; %bb.216:                              ;   in Loop: Header=BB76_12 Depth=1
	ds_load_b64 v[2:3], v13 offset:5120
	s_waitcnt lgkmcnt(0)
	s_barrier
	buffer_gl0_inv
	v_readfirstlane_b32 s8, v2
	v_readfirstlane_b32 s9, v3
	s_and_saveexec_b32 s4, s3
	s_cbranch_execz .LBB76_218
; %bb.217:                              ;   in Loop: Header=BB76_12 Depth=1
	ds_store_b8 v0, v13 offset:3072
.LBB76_218:                             ;   in Loop: Header=BB76_12 Depth=1
	s_or_b32 exec_lo, exec_lo, s4
	s_or_b32 s84, s84, s16
	s_or_b32 s85, s85, s16
	s_cmp_eq_u64 s[8:9], 0
	s_waitcnt lgkmcnt(0)
	s_barrier
	buffer_gl0_inv
	s_cbranch_scc1 .LBB76_232
; %bb.219:                              ;   in Loop: Header=BB76_12 Depth=1
	s_add_u32 s18, s68, s8
	s_addc_u32 s5, s69, s9
	s_mov_b32 s4, s45
	s_delay_alu instid0(SALU_CYCLE_1)
	s_cmp_lg_u64 s[4:5], 0
	s_cbranch_scc0 .LBB76_267
; %bb.220:                              ;   in Loop: Header=BB76_12 Depth=1
	v_cvt_f32_u32_e32 v2, s29
	s_sub_u32 s44, 0, s29
	s_subb_u32 s46, 0, 0
	s_delay_alu instid0(VALU_DEP_1) | instskip(NEXT) | instid1(VALU_DEP_1)
	v_fmac_f32_e64 v2, 0, 0x4f800000
	v_rcp_f32_e32 v2, v2
	s_waitcnt_depctr 0xfff
	v_mul_f32_e32 v2, 0x5f7ffffc, v2
	s_delay_alu instid0(VALU_DEP_1) | instskip(NEXT) | instid1(VALU_DEP_1)
	v_mul_f32_e32 v3, 0x2f800000, v2
	v_trunc_f32_e32 v3, v3
	s_delay_alu instid0(VALU_DEP_1) | instskip(SKIP_1) | instid1(VALU_DEP_2)
	v_fmac_f32_e32 v2, 0xcf800000, v3
	v_cvt_u32_f32_e32 v3, v3
	v_cvt_u32_f32_e32 v2, v2
	s_delay_alu instid0(VALU_DEP_2) | instskip(NEXT) | instid1(VALU_DEP_2)
	v_readfirstlane_b32 s4, v3
	v_readfirstlane_b32 s23, v2
	s_delay_alu instid0(VALU_DEP_2) | instskip(NEXT) | instid1(VALU_DEP_1)
	s_mul_i32 s52, s44, s4
	s_mul_hi_u32 s54, s44, s23
	s_mul_i32 s53, s46, s23
	s_add_i32 s52, s54, s52
	s_mul_i32 s55, s44, s23
	s_add_i32 s52, s52, s53
	s_mul_hi_u32 s54, s23, s55
	s_mul_hi_u32 s56, s4, s55
	s_mul_i32 s53, s4, s55
	s_mul_hi_u32 s55, s23, s52
	s_mul_i32 s23, s23, s52
	s_mul_hi_u32 s57, s4, s52
	s_add_u32 s23, s54, s23
	s_addc_u32 s54, 0, s55
	s_add_u32 s23, s23, s53
	s_mul_i32 s52, s4, s52
	s_addc_u32 s23, s54, s56
	s_addc_u32 s53, s57, 0
	s_add_u32 s23, s23, s52
	s_addc_u32 s52, 0, s53
	v_add_co_u32 v2, s23, v2, s23
	s_delay_alu instid0(VALU_DEP_1) | instskip(SKIP_1) | instid1(VALU_DEP_1)
	s_cmp_lg_u32 s23, 0
	s_addc_u32 s4, s4, s52
	v_readfirstlane_b32 s23, v2
	s_mul_i32 s52, s44, s4
	s_delay_alu instid0(VALU_DEP_1)
	s_mul_hi_u32 s53, s44, s23
	s_mul_i32 s46, s46, s23
	s_add_i32 s52, s53, s52
	s_mul_i32 s44, s44, s23
	s_add_i32 s52, s52, s46
	s_mul_hi_u32 s53, s4, s44
	s_mul_i32 s54, s4, s44
	s_mul_hi_u32 s44, s23, s44
	s_mul_hi_u32 s55, s23, s52
	s_mul_i32 s23, s23, s52
	s_mul_hi_u32 s46, s4, s52
	s_add_u32 s23, s44, s23
	s_addc_u32 s44, 0, s55
	s_add_u32 s23, s23, s54
	s_mul_i32 s52, s4, s52
	s_addc_u32 s23, s44, s53
	s_addc_u32 s44, s46, 0
	s_add_u32 s23, s23, s52
	s_addc_u32 s44, 0, s44
	v_add_co_u32 v2, s23, v2, s23
	s_delay_alu instid0(VALU_DEP_1) | instskip(SKIP_1) | instid1(VALU_DEP_1)
	s_cmp_lg_u32 s23, 0
	s_addc_u32 s4, s4, s44
	v_readfirstlane_b32 s23, v2
	s_mul_i32 s46, s18, s4
	s_mul_hi_u32 s44, s18, s4
	s_mul_hi_u32 s52, s5, s4
	s_mul_i32 s4, s5, s4
	s_mul_hi_u32 s53, s18, s23
	s_mul_hi_u32 s54, s5, s23
	s_mul_i32 s23, s5, s23
	s_add_u32 s46, s53, s46
	s_addc_u32 s44, 0, s44
	s_add_u32 s23, s46, s23
	s_addc_u32 s23, s44, s54
	s_addc_u32 s44, s52, 0
	s_add_u32 s4, s23, s4
	s_addc_u32 s23, 0, s44
	s_mul_hi_u32 s44, s29, s4
	s_mul_i32 s4, s29, s4
	s_mul_i32 s23, s29, s23
	v_sub_co_u32 v2, s4, s18, s4
	s_add_i32 s44, s44, s23
	s_cmp_lg_u32 s4, 0
	s_delay_alu instid0(VALU_DEP_1) | instskip(SKIP_2) | instid1(VALU_DEP_1)
	v_sub_co_u32 v3, s4, v2, s29
	s_subb_u32 s23, s5, s44
	s_cmp_lg_u32 s4, 0
	v_cmp_le_u32_e32 vcc_lo, s29, v3
	v_sub_co_u32 v4, s4, v3, s29
	s_subb_u32 s44, s23, 0
	s_cmp_lg_u32 s4, 0
	v_cndmask_b32_e64 v5, 0, -1, vcc_lo
	s_subb_u32 s4, s44, 0
	s_cmp_eq_u32 s44, 0
	v_mov_b32_e32 v7, s4
	s_cselect_b32 vcc_lo, -1, 0
	s_cmp_eq_u32 s23, 0
	v_cndmask_b32_e32 v5, -1, v5, vcc_lo
	v_cmp_le_u32_e32 vcc_lo, s29, v2
	s_cselect_b32 s4, -1, 0
	v_cndmask_b32_e64 v6, 0, -1, vcc_lo
	s_delay_alu instid0(VALU_DEP_3) | instskip(NEXT) | instid1(VALU_DEP_2)
	v_cmp_ne_u32_e32 vcc_lo, 0, v5
	v_cndmask_b32_e64 v5, -1, v6, s4
	v_cndmask_b32_e32 v6, s44, v7, vcc_lo
	v_cndmask_b32_e32 v4, v3, v4, vcc_lo
	s_delay_alu instid0(VALU_DEP_3) | instskip(NEXT) | instid1(VALU_DEP_3)
	v_cmp_ne_u32_e32 vcc_lo, 0, v5
	v_cndmask_b32_e32 v3, s23, v6, vcc_lo
	s_delay_alu instid0(VALU_DEP_3)
	v_cndmask_b32_e32 v2, v2, v4, vcc_lo
	s_cbranch_execnz .LBB76_222
.LBB76_221:                             ;   in Loop: Header=BB76_12 Depth=1
	v_cvt_f32_u32_e32 v2, s29
	s_sub_i32 s4, 0, s29
	s_delay_alu instid0(VALU_DEP_1) | instskip(SKIP_2) | instid1(VALU_DEP_1)
	v_rcp_iflag_f32_e32 v2, v2
	s_waitcnt_depctr 0xfff
	v_mul_f32_e32 v2, 0x4f7ffffe, v2
	v_cvt_u32_f32_e32 v2, v2
	s_delay_alu instid0(VALU_DEP_1) | instskip(NEXT) | instid1(VALU_DEP_1)
	v_mul_lo_u32 v3, s4, v2
	v_mul_hi_u32 v3, v2, v3
	s_delay_alu instid0(VALU_DEP_1) | instskip(NEXT) | instid1(VALU_DEP_1)
	v_add_nc_u32_e32 v2, v2, v3
	v_mul_hi_u32 v2, s18, v2
	s_delay_alu instid0(VALU_DEP_1) | instskip(NEXT) | instid1(VALU_DEP_1)
	v_mul_lo_u32 v2, v2, s29
	v_sub_nc_u32_e32 v2, s18, v2
	s_delay_alu instid0(VALU_DEP_1) | instskip(SKIP_1) | instid1(VALU_DEP_2)
	v_subrev_nc_u32_e32 v3, s29, v2
	v_cmp_le_u32_e32 vcc_lo, s29, v2
	v_cndmask_b32_e32 v2, v2, v3, vcc_lo
	s_delay_alu instid0(VALU_DEP_1) | instskip(SKIP_1) | instid1(VALU_DEP_2)
	v_subrev_nc_u32_e32 v3, s29, v2
	v_cmp_le_u32_e32 vcc_lo, s29, v2
	v_cndmask_b32_e32 v12, v2, v3, vcc_lo
	s_delay_alu instid0(VALU_DEP_1)
	v_dual_mov_b32 v2, v12 :: v_dual_mov_b32 v3, v13
.LBB76_222:                             ;   in Loop: Header=BB76_12 Depth=1
	s_delay_alu instid0(VALU_DEP_1) | instskip(NEXT) | instid1(VALU_DEP_2)
	v_sub_co_u32 v2, vcc_lo, s18, v2
	v_sub_co_ci_u32_e32 v3, vcc_lo, s5, v3, vcc_lo
	s_mov_b32 s23, 0
	s_mov_b32 s5, exec_lo
                                        ; implicit-def: $vgpr32
	s_delay_alu instid0(VALU_DEP_1)
	v_cmpx_gt_u64_e64 v[2:3], v[0:1]
	s_cbranch_execz .LBB76_234
; %bb.223:                              ;   in Loop: Header=BB76_12 Depth=1
	v_dual_mov_b32 v6, v0 :: v_dual_mov_b32 v5, v1
	v_mov_b32_e32 v4, v0
	s_mov_b32 s18, 0
                                        ; implicit-def: $sgpr23
	s_set_inst_prefetch_distance 0x1
	s_branch .LBB76_225
	.p2align	6
.LBB76_224:                             ;   in Loop: Header=BB76_225 Depth=2
	s_or_b32 exec_lo, exec_lo, s4
	s_waitcnt lgkmcnt(0)
	s_barrier
	buffer_gl0_inv
	ds_load_u16 v7, v13 offset:3072
	v_add_co_u32 v4, vcc_lo, v4, s29
	v_add_co_ci_u32_e32 v5, vcc_lo, 0, v5, vcc_lo
	v_add_nc_u32_e32 v6, s29, v6
	s_waitcnt lgkmcnt(0)
	s_barrier
	s_delay_alu instid0(VALU_DEP_2) | instskip(SKIP_2) | instid1(VALU_DEP_1)
	v_cmp_ge_u64_e32 vcc_lo, v[4:5], v[2:3]
	buffer_gl0_inv
	v_and_b32_e32 v8, 0xff, v7
	v_cmp_ne_u16_e64 s4, 0, v8
	s_delay_alu instid0(VALU_DEP_1) | instskip(NEXT) | instid1(SALU_CYCLE_1)
	s_or_b32 s44, vcc_lo, s4
	s_and_b32 s44, exec_lo, s44
	s_delay_alu instid0(SALU_CYCLE_1) | instskip(SKIP_2) | instid1(SALU_CYCLE_1)
	s_or_b32 s18, s44, s18
	s_and_not1_b32 s23, s23, exec_lo
	s_and_b32 s4, s4, exec_lo
	s_or_b32 s23, s23, s4
	s_and_not1_b32 exec_lo, exec_lo, s18
	s_cbranch_execz .LBB76_233
.LBB76_225:                             ;   Parent Loop BB76_12 Depth=1
                                        ; =>  This Inner Loop Header: Depth=2
	s_delay_alu instid0(VALU_DEP_1)
	v_cmp_gt_u64_e32 vcc_lo, s[8:9], v[4:5]
	v_mov_b32_e32 v7, 0
	s_and_saveexec_b32 s4, vcc_lo
	s_cbranch_execz .LBB76_227
; %bb.226:                              ;   in Loop: Header=BB76_225 Depth=2
	ds_load_u8 v7, v6
.LBB76_227:                             ;   in Loop: Header=BB76_225 Depth=2
	s_or_b32 exec_lo, exec_lo, s4
	s_waitcnt lgkmcnt(0)
	v_and_b32_e32 v8, s85, v7
	s_delay_alu instid0(VALU_DEP_1) | instskip(NEXT) | instid1(VALU_DEP_1)
	v_and_b32_e32 v8, 0xff, v8
	v_cmp_eq_u32_e64 s4, s84, v8
	s_delay_alu instid0(VALU_DEP_1) | instskip(NEXT) | instid1(SALU_CYCLE_1)
	s_and_b32 s44, vcc_lo, s4
	s_and_saveexec_b32 s4, s44
	s_cbranch_execz .LBB76_224
; %bb.228:                              ;   in Loop: Header=BB76_225 Depth=2
	v_lshlrev_b16 v7, 8, v7
	s_delay_alu instid0(VALU_DEP_1)
	v_or_b32_e32 v7, 1, v7
	ds_store_b16 v13, v7 offset:3072
	s_branch .LBB76_224
.LBB76_229:                             ;   in Loop: Header=BB76_12 Depth=1
                                        ; implicit-def: $sgpr8
                                        ; implicit-def: $sgpr18
                                        ; implicit-def: $sgpr9
	s_branch .LBB76_247
.LBB76_230:                             ;   in Loop: Header=BB76_12 Depth=1
                                        ; implicit-def: $vgpr2_vgpr3
	s_branch .LBB76_176
.LBB76_231:                             ;   in Loop: Header=BB76_12 Depth=1
                                        ; implicit-def: $vgpr2_vgpr3
	s_branch .LBB76_192
.LBB76_232:                             ;   in Loop: Header=BB76_12 Depth=1
	s_mov_b32 s8, -1
	s_mov_b32 s23, 0
                                        ; implicit-def: $sgpr9
                                        ; implicit-def: $vgpr32
	s_mov_b32 s18, s8
	s_cbranch_execnz .LBB76_235
	s_branch .LBB76_247
.LBB76_233:                             ;   in Loop: Header=BB76_12 Depth=1
	s_set_inst_prefetch_distance 0x2
	s_or_b32 exec_lo, exec_lo, s18
	v_lshrrev_b16 v32, 8, v7
	s_and_b32 s23, s23, exec_lo
.LBB76_234:                             ;   in Loop: Header=BB76_12 Depth=1
	s_or_b32 exec_lo, exec_lo, s5
	s_mov_b32 s9, -1
	s_mov_b32 s8, 0
	s_delay_alu instid0(SALU_CYCLE_1)
	s_mov_b32 s18, s8
	s_branch .LBB76_247
.LBB76_235:                             ;   in Loop: Header=BB76_12 Depth=1
	s_mov_b32 s46, s45
	s_delay_alu instid0(SALU_CYCLE_1)
	s_cmp_lg_u64 s[46:47], 0
	s_cbranch_scc0 .LBB76_268
; %bb.236:                              ;   in Loop: Header=BB76_12 Depth=1
	v_cvt_f32_u32_e32 v2, s29
	s_sub_u32 s8, 0, s29
	s_subb_u32 s9, 0, 0
	s_delay_alu instid0(VALU_DEP_1) | instskip(NEXT) | instid1(VALU_DEP_1)
	v_fmac_f32_e64 v2, 0, 0x4f800000
	v_rcp_f32_e32 v2, v2
	s_waitcnt_depctr 0xfff
	v_mul_f32_e32 v2, 0x5f7ffffc, v2
	s_delay_alu instid0(VALU_DEP_1) | instskip(NEXT) | instid1(VALU_DEP_1)
	v_mul_f32_e32 v3, 0x2f800000, v2
	v_trunc_f32_e32 v3, v3
	s_delay_alu instid0(VALU_DEP_1) | instskip(SKIP_1) | instid1(VALU_DEP_2)
	v_fmac_f32_e32 v2, 0xcf800000, v3
	v_cvt_u32_f32_e32 v3, v3
	v_cvt_u32_f32_e32 v2, v2
	s_delay_alu instid0(VALU_DEP_2) | instskip(NEXT) | instid1(VALU_DEP_2)
	v_readfirstlane_b32 s4, v3
	v_readfirstlane_b32 s5, v2
	s_delay_alu instid0(VALU_DEP_2) | instskip(NEXT) | instid1(VALU_DEP_1)
	s_mul_i32 s18, s8, s4
	s_mul_hi_u32 s44, s8, s5
	s_mul_i32 s23, s9, s5
	s_add_i32 s18, s44, s18
	s_mul_i32 s46, s8, s5
	s_add_i32 s18, s18, s23
	s_mul_hi_u32 s44, s5, s46
	s_mul_hi_u32 s52, s4, s46
	s_mul_i32 s23, s4, s46
	s_mul_hi_u32 s46, s5, s18
	s_mul_i32 s5, s5, s18
	s_mul_hi_u32 s53, s4, s18
	s_add_u32 s5, s44, s5
	s_addc_u32 s44, 0, s46
	s_add_u32 s5, s5, s23
	s_mul_i32 s18, s4, s18
	s_addc_u32 s5, s44, s52
	s_addc_u32 s23, s53, 0
	s_add_u32 s5, s5, s18
	s_addc_u32 s18, 0, s23
	v_add_co_u32 v2, s5, v2, s5
	s_delay_alu instid0(VALU_DEP_1) | instskip(SKIP_1) | instid1(VALU_DEP_1)
	s_cmp_lg_u32 s5, 0
	s_addc_u32 s4, s4, s18
	v_readfirstlane_b32 s5, v2
	s_mul_i32 s18, s8, s4
	s_delay_alu instid0(VALU_DEP_1)
	s_mul_hi_u32 s23, s8, s5
	s_mul_i32 s9, s9, s5
	s_add_i32 s18, s23, s18
	s_mul_i32 s8, s8, s5
	s_add_i32 s18, s18, s9
	s_mul_hi_u32 s23, s4, s8
	s_mul_i32 s44, s4, s8
	s_mul_hi_u32 s8, s5, s8
	s_mul_hi_u32 s46, s5, s18
	s_mul_i32 s5, s5, s18
	s_mul_hi_u32 s9, s4, s18
	s_add_u32 s5, s8, s5
	s_addc_u32 s8, 0, s46
	s_add_u32 s5, s5, s44
	s_mul_i32 s18, s4, s18
	s_addc_u32 s5, s8, s23
	s_addc_u32 s8, s9, 0
	s_add_u32 s5, s5, s18
	s_addc_u32 s8, 0, s8
	v_add_co_u32 v2, s5, v2, s5
	s_delay_alu instid0(VALU_DEP_1) | instskip(SKIP_1) | instid1(VALU_DEP_1)
	s_cmp_lg_u32 s5, 0
	s_addc_u32 s4, s4, s8
	v_readfirstlane_b32 s5, v2
	s_mul_i32 s9, s70, s4
	s_mul_hi_u32 s8, s70, s4
	s_mul_hi_u32 s18, s47, s4
	s_mul_i32 s4, s47, s4
	s_mul_hi_u32 s23, s70, s5
	s_mul_hi_u32 s44, s47, s5
	s_mul_i32 s5, s47, s5
	s_add_u32 s9, s23, s9
	s_addc_u32 s8, 0, s8
	s_add_u32 s5, s9, s5
	s_addc_u32 s5, s8, s44
	s_addc_u32 s8, s18, 0
	s_add_u32 s4, s5, s4
	s_addc_u32 s5, 0, s8
	s_mul_hi_u32 s8, s29, s4
	s_mul_i32 s4, s29, s4
	s_mul_i32 s5, s29, s5
	v_sub_co_u32 v2, s4, s70, s4
	s_add_i32 s8, s8, s5
	s_cmp_lg_u32 s4, 0
	s_delay_alu instid0(VALU_DEP_1) | instskip(SKIP_2) | instid1(VALU_DEP_1)
	v_sub_co_u32 v3, s4, v2, s29
	s_subb_u32 s5, s47, s8
	s_cmp_lg_u32 s4, 0
	v_cmp_le_u32_e32 vcc_lo, s29, v3
	v_sub_co_u32 v4, s4, v3, s29
	s_subb_u32 s8, s5, 0
	s_cmp_lg_u32 s4, 0
	v_cndmask_b32_e64 v5, 0, -1, vcc_lo
	s_subb_u32 s4, s8, 0
	s_cmp_eq_u32 s8, 0
	v_mov_b32_e32 v7, s4
	s_cselect_b32 vcc_lo, -1, 0
	s_cmp_eq_u32 s5, 0
	v_cndmask_b32_e32 v5, -1, v5, vcc_lo
	v_cmp_le_u32_e32 vcc_lo, s29, v2
	s_cselect_b32 s4, -1, 0
	v_cndmask_b32_e64 v6, 0, -1, vcc_lo
	s_delay_alu instid0(VALU_DEP_3) | instskip(NEXT) | instid1(VALU_DEP_2)
	v_cmp_ne_u32_e32 vcc_lo, 0, v5
	v_cndmask_b32_e64 v5, -1, v6, s4
	v_cndmask_b32_e32 v6, s8, v7, vcc_lo
	v_cndmask_b32_e32 v4, v3, v4, vcc_lo
	s_delay_alu instid0(VALU_DEP_3) | instskip(NEXT) | instid1(VALU_DEP_3)
	v_cmp_ne_u32_e32 vcc_lo, 0, v5
	v_cndmask_b32_e32 v3, s5, v6, vcc_lo
	s_delay_alu instid0(VALU_DEP_3)
	v_cndmask_b32_e32 v2, v2, v4, vcc_lo
	s_cbranch_execnz .LBB76_238
.LBB76_237:                             ;   in Loop: Header=BB76_12 Depth=1
	v_cvt_f32_u32_e32 v2, s29
	s_sub_i32 s4, 0, s29
	s_delay_alu instid0(VALU_DEP_1) | instskip(SKIP_2) | instid1(VALU_DEP_1)
	v_rcp_iflag_f32_e32 v2, v2
	s_waitcnt_depctr 0xfff
	v_mul_f32_e32 v2, 0x4f7ffffe, v2
	v_cvt_u32_f32_e32 v2, v2
	s_delay_alu instid0(VALU_DEP_1) | instskip(NEXT) | instid1(VALU_DEP_1)
	v_mul_lo_u32 v3, s4, v2
	v_mul_hi_u32 v3, v2, v3
	s_delay_alu instid0(VALU_DEP_1) | instskip(NEXT) | instid1(VALU_DEP_1)
	v_add_nc_u32_e32 v2, v2, v3
	v_mul_hi_u32 v2, s70, v2
	s_delay_alu instid0(VALU_DEP_1) | instskip(NEXT) | instid1(VALU_DEP_1)
	v_mul_lo_u32 v2, v2, s29
	v_sub_nc_u32_e32 v2, s70, v2
	s_delay_alu instid0(VALU_DEP_1) | instskip(SKIP_1) | instid1(VALU_DEP_2)
	v_subrev_nc_u32_e32 v3, s29, v2
	v_cmp_le_u32_e32 vcc_lo, s29, v2
	v_cndmask_b32_e32 v2, v2, v3, vcc_lo
	s_delay_alu instid0(VALU_DEP_1) | instskip(SKIP_1) | instid1(VALU_DEP_2)
	v_subrev_nc_u32_e32 v3, s29, v2
	v_cmp_le_u32_e32 vcc_lo, s29, v2
	v_cndmask_b32_e32 v12, v2, v3, vcc_lo
	s_delay_alu instid0(VALU_DEP_1)
	v_dual_mov_b32 v2, v12 :: v_dual_mov_b32 v3, v13
.LBB76_238:                             ;   in Loop: Header=BB76_12 Depth=1
	s_delay_alu instid0(VALU_DEP_1) | instskip(NEXT) | instid1(VALU_DEP_2)
	v_sub_co_u32 v2, vcc_lo, s70, v2
	v_sub_co_ci_u32_e32 v3, vcc_lo, s47, v3, vcc_lo
	s_mov_b32 s23, 0
	s_mov_b32 s5, exec_lo
                                        ; implicit-def: $vgpr32
	s_delay_alu instid0(VALU_DEP_1)
	v_cmpx_gt_u64_e64 v[2:3], v[0:1]
	s_cbranch_execz .LBB76_246
; %bb.239:                              ;   in Loop: Header=BB76_12 Depth=1
	v_dual_mov_b32 v4, v10 :: v_dual_mov_b32 v5, v11
	v_dual_mov_b32 v7, v1 :: v_dual_mov_b32 v6, v0
	s_mov_b32 s8, 0
                                        ; implicit-def: $sgpr9
	s_set_inst_prefetch_distance 0x1
	s_branch .LBB76_241
	.p2align	6
.LBB76_240:                             ;   in Loop: Header=BB76_241 Depth=2
	s_or_b32 exec_lo, exec_lo, s4
	s_waitcnt lgkmcnt(0)
	s_barrier
	buffer_gl0_inv
	ds_load_u16 v8, v13 offset:3072
	v_add_co_u32 v6, vcc_lo, v6, s29
	v_add_co_ci_u32_e32 v7, vcc_lo, 0, v7, vcc_lo
	s_waitcnt lgkmcnt(0)
	s_barrier
	buffer_gl0_inv
	v_cmp_ge_u64_e32 vcc_lo, v[6:7], v[2:3]
	v_and_b32_e32 v9, 0xff, v8
	s_delay_alu instid0(VALU_DEP_1) | instskip(NEXT) | instid1(VALU_DEP_1)
	v_cmp_ne_u16_e64 s4, 0, v9
	s_or_b32 s18, vcc_lo, s4
	v_add_co_u32 v4, vcc_lo, v4, s64
	s_and_b32 s18, exec_lo, s18
	v_add_co_ci_u32_e32 v5, vcc_lo, s33, v5, vcc_lo
	s_or_b32 s8, s18, s8
	s_and_not1_b32 s9, s9, exec_lo
	s_and_b32 s4, s4, exec_lo
	s_delay_alu instid0(SALU_CYCLE_1)
	s_or_b32 s9, s9, s4
	s_and_not1_b32 exec_lo, exec_lo, s8
	s_cbranch_execz .LBB76_245
.LBB76_241:                             ;   Parent Loop BB76_12 Depth=1
                                        ; =>  This Inner Loop Header: Depth=2
	s_delay_alu instid0(VALU_DEP_1)
	v_cmp_gt_u64_e32 vcc_lo, s[24:25], v[6:7]
	v_mov_b32_e32 v8, 0
	s_and_saveexec_b32 s4, vcc_lo
	s_cbranch_execz .LBB76_243
; %bb.242:                              ;   in Loop: Header=BB76_241 Depth=2
	global_load_u8 v8, v[4:5], off
.LBB76_243:                             ;   in Loop: Header=BB76_241 Depth=2
	s_or_b32 exec_lo, exec_lo, s4
	s_waitcnt vmcnt(0)
	v_and_b32_e32 v9, s85, v8
	s_delay_alu instid0(VALU_DEP_1) | instskip(NEXT) | instid1(VALU_DEP_1)
	v_and_b32_e32 v9, 0xff, v9
	v_cmp_eq_u32_e64 s4, s84, v9
	s_delay_alu instid0(VALU_DEP_1) | instskip(NEXT) | instid1(SALU_CYCLE_1)
	s_and_b32 s18, vcc_lo, s4
	s_and_saveexec_b32 s4, s18
	s_cbranch_execz .LBB76_240
; %bb.244:                              ;   in Loop: Header=BB76_241 Depth=2
	v_lshlrev_b16 v8, 8, v8
	s_delay_alu instid0(VALU_DEP_1)
	v_or_b32_e32 v8, 1, v8
	ds_store_b16 v13, v8 offset:3072
	s_branch .LBB76_240
.LBB76_245:                             ;   in Loop: Header=BB76_12 Depth=1
	s_set_inst_prefetch_distance 0x2
	s_or_b32 exec_lo, exec_lo, s8
	v_lshrrev_b16 v32, 8, v8
	s_and_b32 s23, s9, exec_lo
.LBB76_246:                             ;   in Loop: Header=BB76_12 Depth=1
	s_or_b32 exec_lo, exec_lo, s5
	s_mov_b32 s18, -1
	s_mov_b32 s8, 0
	s_mov_b32 s9, 0
.LBB76_247:                             ;   in Loop: Header=BB76_12 Depth=1
	s_mov_b32 s52, 0
                                        ; implicit-def: $sgpr44
                                        ; implicit-def: $sgpr4_sgpr5
	s_and_saveexec_b32 s46, s23
	s_cbranch_execz .LBB76_260
; %bb.248:                              ;   in Loop: Header=BB76_12 Depth=1
	s_xor_b32 s17, s17, -1
	s_mov_b64 s[4:5], 1
	s_and_not1_b32 vcc_lo, exec_lo, s17
	s_mov_b32 s44, 1
	s_cbranch_vccnz .LBB76_259
; %bb.249:                              ;   in Loop: Header=BB76_12 Depth=1
	v_cmp_gt_u64_e64 s4, s[40:41], s[6:7]
	s_delay_alu instid0(VALU_DEP_1)
	s_and_b32 vcc_lo, exec_lo, s4
	s_cbranch_vccnz .LBB76_255
; %bb.250:                              ;   in Loop: Header=BB76_12 Depth=1
	ds_load_b64 v[2:3], v13 offset:5120
	s_waitcnt lgkmcnt(0)
	v_cmp_ne_u64_e32 vcc_lo, 0, v[2:3]
	s_cbranch_vccnz .LBB76_254
; %bb.251:                              ;   in Loop: Header=BB76_12 Depth=1
	s_and_saveexec_b32 s4, s2
	s_cbranch_execz .LBB76_253
; %bb.252:                              ;   in Loop: Header=BB76_12 Depth=1
	v_dual_mov_b32 v2, s6 :: v_dual_mov_b32 v3, s7
	ds_store_b64 v13, v[2:3] offset:5128
.LBB76_253:                             ;   in Loop: Header=BB76_12 Depth=1
	s_or_b32 exec_lo, exec_lo, s4
	s_waitcnt lgkmcnt(0)
	s_barrier
	buffer_gl0_inv
.LBB76_254:                             ;   in Loop: Header=BB76_12 Depth=1
	s_or_b32 s17, s84, s16
	s_or_b32 s16, s85, s16
	s_mov_b32 s4, 0
	s_mov_b32 s44, 8
	s_branch .LBB76_256
.LBB76_255:                             ;   in Loop: Header=BB76_12 Depth=1
	s_mov_b32 s4, -1
                                        ; implicit-def: $sgpr44
                                        ; implicit-def: $sgpr17
                                        ; implicit-def: $sgpr16
.LBB76_256:                             ;   in Loop: Header=BB76_12 Depth=1
	s_delay_alu instid0(SALU_CYCLE_1)
	s_and_not1_b32 vcc_lo, exec_lo, s4
	s_cbranch_vccnz .LBB76_258
; %bb.257:                              ;   in Loop: Header=BB76_12 Depth=1
	s_sub_u32 s40, s40, s6
	s_subb_u32 s41, s41, s7
	s_mov_b32 s44, 8
	s_mov_b32 s17, s84
	;; [unrolled: 1-line block ×3, first 2 shown]
.LBB76_258:                             ;   in Loop: Header=BB76_12 Depth=1
	s_mov_b64 s[4:5], s[40:41]
	s_mov_b32 s84, s17
	s_mov_b32 s85, s16
.LBB76_259:                             ;   in Loop: Header=BB76_12 Depth=1
	s_mov_b32 s52, exec_lo
.LBB76_260:                             ;   in Loop: Header=BB76_12 Depth=1
	s_or_b32 exec_lo, exec_lo, s46
	s_mov_b64 s[40:41], s[4:5]
.LBB76_261:                             ;   in Loop: Header=BB76_12 Depth=1
	s_and_not1_b32 s4, s10, exec_lo
	s_and_b32 s5, s8, exec_lo
	s_and_not1_b32 s6, s11, exec_lo
	s_or_b32 s10, s4, s5
	s_and_not1_b32 s4, s21, exec_lo
	s_and_b32 s5, s18, exec_lo
	s_and_b32 s7, s9, exec_lo
	s_or_b32 s21, s4, s5
	s_or_b32 s11, s6, s7
	s_and_b32 s5, s52, exec_lo
.LBB76_262:                             ;   in Loop: Header=BB76_12 Depth=1
	s_or_b32 exec_lo, exec_lo, s22
.LBB76_263:                             ;   in Loop: Header=BB76_12 Depth=1
	s_delay_alu instid0(SALU_CYCLE_1)
	s_and_not1_b32 s4, s13, exec_lo
	s_and_b32 s6, s10, exec_lo
	s_and_not1_b32 s7, s12, exec_lo
	s_or_b32 s13, s4, s6
	s_and_not1_b32 s4, s19, exec_lo
	s_and_b32 s6, s21, exec_lo
	s_and_b32 s8, s11, exec_lo
	s_or_b32 s19, s4, s6
	s_or_b32 s12, s7, s8
	s_and_b32 s5, s5, exec_lo
.LBB76_264:                             ;   in Loop: Header=BB76_12 Depth=1
	s_or_b32 exec_lo, exec_lo, s20
	s_and_saveexec_b32 s4, s5
	s_delay_alu instid0(SALU_CYCLE_1)
	s_xor_b32 s4, exec_lo, s4
	s_cbranch_execz .LBB76_10
.LBB76_265:                             ;   in Loop: Header=BB76_12 Depth=1
	s_and_b32 s5, s44, -9
	s_delay_alu instid0(SALU_CYCLE_1)
	s_cmp_eq_u32 s5, 0
	s_cbranch_scc1 .LBB76_8
; %bb.266:                              ;   in Loop: Header=BB76_12 Depth=1
	s_mov_b32 s5, -1
	s_mov_b32 s6, -1
                                        ; implicit-def: $sgpr85
                                        ; implicit-def: $sgpr40_sgpr41
                                        ; implicit-def: $sgpr75
                                        ; implicit-def: $sgpr82
	s_branch .LBB76_9
.LBB76_267:                             ;   in Loop: Header=BB76_12 Depth=1
                                        ; implicit-def: $vgpr2_vgpr3
	s_branch .LBB76_221
.LBB76_268:                             ;   in Loop: Header=BB76_12 Depth=1
                                        ; implicit-def: $vgpr2_vgpr3
	s_branch .LBB76_237
.LBB76_269:
	s_or_b32 exec_lo, exec_lo, s76
	s_xor_b32 s4, s79, -1
	s_xor_b32 s1, s77, -1
	;; [unrolled: 1-line block ×3, first 2 shown]
	s_mov_b32 s2, 0
	s_and_saveexec_b32 s5, s1
	s_delay_alu instid0(SALU_CYCLE_1)
	s_xor_b32 s1, exec_lo, s5
	s_cbranch_execz .LBB76_283
; %bb.270:
	s_and_saveexec_b32 s2, s4
	s_delay_alu instid0(SALU_CYCLE_1)
	s_xor_b32 s2, exec_lo, s2
	s_cbranch_execz .LBB76_281
; %bb.271:
	s_and_saveexec_b32 s4, s3
	s_delay_alu instid0(SALU_CYCLE_1)
	s_xor_b32 s3, exec_lo, s4
; %bb.272:
	v_mov_b32_e32 v32, v2
; %bb.273:
	s_or_b32 exec_lo, exec_lo, s3
	s_mul_i32 s3, s39, s28
	s_mul_hi_u32 s4, s38, s28
	s_mul_i32 s5, s38, s28
	v_mov_b32_e32 v2, 0
	s_add_i32 s3, s4, s3
	s_add_u32 s4, s36, s5
	s_addc_u32 s5, s37, s3
	global_store_b8 v2, v32, s[4:5]
	s_and_saveexec_b32 s3, s0
	s_cbranch_execz .LBB76_280
; %bb.274:
	v_and_b32_e32 v4, 0xff, v32
	s_mov_b32 s4, 0
                                        ; implicit-def: $sgpr5
                                        ; implicit-def: $sgpr7
                                        ; implicit-def: $sgpr6
	s_set_inst_prefetch_distance 0x1
	s_branch .LBB76_276
	.p2align	6
.LBB76_275:                             ;   in Loop: Header=BB76_276 Depth=1
	s_or_b32 exec_lo, exec_lo, s8
	s_delay_alu instid0(SALU_CYCLE_1) | instskip(NEXT) | instid1(SALU_CYCLE_1)
	s_and_b32 s0, exec_lo, s7
	s_or_b32 s4, s0, s4
	s_and_not1_b32 s0, s5, exec_lo
	s_and_b32 s5, s6, exec_lo
	s_delay_alu instid0(SALU_CYCLE_1)
	s_or_b32 s5, s0, s5
	s_and_not1_b32 exec_lo, exec_lo, s4
	s_cbranch_execz .LBB76_278
.LBB76_276:                             ; =>This Inner Loop Header: Depth=1
	global_load_u8 v5, v[10:11], off
	v_dual_mov_b32 v3, v1 :: v_dual_mov_b32 v2, v0
	s_or_b32 s6, s6, exec_lo
	s_or_b32 s7, s7, exec_lo
	s_mov_b32 s8, exec_lo
                                        ; implicit-def: $vgpr0_vgpr1
	s_waitcnt vmcnt(0)
	v_cmpx_ne_u16_e64 v5, v4
	s_cbranch_execz .LBB76_275
; %bb.277:                              ;   in Loop: Header=BB76_276 Depth=1
	v_add_co_u32 v0, vcc_lo, v2, s29
	v_add_co_ci_u32_e32 v1, vcc_lo, 0, v3, vcc_lo
	v_add_co_u32 v10, s0, v10, s64
	s_delay_alu instid0(VALU_DEP_1) | instskip(NEXT) | instid1(VALU_DEP_3)
	v_add_co_ci_u32_e64 v11, s0, s33, v11, s0
	v_cmp_le_u64_e32 vcc_lo, s[24:25], v[0:1]
	s_and_not1_b32 s0, s7, exec_lo
	s_and_not1_b32 s6, s6, exec_lo
	s_and_b32 s7, vcc_lo, exec_lo
	s_delay_alu instid0(SALU_CYCLE_1)
	s_or_b32 s7, s0, s7
	s_branch .LBB76_275
.LBB76_278:
	s_set_inst_prefetch_distance 0x2
	s_or_b32 exec_lo, exec_lo, s4
	s_and_saveexec_b32 s0, s5
	s_delay_alu instid0(SALU_CYCLE_1)
	s_xor_b32 s0, exec_lo, s0
	s_cbranch_execz .LBB76_280
; %bb.279:
	s_mul_i32 s0, s31, s28
	s_mul_hi_u32 s5, s30, s28
	s_mul_i32 s4, s30, s28
	s_add_i32 s5, s5, s0
	v_mov_b32_e32 v0, 0
	s_lshl_b64 s[4:5], s[4:5], 3
	s_delay_alu instid0(SALU_CYCLE_1)
	s_add_u32 s4, s26, s4
	s_addc_u32 s5, s27, s5
	global_store_b64 v0, v[2:3], s[4:5]
.LBB76_280:
	s_or_b32 exec_lo, exec_lo, s3
.LBB76_281:
	s_or_saveexec_b32 s0, s2
	s_mov_b32 s2, 0
	s_xor_b32 exec_lo, exec_lo, s0
	s_cbranch_execnz .LBB76_289
.LBB76_282:
	s_or_b32 exec_lo, exec_lo, s0
	s_delay_alu instid0(SALU_CYCLE_1)
	s_and_b32 s2, s2, exec_lo
.LBB76_283:
	s_and_not1_saveexec_b32 s0, s1
	s_cbranch_execnz .LBB76_287
; %bb.284:
	s_or_b32 exec_lo, exec_lo, s0
	s_and_saveexec_b32 s0, s2
.LBB76_285:
	; divergent unreachable
.LBB76_286:
	s_nop 0
	s_sendmsg sendmsg(MSG_DEALLOC_VGPRS)
	s_endpgm
.LBB76_287:
	s_cbranch_execnz .LBB76_291
; %bb.288:
	s_or_b32 s2, s2, exec_lo
	s_or_b32 exec_lo, exec_lo, s0
	s_and_saveexec_b32 s0, s2
	s_cbranch_execnz .LBB76_285
	s_branch .LBB76_286
.LBB76_289:
	s_cbranch_execnz .LBB76_293
; %bb.290:
	s_mov_b32 s2, exec_lo
	s_branch .LBB76_282
.LBB76_291:
	s_trap 2
	s_sendmsg_rtn_b32 s0, sendmsg(MSG_RTN_GET_DOORBELL)
	s_mov_b32 ttmp2, m0
	s_waitcnt lgkmcnt(0)
	s_and_b32 s0, s0, 0x3ff
	s_delay_alu instid0(SALU_CYCLE_1) | instskip(NEXT) | instid1(SALU_CYCLE_1)
	s_bitset1_b32 s0, 10
	s_mov_b32 m0, s0
	s_sendmsg sendmsg(MSG_INTERRUPT)
	s_mov_b32 m0, ttmp2
.LBB76_292:                             ; =>This Inner Loop Header: Depth=1
	s_sethalt 5
	s_branch .LBB76_292
.LBB76_293:
	s_trap 2
	s_sendmsg_rtn_b32 s0, sendmsg(MSG_RTN_GET_DOORBELL)
	s_mov_b32 ttmp2, m0
	s_waitcnt lgkmcnt(0)
	s_and_b32 s0, s0, 0x3ff
	s_delay_alu instid0(SALU_CYCLE_1) | instskip(NEXT) | instid1(SALU_CYCLE_1)
	s_bitset1_b32 s0, 10
	s_mov_b32 m0, s0
	s_sendmsg sendmsg(MSG_INTERRUPT)
	s_mov_b32 m0, ttmp2
.LBB76_294:                             ; =>This Inner Loop Header: Depth=1
	s_sethalt 5
	s_branch .LBB76_294
	.section	.rodata,"a",@progbits
	.p2align	6, 0x0
	.amdhsa_kernel _ZN2at6native12_GLOBAL__N_112gatherMedianIhmLi1EEEvNS_4cuda6detail10TensorInfoIT_T0_EENS5_IlS7_EENS5_IKS6_S7_EES7_S7_S7_b
		.amdhsa_group_segment_fixed_size 5152
		.amdhsa_private_segment_fixed_size 0
		.amdhsa_kernarg_size 1536
		.amdhsa_user_sgpr_count 13
		.amdhsa_user_sgpr_dispatch_ptr 0
		.amdhsa_user_sgpr_queue_ptr 0
		.amdhsa_user_sgpr_kernarg_segment_ptr 1
		.amdhsa_user_sgpr_dispatch_id 0
		.amdhsa_user_sgpr_private_segment_size 0
		.amdhsa_wavefront_size32 1
		.amdhsa_uses_dynamic_stack 0
		.amdhsa_enable_private_segment 0
		.amdhsa_system_sgpr_workgroup_id_x 1
		.amdhsa_system_sgpr_workgroup_id_y 1
		.amdhsa_system_sgpr_workgroup_id_z 1
		.amdhsa_system_sgpr_workgroup_info 0
		.amdhsa_system_vgpr_workitem_id 0
		.amdhsa_next_free_vgpr 37
		.amdhsa_next_free_sgpr 90
		.amdhsa_reserve_vcc 1
		.amdhsa_float_round_mode_32 0
		.amdhsa_float_round_mode_16_64 0
		.amdhsa_float_denorm_mode_32 3
		.amdhsa_float_denorm_mode_16_64 3
		.amdhsa_dx10_clamp 1
		.amdhsa_ieee_mode 1
		.amdhsa_fp16_overflow 0
		.amdhsa_workgroup_processor_mode 1
		.amdhsa_memory_ordered 1
		.amdhsa_forward_progress 0
		.amdhsa_shared_vgpr_count 0
		.amdhsa_exception_fp_ieee_invalid_op 0
		.amdhsa_exception_fp_denorm_src 0
		.amdhsa_exception_fp_ieee_div_zero 0
		.amdhsa_exception_fp_ieee_overflow 0
		.amdhsa_exception_fp_ieee_underflow 0
		.amdhsa_exception_fp_ieee_inexact 0
		.amdhsa_exception_int_div_zero 0
	.end_amdhsa_kernel
	.section	.text._ZN2at6native12_GLOBAL__N_112gatherMedianIhmLi1EEEvNS_4cuda6detail10TensorInfoIT_T0_EENS5_IlS7_EENS5_IKS6_S7_EES7_S7_S7_b,"axG",@progbits,_ZN2at6native12_GLOBAL__N_112gatherMedianIhmLi1EEEvNS_4cuda6detail10TensorInfoIT_T0_EENS5_IlS7_EENS5_IKS6_S7_EES7_S7_S7_b,comdat
.Lfunc_end76:
	.size	_ZN2at6native12_GLOBAL__N_112gatherMedianIhmLi1EEEvNS_4cuda6detail10TensorInfoIT_T0_EENS5_IlS7_EENS5_IKS6_S7_EES7_S7_S7_b, .Lfunc_end76-_ZN2at6native12_GLOBAL__N_112gatherMedianIhmLi1EEEvNS_4cuda6detail10TensorInfoIT_T0_EENS5_IlS7_EENS5_IKS6_S7_EES7_S7_S7_b
                                        ; -- End function
	.section	.AMDGPU.csdata,"",@progbits
; Kernel info:
; codeLenInByte = 16368
; NumSgprs: 92
; NumVgprs: 37
; ScratchSize: 0
; MemoryBound: 0
; FloatMode: 240
; IeeeMode: 1
; LDSByteSize: 5152 bytes/workgroup (compile time only)
; SGPRBlocks: 11
; VGPRBlocks: 4
; NumSGPRsForWavesPerEU: 92
; NumVGPRsForWavesPerEU: 37
; Occupancy: 16
; WaveLimiterHint : 1
; COMPUTE_PGM_RSRC2:SCRATCH_EN: 0
; COMPUTE_PGM_RSRC2:USER_SGPR: 13
; COMPUTE_PGM_RSRC2:TRAP_HANDLER: 0
; COMPUTE_PGM_RSRC2:TGID_X_EN: 1
; COMPUTE_PGM_RSRC2:TGID_Y_EN: 1
; COMPUTE_PGM_RSRC2:TGID_Z_EN: 1
; COMPUTE_PGM_RSRC2:TIDIG_COMP_CNT: 0
	.section	.text._ZN2at6native12_GLOBAL__N_112gatherMedianIhmLi2EEEvNS_4cuda6detail10TensorInfoIT_T0_EENS5_IlS7_EENS5_IKS6_S7_EES7_S7_S7_b,"axG",@progbits,_ZN2at6native12_GLOBAL__N_112gatherMedianIhmLi2EEEvNS_4cuda6detail10TensorInfoIT_T0_EENS5_IlS7_EENS5_IKS6_S7_EES7_S7_S7_b,comdat
	.globl	_ZN2at6native12_GLOBAL__N_112gatherMedianIhmLi2EEEvNS_4cuda6detail10TensorInfoIT_T0_EENS5_IlS7_EENS5_IKS6_S7_EES7_S7_S7_b ; -- Begin function _ZN2at6native12_GLOBAL__N_112gatherMedianIhmLi2EEEvNS_4cuda6detail10TensorInfoIT_T0_EENS5_IlS7_EENS5_IKS6_S7_EES7_S7_S7_b
	.p2align	8
	.type	_ZN2at6native12_GLOBAL__N_112gatherMedianIhmLi2EEEvNS_4cuda6detail10TensorInfoIT_T0_EENS5_IlS7_EENS5_IKS6_S7_EES7_S7_S7_b,@function
_ZN2at6native12_GLOBAL__N_112gatherMedianIhmLi2EEEvNS_4cuda6detail10TensorInfoIT_T0_EENS5_IlS7_EENS5_IKS6_S7_EES7_S7_S7_b: ; @_ZN2at6native12_GLOBAL__N_112gatherMedianIhmLi2EEEvNS_4cuda6detail10TensorInfoIT_T0_EENS5_IlS7_EENS5_IKS6_S7_EES7_S7_S7_b
; %bb.0:
	s_clause 0x1
	s_load_b64 s[8:9], s[0:1], 0x500
	s_load_b128 s[24:27], s[0:1], 0x4e0
	s_add_u32 s10, s0, 0x500
	s_addc_u32 s11, s1, 0
	s_mov_b32 s35, 0
	s_waitcnt lgkmcnt(0)
	s_mul_i32 s2, s9, s15
	s_delay_alu instid0(SALU_CYCLE_1) | instskip(NEXT) | instid1(SALU_CYCLE_1)
	s_add_i32 s2, s2, s14
	s_mul_i32 s2, s2, s8
	s_delay_alu instid0(SALU_CYCLE_1) | instskip(NEXT) | instid1(SALU_CYCLE_1)
	s_add_i32 s34, s2, s13
	v_cmp_ge_u64_e64 s2, s[34:35], s[26:27]
	s_delay_alu instid0(VALU_DEP_1)
	s_and_b32 vcc_lo, exec_lo, s2
	s_cbranch_vccnz .LBB77_292
; %bb.1:
	s_clause 0x2
	s_load_b64 s[44:45], s[0:1], 0x10
	s_load_b64 s[14:15], s[0:1], 0x350
	;; [unrolled: 1-line block ×3, first 2 shown]
	s_mov_b64 s[40:41], 0
	s_mov_b64 s[46:47], 0
	s_waitcnt lgkmcnt(0)
	v_cmp_lt_u64_e64 s2, s[34:35], s[44:45]
	s_delay_alu instid0(VALU_DEP_1)
	s_and_b32 vcc_lo, exec_lo, s2
	s_cbranch_vccz .LBB77_281
; %bb.2:
	s_load_b64 s[42:43], s[0:1], 0x4f0
	v_cmp_lt_u64_e64 s2, s[34:35], s[26:27]
	s_delay_alu instid0(VALU_DEP_1)
	s_and_b32 vcc_lo, exec_lo, s2
	s_cbranch_vccz .LBB77_282
.LBB77_3:
	v_cmp_lt_u64_e64 s2, s[34:35], s[14:15]
	s_mov_b64 s[16:17], 0
	s_delay_alu instid0(VALU_DEP_1)
	s_and_b32 vcc_lo, exec_lo, s2
	s_cbranch_vccz .LBB77_283
.LBB77_4:
	v_cmp_eq_u32_e64 s2, 0, v0
	s_delay_alu instid0(VALU_DEP_1)
	s_and_saveexec_b32 s3, s2
	s_cbranch_execz .LBB77_6
.LBB77_5:
	v_mov_b32_e32 v1, 0
	s_waitcnt_depctr 0xfff
	v_mov_b32_e32 v2, v1
	ds_store_b64 v1, v[1:2] offset:5136
.LBB77_6:
	s_or_b32 exec_lo, exec_lo, s3
	v_mov_b32_e32 v1, 0
	s_waitcnt lgkmcnt(0)
	s_barrier
	buffer_gl0_inv
	s_barrier
	buffer_gl0_inv
	ds_load_b64 v[1:2], v1 offset:5136
	s_clause 0x1
	s_load_b32 s3, s[0:1], 0x4f8
	s_load_b64 s[18:19], s[0:1], 0x340
	s_mov_b64 s[54:55], s[24:25]
	s_waitcnt lgkmcnt(0)
	v_readfirstlane_b32 s4, v1
	v_readfirstlane_b32 s5, v2
	s_bitcmp1_b32 s3, 0
	s_cselect_b32 s3, -1, 0
	s_delay_alu instid0(VALU_DEP_1) | instskip(NEXT) | instid1(VALU_DEP_1)
	v_cmp_lt_i64_e64 s6, s[4:5], 1
	s_or_b32 s3, s3, s6
	s_delay_alu instid0(SALU_CYCLE_1)
	s_and_not1_b32 vcc_lo, exec_lo, s3
	s_cbranch_vccnz .LBB77_8
; %bb.7:
	s_not_b64 s[4:5], s[4:5]
	s_delay_alu instid0(SALU_CYCLE_1) | instskip(SKIP_1) | instid1(SALU_CYCLE_1)
	s_add_u32 s4, s4, s24
	s_addc_u32 s5, s5, s25
	s_lshr_b64 s[4:5], s[4:5], 1
	s_delay_alu instid0(SALU_CYCLE_1)
	s_add_u32 s54, s4, 1
	s_addc_u32 s55, s5, 0
.LBB77_8:
	s_clause 0x2
	s_load_b64 s[48:49], s[0:1], 0x1a0
	s_load_b64 s[52:53], s[0:1], 0x0
	s_load_b128 s[4:7], s[0:1], 0x410
	s_and_saveexec_b32 s3, s2
	s_cbranch_execz .LBB77_10
; %bb.9:
	v_dual_mov_b32 v1, 0 :: v_dual_mov_b32 v4, s25
	s_delay_alu instid0(VALU_DEP_1)
	v_dual_mov_b32 v3, s24 :: v_dual_mov_b32 v2, v1
	ds_store_b32 v1, v1 offset:5144
	ds_store_b128 v1, v[1:4] offset:5120
.LBB77_10:
	s_or_b32 exec_lo, exec_lo, s3
	s_mul_i32 s3, s16, s15
	s_mul_hi_u32 s9, s16, s14
	s_mul_i32 s12, s16, s14
	s_add_i32 s9, s9, s3
	s_sub_u32 s3, s34, s12
	s_subb_u32 s9, 0, s9
	s_waitcnt lgkmcnt(0)
	s_mul_i32 s7, s3, s7
	s_mul_hi_u32 s12, s3, s6
	s_mul_i32 s9, s9, s6
	s_add_i32 s7, s12, s7
	s_mul_i32 s3, s3, s6
	s_mul_i32 s5, s16, s5
	s_mul_hi_u32 s6, s16, s4
	s_mul_i32 s4, s16, s4
	s_add_i32 s7, s7, s9
	s_add_i32 s6, s6, s5
	s_add_u32 s4, s18, s4
	s_addc_u32 s5, s19, s6
	s_add_u32 s50, s4, s3
	s_barrier
	buffer_gl0_inv
	s_load_b32 s4, s[10:11], 0xc
	s_addc_u32 s51, s5, s7
	v_mbcnt_lo_u32_b32 v20, -1, 0
	v_mad_u64_u32 v[10:11], null, v0, s42, s[50:51]
	v_mov_b32_e32 v13, 0
	v_cmp_gt_u32_e32 vcc_lo, 32, v0
	s_delay_alu instid0(VALU_DEP_4)
	v_cmp_gt_i32_e64 s3, 4, v20
	s_clause 0x1
	s_load_b128 s[28:31], s[0:1], 0x270
	s_load_b128 s[36:39], s[0:1], 0xd0
	v_cmp_lt_u64_e64 s41, 0xc00, s[24:25]
	v_lshlrev_b32_e32 v14, 2, v0
	v_mov_b32_e32 v2, v11
	s_and_b32 s35, vcc_lo, s3
	v_mov_b32_e32 v1, v13
	v_cmp_eq_u32_e64 s1, 0, v20
	v_cmp_gt_u32_e64 s3, 2, v0
	v_mad_u64_u32 v[3:4], null, v0, s43, v[2:3]
	v_lshrrev_b32_e32 v4, 3, v0
	v_cmp_gt_u64_e64 s0, s[24:25], v[0:1]
	s_waitcnt lgkmcnt(0)
	s_and_b32 s33, s4, 0xffff
	s_bfe_u32 s5, s4, 0xb0005
	s_add_u32 s47, s33, -1
	s_addc_u32 s72, 0, -1
	s_add_u32 s73, s47, s24
	s_addc_u32 s59, s72, s25
	s_cmp_lt_u32 s13, s8
	v_dual_mov_b32 v11, v3 :: v_dual_mov_b32 v24, 0
	s_cselect_b32 s6, 12, 18
	v_lshlrev_b64 v[2:3], v20, -1
	s_add_u32 s60, s10, s6
	s_addc_u32 s61, s11, 0
	s_add_i32 s6, s5, -1
	s_bfe_u32 s74, s33, 0x30005
	s_cmp_gt_u32 s6, 6
	v_mov_b32_e32 v15, v13
	v_and_b32_e32 v21, 0x7c, v4
	v_not_b32_e32 v22, v2
	v_cmp_gt_u16_e64 s75, s4, 31
	s_cselect_b32 s76, -1, 0
	s_and_b32 s77, s5, 0x7f8
	v_lshl_or_b32 v23, v20, 3, 0xc00
	s_cmp_lg_u32 s74, 0
	s_mov_b32 s57, 0
	s_mov_b32 s82, 6
	s_cselect_b32 s78, -1, 0
	s_mov_b32 s79, 0
	s_mov_b32 s86, 0
	;; [unrolled: 1-line block ×4, first 2 shown]
                                        ; implicit-def: $sgpr80
                                        ; implicit-def: $sgpr83
                                        ; implicit-def: $sgpr81
                                        ; implicit-def: $sgpr85
                                        ; implicit-def: $sgpr87
                                        ; implicit-def: $sgpr84
	s_branch .LBB77_15
.LBB77_11:                              ;   in Loop: Header=BB77_15 Depth=1
	s_xor_b32 s86, s86, 1
	s_add_i32 s7, s82, -2
	s_cmp_eq_u32 s82, 0
	s_mov_b32 s5, 0
	s_cselect_b32 s6, -1, 0
	s_mov_b32 s82, s7
.LBB77_12:                              ;   in Loop: Header=BB77_15 Depth=1
	s_and_not1_b32 s7, s13, exec_lo
	s_and_b32 s5, s5, exec_lo
	s_and_not1_b32 s19, s19, exec_lo
	s_or_b32 s13, s7, s5
	s_and_not1_b32 s12, s12, exec_lo
	s_or_not1_b32 s15, s6, exec_lo
.LBB77_13:                              ;   in Loop: Header=BB77_15 Depth=1
	s_or_b32 exec_lo, exec_lo, s4
	s_delay_alu instid0(SALU_CYCLE_1)
	s_and_not1_b32 s4, s84, exec_lo
	s_and_b32 s5, s13, exec_lo
	s_and_not1_b32 s6, s85, exec_lo
	s_or_b32 s84, s4, s5
	s_and_not1_b32 s4, s87, exec_lo
	s_and_b32 s5, s19, exec_lo
	s_and_b32 s7, s12, exec_lo
	s_or_b32 s87, s4, s5
	s_or_b32 s85, s6, s7
	s_or_not1_b32 s19, s15, exec_lo
.LBB77_14:                              ;   in Loop: Header=BB77_15 Depth=1
	s_or_b32 exec_lo, exec_lo, s14
	s_delay_alu instid0(SALU_CYCLE_1)
	s_and_b32 s4, exec_lo, s19
	v_mov_b32_e32 v2, s88
	s_or_b32 s79, s4, s79
	s_and_not1_b32 s4, s81, exec_lo
	s_and_b32 s5, s84, exec_lo
	s_and_not1_b32 s6, s80, exec_lo
	s_or_b32 s81, s4, s5
	s_and_not1_b32 s4, s83, exec_lo
	s_and_b32 s5, s87, exec_lo
	s_and_b32 s7, s85, exec_lo
	s_or_b32 s83, s4, s5
	s_or_b32 s80, s6, s7
	s_and_not1_b32 exec_lo, exec_lo, s79
	s_cbranch_execz .LBB77_272
.LBB77_15:                              ; =>This Loop Header: Depth=1
                                        ;     Child Loop BB77_20 Depth 2
                                        ;     Child Loop BB77_38 Depth 2
	;; [unrolled: 1-line block ×16, first 2 shown]
	ds_load_b128 v[2:5], v13 offset:5120
	s_waitcnt lgkmcnt(0)
	v_readfirstlane_b32 s63, v3
	v_readfirstlane_b32 s62, v2
	s_delay_alu instid0(VALU_DEP_1)
	s_cmp_lg_u64 s[62:63], 0
	s_cbranch_scc1 .LBB77_45
; %bb.16:                               ;   in Loop: Header=BB77_15 Depth=1
	s_and_b32 vcc_lo, exec_lo, s41
	s_cbranch_vccz .LBB77_28
; %bb.17:                               ;   in Loop: Header=BB77_15 Depth=1
	v_cmp_gt_u64_e32 vcc_lo, 0xc01, v[4:5]
	s_mov_b32 s6, 0
	s_mov_b32 s4, 0
	s_cbranch_vccz .LBB77_29
; %bb.18:                               ;   in Loop: Header=BB77_15 Depth=1
	global_load_u16 v2, v13, s[60:61]
	global_load_u8 v5, v[10:11], off
	s_mov_b32 s7, 0
	s_waitcnt vmcnt(1)
	v_dual_mov_b32 v3, v1 :: v_dual_and_b32 v4, 0xffff, v2
	v_mov_b32_e32 v2, v0
	s_branch .LBB77_20
.LBB77_19:                              ;   in Loop: Header=BB77_20 Depth=2
	s_or_b32 exec_lo, exec_lo, s5
	v_mov_b32_e32 v5, v6
	s_and_not1_b32 exec_lo, exec_lo, s7
	s_cbranch_execz .LBB77_30
.LBB77_20:                              ;   Parent Loop BB77_15 Depth=1
                                        ; =>  This Inner Loop Header: Depth=2
	s_delay_alu instid0(VALU_DEP_1) | instskip(NEXT) | instid1(VALU_DEP_3)
	v_add_co_u32 v2, vcc_lo, v2, v4
	v_add_co_ci_u32_e32 v3, vcc_lo, 0, v3, vcc_lo
	s_waitcnt lgkmcnt(0)
	v_dual_mov_b32 v7, 0 :: v_dual_mov_b32 v6, 0
	s_mov_b32 s5, exec_lo
	s_delay_alu instid0(VALU_DEP_2)
	v_cmp_le_u64_e32 vcc_lo, s[24:25], v[2:3]
	v_cmpx_gt_u64_e64 s[24:25], v[2:3]
	s_cbranch_execz .LBB77_22
; %bb.21:                               ;   in Loop: Header=BB77_20 Depth=2
	v_mad_u64_u32 v[8:9], null, v2, s42, s[50:51]
	v_mul_lo_u32 v6, v2, s43
	v_mul_lo_u32 v12, v3, s42
	s_delay_alu instid0(VALU_DEP_1)
	v_add3_u32 v9, v12, v9, v6
	global_load_u8 v6, v[8:9], off
.LBB77_22:                              ;   in Loop: Header=BB77_20 Depth=2
	s_or_b32 exec_lo, exec_lo, s5
	s_waitcnt vmcnt(0)
	v_and_b32_e32 v8, s89, v5
	s_delay_alu instid0(VALU_DEP_1) | instskip(NEXT) | instid1(VALU_DEP_1)
	v_and_b32_e32 v8, 0xff, v8
	v_cmp_eq_u32_e64 s4, s88, v8
	s_delay_alu instid0(VALU_DEP_1) | instskip(SKIP_1) | instid1(SALU_CYCLE_1)
	s_cmp_lg_u32 s4, 0
	s_cselect_b32 s5, -1, 0
	s_and_b32 s5, s1, s5
	s_delay_alu instid0(SALU_CYCLE_1)
	s_and_saveexec_b32 s8, s5
	s_cbranch_execz .LBB77_26
; %bb.23:                               ;   in Loop: Header=BB77_20 Depth=2
	s_mov_b32 s11, exec_lo
	s_bcnt1_i32_b32 s9, s4
	v_mbcnt_lo_u32_b32 v7, s11, 0
	s_mov_b32 s10, exec_lo
                                        ; implicit-def: $vgpr8
	s_delay_alu instid0(VALU_DEP_1)
	v_cmpx_eq_u32_e32 0, v7
	s_cbranch_execz .LBB77_25
; %bb.24:                               ;   in Loop: Header=BB77_20 Depth=2
	s_bcnt1_i32_b32 s5, s11
	s_delay_alu instid0(SALU_CYCLE_1) | instskip(NEXT) | instid1(SALU_CYCLE_1)
	s_mul_i32 s5, s9, s5
	v_mov_b32_e32 v8, s5
	ds_add_rtn_u32 v8, v13, v8 offset:5144
.LBB77_25:                              ;   in Loop: Header=BB77_20 Depth=2
	s_or_b32 exec_lo, exec_lo, s10
	s_waitcnt lgkmcnt(0)
	v_readfirstlane_b32 s5, v8
	s_delay_alu instid0(VALU_DEP_1)
	v_mad_u32_u24 v7, s9, v7, s5
.LBB77_26:                              ;   in Loop: Header=BB77_20 Depth=2
	s_or_b32 exec_lo, exec_lo, s8
	ds_bpermute_b32 v7, v13, v7
	s_and_b32 s5, exec_lo, vcc_lo
	s_delay_alu instid0(SALU_CYCLE_1)
	s_or_b32 s7, s5, s7
	s_and_saveexec_b32 s5, s4
	s_cbranch_execz .LBB77_19
; %bb.27:                               ;   in Loop: Header=BB77_20 Depth=2
	v_and_b32_e32 v8, s4, v22
	s_waitcnt lgkmcnt(0)
	s_delay_alu instid0(VALU_DEP_1)
	v_bcnt_u32_b32 v7, v8, v7
	ds_store_b8 v7, v5
	s_branch .LBB77_19
.LBB77_28:                              ;   in Loop: Header=BB77_15 Depth=1
	s_mov_b32 s4, 0
                                        ; implicit-def: $sgpr62_sgpr63
	s_cbranch_execnz .LBB77_33
	s_branch .LBB77_43
.LBB77_29:                              ;   in Loop: Header=BB77_15 Depth=1
	s_mov_b64 s[62:63], 0
	s_and_b32 vcc_lo, exec_lo, s6
	s_cbranch_vccnz .LBB77_33
	s_branch .LBB77_43
.LBB77_30:                              ;   in Loop: Header=BB77_15 Depth=1
	s_or_b32 exec_lo, exec_lo, s7
	s_waitcnt lgkmcnt(0)
	s_barrier
	buffer_gl0_inv
	s_and_saveexec_b32 s4, s2
	s_cbranch_execz .LBB77_32
; %bb.31:                               ;   in Loop: Header=BB77_15 Depth=1
	ds_load_b32 v2, v13 offset:5144
	s_waitcnt lgkmcnt(0)
	v_ashrrev_i32_e32 v3, 31, v2
	ds_store_b64 v13, v[2:3] offset:5120
.LBB77_32:                              ;   in Loop: Header=BB77_15 Depth=1
	s_or_b32 exec_lo, exec_lo, s4
	s_waitcnt lgkmcnt(0)
	s_mov_b32 s4, -1
	s_barrier
	s_mov_b64 s[62:63], 0
	s_and_b32 vcc_lo, exec_lo, s6
	s_cbranch_vccz .LBB77_43
.LBB77_33:                              ;   in Loop: Header=BB77_15 Depth=1
	v_mov_b32_e32 v4, 0
	s_and_saveexec_b32 s4, s0
	s_cbranch_execz .LBB77_35
; %bb.34:                               ;   in Loop: Header=BB77_15 Depth=1
	global_load_u8 v4, v[10:11], off
.LBB77_35:                              ;   in Loop: Header=BB77_15 Depth=1
	s_or_b32 exec_lo, exec_lo, s4
	s_and_saveexec_b32 s5, s0
	s_cbranch_execz .LBB77_40
; %bb.36:                               ;   in Loop: Header=BB77_15 Depth=1
	global_load_u16 v2, v13, s[60:61]
	v_mov_b32_e32 v5, v0
	s_mov_b32 s6, 0
	s_waitcnt vmcnt(0)
	v_dual_mov_b32 v3, v1 :: v_dual_and_b32 v6, 0xffff, v2
	v_mov_b32_e32 v2, v0
	s_set_inst_prefetch_distance 0x1
	s_branch .LBB77_38
	.p2align	6
.LBB77_37:                              ;   in Loop: Header=BB77_38 Depth=2
	s_or_b32 exec_lo, exec_lo, s7
	ds_store_b8 v5, v4
	s_waitcnt vmcnt(0)
	v_dual_mov_b32 v4, v7 :: v_dual_add_nc_u32 v5, v5, v6
	s_and_b32 s4, exec_lo, vcc_lo
	s_delay_alu instid0(SALU_CYCLE_1) | instskip(NEXT) | instid1(SALU_CYCLE_1)
	s_or_b32 s6, s4, s6
	s_and_not1_b32 exec_lo, exec_lo, s6
	s_cbranch_execz .LBB77_40
.LBB77_38:                              ;   Parent Loop BB77_15 Depth=1
                                        ; =>  This Inner Loop Header: Depth=2
	s_delay_alu instid0(VALU_DEP_1) | instskip(SKIP_3) | instid1(VALU_DEP_2)
	v_add_co_u32 v2, vcc_lo, v2, v6
	v_add_co_ci_u32_e32 v3, vcc_lo, 0, v3, vcc_lo
	v_mov_b32_e32 v7, 0
	s_mov_b32 s7, exec_lo
	v_cmp_le_u64_e32 vcc_lo, s[24:25], v[2:3]
	v_cmpx_gt_u64_e64 s[24:25], v[2:3]
	s_cbranch_execz .LBB77_37
; %bb.39:                               ;   in Loop: Header=BB77_38 Depth=2
	v_mad_u64_u32 v[7:8], null, v2, s42, s[50:51]
	v_mul_lo_u32 v9, v2, s43
	v_mul_lo_u32 v12, v3, s42
	s_delay_alu instid0(VALU_DEP_1)
	v_add3_u32 v8, v12, v8, v9
	global_load_u8 v7, v[7:8], off
	s_branch .LBB77_37
.LBB77_40:                              ;   in Loop: Header=BB77_15 Depth=1
	s_set_inst_prefetch_distance 0x2
	s_or_b32 exec_lo, exec_lo, s5
	s_waitcnt vmcnt(0) lgkmcnt(0)
	s_barrier
	buffer_gl0_inv
	s_and_saveexec_b32 s4, s2
	s_cbranch_execz .LBB77_42
; %bb.41:                               ;   in Loop: Header=BB77_15 Depth=1
	v_dual_mov_b32 v2, s24 :: v_dual_mov_b32 v3, s25
	ds_store_b64 v13, v[2:3] offset:5120
.LBB77_42:                              ;   in Loop: Header=BB77_15 Depth=1
	s_or_b32 exec_lo, exec_lo, s4
	s_mov_b32 s4, -1
	s_waitcnt lgkmcnt(0)
	s_barrier
                                        ; implicit-def: $sgpr62_sgpr63
.LBB77_43:                              ;   in Loop: Header=BB77_15 Depth=1
	s_and_b32 vcc_lo, exec_lo, s4
	s_cbranch_vccz .LBB77_45
; %bb.44:                               ;   in Loop: Header=BB77_15 Depth=1
	buffer_gl0_inv
	ds_load_b64 v[2:3], v13 offset:5120
	s_waitcnt lgkmcnt(0)
	v_readfirstlane_b32 s62, v2
.LBB77_45:                              ;   in Loop: Header=BB77_15 Depth=1
	s_delay_alu instid0(VALU_DEP_1)
	s_cmp_lt_i32 s62, 1
	s_cbranch_scc0 .LBB77_60
; %bb.46:                               ;   in Loop: Header=BB77_15 Depth=1
	global_load_u16 v25, v13, s[60:61]
	s_mov_b32 s5, s25
	s_waitcnt vmcnt(0)
	v_readfirstlane_b32 s4, v25
	s_delay_alu instid0(VALU_DEP_1)
	s_and_b32 s6, 0xffff, s4
	s_mov_b32 s4, s57
	s_lshl_b32 s56, s6, 2
	s_cmp_lg_u64 s[4:5], 0
	s_cbranch_scc0 .LBB77_80
; %bb.47:                               ;   in Loop: Header=BB77_15 Depth=1
	v_cvt_f32_u32_e32 v2, s56
	s_sub_u32 s6, 0, s56
	s_subb_u32 s7, 0, 0
	s_delay_alu instid0(VALU_DEP_1) | instskip(NEXT) | instid1(VALU_DEP_1)
	v_fmac_f32_e64 v2, 0, 0x4f800000
	v_rcp_f32_e32 v2, v2
	s_waitcnt_depctr 0xfff
	v_mul_f32_e32 v2, 0x5f7ffffc, v2
	s_delay_alu instid0(VALU_DEP_1) | instskip(NEXT) | instid1(VALU_DEP_1)
	v_mul_f32_e32 v3, 0x2f800000, v2
	v_trunc_f32_e32 v3, v3
	s_delay_alu instid0(VALU_DEP_1) | instskip(SKIP_1) | instid1(VALU_DEP_2)
	v_fmac_f32_e32 v2, 0xcf800000, v3
	v_cvt_u32_f32_e32 v3, v3
	v_cvt_u32_f32_e32 v2, v2
	s_delay_alu instid0(VALU_DEP_2) | instskip(NEXT) | instid1(VALU_DEP_2)
	v_readfirstlane_b32 s4, v3
	v_readfirstlane_b32 s5, v2
	s_delay_alu instid0(VALU_DEP_2) | instskip(NEXT) | instid1(VALU_DEP_1)
	s_mul_i32 s8, s6, s4
	s_mul_hi_u32 s10, s6, s5
	s_mul_i32 s9, s7, s5
	s_add_i32 s8, s10, s8
	s_mul_i32 s11, s6, s5
	s_add_i32 s8, s8, s9
	s_mul_hi_u32 s10, s5, s11
	s_mul_hi_u32 s12, s4, s11
	s_mul_i32 s9, s4, s11
	s_mul_hi_u32 s11, s5, s8
	s_mul_i32 s5, s5, s8
	s_mul_hi_u32 s13, s4, s8
	s_add_u32 s5, s10, s5
	s_addc_u32 s10, 0, s11
	s_add_u32 s5, s5, s9
	s_mul_i32 s8, s4, s8
	s_addc_u32 s5, s10, s12
	s_addc_u32 s9, s13, 0
	s_add_u32 s5, s5, s8
	s_addc_u32 s8, 0, s9
	v_add_co_u32 v2, s5, v2, s5
	s_delay_alu instid0(VALU_DEP_1) | instskip(SKIP_1) | instid1(VALU_DEP_1)
	s_cmp_lg_u32 s5, 0
	s_addc_u32 s4, s4, s8
	v_readfirstlane_b32 s5, v2
	s_mul_i32 s8, s6, s4
	s_delay_alu instid0(VALU_DEP_1)
	s_mul_hi_u32 s9, s6, s5
	s_mul_i32 s7, s7, s5
	s_add_i32 s8, s9, s8
	s_mul_i32 s6, s6, s5
	s_add_i32 s8, s8, s7
	s_mul_hi_u32 s9, s4, s6
	s_mul_i32 s10, s4, s6
	s_mul_hi_u32 s6, s5, s6
	s_mul_hi_u32 s11, s5, s8
	s_mul_i32 s5, s5, s8
	s_mul_hi_u32 s7, s4, s8
	s_add_u32 s5, s6, s5
	s_addc_u32 s6, 0, s11
	s_add_u32 s5, s5, s10
	s_mul_i32 s8, s4, s8
	s_addc_u32 s5, s6, s9
	s_addc_u32 s6, s7, 0
	s_add_u32 s5, s5, s8
	s_addc_u32 s6, 0, s6
	v_add_co_u32 v2, s5, v2, s5
	s_delay_alu instid0(VALU_DEP_1) | instskip(SKIP_1) | instid1(VALU_DEP_1)
	s_cmp_lg_u32 s5, 0
	s_addc_u32 s4, s4, s6
	v_readfirstlane_b32 s5, v2
	s_mul_i32 s7, s24, s4
	s_mul_hi_u32 s6, s24, s4
	s_mul_hi_u32 s8, s25, s4
	s_mul_i32 s4, s25, s4
	s_mul_hi_u32 s9, s24, s5
	s_mul_hi_u32 s10, s25, s5
	s_mul_i32 s5, s25, s5
	s_add_u32 s7, s9, s7
	s_addc_u32 s6, 0, s6
	s_add_u32 s5, s7, s5
	s_addc_u32 s5, s6, s10
	s_addc_u32 s6, s8, 0
	s_add_u32 s4, s5, s4
	s_addc_u32 s5, 0, s6
	s_mul_hi_u32 s6, s56, s4
	s_mul_i32 s4, s56, s4
	s_mul_i32 s5, s56, s5
	v_sub_co_u32 v2, s4, s24, s4
	s_add_i32 s6, s6, s5
	s_cmp_lg_u32 s4, 0
	s_delay_alu instid0(VALU_DEP_1) | instskip(SKIP_2) | instid1(VALU_DEP_1)
	v_sub_co_u32 v3, s4, v2, s56
	s_subb_u32 s5, s25, s6
	s_cmp_lg_u32 s4, 0
	v_cmp_le_u32_e32 vcc_lo, s56, v3
	v_sub_co_u32 v4, s4, v3, s56
	s_subb_u32 s6, s5, 0
	s_cmp_lg_u32 s4, 0
	v_cndmask_b32_e64 v5, 0, -1, vcc_lo
	s_subb_u32 s4, s6, 0
	s_cmp_eq_u32 s6, 0
	v_mov_b32_e32 v7, s4
	s_cselect_b32 vcc_lo, -1, 0
	s_cmp_eq_u32 s5, 0
	v_cndmask_b32_e32 v5, -1, v5, vcc_lo
	v_cmp_le_u32_e32 vcc_lo, s56, v2
	s_cselect_b32 s4, -1, 0
	v_cndmask_b32_e64 v6, 0, -1, vcc_lo
	s_delay_alu instid0(VALU_DEP_3) | instskip(NEXT) | instid1(VALU_DEP_2)
	v_cmp_ne_u32_e32 vcc_lo, 0, v5
	v_cndmask_b32_e64 v5, -1, v6, s4
	v_cndmask_b32_e32 v6, s6, v7, vcc_lo
	v_cndmask_b32_e32 v4, v3, v4, vcc_lo
	s_delay_alu instid0(VALU_DEP_3) | instskip(NEXT) | instid1(VALU_DEP_3)
	v_cmp_ne_u32_e32 vcc_lo, 0, v5
	v_cndmask_b32_e32 v3, s5, v6, vcc_lo
	s_delay_alu instid0(VALU_DEP_3)
	v_cndmask_b32_e32 v2, v2, v4, vcc_lo
	s_cbranch_execnz .LBB77_49
.LBB77_48:                              ;   in Loop: Header=BB77_15 Depth=1
	v_cvt_f32_u32_e32 v2, s56
	s_sub_i32 s4, 0, s56
	s_delay_alu instid0(VALU_DEP_1) | instskip(SKIP_2) | instid1(VALU_DEP_1)
	v_rcp_iflag_f32_e32 v2, v2
	s_waitcnt_depctr 0xfff
	v_mul_f32_e32 v2, 0x4f7ffffe, v2
	v_cvt_u32_f32_e32 v2, v2
	s_delay_alu instid0(VALU_DEP_1) | instskip(NEXT) | instid1(VALU_DEP_1)
	v_mul_lo_u32 v3, s4, v2
	v_mul_hi_u32 v3, v2, v3
	s_delay_alu instid0(VALU_DEP_1) | instskip(NEXT) | instid1(VALU_DEP_1)
	v_add_nc_u32_e32 v2, v2, v3
	v_mul_hi_u32 v2, s24, v2
	s_delay_alu instid0(VALU_DEP_1) | instskip(NEXT) | instid1(VALU_DEP_1)
	v_mul_lo_u32 v2, v2, s56
	v_sub_nc_u32_e32 v2, s24, v2
	s_delay_alu instid0(VALU_DEP_1) | instskip(SKIP_1) | instid1(VALU_DEP_2)
	v_subrev_nc_u32_e32 v3, s56, v2
	v_cmp_le_u32_e32 vcc_lo, s56, v2
	v_cndmask_b32_e32 v2, v2, v3, vcc_lo
	s_delay_alu instid0(VALU_DEP_1) | instskip(SKIP_1) | instid1(VALU_DEP_2)
	v_subrev_nc_u32_e32 v3, s56, v2
	v_cmp_le_u32_e32 vcc_lo, s56, v2
	v_cndmask_b32_e32 v12, v2, v3, vcc_lo
	s_delay_alu instid0(VALU_DEP_1)
	v_dual_mov_b32 v2, v12 :: v_dual_mov_b32 v3, v13
.LBB77_49:                              ;   in Loop: Header=BB77_15 Depth=1
	s_delay_alu instid0(VALU_DEP_1) | instskip(NEXT) | instid1(VALU_DEP_2)
	v_sub_co_u32 v16, vcc_lo, s24, v2
	v_sub_co_ci_u32_e32 v17, vcc_lo, s25, v3, vcc_lo
	v_mov_b32_e32 v2, 0
	v_mov_b32_e32 v3, 0
	s_mov_b64 s[22:23], 0
	s_mov_b32 s58, exec_lo
	s_delay_alu instid0(VALU_DEP_1)
	v_dual_mov_b32 v5, v3 :: v_dual_mov_b32 v4, v2
	v_dual_mov_b32 v7, v3 :: v_dual_mov_b32 v6, v2
	;; [unrolled: 1-line block ×3, first 2 shown]
	v_cmpx_gt_u64_e64 v[16:17], v[14:15]
	s_cbranch_execz .LBB77_53
; %bb.50:                               ;   in Loop: Header=BB77_15 Depth=1
	v_dual_mov_b32 v19, v15 :: v_dual_mov_b32 v18, v14
	s_and_b32 s70, s82, 0xfe
	s_mov_b32 s63, 0
	s_mov_b64 s[64:65], 0
	s_mov_b64 s[66:67], 0
	;; [unrolled: 1-line block ×3, first 2 shown]
.LBB77_51:                              ;   Parent Loop BB77_15 Depth=1
                                        ; =>  This Inner Loop Header: Depth=2
	v_mad_u64_u32 v[2:3], null, v18, s42, s[50:51]
	v_mul_lo_u32 v4, v18, s43
	v_mul_lo_u32 v5, v19, s42
	s_delay_alu instid0(VALU_DEP_1) | instskip(NEXT) | instid1(VALU_DEP_4)
	v_add3_u32 v3, v5, v3, v4
	v_add_co_u32 v4, vcc_lo, v2, s42
	s_delay_alu instid0(VALU_DEP_2)
	v_add_co_ci_u32_e32 v5, vcc_lo, s43, v3, vcc_lo
	s_clause 0x1
	global_load_u8 v6, v[2:3], off
	global_load_u8 v7, v[4:5], off
	v_add_co_u32 v2, vcc_lo, v4, s42
	v_add_co_ci_u32_e32 v3, vcc_lo, s43, v5, vcc_lo
	s_delay_alu instid0(VALU_DEP_2)
	v_add_co_u32 v4, vcc_lo, v2, s42
	global_load_u8 v2, v[2:3], off
	v_add_co_ci_u32_e32 v5, vcc_lo, s43, v3, vcc_lo
	v_add_co_u32 v18, vcc_lo, v18, s56
	v_add_co_ci_u32_e32 v19, vcc_lo, 0, v19, vcc_lo
	global_load_u8 v3, v[4:5], off
	v_cmp_ge_u64_e32 vcc_lo, v[18:19], v[16:17]
	s_waitcnt vmcnt(3)
	v_and_b32_e32 v4, s89, v6
	v_bfe_u32 v5, v6, s70, 2
	s_waitcnt vmcnt(2)
	v_bfe_u32 v6, v7, s70, 2
	s_delay_alu instid0(VALU_DEP_3) | instskip(SKIP_2) | instid1(VALU_DEP_4)
	v_cmp_eq_u32_e64 s4, s88, v4
	v_and_b32_e32 v4, s89, v7
	v_cmp_eq_u32_e64 s5, 0, v5
	v_cmp_eq_u32_e64 s10, 0, v6
	;; [unrolled: 1-line block ×5, first 2 shown]
	s_waitcnt vmcnt(1)
	v_and_b32_e32 v4, s89, v2
	v_bfe_u32 v2, v2, s70, 2
	s_and_b32 s5, s4, s5
	v_cmp_eq_u32_e64 s8, 3, v5
	v_cndmask_b32_e64 v5, 0, 1, s5
	v_cmp_eq_u32_e64 s13, s88, v4
	s_waitcnt vmcnt(0)
	v_and_b32_e32 v4, s89, v3
	v_bfe_u32 v3, v3, s70, 2
	v_cmp_eq_u32_e64 s14, 0, v2
	s_and_b32 s10, s9, s10
	v_cmp_ne_u32_e64 s15, 0, v5
	v_cndmask_b32_e64 v5, 0, 1, s10
	v_cmp_eq_u32_e64 s18, s88, v4
	v_cmp_eq_u32_e64 s19, 0, v3
	s_and_b32 s14, s13, s14
	v_cmp_eq_u32_e64 s10, 1, v2
	v_cmp_eq_u32_e64 s16, 2, v2
	;; [unrolled: 1-line block ×3, first 2 shown]
	s_bcnt1_i32_b32 s71, s15
	v_cmp_ne_u32_e64 s15, 0, v5
	v_cndmask_b32_e64 v2, 0, 1, s14
	s_and_b32 s19, s18, s19
	v_cmp_eq_u32_e64 s14, 1, v3
	v_cmp_eq_u32_e64 s20, 2, v3
	;; [unrolled: 1-line block ×3, first 2 shown]
	v_cndmask_b32_e64 v3, 0, 1, s19
	s_bcnt1_i32_b32 s19, s15
	v_cmp_ne_u32_e64 s15, 0, v2
	s_add_i32 s71, s19, s71
	v_cmp_eq_u32_e64 s5, 1, v6
	v_cmp_ne_u32_e64 s19, 0, v3
	v_cmp_eq_u32_e64 s11, 2, v6
	s_bcnt1_i32_b32 s15, s15
	v_cmp_eq_u32_e64 s12, 3, v6
	s_add_i32 s15, s71, s15
	s_bcnt1_i32_b32 s19, s19
	s_delay_alu instid0(SALU_CYCLE_1) | instskip(NEXT) | instid1(SALU_CYCLE_1)
	s_add_i32 s15, s15, s19
	s_add_u32 s68, s68, s15
	s_addc_u32 s69, s69, 0
	s_and_b32 s6, s4, s6
	s_and_b32 s5, s9, s5
	v_cndmask_b32_e64 v2, 0, 1, s6
	v_cndmask_b32_e64 v3, 0, 1, s5
	s_and_b32 s5, s13, s10
	s_delay_alu instid0(SALU_CYCLE_1) | instskip(SKIP_1) | instid1(VALU_DEP_2)
	v_cndmask_b32_e64 v4, 0, 1, s5
	s_and_b32 s5, s18, s14
	v_cmp_ne_u32_e64 s6, 0, v3
	v_cndmask_b32_e64 v5, 0, 1, s5
	v_cmp_ne_u32_e64 s5, 0, v2
	v_cmp_ne_u32_e64 s10, 0, v4
	s_delay_alu instid0(VALU_DEP_4) | instskip(NEXT) | instid1(VALU_DEP_3)
	s_bcnt1_i32_b32 s6, s6
	v_cmp_ne_u32_e64 s14, 0, v5
	s_delay_alu instid0(VALU_DEP_3) | instskip(NEXT) | instid1(VALU_DEP_2)
	s_bcnt1_i32_b32 s5, s5
	s_bcnt1_i32_b32 s10, s10
	s_add_i32 s5, s6, s5
	s_delay_alu instid0(VALU_DEP_1) | instskip(SKIP_1) | instid1(SALU_CYCLE_1)
	s_bcnt1_i32_b32 s14, s14
	s_add_i32 s5, s5, s10
	s_add_i32 s5, s5, s14
	s_delay_alu instid0(SALU_CYCLE_1) | instskip(SKIP_2) | instid1(SALU_CYCLE_1)
	s_add_u32 s66, s66, s5
	s_addc_u32 s67, s67, 0
	s_and_b32 s5, s4, s7
	v_cndmask_b32_e64 v2, 0, 1, s5
	s_and_b32 s5, s9, s11
	s_delay_alu instid0(SALU_CYCLE_1) | instskip(SKIP_1) | instid1(SALU_CYCLE_1)
	v_cndmask_b32_e64 v3, 0, 1, s5
	s_and_b32 s5, s13, s16
	v_cndmask_b32_e64 v4, 0, 1, s5
	s_and_b32 s5, s18, s20
	s_delay_alu instid0(VALU_DEP_2) | instskip(SKIP_3) | instid1(VALU_DEP_4)
	v_cmp_ne_u32_e64 s6, 0, v3
	v_cndmask_b32_e64 v5, 0, 1, s5
	v_cmp_ne_u32_e64 s5, 0, v2
	v_cmp_ne_u32_e64 s7, 0, v4
	s_bcnt1_i32_b32 s6, s6
	s_delay_alu instid0(VALU_DEP_3) | instskip(NEXT) | instid1(VALU_DEP_3)
	v_cmp_ne_u32_e64 s10, 0, v5
	s_bcnt1_i32_b32 s5, s5
	s_delay_alu instid0(VALU_DEP_2) | instskip(SKIP_1) | instid1(VALU_DEP_1)
	s_bcnt1_i32_b32 s7, s7
	s_add_i32 s5, s6, s5
	s_bcnt1_i32_b32 s10, s10
	s_add_i32 s5, s5, s7
	s_delay_alu instid0(SALU_CYCLE_1) | instskip(NEXT) | instid1(SALU_CYCLE_1)
	s_add_i32 s5, s5, s10
	s_add_u32 s64, s64, s5
	s_addc_u32 s65, s65, 0
	s_and_b32 s4, s4, s8
	v_mov_b32_e32 v6, s64
	v_cndmask_b32_e64 v2, 0, 1, s4
	s_and_b32 s4, s9, s12
	v_mov_b32_e32 v7, s65
	v_cndmask_b32_e64 v3, 0, 1, s4
	s_and_b32 s4, s13, s17
	s_delay_alu instid0(SALU_CYCLE_1) | instskip(SKIP_1) | instid1(VALU_DEP_2)
	v_cndmask_b32_e64 v4, 0, 1, s4
	s_and_b32 s4, s18, s21
	v_cmp_ne_u32_e64 s5, 0, v3
	v_cndmask_b32_e64 v5, 0, 1, s4
	v_cmp_ne_u32_e64 s4, 0, v2
	v_cmp_ne_u32_e64 s6, 0, v4
	v_mov_b32_e32 v2, s68
	s_bcnt1_i32_b32 s5, s5
	v_cmp_ne_u32_e64 s7, 0, v5
	s_bcnt1_i32_b32 s4, s4
	s_bcnt1_i32_b32 s6, s6
	s_add_i32 s4, s5, s4
	v_mov_b32_e32 v4, s66
	s_bcnt1_i32_b32 s5, s7
	s_add_i32 s4, s4, s6
	v_mov_b32_e32 v3, s69
	s_add_i32 s4, s4, s5
	v_mov_b32_e32 v5, s67
	s_add_u32 s22, s22, s4
	s_addc_u32 s23, s23, 0
	s_delay_alu instid0(SALU_CYCLE_1) | instskip(SKIP_1) | instid1(SALU_CYCLE_1)
	v_dual_mov_b32 v8, s22 :: v_dual_mov_b32 v9, s23
	s_or_b32 s63, vcc_lo, s63
	s_and_not1_b32 exec_lo, exec_lo, s63
	s_cbranch_execnz .LBB77_51
; %bb.52:                               ;   in Loop: Header=BB77_15 Depth=1
	s_or_b32 exec_lo, exec_lo, s63
.LBB77_53:                              ;   in Loop: Header=BB77_15 Depth=1
	s_delay_alu instid0(SALU_CYCLE_1) | instskip(SKIP_3) | instid1(VALU_DEP_2)
	s_or_b32 exec_lo, exec_lo, s58
	v_add_co_u32 v16, vcc_lo, v16, v0
	v_add_co_ci_u32_e32 v17, vcc_lo, 0, v17, vcc_lo
	v_dual_mov_b32 v19, 0 :: v_dual_and_b32 v12, 0xffff, v25
	v_cmp_gt_u64_e32 vcc_lo, s[24:25], v[16:17]
	s_and_saveexec_b32 s4, vcc_lo
	s_cbranch_execz .LBB77_55
; %bb.54:                               ;   in Loop: Header=BB77_15 Depth=1
	v_mad_u64_u32 v[18:19], null, v16, s42, s[50:51]
	v_mul_lo_u32 v25, v16, s43
	v_mul_lo_u32 v26, v17, s42
	s_delay_alu instid0(VALU_DEP_1)
	v_add3_u32 v19, v26, v19, v25
	global_load_u8 v19, v[18:19], off
.LBB77_55:                              ;   in Loop: Header=BB77_15 Depth=1
	s_or_b32 exec_lo, exec_lo, s4
	s_and_saveexec_b32 s7, vcc_lo
	s_cbranch_execz .LBB77_62
; %bb.56:                               ;   in Loop: Header=BB77_15 Depth=1
	s_and_b32 s9, s82, 0xfe
	s_mov_b32 s8, 0
	s_branch .LBB77_58
.LBB77_57:                              ;   in Loop: Header=BB77_58 Depth=2
	s_or_b32 exec_lo, exec_lo, s5
	s_waitcnt vmcnt(0)
	v_and_b32_e32 v19, 0xff, v19
	s_and_b32 s6, exec_lo, vcc_lo
	s_delay_alu instid0(SALU_CYCLE_1) | instskip(NEXT) | instid1(VALU_DEP_1)
	s_or_b32 s8, s6, s8
	v_and_b32_e32 v25, s89, v19
	v_bfe_u32 v19, v19, s9, 2
	s_delay_alu instid0(VALU_DEP_2) | instskip(NEXT) | instid1(VALU_DEP_2)
	v_cmp_eq_u32_e64 s4, s88, v25
	v_cmp_eq_u32_e64 s5, 0, v19
	v_cmp_eq_u32_e32 vcc_lo, 1, v19
	v_cmp_eq_u32_e64 s6, 2, v19
	s_delay_alu instid0(VALU_DEP_3) | instskip(NEXT) | instid1(SALU_CYCLE_1)
	s_and_b32 s5, s4, s5
	v_cndmask_b32_e64 v25, 0, 1, s5
	s_and_b32 s5, s4, vcc_lo
	v_cmp_eq_u32_e32 vcc_lo, 3, v19
	v_cndmask_b32_e64 v26, 0, 1, s5
	s_and_b32 s5, s4, s6
	s_delay_alu instid0(SALU_CYCLE_1) | instskip(SKIP_1) | instid1(VALU_DEP_3)
	v_cndmask_b32_e64 v19, 0, 1, s5
	v_cmp_ne_u32_e64 s5, 0, v25
	v_cmp_ne_u32_e64 s6, 0, v26
	s_and_b32 s4, s4, vcc_lo
	s_delay_alu instid0(SALU_CYCLE_1) | instskip(NEXT) | instid1(VALU_DEP_3)
	v_cndmask_b32_e64 v25, 0, 1, s4
	s_bcnt1_i32_b32 s4, s5
	v_cmp_ne_u32_e32 vcc_lo, 0, v19
	v_add_co_u32 v2, s4, v2, s4
	s_bcnt1_i32_b32 s5, s6
	v_add_co_ci_u32_e64 v3, s4, 0, v3, s4
	v_add_co_u32 v4, s4, v4, s5
	s_delay_alu instid0(VALU_DEP_1) | instskip(SKIP_3) | instid1(VALU_DEP_1)
	v_add_co_ci_u32_e64 v5, s4, 0, v5, s4
	s_bcnt1_i32_b32 s4, vcc_lo
	v_cmp_ne_u32_e32 vcc_lo, 0, v25
	v_add_co_u32 v6, s4, v6, s4
	v_add_co_ci_u32_e64 v7, s4, 0, v7, s4
	s_bcnt1_i32_b32 s4, vcc_lo
	v_mov_b32_e32 v19, v18
	v_add_co_u32 v8, vcc_lo, v8, s4
	v_add_co_ci_u32_e32 v9, vcc_lo, 0, v9, vcc_lo
	s_and_not1_b32 exec_lo, exec_lo, s8
	s_cbranch_execz .LBB77_61
.LBB77_58:                              ;   Parent Loop BB77_15 Depth=1
                                        ; =>  This Inner Loop Header: Depth=2
	v_add_co_u32 v16, vcc_lo, v16, v12
	v_add_co_ci_u32_e32 v17, vcc_lo, 0, v17, vcc_lo
	v_mov_b32_e32 v18, 0
	s_mov_b32 s5, exec_lo
	s_delay_alu instid0(VALU_DEP_2)
	v_cmp_le_u64_e32 vcc_lo, s[24:25], v[16:17]
	v_cmpx_gt_u64_e64 s[24:25], v[16:17]
	s_cbranch_execz .LBB77_57
; %bb.59:                               ;   in Loop: Header=BB77_58 Depth=2
	v_mad_u64_u32 v[25:26], null, v16, s42, s[50:51]
	v_mul_lo_u32 v18, v16, s43
	v_mul_lo_u32 v27, v17, s42
	s_delay_alu instid0(VALU_DEP_1)
	v_add3_u32 v26, v27, v26, v18
	global_load_u8 v18, v[25:26], off
	s_branch .LBB77_57
.LBB77_60:                              ;   in Loop: Header=BB77_15 Depth=1
                                        ; implicit-def: $vgpr8_vgpr9
                                        ; implicit-def: $vgpr4_vgpr5
	s_cbranch_execnz .LBB77_63
	s_branch .LBB77_72
.LBB77_61:                              ;   in Loop: Header=BB77_15 Depth=1
	s_or_b32 exec_lo, exec_lo, s8
.LBB77_62:                              ;   in Loop: Header=BB77_15 Depth=1
	s_delay_alu instid0(SALU_CYCLE_1)
	s_or_b32 exec_lo, exec_lo, s7
	s_branch .LBB77_72
.LBB77_63:                              ;   in Loop: Header=BB77_15 Depth=1
	global_load_u16 v12, v13, s[60:61]
	s_mov_b64 s[64:65], 0
	s_mov_b32 s63, exec_lo
	s_waitcnt vmcnt(0)
	v_readfirstlane_b32 s4, v12
	s_delay_alu instid0(VALU_DEP_1) | instskip(NEXT) | instid1(SALU_CYCLE_1)
	s_and_b32 s4, 0xffff, s4
	s_lshl_b32 s58, s4, 2
	s_delay_alu instid0(SALU_CYCLE_1) | instskip(SKIP_1) | instid1(VALU_DEP_1)
	v_cvt_f32_u32_e32 v2, s58
	s_sub_i32 s5, 0, s58
	v_rcp_iflag_f32_e32 v2, v2
	s_waitcnt_depctr 0xfff
	v_mul_f32_e32 v2, 0x4f7ffffe, v2
	s_delay_alu instid0(VALU_DEP_1) | instskip(NEXT) | instid1(VALU_DEP_1)
	v_cvt_u32_f32_e32 v2, v2
	v_readfirstlane_b32 s4, v2
	v_mov_b32_e32 v2, 0
	v_mov_b32_e32 v3, 0
	s_delay_alu instid0(VALU_DEP_3) | instskip(NEXT) | instid1(VALU_DEP_1)
	s_mul_i32 s5, s5, s4
	v_dual_mov_b32 v5, v3 :: v_dual_mov_b32 v4, v2
	s_mul_hi_u32 s5, s4, s5
	v_dual_mov_b32 v7, v3 :: v_dual_mov_b32 v6, v2
	s_add_i32 s4, s4, s5
	v_dual_mov_b32 v9, v3 :: v_dual_mov_b32 v8, v2
	s_mul_hi_u32 s4, s62, s4
	s_delay_alu instid0(SALU_CYCLE_1) | instskip(NEXT) | instid1(SALU_CYCLE_1)
	s_mul_i32 s4, s4, s58
	s_sub_i32 s4, s62, s4
	s_delay_alu instid0(SALU_CYCLE_1) | instskip(SKIP_2) | instid1(SALU_CYCLE_1)
	s_sub_i32 s5, s4, s58
	s_cmp_ge_u32 s4, s58
	s_cselect_b32 s4, s5, s4
	s_sub_i32 s5, s4, s58
	s_cmp_ge_u32 s4, s58
	s_cselect_b32 s4, s5, s4
	s_delay_alu instid0(SALU_CYCLE_1) | instskip(NEXT) | instid1(SALU_CYCLE_1)
	s_sub_i32 s56, s62, s4
	v_cmpx_gt_u32_e64 s56, v14
	s_cbranch_execz .LBB77_67
; %bb.64:                               ;   in Loop: Header=BB77_15 Depth=1
	v_dual_mov_b32 v18, v14 :: v_dual_mov_b32 v17, v15
	v_mov_b32_e32 v16, v14
	s_and_b32 s91, s82, 0xfe
	s_mov_b32 s90, 0
	s_mov_b64 s[66:67], 0
	s_mov_b64 s[68:69], 0
	;; [unrolled: 1-line block ×3, first 2 shown]
.LBB77_65:                              ;   Parent Loop BB77_15 Depth=1
                                        ; =>  This Inner Loop Header: Depth=2
	ds_load_b32 v2, v18
	v_add_co_u32 v16, vcc_lo, v16, s58
	v_add_co_ci_u32_e32 v17, vcc_lo, 0, v17, vcc_lo
	s_delay_alu instid0(VALU_DEP_1)
	v_cmp_le_u64_e32 vcc_lo, s[56:57], v[16:17]
	s_waitcnt lgkmcnt(0)
	v_and_b32_e32 v3, 0xff, v2
	v_bfe_u32 v4, v2, 8, 8
	v_bfe_u32 v5, v2, 16, 8
	v_lshrrev_b32_e32 v2, 24, v2
	s_delay_alu instid0(VALU_DEP_4)
	v_and_b32_e32 v6, s89, v3
	v_bfe_u32 v3, v3, s91, 2
	v_and_b32_e32 v7, s89, v4
	v_bfe_u32 v4, v4, s91, 2
	;; [unrolled: 2-line block ×3, first 2 shown]
	v_cmp_eq_u32_e64 s4, s88, v6
	v_cmp_eq_u32_e64 s8, 0, v3
	v_and_b32_e32 v9, s89, v2
	v_bfe_u32 v2, v2, s91, 2
	v_cmp_eq_u32_e64 s5, s88, v7
	v_cmp_eq_u32_e64 s9, 0, v4
	;; [unrolled: 1-line block ×4, first 2 shown]
	s_and_b32 s8, s4, s8
	v_cmp_eq_u32_e64 s7, s88, v9
	v_cmp_eq_u32_e64 s11, 0, v2
	;; [unrolled: 1-line block ×5, first 2 shown]
	v_cndmask_b32_e64 v2, 0, 1, s8
	s_and_b32 s8, s5, s9
	v_cmp_eq_u32_e64 s12, 1, v3
	v_cmp_eq_u32_e64 s16, 2, v3
	v_cmp_eq_u32_e64 s20, 3, v3
	v_cndmask_b32_e64 v3, 0, 1, s8
	s_and_b32 s8, s6, s10
	v_cmp_eq_u32_e64 s13, 1, v4
	v_cmp_eq_u32_e64 s17, 2, v4
	v_cmp_eq_u32_e64 s21, 3, v4
	;; [unrolled: 5-line block ×3, first 2 shown]
	v_cndmask_b32_e64 v5, 0, 1, s8
	v_cmp_ne_u32_e64 s8, 0, v2
	v_cmp_ne_u32_e64 s9, 0, v3
	;; [unrolled: 1-line block ×3, first 2 shown]
	s_delay_alu instid0(VALU_DEP_4) | instskip(NEXT) | instid1(VALU_DEP_4)
	v_cmp_ne_u32_e64 s11, 0, v5
	s_bcnt1_i32_b32 s8, s8
	s_delay_alu instid0(VALU_DEP_3) | instskip(NEXT) | instid1(VALU_DEP_2)
	s_bcnt1_i32_b32 s9, s9
	s_bcnt1_i32_b32 s10, s10
	s_add_i32 s8, s9, s8
	s_bcnt1_i32_b32 s11, s11
	s_add_i32 s8, s8, s10
	s_delay_alu instid0(SALU_CYCLE_1) | instskip(NEXT) | instid1(SALU_CYCLE_1)
	s_add_i32 s8, s8, s11
	s_add_u32 s70, s70, s8
	s_addc_u32 s71, s71, 0
	s_and_b32 s8, s4, s12
	v_add_nc_u32_e32 v18, s58, v18
	v_cndmask_b32_e64 v2, 0, 1, s8
	s_and_b32 s8, s5, s13
	s_delay_alu instid0(SALU_CYCLE_1) | instskip(SKIP_1) | instid1(SALU_CYCLE_1)
	v_cndmask_b32_e64 v3, 0, 1, s8
	s_and_b32 s8, s6, s14
	v_cndmask_b32_e64 v4, 0, 1, s8
	s_and_b32 s8, s7, s15
	s_delay_alu instid0(VALU_DEP_2) | instskip(SKIP_3) | instid1(VALU_DEP_4)
	v_cmp_ne_u32_e64 s9, 0, v3
	v_cndmask_b32_e64 v5, 0, 1, s8
	v_cmp_ne_u32_e64 s8, 0, v2
	v_cmp_ne_u32_e64 s10, 0, v4
	s_bcnt1_i32_b32 s9, s9
	s_delay_alu instid0(VALU_DEP_3) | instskip(NEXT) | instid1(VALU_DEP_3)
	v_cmp_ne_u32_e64 s11, 0, v5
	s_bcnt1_i32_b32 s8, s8
	s_delay_alu instid0(VALU_DEP_2) | instskip(SKIP_1) | instid1(VALU_DEP_1)
	s_bcnt1_i32_b32 s10, s10
	s_add_i32 s8, s9, s8
	s_bcnt1_i32_b32 s11, s11
	s_add_i32 s8, s8, s10
	s_delay_alu instid0(SALU_CYCLE_1) | instskip(NEXT) | instid1(SALU_CYCLE_1)
	s_add_i32 s8, s8, s11
	s_add_u32 s68, s68, s8
	s_addc_u32 s69, s69, 0
	s_and_b32 s8, s4, s16
	s_delay_alu instid0(SALU_CYCLE_1) | instskip(SKIP_1) | instid1(SALU_CYCLE_1)
	v_cndmask_b32_e64 v2, 0, 1, s8
	s_and_b32 s8, s5, s17
	v_cndmask_b32_e64 v3, 0, 1, s8
	s_and_b32 s8, s6, s18
	s_delay_alu instid0(SALU_CYCLE_1) | instskip(SKIP_1) | instid1(VALU_DEP_2)
	v_cndmask_b32_e64 v4, 0, 1, s8
	s_and_b32 s8, s7, s19
	v_cmp_ne_u32_e64 s9, 0, v3
	v_cndmask_b32_e64 v5, 0, 1, s8
	v_cmp_ne_u32_e64 s8, 0, v2
	v_cmp_ne_u32_e64 s10, 0, v4
	s_delay_alu instid0(VALU_DEP_4) | instskip(NEXT) | instid1(VALU_DEP_3)
	s_bcnt1_i32_b32 s9, s9
	v_cmp_ne_u32_e64 s11, 0, v5
	s_delay_alu instid0(VALU_DEP_3) | instskip(NEXT) | instid1(VALU_DEP_2)
	s_bcnt1_i32_b32 s8, s8
	s_bcnt1_i32_b32 s10, s10
	s_add_i32 s8, s9, s8
	s_delay_alu instid0(VALU_DEP_1) | instskip(SKIP_1) | instid1(SALU_CYCLE_1)
	s_bcnt1_i32_b32 s11, s11
	s_add_i32 s8, s8, s10
	s_add_i32 s8, s8, s11
	s_delay_alu instid0(SALU_CYCLE_1)
	s_add_u32 s66, s66, s8
	s_addc_u32 s67, s67, 0
	s_and_b32 s4, s4, s20
	v_mov_b32_e32 v6, s66
	v_cndmask_b32_e64 v2, 0, 1, s4
	s_and_b32 s4, s5, s21
	v_mov_b32_e32 v7, s67
	v_cndmask_b32_e64 v3, 0, 1, s4
	s_and_b32 s4, s6, s22
	s_delay_alu instid0(SALU_CYCLE_1) | instskip(SKIP_1) | instid1(VALU_DEP_2)
	v_cndmask_b32_e64 v4, 0, 1, s4
	s_and_b32 s4, s7, s23
	v_cmp_ne_u32_e64 s5, 0, v3
	v_cndmask_b32_e64 v5, 0, 1, s4
	v_cmp_ne_u32_e64 s4, 0, v2
	v_cmp_ne_u32_e64 s6, 0, v4
	v_dual_mov_b32 v2, s70 :: v_dual_mov_b32 v3, s71
	s_delay_alu instid0(VALU_DEP_4) | instskip(NEXT) | instid1(VALU_DEP_4)
	v_cmp_ne_u32_e64 s7, 0, v5
	s_bcnt1_i32_b32 s4, s4
	s_bcnt1_i32_b32 s5, s5
	;; [unrolled: 1-line block ×3, first 2 shown]
	s_add_i32 s4, s5, s4
	s_bcnt1_i32_b32 s5, s7
	s_add_i32 s4, s4, s6
	v_mov_b32_e32 v4, s68
	s_add_i32 s4, s4, s5
	v_mov_b32_e32 v5, s69
	s_add_u32 s64, s64, s4
	s_addc_u32 s65, s65, 0
	s_delay_alu instid0(SALU_CYCLE_1) | instskip(SKIP_1) | instid1(SALU_CYCLE_1)
	v_dual_mov_b32 v8, s64 :: v_dual_mov_b32 v9, s65
	s_or_b32 s90, vcc_lo, s90
	s_and_not1_b32 exec_lo, exec_lo, s90
	s_cbranch_execnz .LBB77_65
; %bb.66:                               ;   in Loop: Header=BB77_15 Depth=1
	s_or_b32 exec_lo, exec_lo, s90
.LBB77_67:                              ;   in Loop: Header=BB77_15 Depth=1
	s_delay_alu instid0(SALU_CYCLE_1) | instskip(SKIP_3) | instid1(VALU_DEP_1)
	s_or_b32 exec_lo, exec_lo, s63
	v_and_b32_e32 v18, 0xffff, v12
	v_add_nc_u32_e32 v12, s56, v0
	s_mov_b32 s9, exec_lo
	v_cmpx_gt_u32_e64 s62, v12
	s_cbranch_execz .LBB77_71
; %bb.68:                               ;   in Loop: Header=BB77_15 Depth=1
	v_mov_b32_e32 v17, v13
	v_dual_mov_b32 v16, v12 :: v_dual_add_nc_u32 v19, s56, v0
	s_mov_b32 s11, 0
	s_and_b32 s10, s62, 0x7fffffff
	s_and_b32 s13, s82, 0xfe
	s_mov_b32 s12, s11
.LBB77_69:                              ;   Parent Loop BB77_15 Depth=1
                                        ; =>  This Inner Loop Header: Depth=2
	ds_load_u8 v12, v19
	v_add_co_u32 v16, vcc_lo, v16, v18
	v_add_co_ci_u32_e32 v17, vcc_lo, 0, v17, vcc_lo
	v_add_nc_u32_e32 v19, v19, v18
	s_delay_alu instid0(VALU_DEP_2) | instskip(SKIP_3) | instid1(VALU_DEP_2)
	v_cmp_le_u64_e32 vcc_lo, s[10:11], v[16:17]
	s_waitcnt lgkmcnt(0)
	v_and_b32_e32 v25, s89, v12
	v_bfe_u32 v12, v12, s13, 2
	v_cmp_eq_u32_e64 s4, s88, v25
	s_delay_alu instid0(VALU_DEP_2) | instskip(SKIP_3) | instid1(VALU_DEP_4)
	v_cmp_eq_u32_e64 s5, 0, v12
	v_cmp_eq_u32_e64 s6, 1, v12
	;; [unrolled: 1-line block ×4, first 2 shown]
	s_and_b32 s5, s4, s5
	s_delay_alu instid0(SALU_CYCLE_1) | instskip(SKIP_1) | instid1(SALU_CYCLE_1)
	v_cndmask_b32_e64 v12, 0, 1, s5
	s_and_b32 s5, s4, s6
	v_cndmask_b32_e64 v25, 0, 1, s5
	s_and_b32 s5, s4, s7
	s_and_b32 s4, s4, s8
	v_cndmask_b32_e64 v26, 0, 1, s5
	v_cndmask_b32_e64 v27, 0, 1, s4
	v_cmp_ne_u32_e64 s4, 0, v12
	v_cmp_ne_u32_e64 s5, 0, v25
	s_delay_alu instid0(VALU_DEP_4) | instskip(NEXT) | instid1(VALU_DEP_4)
	v_cmp_ne_u32_e64 s6, 0, v26
	v_cmp_ne_u32_e64 s7, 0, v27
	s_delay_alu instid0(VALU_DEP_4) | instskip(NEXT) | instid1(VALU_DEP_3)
	s_bcnt1_i32_b32 s4, s4
	s_bcnt1_i32_b32 s5, s5
	v_add_co_u32 v2, s4, v2, s4
	s_delay_alu instid0(VALU_DEP_1)
	v_add_co_ci_u32_e64 v3, s4, 0, v3, s4
	v_add_co_u32 v4, s4, v4, s5
	s_bcnt1_i32_b32 s6, s6
	v_add_co_ci_u32_e64 v5, s4, 0, v5, s4
	v_add_co_u32 v6, s4, v6, s6
	s_bcnt1_i32_b32 s7, s7
	v_add_co_ci_u32_e64 v7, s4, 0, v7, s4
	v_add_co_u32 v8, s4, v8, s7
	s_delay_alu instid0(VALU_DEP_1) | instskip(SKIP_1) | instid1(SALU_CYCLE_1)
	v_add_co_ci_u32_e64 v9, s4, 0, v9, s4
	s_or_b32 s12, vcc_lo, s12
	s_and_not1_b32 exec_lo, exec_lo, s12
	s_cbranch_execnz .LBB77_69
; %bb.70:                               ;   in Loop: Header=BB77_15 Depth=1
	s_or_b32 exec_lo, exec_lo, s12
.LBB77_71:                              ;   in Loop: Header=BB77_15 Depth=1
	s_delay_alu instid0(SALU_CYCLE_1)
	s_or_b32 exec_lo, exec_lo, s9
.LBB77_72:                              ;   in Loop: Header=BB77_15 Depth=1
	s_lshl_b32 s4, s86, 7
	s_and_saveexec_b32 s5, s1
	s_cbranch_execz .LBB77_74
; %bb.73:                               ;   in Loop: Header=BB77_15 Depth=1
	v_or_b32_e32 v12, s4, v21
	s_delay_alu instid0(VALU_DEP_1)
	v_lshlrev_b32_e32 v12, 3, v12
	ds_store_b128 v12, v[2:5] offset:3072
	ds_store_b128 v12, v[6:9] offset:3088
.LBB77_74:                              ;   in Loop: Header=BB77_15 Depth=1
	s_or_b32 exec_lo, exec_lo, s5
	s_waitcnt vmcnt(0) lgkmcnt(0)
	s_barrier
	buffer_gl0_inv
	s_and_saveexec_b32 s5, s35
	s_cbranch_execz .LBB77_85
; %bb.75:                               ;   in Loop: Header=BB77_15 Depth=1
	v_mov_b32_e32 v2, 0
	v_mov_b32_e32 v3, 0
	s_and_not1_b32 vcc_lo, exec_lo, s75
	s_cbranch_vccnz .LBB77_84
; %bb.76:                               ;   in Loop: Header=BB77_15 Depth=1
	v_mov_b32_e32 v2, 0
	v_mov_b32_e32 v3, 0
	s_and_not1_b32 vcc_lo, exec_lo, s76
	s_cbranch_vccnz .LBB77_81
; %bb.77:                               ;   in Loop: Header=BB77_15 Depth=1
	v_lshl_add_u32 v4, s86, 10, v23
	s_mov_b32 s6, 0
	s_set_inst_prefetch_distance 0x1
	.p2align	6
.LBB77_78:                              ;   Parent Loop BB77_15 Depth=1
                                        ; =>  This Inner Loop Header: Depth=2
	ds_load_2addr_b64 v[5:8], v4 offset1:4
	ds_load_2addr_b64 v[16:19], v4 offset0:8 offset1:12
	ds_load_2addr_b64 v[25:28], v4 offset0:16 offset1:20
	s_add_i32 s6, s6, 8
	s_delay_alu instid0(SALU_CYCLE_1) | instskip(SKIP_3) | instid1(VALU_DEP_2)
	s_cmp_eq_u32 s77, s6
	s_waitcnt lgkmcnt(2)
	v_add_co_u32 v2, vcc_lo, v5, v2
	v_add_co_ci_u32_e32 v3, vcc_lo, v6, v3, vcc_lo
	v_add_co_u32 v2, vcc_lo, v7, v2
	s_delay_alu instid0(VALU_DEP_2)
	v_add_co_ci_u32_e32 v3, vcc_lo, v8, v3, vcc_lo
	ds_load_2addr_b64 v[5:8], v4 offset0:24 offset1:28
	s_waitcnt lgkmcnt(2)
	v_add_co_u32 v2, vcc_lo, v16, v2
	v_add_co_ci_u32_e32 v3, vcc_lo, v17, v3, vcc_lo
	v_add_nc_u32_e32 v4, 0x100, v4
	s_delay_alu instid0(VALU_DEP_3) | instskip(NEXT) | instid1(VALU_DEP_3)
	v_add_co_u32 v2, vcc_lo, v18, v2
	v_add_co_ci_u32_e32 v3, vcc_lo, v19, v3, vcc_lo
	s_waitcnt lgkmcnt(1)
	s_delay_alu instid0(VALU_DEP_2) | instskip(NEXT) | instid1(VALU_DEP_2)
	v_add_co_u32 v2, vcc_lo, v25, v2
	v_add_co_ci_u32_e32 v3, vcc_lo, v26, v3, vcc_lo
	s_delay_alu instid0(VALU_DEP_2) | instskip(NEXT) | instid1(VALU_DEP_2)
	v_add_co_u32 v2, vcc_lo, v27, v2
	v_add_co_ci_u32_e32 v3, vcc_lo, v28, v3, vcc_lo
	s_waitcnt lgkmcnt(0)
	s_delay_alu instid0(VALU_DEP_2) | instskip(NEXT) | instid1(VALU_DEP_2)
	v_add_co_u32 v2, vcc_lo, v5, v2
	v_add_co_ci_u32_e32 v3, vcc_lo, v6, v3, vcc_lo
	s_delay_alu instid0(VALU_DEP_2) | instskip(NEXT) | instid1(VALU_DEP_2)
	v_add_co_u32 v2, vcc_lo, v7, v2
	v_add_co_ci_u32_e32 v3, vcc_lo, v8, v3, vcc_lo
	s_cbranch_scc0 .LBB77_78
; %bb.79:                               ;   in Loop: Header=BB77_15 Depth=1
	s_set_inst_prefetch_distance 0x2
	s_mov_b32 s6, s77
	s_and_not1_b32 vcc_lo, exec_lo, s78
	s_cbranch_vccz .LBB77_82
	s_branch .LBB77_84
.LBB77_80:                              ;   in Loop: Header=BB77_15 Depth=1
                                        ; implicit-def: $vgpr2_vgpr3
	s_branch .LBB77_48
.LBB77_81:                              ;   in Loop: Header=BB77_15 Depth=1
	s_mov_b32 s6, 0
	s_and_not1_b32 vcc_lo, exec_lo, s78
	s_cbranch_vccnz .LBB77_84
.LBB77_82:                              ;   in Loop: Header=BB77_15 Depth=1
	s_lshl_b32 s7, s86, 10
	s_lshl_b32 s6, s6, 5
	s_delay_alu instid0(SALU_CYCLE_1)
	v_add3_u32 v4, s7, s6, v23
	s_mov_b32 s6, s74
.LBB77_83:                              ;   Parent Loop BB77_15 Depth=1
                                        ; =>  This Inner Loop Header: Depth=2
	ds_load_b64 v[5:6], v4
	v_add_nc_u32_e32 v4, 32, v4
	s_add_i32 s6, s6, -1
	s_delay_alu instid0(SALU_CYCLE_1)
	s_cmp_lg_u32 s6, 0
	s_waitcnt lgkmcnt(0)
	v_add_co_u32 v2, vcc_lo, v5, v2
	v_add_co_ci_u32_e32 v3, vcc_lo, v6, v3, vcc_lo
	s_cbranch_scc1 .LBB77_83
.LBB77_84:                              ;   in Loop: Header=BB77_15 Depth=1
	v_add_lshl_u32 v4, s4, v20, 3
	ds_store_b64 v4, v[2:3] offset:3072
.LBB77_85:                              ;   in Loop: Header=BB77_15 Depth=1
	s_or_b32 exec_lo, exec_lo, s5
	s_lshl_b32 s4, s4, 3
	s_waitcnt lgkmcnt(0)
	v_mov_b32_e32 v6, s4
	s_barrier
	buffer_gl0_inv
	s_and_b32 s17, s82, 0xfe
	s_mov_b32 s19, -1
	ds_load_b128 v[2:5], v6 offset:3072
	ds_load_b128 v[6:9], v6 offset:3088
	s_lshl_b32 s16, 3, s17
	s_delay_alu instid0(SALU_CYCLE_1)
	s_not_b32 s18, s16
	s_waitcnt lgkmcnt(1)
	v_readfirstlane_b32 s13, v3
	v_readfirstlane_b32 s12, v2
	v_readfirstlane_b32 s10, v4
	v_readfirstlane_b32 s11, v5
	s_waitcnt lgkmcnt(0)
	v_readfirstlane_b32 s8, v6
	v_readfirstlane_b32 s9, v7
	s_cmp_eq_u64 s[12:13], 1
	v_readfirstlane_b32 s6, v8
	s_cselect_b32 s4, -1, 0
	s_cmp_eq_u64 s[54:55], 1
	v_readfirstlane_b32 s7, v9
	s_cselect_b32 s5, -1, 0
	s_delay_alu instid0(SALU_CYCLE_1) | instskip(NEXT) | instid1(SALU_CYCLE_1)
	s_and_b32 s20, s4, s5
	s_and_b32 vcc_lo, exec_lo, s20
	s_cbranch_vccz .LBB77_99
; %bb.86:                               ;   in Loop: Header=BB77_15 Depth=1
	ds_load_b64 v[2:3], v13 offset:5120
	s_waitcnt lgkmcnt(0)
	s_barrier
	buffer_gl0_inv
	v_readfirstlane_b32 s14, v2
	v_readfirstlane_b32 s15, v3
	s_and_saveexec_b32 s4, s3
	s_cbranch_execz .LBB77_88
; %bb.87:                               ;   in Loop: Header=BB77_15 Depth=1
	ds_store_b8 v0, v13 offset:3072
.LBB77_88:                              ;   in Loop: Header=BB77_15 Depth=1
	s_or_b32 exec_lo, exec_lo, s4
	s_and_b32 s88, s88, s18
	s_or_b32 s89, s89, s16
	s_cmp_eq_u64 s[14:15], 0
	s_waitcnt lgkmcnt(0)
	s_barrier
	buffer_gl0_inv
	s_cbranch_scc1 .LBB77_100
; %bb.89:                               ;   in Loop: Header=BB77_15 Depth=1
	s_add_u32 s21, s47, s14
	s_addc_u32 s5, s72, s15
	s_mov_b32 s4, s57
	s_delay_alu instid0(SALU_CYCLE_1)
	s_cmp_lg_u64 s[4:5], 0
	s_cbranch_scc0 .LBB77_143
; %bb.90:                               ;   in Loop: Header=BB77_15 Depth=1
	v_cvt_f32_u32_e32 v2, s33
	s_sub_u32 s23, 0, s33
	s_subb_u32 s56, 0, 0
	s_delay_alu instid0(VALU_DEP_1) | instskip(NEXT) | instid1(VALU_DEP_1)
	v_fmac_f32_e64 v2, 0, 0x4f800000
	v_rcp_f32_e32 v2, v2
	s_waitcnt_depctr 0xfff
	v_mul_f32_e32 v2, 0x5f7ffffc, v2
	s_delay_alu instid0(VALU_DEP_1) | instskip(NEXT) | instid1(VALU_DEP_1)
	v_mul_f32_e32 v3, 0x2f800000, v2
	v_trunc_f32_e32 v3, v3
	s_delay_alu instid0(VALU_DEP_1) | instskip(SKIP_1) | instid1(VALU_DEP_2)
	v_fmac_f32_e32 v2, 0xcf800000, v3
	v_cvt_u32_f32_e32 v3, v3
	v_cvt_u32_f32_e32 v2, v2
	s_delay_alu instid0(VALU_DEP_2) | instskip(NEXT) | instid1(VALU_DEP_2)
	v_readfirstlane_b32 s4, v3
	v_readfirstlane_b32 s22, v2
	s_delay_alu instid0(VALU_DEP_2) | instskip(NEXT) | instid1(VALU_DEP_1)
	s_mul_i32 s58, s23, s4
	s_mul_hi_u32 s63, s23, s22
	s_mul_i32 s62, s56, s22
	s_add_i32 s58, s63, s58
	s_mul_i32 s64, s23, s22
	s_add_i32 s58, s58, s62
	s_mul_hi_u32 s63, s22, s64
	s_mul_hi_u32 s65, s4, s64
	s_mul_i32 s62, s4, s64
	s_mul_hi_u32 s64, s22, s58
	s_mul_i32 s22, s22, s58
	s_mul_hi_u32 s66, s4, s58
	s_add_u32 s22, s63, s22
	s_addc_u32 s63, 0, s64
	s_add_u32 s22, s22, s62
	s_mul_i32 s58, s4, s58
	s_addc_u32 s22, s63, s65
	s_addc_u32 s62, s66, 0
	s_add_u32 s22, s22, s58
	s_addc_u32 s58, 0, s62
	v_add_co_u32 v2, s22, v2, s22
	s_delay_alu instid0(VALU_DEP_1) | instskip(SKIP_1) | instid1(VALU_DEP_1)
	s_cmp_lg_u32 s22, 0
	s_addc_u32 s4, s4, s58
	v_readfirstlane_b32 s22, v2
	s_mul_i32 s58, s23, s4
	s_delay_alu instid0(VALU_DEP_1)
	s_mul_hi_u32 s62, s23, s22
	s_mul_i32 s56, s56, s22
	s_add_i32 s58, s62, s58
	s_mul_i32 s23, s23, s22
	s_add_i32 s58, s58, s56
	s_mul_hi_u32 s62, s4, s23
	s_mul_i32 s63, s4, s23
	s_mul_hi_u32 s23, s22, s23
	s_mul_hi_u32 s64, s22, s58
	s_mul_i32 s22, s22, s58
	s_mul_hi_u32 s56, s4, s58
	s_add_u32 s22, s23, s22
	s_addc_u32 s23, 0, s64
	s_add_u32 s22, s22, s63
	s_mul_i32 s58, s4, s58
	s_addc_u32 s22, s23, s62
	s_addc_u32 s23, s56, 0
	s_add_u32 s22, s22, s58
	s_addc_u32 s23, 0, s23
	v_add_co_u32 v2, s22, v2, s22
	s_delay_alu instid0(VALU_DEP_1) | instskip(SKIP_1) | instid1(VALU_DEP_1)
	s_cmp_lg_u32 s22, 0
	s_addc_u32 s4, s4, s23
	v_readfirstlane_b32 s22, v2
	s_mul_i32 s56, s21, s4
	s_mul_hi_u32 s23, s21, s4
	s_mul_hi_u32 s58, s5, s4
	s_mul_i32 s4, s5, s4
	s_mul_hi_u32 s62, s21, s22
	s_mul_hi_u32 s63, s5, s22
	s_mul_i32 s22, s5, s22
	s_add_u32 s56, s62, s56
	s_addc_u32 s23, 0, s23
	s_add_u32 s22, s56, s22
	s_addc_u32 s22, s23, s63
	s_addc_u32 s23, s58, 0
	s_add_u32 s4, s22, s4
	s_addc_u32 s22, 0, s23
	s_mul_hi_u32 s23, s33, s4
	s_mul_i32 s4, s33, s4
	s_mul_i32 s22, s33, s22
	v_sub_co_u32 v2, s4, s21, s4
	s_add_i32 s23, s23, s22
	s_cmp_lg_u32 s4, 0
	s_delay_alu instid0(VALU_DEP_1) | instskip(SKIP_2) | instid1(VALU_DEP_1)
	v_sub_co_u32 v3, s4, v2, s33
	s_subb_u32 s22, s5, s23
	s_cmp_lg_u32 s4, 0
	v_cmp_le_u32_e32 vcc_lo, s33, v3
	v_sub_co_u32 v4, s4, v3, s33
	s_subb_u32 s23, s22, 0
	s_cmp_lg_u32 s4, 0
	v_cndmask_b32_e64 v5, 0, -1, vcc_lo
	s_subb_u32 s4, s23, 0
	s_cmp_eq_u32 s23, 0
	v_mov_b32_e32 v7, s4
	s_cselect_b32 vcc_lo, -1, 0
	s_cmp_eq_u32 s22, 0
	v_cndmask_b32_e32 v5, -1, v5, vcc_lo
	v_cmp_le_u32_e32 vcc_lo, s33, v2
	s_cselect_b32 s4, -1, 0
	v_cndmask_b32_e64 v6, 0, -1, vcc_lo
	s_delay_alu instid0(VALU_DEP_3) | instskip(NEXT) | instid1(VALU_DEP_2)
	v_cmp_ne_u32_e32 vcc_lo, 0, v5
	v_cndmask_b32_e64 v5, -1, v6, s4
	v_cndmask_b32_e32 v6, s23, v7, vcc_lo
	v_cndmask_b32_e32 v4, v3, v4, vcc_lo
	s_delay_alu instid0(VALU_DEP_3) | instskip(NEXT) | instid1(VALU_DEP_3)
	v_cmp_ne_u32_e32 vcc_lo, 0, v5
	v_cndmask_b32_e32 v3, s22, v6, vcc_lo
	s_delay_alu instid0(VALU_DEP_3)
	v_cndmask_b32_e32 v2, v2, v4, vcc_lo
	s_cbranch_execnz .LBB77_92
.LBB77_91:                              ;   in Loop: Header=BB77_15 Depth=1
	v_cvt_f32_u32_e32 v2, s33
	s_sub_i32 s4, 0, s33
	s_delay_alu instid0(VALU_DEP_1) | instskip(SKIP_2) | instid1(VALU_DEP_1)
	v_rcp_iflag_f32_e32 v2, v2
	s_waitcnt_depctr 0xfff
	v_mul_f32_e32 v2, 0x4f7ffffe, v2
	v_cvt_u32_f32_e32 v2, v2
	s_delay_alu instid0(VALU_DEP_1) | instskip(NEXT) | instid1(VALU_DEP_1)
	v_mul_lo_u32 v3, s4, v2
	v_mul_hi_u32 v3, v2, v3
	s_delay_alu instid0(VALU_DEP_1) | instskip(NEXT) | instid1(VALU_DEP_1)
	v_add_nc_u32_e32 v2, v2, v3
	v_mul_hi_u32 v2, s21, v2
	s_delay_alu instid0(VALU_DEP_1) | instskip(NEXT) | instid1(VALU_DEP_1)
	v_mul_lo_u32 v2, v2, s33
	v_sub_nc_u32_e32 v2, s21, v2
	s_delay_alu instid0(VALU_DEP_1) | instskip(SKIP_1) | instid1(VALU_DEP_2)
	v_subrev_nc_u32_e32 v3, s33, v2
	v_cmp_le_u32_e32 vcc_lo, s33, v2
	v_cndmask_b32_e32 v2, v2, v3, vcc_lo
	s_delay_alu instid0(VALU_DEP_1) | instskip(SKIP_1) | instid1(VALU_DEP_2)
	v_subrev_nc_u32_e32 v3, s33, v2
	v_cmp_le_u32_e32 vcc_lo, s33, v2
	v_cndmask_b32_e32 v12, v2, v3, vcc_lo
	s_delay_alu instid0(VALU_DEP_1)
	v_dual_mov_b32 v2, v12 :: v_dual_mov_b32 v3, v13
.LBB77_92:                              ;   in Loop: Header=BB77_15 Depth=1
	s_delay_alu instid0(VALU_DEP_1) | instskip(NEXT) | instid1(VALU_DEP_2)
	v_sub_co_u32 v2, vcc_lo, s21, v2
	v_sub_co_ci_u32_e32 v3, vcc_lo, s5, v3, vcc_lo
	s_mov_b32 s4, 0
	s_mov_b32 s5, exec_lo
                                        ; implicit-def: $vgpr24
	s_delay_alu instid0(VALU_DEP_1)
	v_cmpx_gt_u64_e64 v[2:3], v[0:1]
	s_cbranch_execz .LBB77_102
; %bb.93:                               ;   in Loop: Header=BB77_15 Depth=1
	v_dual_mov_b32 v6, v0 :: v_dual_mov_b32 v5, v1
	v_mov_b32_e32 v4, v0
	s_mov_b32 s21, 0
                                        ; implicit-def: $sgpr22
	s_set_inst_prefetch_distance 0x1
	s_branch .LBB77_95
	.p2align	6
.LBB77_94:                              ;   in Loop: Header=BB77_95 Depth=2
	s_or_b32 exec_lo, exec_lo, s4
	s_waitcnt lgkmcnt(0)
	s_barrier
	buffer_gl0_inv
	ds_load_u16 v7, v13 offset:3072
	v_add_co_u32 v4, vcc_lo, v4, s33
	v_add_co_ci_u32_e32 v5, vcc_lo, 0, v5, vcc_lo
	v_add_nc_u32_e32 v6, s33, v6
	s_waitcnt lgkmcnt(0)
	s_barrier
	s_delay_alu instid0(VALU_DEP_2) | instskip(SKIP_2) | instid1(VALU_DEP_1)
	v_cmp_ge_u64_e32 vcc_lo, v[4:5], v[2:3]
	buffer_gl0_inv
	v_and_b32_e32 v8, 0xff, v7
	v_cmp_ne_u16_e64 s4, 0, v8
	s_delay_alu instid0(VALU_DEP_1) | instskip(NEXT) | instid1(SALU_CYCLE_1)
	s_or_b32 s23, vcc_lo, s4
	s_and_b32 s23, exec_lo, s23
	s_delay_alu instid0(SALU_CYCLE_1) | instskip(SKIP_2) | instid1(SALU_CYCLE_1)
	s_or_b32 s21, s23, s21
	s_and_not1_b32 s22, s22, exec_lo
	s_and_b32 s4, s4, exec_lo
	s_or_b32 s22, s22, s4
	s_and_not1_b32 exec_lo, exec_lo, s21
	s_cbranch_execz .LBB77_101
.LBB77_95:                              ;   Parent Loop BB77_15 Depth=1
                                        ; =>  This Inner Loop Header: Depth=2
	s_delay_alu instid0(VALU_DEP_1)
	v_cmp_gt_u64_e32 vcc_lo, s[14:15], v[4:5]
	v_mov_b32_e32 v7, 0
	s_and_saveexec_b32 s4, vcc_lo
	s_cbranch_execz .LBB77_97
; %bb.96:                               ;   in Loop: Header=BB77_95 Depth=2
	ds_load_u8 v7, v6
.LBB77_97:                              ;   in Loop: Header=BB77_95 Depth=2
	s_or_b32 exec_lo, exec_lo, s4
	s_waitcnt lgkmcnt(0)
	v_and_b32_e32 v8, s89, v7
	s_delay_alu instid0(VALU_DEP_1) | instskip(NEXT) | instid1(VALU_DEP_1)
	v_and_b32_e32 v8, 0xff, v8
	v_cmp_eq_u32_e64 s4, s88, v8
	s_delay_alu instid0(VALU_DEP_1) | instskip(NEXT) | instid1(SALU_CYCLE_1)
	s_and_b32 s23, vcc_lo, s4
	s_and_saveexec_b32 s4, s23
	s_cbranch_execz .LBB77_94
; %bb.98:                               ;   in Loop: Header=BB77_95 Depth=2
	v_lshlrev_b16 v7, 8, v7
	s_delay_alu instid0(VALU_DEP_1)
	v_or_b32_e32 v7, 1, v7
	ds_store_b16 v13, v7 offset:3072
	s_branch .LBB77_94
.LBB77_99:                              ;   in Loop: Header=BB77_15 Depth=1
	s_mov_b32 s4, -1
                                        ; implicit-def: $sgpr5
                                        ; implicit-def: $sgpr15
                                        ; implicit-def: $sgpr14
	s_branch .LBB77_115
.LBB77_100:                             ;   in Loop: Header=BB77_15 Depth=1
	s_mov_b32 s5, -1
	s_mov_b32 s4, 0
                                        ; implicit-def: $sgpr14
                                        ; implicit-def: $vgpr24
	s_mov_b32 s15, s5
	s_cbranch_execnz .LBB77_103
	s_branch .LBB77_115
.LBB77_101:                             ;   in Loop: Header=BB77_15 Depth=1
	s_set_inst_prefetch_distance 0x2
	s_or_b32 exec_lo, exec_lo, s21
	v_lshrrev_b16 v24, 8, v7
	s_and_b32 s4, s22, exec_lo
.LBB77_102:                             ;   in Loop: Header=BB77_15 Depth=1
	s_or_b32 exec_lo, exec_lo, s5
	s_mov_b32 s14, -1
	s_mov_b32 s5, 0
	s_delay_alu instid0(SALU_CYCLE_1)
	s_mov_b32 s15, s5
	s_branch .LBB77_115
.LBB77_103:                             ;   in Loop: Header=BB77_15 Depth=1
	s_mov_b32 s58, s57
	s_delay_alu instid0(SALU_CYCLE_1)
	s_cmp_lg_u64 s[58:59], 0
	s_cbranch_scc0 .LBB77_144
; %bb.104:                              ;   in Loop: Header=BB77_15 Depth=1
	v_cvt_f32_u32_e32 v2, s33
	s_sub_u32 s14, 0, s33
	s_subb_u32 s15, 0, 0
	s_delay_alu instid0(VALU_DEP_1) | instskip(NEXT) | instid1(VALU_DEP_1)
	v_fmac_f32_e64 v2, 0, 0x4f800000
	v_rcp_f32_e32 v2, v2
	s_waitcnt_depctr 0xfff
	v_mul_f32_e32 v2, 0x5f7ffffc, v2
	s_delay_alu instid0(VALU_DEP_1) | instskip(NEXT) | instid1(VALU_DEP_1)
	v_mul_f32_e32 v3, 0x2f800000, v2
	v_trunc_f32_e32 v3, v3
	s_delay_alu instid0(VALU_DEP_1) | instskip(SKIP_1) | instid1(VALU_DEP_2)
	v_fmac_f32_e32 v2, 0xcf800000, v3
	v_cvt_u32_f32_e32 v3, v3
	v_cvt_u32_f32_e32 v2, v2
	s_delay_alu instid0(VALU_DEP_2) | instskip(NEXT) | instid1(VALU_DEP_2)
	v_readfirstlane_b32 s4, v3
	v_readfirstlane_b32 s5, v2
	s_delay_alu instid0(VALU_DEP_2) | instskip(NEXT) | instid1(VALU_DEP_1)
	s_mul_i32 s21, s14, s4
	s_mul_hi_u32 s23, s14, s5
	s_mul_i32 s22, s15, s5
	s_add_i32 s21, s23, s21
	s_mul_i32 s56, s14, s5
	s_add_i32 s21, s21, s22
	s_mul_hi_u32 s23, s5, s56
	s_mul_hi_u32 s58, s4, s56
	s_mul_i32 s22, s4, s56
	s_mul_hi_u32 s56, s5, s21
	s_mul_i32 s5, s5, s21
	s_mul_hi_u32 s62, s4, s21
	s_add_u32 s5, s23, s5
	s_addc_u32 s23, 0, s56
	s_add_u32 s5, s5, s22
	s_mul_i32 s21, s4, s21
	s_addc_u32 s5, s23, s58
	s_addc_u32 s22, s62, 0
	s_add_u32 s5, s5, s21
	s_addc_u32 s21, 0, s22
	v_add_co_u32 v2, s5, v2, s5
	s_delay_alu instid0(VALU_DEP_1) | instskip(SKIP_1) | instid1(VALU_DEP_1)
	s_cmp_lg_u32 s5, 0
	s_addc_u32 s4, s4, s21
	v_readfirstlane_b32 s5, v2
	s_mul_i32 s21, s14, s4
	s_delay_alu instid0(VALU_DEP_1)
	s_mul_hi_u32 s22, s14, s5
	s_mul_i32 s15, s15, s5
	s_add_i32 s21, s22, s21
	s_mul_i32 s14, s14, s5
	s_add_i32 s21, s21, s15
	s_mul_hi_u32 s22, s4, s14
	s_mul_i32 s23, s4, s14
	s_mul_hi_u32 s14, s5, s14
	s_mul_hi_u32 s56, s5, s21
	s_mul_i32 s5, s5, s21
	s_mul_hi_u32 s15, s4, s21
	s_add_u32 s5, s14, s5
	s_addc_u32 s14, 0, s56
	s_add_u32 s5, s5, s23
	s_mul_i32 s21, s4, s21
	s_addc_u32 s5, s14, s22
	s_addc_u32 s14, s15, 0
	s_add_u32 s5, s5, s21
	s_addc_u32 s14, 0, s14
	v_add_co_u32 v2, s5, v2, s5
	s_delay_alu instid0(VALU_DEP_1) | instskip(SKIP_1) | instid1(VALU_DEP_1)
	s_cmp_lg_u32 s5, 0
	s_addc_u32 s4, s4, s14
	v_readfirstlane_b32 s5, v2
	s_mul_i32 s15, s73, s4
	s_mul_hi_u32 s14, s73, s4
	s_mul_hi_u32 s21, s59, s4
	s_mul_i32 s4, s59, s4
	s_mul_hi_u32 s22, s73, s5
	s_mul_hi_u32 s23, s59, s5
	s_mul_i32 s5, s59, s5
	s_add_u32 s15, s22, s15
	s_addc_u32 s14, 0, s14
	s_add_u32 s5, s15, s5
	s_addc_u32 s5, s14, s23
	s_addc_u32 s14, s21, 0
	s_add_u32 s4, s5, s4
	s_addc_u32 s5, 0, s14
	s_mul_hi_u32 s14, s33, s4
	s_mul_i32 s4, s33, s4
	s_mul_i32 s5, s33, s5
	v_sub_co_u32 v2, s4, s73, s4
	s_add_i32 s14, s14, s5
	s_cmp_lg_u32 s4, 0
	s_delay_alu instid0(VALU_DEP_1) | instskip(SKIP_2) | instid1(VALU_DEP_1)
	v_sub_co_u32 v3, s4, v2, s33
	s_subb_u32 s5, s59, s14
	s_cmp_lg_u32 s4, 0
	v_cmp_le_u32_e32 vcc_lo, s33, v3
	v_sub_co_u32 v4, s4, v3, s33
	s_subb_u32 s14, s5, 0
	s_cmp_lg_u32 s4, 0
	v_cndmask_b32_e64 v5, 0, -1, vcc_lo
	s_subb_u32 s4, s14, 0
	s_cmp_eq_u32 s14, 0
	v_mov_b32_e32 v7, s4
	s_cselect_b32 vcc_lo, -1, 0
	s_cmp_eq_u32 s5, 0
	v_cndmask_b32_e32 v5, -1, v5, vcc_lo
	v_cmp_le_u32_e32 vcc_lo, s33, v2
	s_cselect_b32 s4, -1, 0
	v_cndmask_b32_e64 v6, 0, -1, vcc_lo
	s_delay_alu instid0(VALU_DEP_3) | instskip(NEXT) | instid1(VALU_DEP_2)
	v_cmp_ne_u32_e32 vcc_lo, 0, v5
	v_cndmask_b32_e64 v5, -1, v6, s4
	v_cndmask_b32_e32 v6, s14, v7, vcc_lo
	v_cndmask_b32_e32 v4, v3, v4, vcc_lo
	s_delay_alu instid0(VALU_DEP_3) | instskip(NEXT) | instid1(VALU_DEP_3)
	v_cmp_ne_u32_e32 vcc_lo, 0, v5
	v_cndmask_b32_e32 v3, s5, v6, vcc_lo
	s_delay_alu instid0(VALU_DEP_3)
	v_cndmask_b32_e32 v2, v2, v4, vcc_lo
	s_cbranch_execnz .LBB77_106
.LBB77_105:                             ;   in Loop: Header=BB77_15 Depth=1
	v_cvt_f32_u32_e32 v2, s33
	s_sub_i32 s4, 0, s33
	s_delay_alu instid0(VALU_DEP_1) | instskip(SKIP_2) | instid1(VALU_DEP_1)
	v_rcp_iflag_f32_e32 v2, v2
	s_waitcnt_depctr 0xfff
	v_mul_f32_e32 v2, 0x4f7ffffe, v2
	v_cvt_u32_f32_e32 v2, v2
	s_delay_alu instid0(VALU_DEP_1) | instskip(NEXT) | instid1(VALU_DEP_1)
	v_mul_lo_u32 v3, s4, v2
	v_mul_hi_u32 v3, v2, v3
	s_delay_alu instid0(VALU_DEP_1) | instskip(NEXT) | instid1(VALU_DEP_1)
	v_add_nc_u32_e32 v2, v2, v3
	v_mul_hi_u32 v2, s73, v2
	s_delay_alu instid0(VALU_DEP_1) | instskip(NEXT) | instid1(VALU_DEP_1)
	v_mul_lo_u32 v2, v2, s33
	v_sub_nc_u32_e32 v2, s73, v2
	s_delay_alu instid0(VALU_DEP_1) | instskip(SKIP_1) | instid1(VALU_DEP_2)
	v_subrev_nc_u32_e32 v3, s33, v2
	v_cmp_le_u32_e32 vcc_lo, s33, v2
	v_cndmask_b32_e32 v2, v2, v3, vcc_lo
	s_delay_alu instid0(VALU_DEP_1) | instskip(SKIP_1) | instid1(VALU_DEP_2)
	v_subrev_nc_u32_e32 v3, s33, v2
	v_cmp_le_u32_e32 vcc_lo, s33, v2
	v_cndmask_b32_e32 v12, v2, v3, vcc_lo
	s_delay_alu instid0(VALU_DEP_1)
	v_dual_mov_b32 v2, v12 :: v_dual_mov_b32 v3, v13
.LBB77_106:                             ;   in Loop: Header=BB77_15 Depth=1
	s_delay_alu instid0(VALU_DEP_1) | instskip(NEXT) | instid1(VALU_DEP_2)
	v_sub_co_u32 v2, vcc_lo, s73, v2
	v_sub_co_ci_u32_e32 v3, vcc_lo, s59, v3, vcc_lo
	s_mov_b32 s4, 0
	s_mov_b32 s5, exec_lo
                                        ; implicit-def: $vgpr24
	s_delay_alu instid0(VALU_DEP_1)
	v_cmpx_gt_u64_e64 v[2:3], v[0:1]
	s_cbranch_execz .LBB77_114
; %bb.107:                              ;   in Loop: Header=BB77_15 Depth=1
	v_dual_mov_b32 v5, v1 :: v_dual_mov_b32 v4, v0
	s_mov_b32 s14, 0
                                        ; implicit-def: $sgpr15
	s_branch .LBB77_109
.LBB77_108:                             ;   in Loop: Header=BB77_109 Depth=2
	s_or_b32 exec_lo, exec_lo, s4
	s_waitcnt lgkmcnt(0)
	s_barrier
	buffer_gl0_inv
	ds_load_u16 v6, v13 offset:3072
	v_add_co_u32 v4, vcc_lo, v4, s33
	v_add_co_ci_u32_e32 v5, vcc_lo, 0, v5, vcc_lo
	s_waitcnt lgkmcnt(0)
	s_barrier
	buffer_gl0_inv
	v_cmp_ge_u64_e32 vcc_lo, v[4:5], v[2:3]
	v_and_b32_e32 v7, 0xff, v6
	s_delay_alu instid0(VALU_DEP_1) | instskip(NEXT) | instid1(VALU_DEP_1)
	v_cmp_ne_u16_e64 s4, 0, v7
	s_or_b32 s21, vcc_lo, s4
	s_delay_alu instid0(SALU_CYCLE_1) | instskip(NEXT) | instid1(SALU_CYCLE_1)
	s_and_b32 s21, exec_lo, s21
	s_or_b32 s14, s21, s14
	s_and_not1_b32 s15, s15, exec_lo
	s_and_b32 s4, s4, exec_lo
	s_delay_alu instid0(SALU_CYCLE_1)
	s_or_b32 s15, s15, s4
	s_and_not1_b32 exec_lo, exec_lo, s14
	s_cbranch_execz .LBB77_113
.LBB77_109:                             ;   Parent Loop BB77_15 Depth=1
                                        ; =>  This Inner Loop Header: Depth=2
	s_delay_alu instid0(VALU_DEP_1)
	v_cmp_gt_u64_e32 vcc_lo, s[24:25], v[4:5]
	v_mov_b32_e32 v6, 0
	s_and_saveexec_b32 s4, vcc_lo
	s_cbranch_execz .LBB77_111
; %bb.110:                              ;   in Loop: Header=BB77_109 Depth=2
	v_mad_u64_u32 v[6:7], null, v4, s42, s[50:51]
	v_mul_lo_u32 v8, v4, s43
	v_mul_lo_u32 v9, v5, s42
	s_delay_alu instid0(VALU_DEP_1)
	v_add3_u32 v7, v9, v7, v8
	global_load_u8 v6, v[6:7], off
.LBB77_111:                             ;   in Loop: Header=BB77_109 Depth=2
	s_or_b32 exec_lo, exec_lo, s4
	s_waitcnt vmcnt(0)
	v_and_b32_e32 v7, s89, v6
	s_delay_alu instid0(VALU_DEP_1) | instskip(NEXT) | instid1(VALU_DEP_1)
	v_and_b32_e32 v7, 0xff, v7
	v_cmp_eq_u32_e64 s4, s88, v7
	s_delay_alu instid0(VALU_DEP_1) | instskip(NEXT) | instid1(SALU_CYCLE_1)
	s_and_b32 s21, vcc_lo, s4
	s_and_saveexec_b32 s4, s21
	s_cbranch_execz .LBB77_108
; %bb.112:                              ;   in Loop: Header=BB77_109 Depth=2
	v_lshlrev_b16 v6, 8, v6
	s_delay_alu instid0(VALU_DEP_1)
	v_or_b32_e32 v6, 1, v6
	ds_store_b16 v13, v6 offset:3072
	s_branch .LBB77_108
.LBB77_113:                             ;   in Loop: Header=BB77_15 Depth=1
	s_or_b32 exec_lo, exec_lo, s14
	v_lshrrev_b16 v24, 8, v6
	s_and_b32 s4, s15, exec_lo
.LBB77_114:                             ;   in Loop: Header=BB77_15 Depth=1
	s_or_b32 exec_lo, exec_lo, s5
	s_mov_b32 s15, -1
	s_mov_b32 s5, 0
	s_mov_b32 s14, 0
.LBB77_115:                             ;   in Loop: Header=BB77_15 Depth=1
	s_and_not1_b32 s21, s84, exec_lo
	s_and_b32 s5, s5, exec_lo
	s_and_b32 s15, s15, exec_lo
	s_or_b32 s84, s21, s5
	s_and_not1_b32 s5, s87, exec_lo
	s_and_not1_b32 s21, s85, exec_lo
	s_and_b32 s14, s14, exec_lo
	s_or_b32 s87, s5, s15
	s_or_b32 s85, s21, s14
	s_and_saveexec_b32 s14, s4
	s_cbranch_execz .LBB77_14
; %bb.116:                              ;   in Loop: Header=BB77_15 Depth=1
	s_xor_b32 s4, s20, -1
	s_mov_b32 s56, 1
	s_and_not1_b32 vcc_lo, exec_lo, s4
	s_cbranch_vccnz .LBB77_127
; %bb.117:                              ;   in Loop: Header=BB77_15 Depth=1
	v_cmp_gt_u64_e64 s4, s[54:55], s[12:13]
                                        ; implicit-def: $sgpr56
                                        ; implicit-def: $sgpr5
                                        ; implicit-def: $sgpr15
	s_delay_alu instid0(VALU_DEP_1)
	s_and_b32 vcc_lo, exec_lo, s4
	s_mov_b32 s4, -1
	s_cbranch_vccnz .LBB77_123
; %bb.118:                              ;   in Loop: Header=BB77_15 Depth=1
	ds_load_b64 v[2:3], v13 offset:5120
	s_waitcnt lgkmcnt(0)
	v_cmp_ne_u64_e32 vcc_lo, 0, v[2:3]
	s_cbranch_vccnz .LBB77_122
; %bb.119:                              ;   in Loop: Header=BB77_15 Depth=1
	s_and_saveexec_b32 s4, s2
	s_cbranch_execz .LBB77_121
; %bb.120:                              ;   in Loop: Header=BB77_15 Depth=1
	v_dual_mov_b32 v2, s12 :: v_dual_mov_b32 v3, s13
	ds_store_b64 v13, v[2:3] offset:5128
.LBB77_121:                             ;   in Loop: Header=BB77_15 Depth=1
	s_or_b32 exec_lo, exec_lo, s4
	s_waitcnt lgkmcnt(0)
	s_barrier
	buffer_gl0_inv
.LBB77_122:                             ;   in Loop: Header=BB77_15 Depth=1
	s_and_b32 s5, s88, s18
	s_or_b32 s15, s89, s16
	s_mov_b32 s4, 0
	s_mov_b32 s56, 8
.LBB77_123:                             ;   in Loop: Header=BB77_15 Depth=1
	s_and_not1_b32 vcc_lo, exec_lo, s4
	s_cbranch_vccnz .LBB77_125
; %bb.124:                              ;   in Loop: Header=BB77_15 Depth=1
	s_sub_u32 s54, s54, s12
	s_subb_u32 s55, s55, s13
	s_mov_b32 s4, -1
	s_mov_b32 s56, 0
	s_mov_b32 s5, s88
	;; [unrolled: 1-line block ×3, first 2 shown]
.LBB77_125:                             ;   in Loop: Header=BB77_15 Depth=1
	s_delay_alu instid0(SALU_CYCLE_1)
	s_mov_b32 s89, s15
	s_mov_b32 s88, s5
	s_and_b32 vcc_lo, exec_lo, s4
	s_mov_b32 s15, -1
	s_cbranch_vccnz .LBB77_128
.LBB77_126:                             ;   in Loop: Header=BB77_15 Depth=1
	s_mov_b32 s5, -1
                                        ; implicit-def: $sgpr12
                                        ; implicit-def: $sgpr19
                                        ; implicit-def: $sgpr13
	s_delay_alu instid0(SALU_CYCLE_1) | instskip(NEXT) | instid1(SALU_CYCLE_1)
	s_and_saveexec_b32 s4, s5
	s_xor_b32 s4, exec_lo, s4
	s_cbranch_execz .LBB77_13
	s_branch .LBB77_268
.LBB77_127:                             ;   in Loop: Header=BB77_15 Depth=1
	s_mov_b64 s[54:55], 1
	s_mov_b32 s15, -1
	s_branch .LBB77_126
.LBB77_128:                             ;   in Loop: Header=BB77_15 Depth=1
	s_cmp_eq_u64 s[10:11], 1
	s_cselect_b32 s4, -1, 0
	s_cmp_eq_u64 s[54:55], 1
	s_cselect_b32 s5, -1, 0
	s_delay_alu instid0(SALU_CYCLE_1)
	s_and_b32 s21, s4, s5
	s_mov_b32 s4, -1
	s_and_b32 vcc_lo, exec_lo, s21
	s_cbranch_vccz .LBB77_142
; %bb.129:                              ;   in Loop: Header=BB77_15 Depth=1
	ds_load_b64 v[2:3], v13 offset:5120
	s_waitcnt lgkmcnt(0)
	s_barrier
	buffer_gl0_inv
	v_readfirstlane_b32 s12, v2
	v_readfirstlane_b32 s13, v3
	s_and_saveexec_b32 s4, s3
	s_cbranch_execz .LBB77_131
; %bb.130:                              ;   in Loop: Header=BB77_15 Depth=1
	ds_store_b8 v0, v13 offset:3072
.LBB77_131:                             ;   in Loop: Header=BB77_15 Depth=1
	s_or_b32 exec_lo, exec_lo, s4
	s_lshl_b32 s4, 1, s17
	s_and_b32 s5, s88, s18
	s_or_b32 s89, s89, s16
	s_or_b32 s88, s5, s4
	s_cmp_eq_u64 s[12:13], 0
	s_waitcnt lgkmcnt(0)
	s_barrier
	buffer_gl0_inv
	s_cbranch_scc1 .LBB77_145
; %bb.132:                              ;   in Loop: Header=BB77_15 Depth=1
	s_add_u32 s19, s47, s12
	s_addc_u32 s5, s72, s13
	s_mov_b32 s4, s57
	s_delay_alu instid0(SALU_CYCLE_1)
	s_cmp_lg_u64 s[4:5], 0
	s_cbranch_scc0 .LBB77_188
; %bb.133:                              ;   in Loop: Header=BB77_15 Depth=1
	v_cvt_f32_u32_e32 v2, s33
	s_sub_u32 s22, 0, s33
	s_subb_u32 s23, 0, 0
	s_delay_alu instid0(VALU_DEP_1) | instskip(NEXT) | instid1(VALU_DEP_1)
	v_fmac_f32_e64 v2, 0, 0x4f800000
	v_rcp_f32_e32 v2, v2
	s_waitcnt_depctr 0xfff
	v_mul_f32_e32 v2, 0x5f7ffffc, v2
	s_delay_alu instid0(VALU_DEP_1) | instskip(NEXT) | instid1(VALU_DEP_1)
	v_mul_f32_e32 v3, 0x2f800000, v2
	v_trunc_f32_e32 v3, v3
	s_delay_alu instid0(VALU_DEP_1) | instskip(SKIP_1) | instid1(VALU_DEP_2)
	v_fmac_f32_e32 v2, 0xcf800000, v3
	v_cvt_u32_f32_e32 v3, v3
	v_cvt_u32_f32_e32 v2, v2
	s_delay_alu instid0(VALU_DEP_2) | instskip(NEXT) | instid1(VALU_DEP_2)
	v_readfirstlane_b32 s4, v3
	v_readfirstlane_b32 s20, v2
	s_delay_alu instid0(VALU_DEP_2) | instskip(NEXT) | instid1(VALU_DEP_1)
	s_mul_i32 s56, s22, s4
	s_mul_hi_u32 s62, s22, s20
	s_mul_i32 s58, s23, s20
	s_add_i32 s56, s62, s56
	s_mul_i32 s63, s22, s20
	s_add_i32 s56, s56, s58
	s_mul_hi_u32 s62, s20, s63
	s_mul_hi_u32 s64, s4, s63
	s_mul_i32 s58, s4, s63
	s_mul_hi_u32 s63, s20, s56
	s_mul_i32 s20, s20, s56
	s_mul_hi_u32 s65, s4, s56
	s_add_u32 s20, s62, s20
	s_addc_u32 s62, 0, s63
	s_add_u32 s20, s20, s58
	s_mul_i32 s56, s4, s56
	s_addc_u32 s20, s62, s64
	s_addc_u32 s58, s65, 0
	s_add_u32 s20, s20, s56
	s_addc_u32 s56, 0, s58
	v_add_co_u32 v2, s20, v2, s20
	s_delay_alu instid0(VALU_DEP_1) | instskip(SKIP_1) | instid1(VALU_DEP_1)
	s_cmp_lg_u32 s20, 0
	s_addc_u32 s4, s4, s56
	v_readfirstlane_b32 s20, v2
	s_mul_i32 s56, s22, s4
	s_delay_alu instid0(VALU_DEP_1)
	s_mul_hi_u32 s58, s22, s20
	s_mul_i32 s23, s23, s20
	s_add_i32 s56, s58, s56
	s_mul_i32 s22, s22, s20
	s_add_i32 s56, s56, s23
	s_mul_hi_u32 s58, s4, s22
	s_mul_i32 s62, s4, s22
	s_mul_hi_u32 s22, s20, s22
	s_mul_hi_u32 s63, s20, s56
	s_mul_i32 s20, s20, s56
	s_mul_hi_u32 s23, s4, s56
	s_add_u32 s20, s22, s20
	s_addc_u32 s22, 0, s63
	s_add_u32 s20, s20, s62
	s_mul_i32 s56, s4, s56
	s_addc_u32 s20, s22, s58
	s_addc_u32 s22, s23, 0
	s_add_u32 s20, s20, s56
	s_addc_u32 s22, 0, s22
	v_add_co_u32 v2, s20, v2, s20
	s_delay_alu instid0(VALU_DEP_1) | instskip(SKIP_1) | instid1(VALU_DEP_1)
	s_cmp_lg_u32 s20, 0
	s_addc_u32 s4, s4, s22
	v_readfirstlane_b32 s20, v2
	s_mul_i32 s23, s19, s4
	s_mul_hi_u32 s22, s19, s4
	s_mul_hi_u32 s56, s5, s4
	s_mul_i32 s4, s5, s4
	s_mul_hi_u32 s58, s19, s20
	s_mul_hi_u32 s62, s5, s20
	s_mul_i32 s20, s5, s20
	s_add_u32 s23, s58, s23
	s_addc_u32 s22, 0, s22
	s_add_u32 s20, s23, s20
	s_addc_u32 s20, s22, s62
	s_addc_u32 s22, s56, 0
	s_add_u32 s4, s20, s4
	s_addc_u32 s20, 0, s22
	s_mul_hi_u32 s22, s33, s4
	s_mul_i32 s4, s33, s4
	s_mul_i32 s20, s33, s20
	v_sub_co_u32 v2, s4, s19, s4
	s_add_i32 s22, s22, s20
	s_cmp_lg_u32 s4, 0
	s_delay_alu instid0(VALU_DEP_1) | instskip(SKIP_2) | instid1(VALU_DEP_1)
	v_sub_co_u32 v3, s4, v2, s33
	s_subb_u32 s20, s5, s22
	s_cmp_lg_u32 s4, 0
	v_cmp_le_u32_e32 vcc_lo, s33, v3
	v_sub_co_u32 v4, s4, v3, s33
	s_subb_u32 s22, s20, 0
	s_cmp_lg_u32 s4, 0
	v_cndmask_b32_e64 v5, 0, -1, vcc_lo
	s_subb_u32 s4, s22, 0
	s_cmp_eq_u32 s22, 0
	v_mov_b32_e32 v7, s4
	s_cselect_b32 vcc_lo, -1, 0
	s_cmp_eq_u32 s20, 0
	v_cndmask_b32_e32 v5, -1, v5, vcc_lo
	v_cmp_le_u32_e32 vcc_lo, s33, v2
	s_cselect_b32 s4, -1, 0
	v_cndmask_b32_e64 v6, 0, -1, vcc_lo
	s_delay_alu instid0(VALU_DEP_3) | instskip(NEXT) | instid1(VALU_DEP_2)
	v_cmp_ne_u32_e32 vcc_lo, 0, v5
	v_cndmask_b32_e64 v5, -1, v6, s4
	v_cndmask_b32_e32 v6, s22, v7, vcc_lo
	v_cndmask_b32_e32 v4, v3, v4, vcc_lo
	s_delay_alu instid0(VALU_DEP_3) | instskip(NEXT) | instid1(VALU_DEP_3)
	v_cmp_ne_u32_e32 vcc_lo, 0, v5
	v_cndmask_b32_e32 v3, s20, v6, vcc_lo
	s_delay_alu instid0(VALU_DEP_3)
	v_cndmask_b32_e32 v2, v2, v4, vcc_lo
	s_cbranch_execnz .LBB77_135
.LBB77_134:                             ;   in Loop: Header=BB77_15 Depth=1
	v_cvt_f32_u32_e32 v2, s33
	s_sub_i32 s4, 0, s33
	s_delay_alu instid0(VALU_DEP_1) | instskip(SKIP_2) | instid1(VALU_DEP_1)
	v_rcp_iflag_f32_e32 v2, v2
	s_waitcnt_depctr 0xfff
	v_mul_f32_e32 v2, 0x4f7ffffe, v2
	v_cvt_u32_f32_e32 v2, v2
	s_delay_alu instid0(VALU_DEP_1) | instskip(NEXT) | instid1(VALU_DEP_1)
	v_mul_lo_u32 v3, s4, v2
	v_mul_hi_u32 v3, v2, v3
	s_delay_alu instid0(VALU_DEP_1) | instskip(NEXT) | instid1(VALU_DEP_1)
	v_add_nc_u32_e32 v2, v2, v3
	v_mul_hi_u32 v2, s19, v2
	s_delay_alu instid0(VALU_DEP_1) | instskip(NEXT) | instid1(VALU_DEP_1)
	v_mul_lo_u32 v2, v2, s33
	v_sub_nc_u32_e32 v2, s19, v2
	s_delay_alu instid0(VALU_DEP_1) | instskip(SKIP_1) | instid1(VALU_DEP_2)
	v_subrev_nc_u32_e32 v3, s33, v2
	v_cmp_le_u32_e32 vcc_lo, s33, v2
	v_cndmask_b32_e32 v2, v2, v3, vcc_lo
	s_delay_alu instid0(VALU_DEP_1) | instskip(SKIP_1) | instid1(VALU_DEP_2)
	v_subrev_nc_u32_e32 v3, s33, v2
	v_cmp_le_u32_e32 vcc_lo, s33, v2
	v_cndmask_b32_e32 v12, v2, v3, vcc_lo
	s_delay_alu instid0(VALU_DEP_1)
	v_dual_mov_b32 v2, v12 :: v_dual_mov_b32 v3, v13
.LBB77_135:                             ;   in Loop: Header=BB77_15 Depth=1
	s_delay_alu instid0(VALU_DEP_1) | instskip(NEXT) | instid1(VALU_DEP_2)
	v_sub_co_u32 v2, vcc_lo, s19, v2
	v_sub_co_ci_u32_e32 v3, vcc_lo, s5, v3, vcc_lo
	s_mov_b32 s4, 0
	s_mov_b32 s5, exec_lo
                                        ; implicit-def: $vgpr24
	s_delay_alu instid0(VALU_DEP_1)
	v_cmpx_gt_u64_e64 v[2:3], v[0:1]
	s_cbranch_execz .LBB77_147
; %bb.136:                              ;   in Loop: Header=BB77_15 Depth=1
	v_dual_mov_b32 v6, v0 :: v_dual_mov_b32 v5, v1
	v_mov_b32_e32 v4, v0
	s_mov_b32 s19, 0
                                        ; implicit-def: $sgpr20
	s_set_inst_prefetch_distance 0x1
	s_branch .LBB77_138
	.p2align	6
.LBB77_137:                             ;   in Loop: Header=BB77_138 Depth=2
	s_or_b32 exec_lo, exec_lo, s4
	s_waitcnt lgkmcnt(0)
	s_barrier
	buffer_gl0_inv
	ds_load_u16 v7, v13 offset:3072
	v_add_co_u32 v4, vcc_lo, v4, s33
	v_add_co_ci_u32_e32 v5, vcc_lo, 0, v5, vcc_lo
	v_add_nc_u32_e32 v6, s33, v6
	s_waitcnt lgkmcnt(0)
	s_barrier
	s_delay_alu instid0(VALU_DEP_2) | instskip(SKIP_2) | instid1(VALU_DEP_1)
	v_cmp_ge_u64_e32 vcc_lo, v[4:5], v[2:3]
	buffer_gl0_inv
	v_and_b32_e32 v8, 0xff, v7
	v_cmp_ne_u16_e64 s4, 0, v8
	s_delay_alu instid0(VALU_DEP_1) | instskip(NEXT) | instid1(SALU_CYCLE_1)
	s_or_b32 s22, vcc_lo, s4
	s_and_b32 s22, exec_lo, s22
	s_delay_alu instid0(SALU_CYCLE_1) | instskip(SKIP_2) | instid1(SALU_CYCLE_1)
	s_or_b32 s19, s22, s19
	s_and_not1_b32 s20, s20, exec_lo
	s_and_b32 s4, s4, exec_lo
	s_or_b32 s20, s20, s4
	s_and_not1_b32 exec_lo, exec_lo, s19
	s_cbranch_execz .LBB77_146
.LBB77_138:                             ;   Parent Loop BB77_15 Depth=1
                                        ; =>  This Inner Loop Header: Depth=2
	s_delay_alu instid0(VALU_DEP_1)
	v_cmp_gt_u64_e32 vcc_lo, s[12:13], v[4:5]
	v_mov_b32_e32 v7, 0
	s_and_saveexec_b32 s4, vcc_lo
	s_cbranch_execz .LBB77_140
; %bb.139:                              ;   in Loop: Header=BB77_138 Depth=2
	ds_load_u8 v7, v6
.LBB77_140:                             ;   in Loop: Header=BB77_138 Depth=2
	s_or_b32 exec_lo, exec_lo, s4
	s_waitcnt lgkmcnt(0)
	v_and_b32_e32 v8, s89, v7
	s_delay_alu instid0(VALU_DEP_1) | instskip(NEXT) | instid1(VALU_DEP_1)
	v_and_b32_e32 v8, 0xff, v8
	v_cmp_eq_u32_e64 s4, s88, v8
	s_delay_alu instid0(VALU_DEP_1) | instskip(NEXT) | instid1(SALU_CYCLE_1)
	s_and_b32 s22, vcc_lo, s4
	s_and_saveexec_b32 s4, s22
	s_cbranch_execz .LBB77_137
; %bb.141:                              ;   in Loop: Header=BB77_138 Depth=2
	v_lshlrev_b16 v7, 8, v7
	s_delay_alu instid0(VALU_DEP_1)
	v_or_b32_e32 v7, 1, v7
	ds_store_b16 v13, v7 offset:3072
	s_branch .LBB77_137
.LBB77_142:                             ;   in Loop: Header=BB77_15 Depth=1
                                        ; implicit-def: $sgpr13
                                        ; implicit-def: $sgpr19
                                        ; implicit-def: $sgpr12
	s_branch .LBB77_160
.LBB77_143:                             ;   in Loop: Header=BB77_15 Depth=1
                                        ; implicit-def: $vgpr2_vgpr3
	s_branch .LBB77_91
.LBB77_144:                             ;   in Loop: Header=BB77_15 Depth=1
                                        ; implicit-def: $vgpr2_vgpr3
	s_branch .LBB77_105
.LBB77_145:                             ;   in Loop: Header=BB77_15 Depth=1
	s_mov_b32 s13, -1
	s_mov_b32 s4, 0
                                        ; implicit-def: $sgpr12
                                        ; implicit-def: $vgpr24
	s_mov_b32 s19, s13
	s_cbranch_execnz .LBB77_148
	s_branch .LBB77_160
.LBB77_146:                             ;   in Loop: Header=BB77_15 Depth=1
	s_set_inst_prefetch_distance 0x2
	s_or_b32 exec_lo, exec_lo, s19
	v_lshrrev_b16 v24, 8, v7
	s_and_b32 s4, s20, exec_lo
.LBB77_147:                             ;   in Loop: Header=BB77_15 Depth=1
	s_or_b32 exec_lo, exec_lo, s5
	s_mov_b32 s12, -1
	s_mov_b32 s13, 0
	s_delay_alu instid0(SALU_CYCLE_1)
	s_mov_b32 s19, s13
	s_branch .LBB77_160
.LBB77_148:                             ;   in Loop: Header=BB77_15 Depth=1
	s_mov_b32 s58, s57
	s_delay_alu instid0(SALU_CYCLE_1)
	s_cmp_lg_u64 s[58:59], 0
	s_cbranch_scc0 .LBB77_189
; %bb.149:                              ;   in Loop: Header=BB77_15 Depth=1
	v_cvt_f32_u32_e32 v2, s33
	s_sub_u32 s12, 0, s33
	s_subb_u32 s13, 0, 0
	s_delay_alu instid0(VALU_DEP_1) | instskip(NEXT) | instid1(VALU_DEP_1)
	v_fmac_f32_e64 v2, 0, 0x4f800000
	v_rcp_f32_e32 v2, v2
	s_waitcnt_depctr 0xfff
	v_mul_f32_e32 v2, 0x5f7ffffc, v2
	s_delay_alu instid0(VALU_DEP_1) | instskip(NEXT) | instid1(VALU_DEP_1)
	v_mul_f32_e32 v3, 0x2f800000, v2
	v_trunc_f32_e32 v3, v3
	s_delay_alu instid0(VALU_DEP_1) | instskip(SKIP_1) | instid1(VALU_DEP_2)
	v_fmac_f32_e32 v2, 0xcf800000, v3
	v_cvt_u32_f32_e32 v3, v3
	v_cvt_u32_f32_e32 v2, v2
	s_delay_alu instid0(VALU_DEP_2) | instskip(NEXT) | instid1(VALU_DEP_2)
	v_readfirstlane_b32 s4, v3
	v_readfirstlane_b32 s5, v2
	s_delay_alu instid0(VALU_DEP_2) | instskip(NEXT) | instid1(VALU_DEP_1)
	s_mul_i32 s19, s12, s4
	s_mul_hi_u32 s22, s12, s5
	s_mul_i32 s20, s13, s5
	s_add_i32 s19, s22, s19
	s_mul_i32 s23, s12, s5
	s_add_i32 s19, s19, s20
	s_mul_hi_u32 s22, s5, s23
	s_mul_hi_u32 s56, s4, s23
	s_mul_i32 s20, s4, s23
	s_mul_hi_u32 s23, s5, s19
	s_mul_i32 s5, s5, s19
	s_mul_hi_u32 s58, s4, s19
	s_add_u32 s5, s22, s5
	s_addc_u32 s22, 0, s23
	s_add_u32 s5, s5, s20
	s_mul_i32 s19, s4, s19
	s_addc_u32 s5, s22, s56
	s_addc_u32 s20, s58, 0
	s_add_u32 s5, s5, s19
	s_addc_u32 s19, 0, s20
	v_add_co_u32 v2, s5, v2, s5
	s_delay_alu instid0(VALU_DEP_1) | instskip(SKIP_1) | instid1(VALU_DEP_1)
	s_cmp_lg_u32 s5, 0
	s_addc_u32 s4, s4, s19
	v_readfirstlane_b32 s5, v2
	s_mul_i32 s19, s12, s4
	s_delay_alu instid0(VALU_DEP_1)
	s_mul_hi_u32 s20, s12, s5
	s_mul_i32 s13, s13, s5
	s_add_i32 s19, s20, s19
	s_mul_i32 s12, s12, s5
	s_add_i32 s19, s19, s13
	s_mul_hi_u32 s20, s4, s12
	s_mul_i32 s22, s4, s12
	s_mul_hi_u32 s12, s5, s12
	s_mul_hi_u32 s23, s5, s19
	s_mul_i32 s5, s5, s19
	s_mul_hi_u32 s13, s4, s19
	s_add_u32 s5, s12, s5
	s_addc_u32 s12, 0, s23
	s_add_u32 s5, s5, s22
	s_mul_i32 s19, s4, s19
	s_addc_u32 s5, s12, s20
	s_addc_u32 s12, s13, 0
	s_add_u32 s5, s5, s19
	s_addc_u32 s12, 0, s12
	v_add_co_u32 v2, s5, v2, s5
	s_delay_alu instid0(VALU_DEP_1) | instskip(SKIP_1) | instid1(VALU_DEP_1)
	s_cmp_lg_u32 s5, 0
	s_addc_u32 s4, s4, s12
	v_readfirstlane_b32 s5, v2
	s_mul_i32 s13, s73, s4
	s_mul_hi_u32 s12, s73, s4
	s_mul_hi_u32 s19, s59, s4
	s_mul_i32 s4, s59, s4
	s_mul_hi_u32 s20, s73, s5
	s_mul_hi_u32 s22, s59, s5
	s_mul_i32 s5, s59, s5
	s_add_u32 s13, s20, s13
	s_addc_u32 s12, 0, s12
	s_add_u32 s5, s13, s5
	s_addc_u32 s5, s12, s22
	s_addc_u32 s12, s19, 0
	s_add_u32 s4, s5, s4
	s_addc_u32 s5, 0, s12
	s_mul_hi_u32 s12, s33, s4
	s_mul_i32 s4, s33, s4
	s_mul_i32 s5, s33, s5
	v_sub_co_u32 v2, s4, s73, s4
	s_add_i32 s12, s12, s5
	s_cmp_lg_u32 s4, 0
	s_delay_alu instid0(VALU_DEP_1) | instskip(SKIP_2) | instid1(VALU_DEP_1)
	v_sub_co_u32 v3, s4, v2, s33
	s_subb_u32 s5, s59, s12
	s_cmp_lg_u32 s4, 0
	v_cmp_le_u32_e32 vcc_lo, s33, v3
	v_sub_co_u32 v4, s4, v3, s33
	s_subb_u32 s12, s5, 0
	s_cmp_lg_u32 s4, 0
	v_cndmask_b32_e64 v5, 0, -1, vcc_lo
	s_subb_u32 s4, s12, 0
	s_cmp_eq_u32 s12, 0
	v_mov_b32_e32 v7, s4
	s_cselect_b32 vcc_lo, -1, 0
	s_cmp_eq_u32 s5, 0
	v_cndmask_b32_e32 v5, -1, v5, vcc_lo
	v_cmp_le_u32_e32 vcc_lo, s33, v2
	s_cselect_b32 s4, -1, 0
	v_cndmask_b32_e64 v6, 0, -1, vcc_lo
	s_delay_alu instid0(VALU_DEP_3) | instskip(NEXT) | instid1(VALU_DEP_2)
	v_cmp_ne_u32_e32 vcc_lo, 0, v5
	v_cndmask_b32_e64 v5, -1, v6, s4
	v_cndmask_b32_e32 v6, s12, v7, vcc_lo
	v_cndmask_b32_e32 v4, v3, v4, vcc_lo
	s_delay_alu instid0(VALU_DEP_3) | instskip(NEXT) | instid1(VALU_DEP_3)
	v_cmp_ne_u32_e32 vcc_lo, 0, v5
	v_cndmask_b32_e32 v3, s5, v6, vcc_lo
	s_delay_alu instid0(VALU_DEP_3)
	v_cndmask_b32_e32 v2, v2, v4, vcc_lo
	s_cbranch_execnz .LBB77_151
.LBB77_150:                             ;   in Loop: Header=BB77_15 Depth=1
	v_cvt_f32_u32_e32 v2, s33
	s_sub_i32 s4, 0, s33
	s_delay_alu instid0(VALU_DEP_1) | instskip(SKIP_2) | instid1(VALU_DEP_1)
	v_rcp_iflag_f32_e32 v2, v2
	s_waitcnt_depctr 0xfff
	v_mul_f32_e32 v2, 0x4f7ffffe, v2
	v_cvt_u32_f32_e32 v2, v2
	s_delay_alu instid0(VALU_DEP_1) | instskip(NEXT) | instid1(VALU_DEP_1)
	v_mul_lo_u32 v3, s4, v2
	v_mul_hi_u32 v3, v2, v3
	s_delay_alu instid0(VALU_DEP_1) | instskip(NEXT) | instid1(VALU_DEP_1)
	v_add_nc_u32_e32 v2, v2, v3
	v_mul_hi_u32 v2, s73, v2
	s_delay_alu instid0(VALU_DEP_1) | instskip(NEXT) | instid1(VALU_DEP_1)
	v_mul_lo_u32 v2, v2, s33
	v_sub_nc_u32_e32 v2, s73, v2
	s_delay_alu instid0(VALU_DEP_1) | instskip(SKIP_1) | instid1(VALU_DEP_2)
	v_subrev_nc_u32_e32 v3, s33, v2
	v_cmp_le_u32_e32 vcc_lo, s33, v2
	v_cndmask_b32_e32 v2, v2, v3, vcc_lo
	s_delay_alu instid0(VALU_DEP_1) | instskip(SKIP_1) | instid1(VALU_DEP_2)
	v_subrev_nc_u32_e32 v3, s33, v2
	v_cmp_le_u32_e32 vcc_lo, s33, v2
	v_cndmask_b32_e32 v12, v2, v3, vcc_lo
	s_delay_alu instid0(VALU_DEP_1)
	v_dual_mov_b32 v2, v12 :: v_dual_mov_b32 v3, v13
.LBB77_151:                             ;   in Loop: Header=BB77_15 Depth=1
	s_delay_alu instid0(VALU_DEP_1) | instskip(NEXT) | instid1(VALU_DEP_2)
	v_sub_co_u32 v2, vcc_lo, s73, v2
	v_sub_co_ci_u32_e32 v3, vcc_lo, s59, v3, vcc_lo
	s_mov_b32 s4, 0
	s_mov_b32 s5, exec_lo
                                        ; implicit-def: $vgpr24
	s_delay_alu instid0(VALU_DEP_1)
	v_cmpx_gt_u64_e64 v[2:3], v[0:1]
	s_cbranch_execz .LBB77_159
; %bb.152:                              ;   in Loop: Header=BB77_15 Depth=1
	v_dual_mov_b32 v5, v1 :: v_dual_mov_b32 v4, v0
	s_mov_b32 s12, 0
                                        ; implicit-def: $sgpr13
	s_branch .LBB77_154
.LBB77_153:                             ;   in Loop: Header=BB77_154 Depth=2
	s_or_b32 exec_lo, exec_lo, s4
	s_waitcnt lgkmcnt(0)
	s_barrier
	buffer_gl0_inv
	ds_load_u16 v6, v13 offset:3072
	v_add_co_u32 v4, vcc_lo, v4, s33
	v_add_co_ci_u32_e32 v5, vcc_lo, 0, v5, vcc_lo
	s_waitcnt lgkmcnt(0)
	s_barrier
	buffer_gl0_inv
	v_cmp_ge_u64_e32 vcc_lo, v[4:5], v[2:3]
	v_and_b32_e32 v7, 0xff, v6
	s_delay_alu instid0(VALU_DEP_1) | instskip(NEXT) | instid1(VALU_DEP_1)
	v_cmp_ne_u16_e64 s4, 0, v7
	s_or_b32 s19, vcc_lo, s4
	s_delay_alu instid0(SALU_CYCLE_1) | instskip(NEXT) | instid1(SALU_CYCLE_1)
	s_and_b32 s19, exec_lo, s19
	s_or_b32 s12, s19, s12
	s_and_not1_b32 s13, s13, exec_lo
	s_and_b32 s4, s4, exec_lo
	s_delay_alu instid0(SALU_CYCLE_1)
	s_or_b32 s13, s13, s4
	s_and_not1_b32 exec_lo, exec_lo, s12
	s_cbranch_execz .LBB77_158
.LBB77_154:                             ;   Parent Loop BB77_15 Depth=1
                                        ; =>  This Inner Loop Header: Depth=2
	s_delay_alu instid0(VALU_DEP_1)
	v_cmp_gt_u64_e32 vcc_lo, s[24:25], v[4:5]
	v_mov_b32_e32 v6, 0
	s_and_saveexec_b32 s4, vcc_lo
	s_cbranch_execz .LBB77_156
; %bb.155:                              ;   in Loop: Header=BB77_154 Depth=2
	v_mad_u64_u32 v[6:7], null, v4, s42, s[50:51]
	v_mul_lo_u32 v8, v4, s43
	v_mul_lo_u32 v9, v5, s42
	s_delay_alu instid0(VALU_DEP_1)
	v_add3_u32 v7, v9, v7, v8
	global_load_u8 v6, v[6:7], off
.LBB77_156:                             ;   in Loop: Header=BB77_154 Depth=2
	s_or_b32 exec_lo, exec_lo, s4
	s_waitcnt vmcnt(0)
	v_and_b32_e32 v7, s89, v6
	s_delay_alu instid0(VALU_DEP_1) | instskip(NEXT) | instid1(VALU_DEP_1)
	v_and_b32_e32 v7, 0xff, v7
	v_cmp_eq_u32_e64 s4, s88, v7
	s_delay_alu instid0(VALU_DEP_1) | instskip(NEXT) | instid1(SALU_CYCLE_1)
	s_and_b32 s19, vcc_lo, s4
	s_and_saveexec_b32 s4, s19
	s_cbranch_execz .LBB77_153
; %bb.157:                              ;   in Loop: Header=BB77_154 Depth=2
	v_lshlrev_b16 v6, 8, v6
	s_delay_alu instid0(VALU_DEP_1)
	v_or_b32_e32 v6, 1, v6
	ds_store_b16 v13, v6 offset:3072
	s_branch .LBB77_153
.LBB77_158:                             ;   in Loop: Header=BB77_15 Depth=1
	s_or_b32 exec_lo, exec_lo, s12
	v_lshrrev_b16 v24, 8, v6
	s_and_b32 s4, s13, exec_lo
.LBB77_159:                             ;   in Loop: Header=BB77_15 Depth=1
	s_or_b32 exec_lo, exec_lo, s5
	s_mov_b32 s19, -1
	s_mov_b32 s13, 0
	s_mov_b32 s12, 0
.LBB77_160:                             ;   in Loop: Header=BB77_15 Depth=1
	s_mov_b32 s5, 0
                                        ; implicit-def: $sgpr56
	s_and_saveexec_b32 s20, s4
	s_cbranch_execz .LBB77_267
; %bb.161:                              ;   in Loop: Header=BB77_15 Depth=1
	s_xor_b32 s4, s21, -1
	s_mov_b32 s56, 1
	s_and_not1_b32 vcc_lo, exec_lo, s4
	s_cbranch_vccnz .LBB77_172
; %bb.162:                              ;   in Loop: Header=BB77_15 Depth=1
	v_cmp_gt_u64_e64 s4, s[54:55], s[10:11]
                                        ; implicit-def: $sgpr56
                                        ; implicit-def: $sgpr5
                                        ; implicit-def: $sgpr21
	s_delay_alu instid0(VALU_DEP_1)
	s_and_b32 vcc_lo, exec_lo, s4
	s_mov_b32 s4, -1
	s_cbranch_vccnz .LBB77_168
; %bb.163:                              ;   in Loop: Header=BB77_15 Depth=1
	ds_load_b64 v[2:3], v13 offset:5120
	s_waitcnt lgkmcnt(0)
	v_cmp_ne_u64_e32 vcc_lo, 0, v[2:3]
	s_cbranch_vccnz .LBB77_167
; %bb.164:                              ;   in Loop: Header=BB77_15 Depth=1
	s_and_saveexec_b32 s4, s2
	s_cbranch_execz .LBB77_166
; %bb.165:                              ;   in Loop: Header=BB77_15 Depth=1
	v_dual_mov_b32 v2, s10 :: v_dual_mov_b32 v3, s11
	ds_store_b64 v13, v[2:3] offset:5128
.LBB77_166:                             ;   in Loop: Header=BB77_15 Depth=1
	s_or_b32 exec_lo, exec_lo, s4
	s_waitcnt lgkmcnt(0)
	s_barrier
	buffer_gl0_inv
.LBB77_167:                             ;   in Loop: Header=BB77_15 Depth=1
	s_lshl_b32 s4, 1, s17
	s_and_b32 s5, s88, s18
	s_or_b32 s21, s89, s16
	s_or_b32 s5, s5, s4
	s_mov_b32 s4, 0
	s_mov_b32 s56, 8
.LBB77_168:                             ;   in Loop: Header=BB77_15 Depth=1
	s_and_not1_b32 vcc_lo, exec_lo, s4
	s_cbranch_vccnz .LBB77_170
; %bb.169:                              ;   in Loop: Header=BB77_15 Depth=1
	s_sub_u32 s54, s54, s10
	s_subb_u32 s55, s55, s11
	s_mov_b32 s4, -1
	s_mov_b32 s56, 0
	s_mov_b32 s5, s88
	;; [unrolled: 1-line block ×3, first 2 shown]
.LBB77_170:                             ;   in Loop: Header=BB77_15 Depth=1
	s_delay_alu instid0(SALU_CYCLE_1)
	s_mov_b32 s89, s21
	s_mov_b32 s88, s5
	s_and_not1_b32 vcc_lo, exec_lo, s4
	s_mov_b32 s5, -1
	s_cbranch_vccz .LBB77_173
.LBB77_171:                             ;   in Loop: Header=BB77_15 Depth=1
                                        ; implicit-def: $sgpr11
                                        ; implicit-def: $sgpr21
                                        ; implicit-def: $sgpr10
	s_branch .LBB77_266
.LBB77_172:                             ;   in Loop: Header=BB77_15 Depth=1
	s_mov_b64 s[54:55], 1
	s_mov_b32 s5, -1
	s_cbranch_execnz .LBB77_171
.LBB77_173:                             ;   in Loop: Header=BB77_15 Depth=1
	s_cmp_eq_u64 s[8:9], 1
	s_cselect_b32 s4, -1, 0
	s_cmp_eq_u64 s[54:55], 1
	s_cselect_b32 s5, -1, 0
	s_delay_alu instid0(SALU_CYCLE_1)
	s_and_b32 s23, s4, s5
	s_mov_b32 s4, -1
	s_and_b32 vcc_lo, exec_lo, s23
	s_cbranch_vccz .LBB77_187
; %bb.174:                              ;   in Loop: Header=BB77_15 Depth=1
	ds_load_b64 v[2:3], v13 offset:5120
	s_waitcnt lgkmcnt(0)
	s_barrier
	buffer_gl0_inv
	v_readfirstlane_b32 s10, v2
	v_readfirstlane_b32 s11, v3
	s_and_saveexec_b32 s4, s3
	s_cbranch_execz .LBB77_176
; %bb.175:                              ;   in Loop: Header=BB77_15 Depth=1
	ds_store_b8 v0, v13 offset:3072
.LBB77_176:                             ;   in Loop: Header=BB77_15 Depth=1
	s_or_b32 exec_lo, exec_lo, s4
	s_lshl_b32 s4, 2, s17
	s_and_b32 s5, s88, s18
	s_or_b32 s89, s89, s16
	s_or_b32 s88, s5, s4
	s_cmp_eq_u64 s[10:11], 0
	s_waitcnt lgkmcnt(0)
	s_barrier
	buffer_gl0_inv
	s_cbranch_scc1 .LBB77_190
; %bb.177:                              ;   in Loop: Header=BB77_15 Depth=1
	s_add_u32 s21, s47, s10
	s_addc_u32 s5, s72, s11
	s_mov_b32 s4, s57
	s_delay_alu instid0(SALU_CYCLE_1)
	s_cmp_lg_u64 s[4:5], 0
	s_cbranch_scc0 .LBB77_233
; %bb.178:                              ;   in Loop: Header=BB77_15 Depth=1
	v_cvt_f32_u32_e32 v2, s33
	s_sub_u32 s56, 0, s33
	s_subb_u32 s58, 0, 0
	s_delay_alu instid0(VALU_DEP_1) | instskip(NEXT) | instid1(VALU_DEP_1)
	v_fmac_f32_e64 v2, 0, 0x4f800000
	v_rcp_f32_e32 v2, v2
	s_waitcnt_depctr 0xfff
	v_mul_f32_e32 v2, 0x5f7ffffc, v2
	s_delay_alu instid0(VALU_DEP_1) | instskip(NEXT) | instid1(VALU_DEP_1)
	v_mul_f32_e32 v3, 0x2f800000, v2
	v_trunc_f32_e32 v3, v3
	s_delay_alu instid0(VALU_DEP_1) | instskip(SKIP_1) | instid1(VALU_DEP_2)
	v_fmac_f32_e32 v2, 0xcf800000, v3
	v_cvt_u32_f32_e32 v3, v3
	v_cvt_u32_f32_e32 v2, v2
	s_delay_alu instid0(VALU_DEP_2) | instskip(NEXT) | instid1(VALU_DEP_2)
	v_readfirstlane_b32 s4, v3
	v_readfirstlane_b32 s22, v2
	s_delay_alu instid0(VALU_DEP_2) | instskip(NEXT) | instid1(VALU_DEP_1)
	s_mul_i32 s62, s56, s4
	s_mul_hi_u32 s64, s56, s22
	s_mul_i32 s63, s58, s22
	s_add_i32 s62, s64, s62
	s_mul_i32 s65, s56, s22
	s_add_i32 s62, s62, s63
	s_mul_hi_u32 s64, s22, s65
	s_mul_hi_u32 s66, s4, s65
	s_mul_i32 s63, s4, s65
	s_mul_hi_u32 s65, s22, s62
	s_mul_i32 s22, s22, s62
	s_mul_hi_u32 s67, s4, s62
	s_add_u32 s22, s64, s22
	s_addc_u32 s64, 0, s65
	s_add_u32 s22, s22, s63
	s_mul_i32 s62, s4, s62
	s_addc_u32 s22, s64, s66
	s_addc_u32 s63, s67, 0
	s_add_u32 s22, s22, s62
	s_addc_u32 s62, 0, s63
	v_add_co_u32 v2, s22, v2, s22
	s_delay_alu instid0(VALU_DEP_1) | instskip(SKIP_1) | instid1(VALU_DEP_1)
	s_cmp_lg_u32 s22, 0
	s_addc_u32 s4, s4, s62
	v_readfirstlane_b32 s22, v2
	s_mul_i32 s62, s56, s4
	s_delay_alu instid0(VALU_DEP_1)
	s_mul_hi_u32 s63, s56, s22
	s_mul_i32 s58, s58, s22
	s_add_i32 s62, s63, s62
	s_mul_i32 s56, s56, s22
	s_add_i32 s62, s62, s58
	s_mul_hi_u32 s63, s4, s56
	s_mul_i32 s64, s4, s56
	s_mul_hi_u32 s56, s22, s56
	s_mul_hi_u32 s65, s22, s62
	s_mul_i32 s22, s22, s62
	s_mul_hi_u32 s58, s4, s62
	s_add_u32 s22, s56, s22
	s_addc_u32 s56, 0, s65
	s_add_u32 s22, s22, s64
	s_mul_i32 s62, s4, s62
	s_addc_u32 s22, s56, s63
	s_addc_u32 s56, s58, 0
	s_add_u32 s22, s22, s62
	s_addc_u32 s56, 0, s56
	v_add_co_u32 v2, s22, v2, s22
	s_delay_alu instid0(VALU_DEP_1) | instskip(SKIP_1) | instid1(VALU_DEP_1)
	s_cmp_lg_u32 s22, 0
	s_addc_u32 s4, s4, s56
	v_readfirstlane_b32 s22, v2
	s_mul_i32 s58, s21, s4
	s_mul_hi_u32 s56, s21, s4
	s_mul_hi_u32 s62, s5, s4
	s_mul_i32 s4, s5, s4
	s_mul_hi_u32 s63, s21, s22
	s_mul_hi_u32 s64, s5, s22
	s_mul_i32 s22, s5, s22
	s_add_u32 s58, s63, s58
	s_addc_u32 s56, 0, s56
	s_add_u32 s22, s58, s22
	s_addc_u32 s22, s56, s64
	s_addc_u32 s56, s62, 0
	s_add_u32 s4, s22, s4
	s_addc_u32 s22, 0, s56
	s_mul_hi_u32 s56, s33, s4
	s_mul_i32 s4, s33, s4
	s_mul_i32 s22, s33, s22
	v_sub_co_u32 v2, s4, s21, s4
	s_add_i32 s56, s56, s22
	s_cmp_lg_u32 s4, 0
	s_delay_alu instid0(VALU_DEP_1) | instskip(SKIP_2) | instid1(VALU_DEP_1)
	v_sub_co_u32 v3, s4, v2, s33
	s_subb_u32 s22, s5, s56
	s_cmp_lg_u32 s4, 0
	v_cmp_le_u32_e32 vcc_lo, s33, v3
	v_sub_co_u32 v4, s4, v3, s33
	s_subb_u32 s56, s22, 0
	s_cmp_lg_u32 s4, 0
	v_cndmask_b32_e64 v5, 0, -1, vcc_lo
	s_subb_u32 s4, s56, 0
	s_cmp_eq_u32 s56, 0
	v_mov_b32_e32 v7, s4
	s_cselect_b32 vcc_lo, -1, 0
	s_cmp_eq_u32 s22, 0
	v_cndmask_b32_e32 v5, -1, v5, vcc_lo
	v_cmp_le_u32_e32 vcc_lo, s33, v2
	s_cselect_b32 s4, -1, 0
	v_cndmask_b32_e64 v6, 0, -1, vcc_lo
	s_delay_alu instid0(VALU_DEP_3) | instskip(NEXT) | instid1(VALU_DEP_2)
	v_cmp_ne_u32_e32 vcc_lo, 0, v5
	v_cndmask_b32_e64 v5, -1, v6, s4
	v_cndmask_b32_e32 v6, s56, v7, vcc_lo
	v_cndmask_b32_e32 v4, v3, v4, vcc_lo
	s_delay_alu instid0(VALU_DEP_3) | instskip(NEXT) | instid1(VALU_DEP_3)
	v_cmp_ne_u32_e32 vcc_lo, 0, v5
	v_cndmask_b32_e32 v3, s22, v6, vcc_lo
	s_delay_alu instid0(VALU_DEP_3)
	v_cndmask_b32_e32 v2, v2, v4, vcc_lo
	s_cbranch_execnz .LBB77_180
.LBB77_179:                             ;   in Loop: Header=BB77_15 Depth=1
	v_cvt_f32_u32_e32 v2, s33
	s_sub_i32 s4, 0, s33
	s_delay_alu instid0(VALU_DEP_1) | instskip(SKIP_2) | instid1(VALU_DEP_1)
	v_rcp_iflag_f32_e32 v2, v2
	s_waitcnt_depctr 0xfff
	v_mul_f32_e32 v2, 0x4f7ffffe, v2
	v_cvt_u32_f32_e32 v2, v2
	s_delay_alu instid0(VALU_DEP_1) | instskip(NEXT) | instid1(VALU_DEP_1)
	v_mul_lo_u32 v3, s4, v2
	v_mul_hi_u32 v3, v2, v3
	s_delay_alu instid0(VALU_DEP_1) | instskip(NEXT) | instid1(VALU_DEP_1)
	v_add_nc_u32_e32 v2, v2, v3
	v_mul_hi_u32 v2, s21, v2
	s_delay_alu instid0(VALU_DEP_1) | instskip(NEXT) | instid1(VALU_DEP_1)
	v_mul_lo_u32 v2, v2, s33
	v_sub_nc_u32_e32 v2, s21, v2
	s_delay_alu instid0(VALU_DEP_1) | instskip(SKIP_1) | instid1(VALU_DEP_2)
	v_subrev_nc_u32_e32 v3, s33, v2
	v_cmp_le_u32_e32 vcc_lo, s33, v2
	v_cndmask_b32_e32 v2, v2, v3, vcc_lo
	s_delay_alu instid0(VALU_DEP_1) | instskip(SKIP_1) | instid1(VALU_DEP_2)
	v_subrev_nc_u32_e32 v3, s33, v2
	v_cmp_le_u32_e32 vcc_lo, s33, v2
	v_cndmask_b32_e32 v12, v2, v3, vcc_lo
	s_delay_alu instid0(VALU_DEP_1)
	v_dual_mov_b32 v2, v12 :: v_dual_mov_b32 v3, v13
.LBB77_180:                             ;   in Loop: Header=BB77_15 Depth=1
	s_delay_alu instid0(VALU_DEP_1) | instskip(NEXT) | instid1(VALU_DEP_2)
	v_sub_co_u32 v2, vcc_lo, s21, v2
	v_sub_co_ci_u32_e32 v3, vcc_lo, s5, v3, vcc_lo
	s_mov_b32 s4, 0
	s_mov_b32 s5, exec_lo
                                        ; implicit-def: $vgpr24
	s_delay_alu instid0(VALU_DEP_1)
	v_cmpx_gt_u64_e64 v[2:3], v[0:1]
	s_cbranch_execz .LBB77_192
; %bb.181:                              ;   in Loop: Header=BB77_15 Depth=1
	v_dual_mov_b32 v6, v0 :: v_dual_mov_b32 v5, v1
	v_mov_b32_e32 v4, v0
	s_mov_b32 s21, 0
                                        ; implicit-def: $sgpr22
	s_set_inst_prefetch_distance 0x1
	s_branch .LBB77_183
	.p2align	6
.LBB77_182:                             ;   in Loop: Header=BB77_183 Depth=2
	s_or_b32 exec_lo, exec_lo, s4
	s_waitcnt lgkmcnt(0)
	s_barrier
	buffer_gl0_inv
	ds_load_u16 v7, v13 offset:3072
	v_add_co_u32 v4, vcc_lo, v4, s33
	v_add_co_ci_u32_e32 v5, vcc_lo, 0, v5, vcc_lo
	v_add_nc_u32_e32 v6, s33, v6
	s_waitcnt lgkmcnt(0)
	s_barrier
	s_delay_alu instid0(VALU_DEP_2) | instskip(SKIP_2) | instid1(VALU_DEP_1)
	v_cmp_ge_u64_e32 vcc_lo, v[4:5], v[2:3]
	buffer_gl0_inv
	v_and_b32_e32 v8, 0xff, v7
	v_cmp_ne_u16_e64 s4, 0, v8
	s_delay_alu instid0(VALU_DEP_1) | instskip(NEXT) | instid1(SALU_CYCLE_1)
	s_or_b32 s56, vcc_lo, s4
	s_and_b32 s56, exec_lo, s56
	s_delay_alu instid0(SALU_CYCLE_1) | instskip(SKIP_2) | instid1(SALU_CYCLE_1)
	s_or_b32 s21, s56, s21
	s_and_not1_b32 s22, s22, exec_lo
	s_and_b32 s4, s4, exec_lo
	s_or_b32 s22, s22, s4
	s_and_not1_b32 exec_lo, exec_lo, s21
	s_cbranch_execz .LBB77_191
.LBB77_183:                             ;   Parent Loop BB77_15 Depth=1
                                        ; =>  This Inner Loop Header: Depth=2
	s_delay_alu instid0(VALU_DEP_1)
	v_cmp_gt_u64_e32 vcc_lo, s[10:11], v[4:5]
	v_mov_b32_e32 v7, 0
	s_and_saveexec_b32 s4, vcc_lo
	s_cbranch_execz .LBB77_185
; %bb.184:                              ;   in Loop: Header=BB77_183 Depth=2
	ds_load_u8 v7, v6
.LBB77_185:                             ;   in Loop: Header=BB77_183 Depth=2
	s_or_b32 exec_lo, exec_lo, s4
	s_waitcnt lgkmcnt(0)
	v_and_b32_e32 v8, s89, v7
	s_delay_alu instid0(VALU_DEP_1) | instskip(NEXT) | instid1(VALU_DEP_1)
	v_and_b32_e32 v8, 0xff, v8
	v_cmp_eq_u32_e64 s4, s88, v8
	s_delay_alu instid0(VALU_DEP_1) | instskip(NEXT) | instid1(SALU_CYCLE_1)
	s_and_b32 s56, vcc_lo, s4
	s_and_saveexec_b32 s4, s56
	s_cbranch_execz .LBB77_182
; %bb.186:                              ;   in Loop: Header=BB77_183 Depth=2
	v_lshlrev_b16 v7, 8, v7
	s_delay_alu instid0(VALU_DEP_1)
	v_or_b32_e32 v7, 1, v7
	ds_store_b16 v13, v7 offset:3072
	s_branch .LBB77_182
.LBB77_187:                             ;   in Loop: Header=BB77_15 Depth=1
                                        ; implicit-def: $sgpr10
                                        ; implicit-def: $sgpr21
                                        ; implicit-def: $sgpr11
	s_branch .LBB77_205
.LBB77_188:                             ;   in Loop: Header=BB77_15 Depth=1
                                        ; implicit-def: $vgpr2_vgpr3
	s_branch .LBB77_134
.LBB77_189:                             ;   in Loop: Header=BB77_15 Depth=1
                                        ; implicit-def: $vgpr2_vgpr3
	s_branch .LBB77_150
.LBB77_190:                             ;   in Loop: Header=BB77_15 Depth=1
	s_mov_b32 s10, -1
	s_mov_b32 s4, 0
                                        ; implicit-def: $sgpr11
                                        ; implicit-def: $vgpr24
	s_mov_b32 s21, s10
	s_cbranch_execnz .LBB77_193
	s_branch .LBB77_205
.LBB77_191:                             ;   in Loop: Header=BB77_15 Depth=1
	s_set_inst_prefetch_distance 0x2
	s_or_b32 exec_lo, exec_lo, s21
	v_lshrrev_b16 v24, 8, v7
	s_and_b32 s4, s22, exec_lo
.LBB77_192:                             ;   in Loop: Header=BB77_15 Depth=1
	s_or_b32 exec_lo, exec_lo, s5
	s_mov_b32 s11, -1
	s_mov_b32 s10, 0
	s_delay_alu instid0(SALU_CYCLE_1)
	s_mov_b32 s21, s10
	s_branch .LBB77_205
.LBB77_193:                             ;   in Loop: Header=BB77_15 Depth=1
	s_mov_b32 s58, s57
	s_delay_alu instid0(SALU_CYCLE_1)
	s_cmp_lg_u64 s[58:59], 0
	s_cbranch_scc0 .LBB77_234
; %bb.194:                              ;   in Loop: Header=BB77_15 Depth=1
	v_cvt_f32_u32_e32 v2, s33
	s_sub_u32 s10, 0, s33
	s_subb_u32 s11, 0, 0
	s_delay_alu instid0(VALU_DEP_1) | instskip(NEXT) | instid1(VALU_DEP_1)
	v_fmac_f32_e64 v2, 0, 0x4f800000
	v_rcp_f32_e32 v2, v2
	s_waitcnt_depctr 0xfff
	v_mul_f32_e32 v2, 0x5f7ffffc, v2
	s_delay_alu instid0(VALU_DEP_1) | instskip(NEXT) | instid1(VALU_DEP_1)
	v_mul_f32_e32 v3, 0x2f800000, v2
	v_trunc_f32_e32 v3, v3
	s_delay_alu instid0(VALU_DEP_1) | instskip(SKIP_1) | instid1(VALU_DEP_2)
	v_fmac_f32_e32 v2, 0xcf800000, v3
	v_cvt_u32_f32_e32 v3, v3
	v_cvt_u32_f32_e32 v2, v2
	s_delay_alu instid0(VALU_DEP_2) | instskip(NEXT) | instid1(VALU_DEP_2)
	v_readfirstlane_b32 s4, v3
	v_readfirstlane_b32 s5, v2
	s_delay_alu instid0(VALU_DEP_2) | instskip(NEXT) | instid1(VALU_DEP_1)
	s_mul_i32 s21, s10, s4
	s_mul_hi_u32 s56, s10, s5
	s_mul_i32 s22, s11, s5
	s_add_i32 s21, s56, s21
	s_mul_i32 s58, s10, s5
	s_add_i32 s21, s21, s22
	s_mul_hi_u32 s56, s5, s58
	s_mul_hi_u32 s62, s4, s58
	s_mul_i32 s22, s4, s58
	s_mul_hi_u32 s58, s5, s21
	s_mul_i32 s5, s5, s21
	s_mul_hi_u32 s63, s4, s21
	s_add_u32 s5, s56, s5
	s_addc_u32 s56, 0, s58
	s_add_u32 s5, s5, s22
	s_mul_i32 s21, s4, s21
	s_addc_u32 s5, s56, s62
	s_addc_u32 s22, s63, 0
	s_add_u32 s5, s5, s21
	s_addc_u32 s21, 0, s22
	v_add_co_u32 v2, s5, v2, s5
	s_delay_alu instid0(VALU_DEP_1) | instskip(SKIP_1) | instid1(VALU_DEP_1)
	s_cmp_lg_u32 s5, 0
	s_addc_u32 s4, s4, s21
	v_readfirstlane_b32 s5, v2
	s_mul_i32 s21, s10, s4
	s_delay_alu instid0(VALU_DEP_1)
	s_mul_hi_u32 s22, s10, s5
	s_mul_i32 s11, s11, s5
	s_add_i32 s21, s22, s21
	s_mul_i32 s10, s10, s5
	s_add_i32 s21, s21, s11
	s_mul_hi_u32 s22, s4, s10
	s_mul_i32 s56, s4, s10
	s_mul_hi_u32 s10, s5, s10
	s_mul_hi_u32 s58, s5, s21
	s_mul_i32 s5, s5, s21
	s_mul_hi_u32 s11, s4, s21
	s_add_u32 s5, s10, s5
	s_addc_u32 s10, 0, s58
	s_add_u32 s5, s5, s56
	s_mul_i32 s21, s4, s21
	s_addc_u32 s5, s10, s22
	s_addc_u32 s10, s11, 0
	s_add_u32 s5, s5, s21
	s_addc_u32 s10, 0, s10
	v_add_co_u32 v2, s5, v2, s5
	s_delay_alu instid0(VALU_DEP_1) | instskip(SKIP_1) | instid1(VALU_DEP_1)
	s_cmp_lg_u32 s5, 0
	s_addc_u32 s4, s4, s10
	v_readfirstlane_b32 s5, v2
	s_mul_i32 s11, s73, s4
	s_mul_hi_u32 s10, s73, s4
	s_mul_hi_u32 s21, s59, s4
	s_mul_i32 s4, s59, s4
	s_mul_hi_u32 s22, s73, s5
	s_mul_hi_u32 s56, s59, s5
	s_mul_i32 s5, s59, s5
	s_add_u32 s11, s22, s11
	s_addc_u32 s10, 0, s10
	s_add_u32 s5, s11, s5
	s_addc_u32 s5, s10, s56
	s_addc_u32 s10, s21, 0
	s_add_u32 s4, s5, s4
	s_addc_u32 s5, 0, s10
	s_mul_hi_u32 s10, s33, s4
	s_mul_i32 s4, s33, s4
	s_mul_i32 s5, s33, s5
	v_sub_co_u32 v2, s4, s73, s4
	s_add_i32 s10, s10, s5
	s_cmp_lg_u32 s4, 0
	s_delay_alu instid0(VALU_DEP_1) | instskip(SKIP_2) | instid1(VALU_DEP_1)
	v_sub_co_u32 v3, s4, v2, s33
	s_subb_u32 s5, s59, s10
	s_cmp_lg_u32 s4, 0
	v_cmp_le_u32_e32 vcc_lo, s33, v3
	v_sub_co_u32 v4, s4, v3, s33
	s_subb_u32 s10, s5, 0
	s_cmp_lg_u32 s4, 0
	v_cndmask_b32_e64 v5, 0, -1, vcc_lo
	s_subb_u32 s4, s10, 0
	s_cmp_eq_u32 s10, 0
	v_mov_b32_e32 v7, s4
	s_cselect_b32 vcc_lo, -1, 0
	s_cmp_eq_u32 s5, 0
	v_cndmask_b32_e32 v5, -1, v5, vcc_lo
	v_cmp_le_u32_e32 vcc_lo, s33, v2
	s_cselect_b32 s4, -1, 0
	v_cndmask_b32_e64 v6, 0, -1, vcc_lo
	s_delay_alu instid0(VALU_DEP_3) | instskip(NEXT) | instid1(VALU_DEP_2)
	v_cmp_ne_u32_e32 vcc_lo, 0, v5
	v_cndmask_b32_e64 v5, -1, v6, s4
	v_cndmask_b32_e32 v6, s10, v7, vcc_lo
	v_cndmask_b32_e32 v4, v3, v4, vcc_lo
	s_delay_alu instid0(VALU_DEP_3) | instskip(NEXT) | instid1(VALU_DEP_3)
	v_cmp_ne_u32_e32 vcc_lo, 0, v5
	v_cndmask_b32_e32 v3, s5, v6, vcc_lo
	s_delay_alu instid0(VALU_DEP_3)
	v_cndmask_b32_e32 v2, v2, v4, vcc_lo
	s_cbranch_execnz .LBB77_196
.LBB77_195:                             ;   in Loop: Header=BB77_15 Depth=1
	v_cvt_f32_u32_e32 v2, s33
	s_sub_i32 s4, 0, s33
	s_delay_alu instid0(VALU_DEP_1) | instskip(SKIP_2) | instid1(VALU_DEP_1)
	v_rcp_iflag_f32_e32 v2, v2
	s_waitcnt_depctr 0xfff
	v_mul_f32_e32 v2, 0x4f7ffffe, v2
	v_cvt_u32_f32_e32 v2, v2
	s_delay_alu instid0(VALU_DEP_1) | instskip(NEXT) | instid1(VALU_DEP_1)
	v_mul_lo_u32 v3, s4, v2
	v_mul_hi_u32 v3, v2, v3
	s_delay_alu instid0(VALU_DEP_1) | instskip(NEXT) | instid1(VALU_DEP_1)
	v_add_nc_u32_e32 v2, v2, v3
	v_mul_hi_u32 v2, s73, v2
	s_delay_alu instid0(VALU_DEP_1) | instskip(NEXT) | instid1(VALU_DEP_1)
	v_mul_lo_u32 v2, v2, s33
	v_sub_nc_u32_e32 v2, s73, v2
	s_delay_alu instid0(VALU_DEP_1) | instskip(SKIP_1) | instid1(VALU_DEP_2)
	v_subrev_nc_u32_e32 v3, s33, v2
	v_cmp_le_u32_e32 vcc_lo, s33, v2
	v_cndmask_b32_e32 v2, v2, v3, vcc_lo
	s_delay_alu instid0(VALU_DEP_1) | instskip(SKIP_1) | instid1(VALU_DEP_2)
	v_subrev_nc_u32_e32 v3, s33, v2
	v_cmp_le_u32_e32 vcc_lo, s33, v2
	v_cndmask_b32_e32 v12, v2, v3, vcc_lo
	s_delay_alu instid0(VALU_DEP_1)
	v_dual_mov_b32 v2, v12 :: v_dual_mov_b32 v3, v13
.LBB77_196:                             ;   in Loop: Header=BB77_15 Depth=1
	s_delay_alu instid0(VALU_DEP_1) | instskip(NEXT) | instid1(VALU_DEP_2)
	v_sub_co_u32 v2, vcc_lo, s73, v2
	v_sub_co_ci_u32_e32 v3, vcc_lo, s59, v3, vcc_lo
	s_mov_b32 s4, 0
	s_mov_b32 s5, exec_lo
                                        ; implicit-def: $vgpr24
	s_delay_alu instid0(VALU_DEP_1)
	v_cmpx_gt_u64_e64 v[2:3], v[0:1]
	s_cbranch_execz .LBB77_204
; %bb.197:                              ;   in Loop: Header=BB77_15 Depth=1
	v_dual_mov_b32 v5, v1 :: v_dual_mov_b32 v4, v0
	s_mov_b32 s10, 0
                                        ; implicit-def: $sgpr11
	s_branch .LBB77_199
.LBB77_198:                             ;   in Loop: Header=BB77_199 Depth=2
	s_or_b32 exec_lo, exec_lo, s4
	s_waitcnt lgkmcnt(0)
	s_barrier
	buffer_gl0_inv
	ds_load_u16 v6, v13 offset:3072
	v_add_co_u32 v4, vcc_lo, v4, s33
	v_add_co_ci_u32_e32 v5, vcc_lo, 0, v5, vcc_lo
	s_waitcnt lgkmcnt(0)
	s_barrier
	buffer_gl0_inv
	v_cmp_ge_u64_e32 vcc_lo, v[4:5], v[2:3]
	v_and_b32_e32 v7, 0xff, v6
	s_delay_alu instid0(VALU_DEP_1) | instskip(NEXT) | instid1(VALU_DEP_1)
	v_cmp_ne_u16_e64 s4, 0, v7
	s_or_b32 s21, vcc_lo, s4
	s_delay_alu instid0(SALU_CYCLE_1) | instskip(NEXT) | instid1(SALU_CYCLE_1)
	s_and_b32 s21, exec_lo, s21
	s_or_b32 s10, s21, s10
	s_and_not1_b32 s11, s11, exec_lo
	s_and_b32 s4, s4, exec_lo
	s_delay_alu instid0(SALU_CYCLE_1)
	s_or_b32 s11, s11, s4
	s_and_not1_b32 exec_lo, exec_lo, s10
	s_cbranch_execz .LBB77_203
.LBB77_199:                             ;   Parent Loop BB77_15 Depth=1
                                        ; =>  This Inner Loop Header: Depth=2
	s_delay_alu instid0(VALU_DEP_1)
	v_cmp_gt_u64_e32 vcc_lo, s[24:25], v[4:5]
	v_mov_b32_e32 v6, 0
	s_and_saveexec_b32 s4, vcc_lo
	s_cbranch_execz .LBB77_201
; %bb.200:                              ;   in Loop: Header=BB77_199 Depth=2
	v_mad_u64_u32 v[6:7], null, v4, s42, s[50:51]
	v_mul_lo_u32 v8, v4, s43
	v_mul_lo_u32 v9, v5, s42
	s_delay_alu instid0(VALU_DEP_1)
	v_add3_u32 v7, v9, v7, v8
	global_load_u8 v6, v[6:7], off
.LBB77_201:                             ;   in Loop: Header=BB77_199 Depth=2
	s_or_b32 exec_lo, exec_lo, s4
	s_waitcnt vmcnt(0)
	v_and_b32_e32 v7, s89, v6
	s_delay_alu instid0(VALU_DEP_1) | instskip(NEXT) | instid1(VALU_DEP_1)
	v_and_b32_e32 v7, 0xff, v7
	v_cmp_eq_u32_e64 s4, s88, v7
	s_delay_alu instid0(VALU_DEP_1) | instskip(NEXT) | instid1(SALU_CYCLE_1)
	s_and_b32 s21, vcc_lo, s4
	s_and_saveexec_b32 s4, s21
	s_cbranch_execz .LBB77_198
; %bb.202:                              ;   in Loop: Header=BB77_199 Depth=2
	v_lshlrev_b16 v6, 8, v6
	s_delay_alu instid0(VALU_DEP_1)
	v_or_b32_e32 v6, 1, v6
	ds_store_b16 v13, v6 offset:3072
	s_branch .LBB77_198
.LBB77_203:                             ;   in Loop: Header=BB77_15 Depth=1
	s_or_b32 exec_lo, exec_lo, s10
	v_lshrrev_b16 v24, 8, v6
	s_and_b32 s4, s11, exec_lo
.LBB77_204:                             ;   in Loop: Header=BB77_15 Depth=1
	s_or_b32 exec_lo, exec_lo, s5
	s_mov_b32 s21, -1
	s_mov_b32 s10, 0
	s_mov_b32 s11, 0
.LBB77_205:                             ;   in Loop: Header=BB77_15 Depth=1
	s_mov_b32 s5, 0
                                        ; implicit-def: $sgpr56
	s_and_saveexec_b32 s22, s4
	s_cbranch_execz .LBB77_265
; %bb.206:                              ;   in Loop: Header=BB77_15 Depth=1
	s_xor_b32 s4, s23, -1
	s_mov_b32 s56, 1
	s_and_not1_b32 vcc_lo, exec_lo, s4
	s_cbranch_vccnz .LBB77_217
; %bb.207:                              ;   in Loop: Header=BB77_15 Depth=1
	v_cmp_gt_u64_e64 s4, s[54:55], s[8:9]
                                        ; implicit-def: $sgpr56
                                        ; implicit-def: $sgpr5
                                        ; implicit-def: $sgpr23
	s_delay_alu instid0(VALU_DEP_1)
	s_and_b32 vcc_lo, exec_lo, s4
	s_mov_b32 s4, -1
	s_cbranch_vccnz .LBB77_213
; %bb.208:                              ;   in Loop: Header=BB77_15 Depth=1
	ds_load_b64 v[2:3], v13 offset:5120
	s_waitcnt lgkmcnt(0)
	v_cmp_ne_u64_e32 vcc_lo, 0, v[2:3]
	s_cbranch_vccnz .LBB77_212
; %bb.209:                              ;   in Loop: Header=BB77_15 Depth=1
	s_and_saveexec_b32 s4, s2
	s_cbranch_execz .LBB77_211
; %bb.210:                              ;   in Loop: Header=BB77_15 Depth=1
	v_dual_mov_b32 v2, s8 :: v_dual_mov_b32 v3, s9
	ds_store_b64 v13, v[2:3] offset:5128
.LBB77_211:                             ;   in Loop: Header=BB77_15 Depth=1
	s_or_b32 exec_lo, exec_lo, s4
	s_waitcnt lgkmcnt(0)
	s_barrier
	buffer_gl0_inv
.LBB77_212:                             ;   in Loop: Header=BB77_15 Depth=1
	s_lshl_b32 s4, 2, s17
	s_and_b32 s5, s88, s18
	s_or_b32 s23, s89, s16
	s_or_b32 s5, s5, s4
	s_mov_b32 s4, 0
	s_mov_b32 s56, 8
.LBB77_213:                             ;   in Loop: Header=BB77_15 Depth=1
	s_and_not1_b32 vcc_lo, exec_lo, s4
	s_cbranch_vccnz .LBB77_215
; %bb.214:                              ;   in Loop: Header=BB77_15 Depth=1
	s_sub_u32 s54, s54, s8
	s_subb_u32 s55, s55, s9
	s_mov_b32 s4, -1
	s_mov_b32 s56, 0
	s_mov_b32 s5, s88
	;; [unrolled: 1-line block ×3, first 2 shown]
.LBB77_215:                             ;   in Loop: Header=BB77_15 Depth=1
	s_delay_alu instid0(SALU_CYCLE_1)
	s_mov_b32 s89, s23
	s_mov_b32 s88, s5
	s_and_not1_b32 vcc_lo, exec_lo, s4
	s_mov_b32 s62, -1
	s_cbranch_vccz .LBB77_218
.LBB77_216:                             ;   in Loop: Header=BB77_15 Depth=1
                                        ; implicit-def: $sgpr8
                                        ; implicit-def: $sgpr18
                                        ; implicit-def: $sgpr9
	s_branch .LBB77_264
.LBB77_217:                             ;   in Loop: Header=BB77_15 Depth=1
	s_mov_b64 s[54:55], 1
	s_mov_b32 s62, -1
	s_cbranch_execnz .LBB77_216
.LBB77_218:                             ;   in Loop: Header=BB77_15 Depth=1
	s_cmp_eq_u64 s[6:7], 1
	s_mov_b32 s23, -1
	s_cselect_b32 s4, -1, 0
	s_cmp_eq_u64 s[54:55], 1
	s_cselect_b32 s5, -1, 0
	s_delay_alu instid0(SALU_CYCLE_1) | instskip(NEXT) | instid1(SALU_CYCLE_1)
	s_and_b32 s17, s4, s5
	s_and_b32 vcc_lo, exec_lo, s17
	s_cbranch_vccz .LBB77_232
; %bb.219:                              ;   in Loop: Header=BB77_15 Depth=1
	ds_load_b64 v[2:3], v13 offset:5120
	s_waitcnt lgkmcnt(0)
	s_barrier
	buffer_gl0_inv
	v_readfirstlane_b32 s8, v2
	v_readfirstlane_b32 s9, v3
	s_and_saveexec_b32 s4, s3
	s_cbranch_execz .LBB77_221
; %bb.220:                              ;   in Loop: Header=BB77_15 Depth=1
	ds_store_b8 v0, v13 offset:3072
.LBB77_221:                             ;   in Loop: Header=BB77_15 Depth=1
	s_or_b32 exec_lo, exec_lo, s4
	s_or_b32 s88, s88, s16
	s_or_b32 s89, s89, s16
	s_cmp_eq_u64 s[8:9], 0
	s_waitcnt lgkmcnt(0)
	s_barrier
	buffer_gl0_inv
	s_cbranch_scc1 .LBB77_235
; %bb.222:                              ;   in Loop: Header=BB77_15 Depth=1
	s_add_u32 s18, s47, s8
	s_addc_u32 s5, s72, s9
	s_mov_b32 s4, s57
	s_delay_alu instid0(SALU_CYCLE_1)
	s_cmp_lg_u64 s[4:5], 0
	s_cbranch_scc0 .LBB77_270
; %bb.223:                              ;   in Loop: Header=BB77_15 Depth=1
	v_cvt_f32_u32_e32 v2, s33
	s_sub_u32 s56, 0, s33
	s_subb_u32 s58, 0, 0
	s_delay_alu instid0(VALU_DEP_1) | instskip(NEXT) | instid1(VALU_DEP_1)
	v_fmac_f32_e64 v2, 0, 0x4f800000
	v_rcp_f32_e32 v2, v2
	s_waitcnt_depctr 0xfff
	v_mul_f32_e32 v2, 0x5f7ffffc, v2
	s_delay_alu instid0(VALU_DEP_1) | instskip(NEXT) | instid1(VALU_DEP_1)
	v_mul_f32_e32 v3, 0x2f800000, v2
	v_trunc_f32_e32 v3, v3
	s_delay_alu instid0(VALU_DEP_1) | instskip(SKIP_1) | instid1(VALU_DEP_2)
	v_fmac_f32_e32 v2, 0xcf800000, v3
	v_cvt_u32_f32_e32 v3, v3
	v_cvt_u32_f32_e32 v2, v2
	s_delay_alu instid0(VALU_DEP_2) | instskip(NEXT) | instid1(VALU_DEP_2)
	v_readfirstlane_b32 s4, v3
	v_readfirstlane_b32 s23, v2
	s_delay_alu instid0(VALU_DEP_2) | instskip(NEXT) | instid1(VALU_DEP_1)
	s_mul_i32 s62, s56, s4
	s_mul_hi_u32 s64, s56, s23
	s_mul_i32 s63, s58, s23
	s_add_i32 s62, s64, s62
	s_mul_i32 s65, s56, s23
	s_add_i32 s62, s62, s63
	s_mul_hi_u32 s64, s23, s65
	s_mul_hi_u32 s66, s4, s65
	s_mul_i32 s63, s4, s65
	s_mul_hi_u32 s65, s23, s62
	s_mul_i32 s23, s23, s62
	s_mul_hi_u32 s67, s4, s62
	s_add_u32 s23, s64, s23
	s_addc_u32 s64, 0, s65
	s_add_u32 s23, s23, s63
	s_mul_i32 s62, s4, s62
	s_addc_u32 s23, s64, s66
	s_addc_u32 s63, s67, 0
	s_add_u32 s23, s23, s62
	s_addc_u32 s62, 0, s63
	v_add_co_u32 v2, s23, v2, s23
	s_delay_alu instid0(VALU_DEP_1) | instskip(SKIP_1) | instid1(VALU_DEP_1)
	s_cmp_lg_u32 s23, 0
	s_addc_u32 s4, s4, s62
	v_readfirstlane_b32 s23, v2
	s_mul_i32 s62, s56, s4
	s_delay_alu instid0(VALU_DEP_1)
	s_mul_hi_u32 s63, s56, s23
	s_mul_i32 s58, s58, s23
	s_add_i32 s62, s63, s62
	s_mul_i32 s56, s56, s23
	s_add_i32 s62, s62, s58
	s_mul_hi_u32 s63, s4, s56
	s_mul_i32 s64, s4, s56
	s_mul_hi_u32 s56, s23, s56
	s_mul_hi_u32 s65, s23, s62
	s_mul_i32 s23, s23, s62
	s_mul_hi_u32 s58, s4, s62
	s_add_u32 s23, s56, s23
	s_addc_u32 s56, 0, s65
	s_add_u32 s23, s23, s64
	s_mul_i32 s62, s4, s62
	s_addc_u32 s23, s56, s63
	s_addc_u32 s56, s58, 0
	s_add_u32 s23, s23, s62
	s_addc_u32 s56, 0, s56
	v_add_co_u32 v2, s23, v2, s23
	s_delay_alu instid0(VALU_DEP_1) | instskip(SKIP_1) | instid1(VALU_DEP_1)
	s_cmp_lg_u32 s23, 0
	s_addc_u32 s4, s4, s56
	v_readfirstlane_b32 s23, v2
	s_mul_i32 s58, s18, s4
	s_mul_hi_u32 s56, s18, s4
	s_mul_hi_u32 s62, s5, s4
	s_mul_i32 s4, s5, s4
	s_mul_hi_u32 s63, s18, s23
	s_mul_hi_u32 s64, s5, s23
	s_mul_i32 s23, s5, s23
	s_add_u32 s58, s63, s58
	s_addc_u32 s56, 0, s56
	s_add_u32 s23, s58, s23
	s_addc_u32 s23, s56, s64
	s_addc_u32 s56, s62, 0
	s_add_u32 s4, s23, s4
	s_addc_u32 s23, 0, s56
	s_mul_hi_u32 s56, s33, s4
	s_mul_i32 s4, s33, s4
	s_mul_i32 s23, s33, s23
	v_sub_co_u32 v2, s4, s18, s4
	s_add_i32 s56, s56, s23
	s_cmp_lg_u32 s4, 0
	s_delay_alu instid0(VALU_DEP_1) | instskip(SKIP_2) | instid1(VALU_DEP_1)
	v_sub_co_u32 v3, s4, v2, s33
	s_subb_u32 s23, s5, s56
	s_cmp_lg_u32 s4, 0
	v_cmp_le_u32_e32 vcc_lo, s33, v3
	v_sub_co_u32 v4, s4, v3, s33
	s_subb_u32 s56, s23, 0
	s_cmp_lg_u32 s4, 0
	v_cndmask_b32_e64 v5, 0, -1, vcc_lo
	s_subb_u32 s4, s56, 0
	s_cmp_eq_u32 s56, 0
	v_mov_b32_e32 v7, s4
	s_cselect_b32 vcc_lo, -1, 0
	s_cmp_eq_u32 s23, 0
	v_cndmask_b32_e32 v5, -1, v5, vcc_lo
	v_cmp_le_u32_e32 vcc_lo, s33, v2
	s_cselect_b32 s4, -1, 0
	v_cndmask_b32_e64 v6, 0, -1, vcc_lo
	s_delay_alu instid0(VALU_DEP_3) | instskip(NEXT) | instid1(VALU_DEP_2)
	v_cmp_ne_u32_e32 vcc_lo, 0, v5
	v_cndmask_b32_e64 v5, -1, v6, s4
	v_cndmask_b32_e32 v6, s56, v7, vcc_lo
	v_cndmask_b32_e32 v4, v3, v4, vcc_lo
	s_delay_alu instid0(VALU_DEP_3) | instskip(NEXT) | instid1(VALU_DEP_3)
	v_cmp_ne_u32_e32 vcc_lo, 0, v5
	v_cndmask_b32_e32 v3, s23, v6, vcc_lo
	s_delay_alu instid0(VALU_DEP_3)
	v_cndmask_b32_e32 v2, v2, v4, vcc_lo
	s_cbranch_execnz .LBB77_225
.LBB77_224:                             ;   in Loop: Header=BB77_15 Depth=1
	v_cvt_f32_u32_e32 v2, s33
	s_sub_i32 s4, 0, s33
	s_delay_alu instid0(VALU_DEP_1) | instskip(SKIP_2) | instid1(VALU_DEP_1)
	v_rcp_iflag_f32_e32 v2, v2
	s_waitcnt_depctr 0xfff
	v_mul_f32_e32 v2, 0x4f7ffffe, v2
	v_cvt_u32_f32_e32 v2, v2
	s_delay_alu instid0(VALU_DEP_1) | instskip(NEXT) | instid1(VALU_DEP_1)
	v_mul_lo_u32 v3, s4, v2
	v_mul_hi_u32 v3, v2, v3
	s_delay_alu instid0(VALU_DEP_1) | instskip(NEXT) | instid1(VALU_DEP_1)
	v_add_nc_u32_e32 v2, v2, v3
	v_mul_hi_u32 v2, s18, v2
	s_delay_alu instid0(VALU_DEP_1) | instskip(NEXT) | instid1(VALU_DEP_1)
	v_mul_lo_u32 v2, v2, s33
	v_sub_nc_u32_e32 v2, s18, v2
	s_delay_alu instid0(VALU_DEP_1) | instskip(SKIP_1) | instid1(VALU_DEP_2)
	v_subrev_nc_u32_e32 v3, s33, v2
	v_cmp_le_u32_e32 vcc_lo, s33, v2
	v_cndmask_b32_e32 v2, v2, v3, vcc_lo
	s_delay_alu instid0(VALU_DEP_1) | instskip(SKIP_1) | instid1(VALU_DEP_2)
	v_subrev_nc_u32_e32 v3, s33, v2
	v_cmp_le_u32_e32 vcc_lo, s33, v2
	v_cndmask_b32_e32 v12, v2, v3, vcc_lo
	s_delay_alu instid0(VALU_DEP_1)
	v_dual_mov_b32 v2, v12 :: v_dual_mov_b32 v3, v13
.LBB77_225:                             ;   in Loop: Header=BB77_15 Depth=1
	s_delay_alu instid0(VALU_DEP_1) | instskip(NEXT) | instid1(VALU_DEP_2)
	v_sub_co_u32 v2, vcc_lo, s18, v2
	v_sub_co_ci_u32_e32 v3, vcc_lo, s5, v3, vcc_lo
	s_mov_b32 s23, 0
	s_mov_b32 s5, exec_lo
                                        ; implicit-def: $vgpr24
	s_delay_alu instid0(VALU_DEP_1)
	v_cmpx_gt_u64_e64 v[2:3], v[0:1]
	s_cbranch_execz .LBB77_237
; %bb.226:                              ;   in Loop: Header=BB77_15 Depth=1
	v_dual_mov_b32 v6, v0 :: v_dual_mov_b32 v5, v1
	v_mov_b32_e32 v4, v0
	s_mov_b32 s18, 0
                                        ; implicit-def: $sgpr23
	s_set_inst_prefetch_distance 0x1
	s_branch .LBB77_228
	.p2align	6
.LBB77_227:                             ;   in Loop: Header=BB77_228 Depth=2
	s_or_b32 exec_lo, exec_lo, s4
	s_waitcnt lgkmcnt(0)
	s_barrier
	buffer_gl0_inv
	ds_load_u16 v7, v13 offset:3072
	v_add_co_u32 v4, vcc_lo, v4, s33
	v_add_co_ci_u32_e32 v5, vcc_lo, 0, v5, vcc_lo
	v_add_nc_u32_e32 v6, s33, v6
	s_waitcnt lgkmcnt(0)
	s_barrier
	s_delay_alu instid0(VALU_DEP_2) | instskip(SKIP_2) | instid1(VALU_DEP_1)
	v_cmp_ge_u64_e32 vcc_lo, v[4:5], v[2:3]
	buffer_gl0_inv
	v_and_b32_e32 v8, 0xff, v7
	v_cmp_ne_u16_e64 s4, 0, v8
	s_delay_alu instid0(VALU_DEP_1) | instskip(NEXT) | instid1(SALU_CYCLE_1)
	s_or_b32 s56, vcc_lo, s4
	s_and_b32 s56, exec_lo, s56
	s_delay_alu instid0(SALU_CYCLE_1) | instskip(SKIP_2) | instid1(SALU_CYCLE_1)
	s_or_b32 s18, s56, s18
	s_and_not1_b32 s23, s23, exec_lo
	s_and_b32 s4, s4, exec_lo
	s_or_b32 s23, s23, s4
	s_and_not1_b32 exec_lo, exec_lo, s18
	s_cbranch_execz .LBB77_236
.LBB77_228:                             ;   Parent Loop BB77_15 Depth=1
                                        ; =>  This Inner Loop Header: Depth=2
	s_delay_alu instid0(VALU_DEP_1)
	v_cmp_gt_u64_e32 vcc_lo, s[8:9], v[4:5]
	v_mov_b32_e32 v7, 0
	s_and_saveexec_b32 s4, vcc_lo
	s_cbranch_execz .LBB77_230
; %bb.229:                              ;   in Loop: Header=BB77_228 Depth=2
	ds_load_u8 v7, v6
.LBB77_230:                             ;   in Loop: Header=BB77_228 Depth=2
	s_or_b32 exec_lo, exec_lo, s4
	s_waitcnt lgkmcnt(0)
	v_and_b32_e32 v8, s89, v7
	s_delay_alu instid0(VALU_DEP_1) | instskip(NEXT) | instid1(VALU_DEP_1)
	v_and_b32_e32 v8, 0xff, v8
	v_cmp_eq_u32_e64 s4, s88, v8
	s_delay_alu instid0(VALU_DEP_1) | instskip(NEXT) | instid1(SALU_CYCLE_1)
	s_and_b32 s56, vcc_lo, s4
	s_and_saveexec_b32 s4, s56
	s_cbranch_execz .LBB77_227
; %bb.231:                              ;   in Loop: Header=BB77_228 Depth=2
	v_lshlrev_b16 v7, 8, v7
	s_delay_alu instid0(VALU_DEP_1)
	v_or_b32_e32 v7, 1, v7
	ds_store_b16 v13, v7 offset:3072
	s_branch .LBB77_227
.LBB77_232:                             ;   in Loop: Header=BB77_15 Depth=1
                                        ; implicit-def: $sgpr8
                                        ; implicit-def: $sgpr18
                                        ; implicit-def: $sgpr9
	s_branch .LBB77_250
.LBB77_233:                             ;   in Loop: Header=BB77_15 Depth=1
                                        ; implicit-def: $vgpr2_vgpr3
	s_branch .LBB77_179
.LBB77_234:                             ;   in Loop: Header=BB77_15 Depth=1
                                        ; implicit-def: $vgpr2_vgpr3
	s_branch .LBB77_195
.LBB77_235:                             ;   in Loop: Header=BB77_15 Depth=1
	s_mov_b32 s8, -1
	s_mov_b32 s23, 0
                                        ; implicit-def: $sgpr9
                                        ; implicit-def: $vgpr24
	s_mov_b32 s18, s8
	s_cbranch_execnz .LBB77_238
	s_branch .LBB77_250
.LBB77_236:                             ;   in Loop: Header=BB77_15 Depth=1
	s_set_inst_prefetch_distance 0x2
	s_or_b32 exec_lo, exec_lo, s18
	v_lshrrev_b16 v24, 8, v7
	s_and_b32 s23, s23, exec_lo
.LBB77_237:                             ;   in Loop: Header=BB77_15 Depth=1
	s_or_b32 exec_lo, exec_lo, s5
	s_mov_b32 s9, -1
	s_mov_b32 s8, 0
	s_delay_alu instid0(SALU_CYCLE_1)
	s_mov_b32 s18, s8
	s_branch .LBB77_250
.LBB77_238:                             ;   in Loop: Header=BB77_15 Depth=1
	s_mov_b32 s58, s57
	s_delay_alu instid0(SALU_CYCLE_1)
	s_cmp_lg_u64 s[58:59], 0
	s_cbranch_scc0 .LBB77_271
; %bb.239:                              ;   in Loop: Header=BB77_15 Depth=1
	v_cvt_f32_u32_e32 v2, s33
	s_sub_u32 s8, 0, s33
	s_subb_u32 s9, 0, 0
	s_delay_alu instid0(VALU_DEP_1) | instskip(NEXT) | instid1(VALU_DEP_1)
	v_fmac_f32_e64 v2, 0, 0x4f800000
	v_rcp_f32_e32 v2, v2
	s_waitcnt_depctr 0xfff
	v_mul_f32_e32 v2, 0x5f7ffffc, v2
	s_delay_alu instid0(VALU_DEP_1) | instskip(NEXT) | instid1(VALU_DEP_1)
	v_mul_f32_e32 v3, 0x2f800000, v2
	v_trunc_f32_e32 v3, v3
	s_delay_alu instid0(VALU_DEP_1) | instskip(SKIP_1) | instid1(VALU_DEP_2)
	v_fmac_f32_e32 v2, 0xcf800000, v3
	v_cvt_u32_f32_e32 v3, v3
	v_cvt_u32_f32_e32 v2, v2
	s_delay_alu instid0(VALU_DEP_2) | instskip(NEXT) | instid1(VALU_DEP_2)
	v_readfirstlane_b32 s4, v3
	v_readfirstlane_b32 s5, v2
	s_delay_alu instid0(VALU_DEP_2) | instskip(NEXT) | instid1(VALU_DEP_1)
	s_mul_i32 s18, s8, s4
	s_mul_hi_u32 s56, s8, s5
	s_mul_i32 s23, s9, s5
	s_add_i32 s18, s56, s18
	s_mul_i32 s58, s8, s5
	s_add_i32 s18, s18, s23
	s_mul_hi_u32 s56, s5, s58
	s_mul_hi_u32 s62, s4, s58
	s_mul_i32 s23, s4, s58
	s_mul_hi_u32 s58, s5, s18
	s_mul_i32 s5, s5, s18
	s_mul_hi_u32 s63, s4, s18
	s_add_u32 s5, s56, s5
	s_addc_u32 s56, 0, s58
	s_add_u32 s5, s5, s23
	s_mul_i32 s18, s4, s18
	s_addc_u32 s5, s56, s62
	s_addc_u32 s23, s63, 0
	s_add_u32 s5, s5, s18
	s_addc_u32 s18, 0, s23
	v_add_co_u32 v2, s5, v2, s5
	s_delay_alu instid0(VALU_DEP_1) | instskip(SKIP_1) | instid1(VALU_DEP_1)
	s_cmp_lg_u32 s5, 0
	s_addc_u32 s4, s4, s18
	v_readfirstlane_b32 s5, v2
	s_mul_i32 s18, s8, s4
	s_delay_alu instid0(VALU_DEP_1)
	s_mul_hi_u32 s23, s8, s5
	s_mul_i32 s9, s9, s5
	s_add_i32 s18, s23, s18
	s_mul_i32 s8, s8, s5
	s_add_i32 s18, s18, s9
	s_mul_hi_u32 s23, s4, s8
	s_mul_i32 s56, s4, s8
	s_mul_hi_u32 s8, s5, s8
	s_mul_hi_u32 s58, s5, s18
	s_mul_i32 s5, s5, s18
	s_mul_hi_u32 s9, s4, s18
	s_add_u32 s5, s8, s5
	s_addc_u32 s8, 0, s58
	s_add_u32 s5, s5, s56
	s_mul_i32 s18, s4, s18
	s_addc_u32 s5, s8, s23
	s_addc_u32 s8, s9, 0
	s_add_u32 s5, s5, s18
	s_addc_u32 s8, 0, s8
	v_add_co_u32 v2, s5, v2, s5
	s_delay_alu instid0(VALU_DEP_1) | instskip(SKIP_1) | instid1(VALU_DEP_1)
	s_cmp_lg_u32 s5, 0
	s_addc_u32 s4, s4, s8
	v_readfirstlane_b32 s5, v2
	s_mul_i32 s9, s73, s4
	s_mul_hi_u32 s8, s73, s4
	s_mul_hi_u32 s18, s59, s4
	s_mul_i32 s4, s59, s4
	s_mul_hi_u32 s23, s73, s5
	s_mul_hi_u32 s56, s59, s5
	s_mul_i32 s5, s59, s5
	s_add_u32 s9, s23, s9
	s_addc_u32 s8, 0, s8
	s_add_u32 s5, s9, s5
	s_addc_u32 s5, s8, s56
	s_addc_u32 s8, s18, 0
	s_add_u32 s4, s5, s4
	s_addc_u32 s5, 0, s8
	s_mul_hi_u32 s8, s33, s4
	s_mul_i32 s4, s33, s4
	s_mul_i32 s5, s33, s5
	v_sub_co_u32 v2, s4, s73, s4
	s_add_i32 s8, s8, s5
	s_cmp_lg_u32 s4, 0
	s_delay_alu instid0(VALU_DEP_1) | instskip(SKIP_2) | instid1(VALU_DEP_1)
	v_sub_co_u32 v3, s4, v2, s33
	s_subb_u32 s5, s59, s8
	s_cmp_lg_u32 s4, 0
	v_cmp_le_u32_e32 vcc_lo, s33, v3
	v_sub_co_u32 v4, s4, v3, s33
	s_subb_u32 s8, s5, 0
	s_cmp_lg_u32 s4, 0
	v_cndmask_b32_e64 v5, 0, -1, vcc_lo
	s_subb_u32 s4, s8, 0
	s_cmp_eq_u32 s8, 0
	v_mov_b32_e32 v7, s4
	s_cselect_b32 vcc_lo, -1, 0
	s_cmp_eq_u32 s5, 0
	v_cndmask_b32_e32 v5, -1, v5, vcc_lo
	v_cmp_le_u32_e32 vcc_lo, s33, v2
	s_cselect_b32 s4, -1, 0
	v_cndmask_b32_e64 v6, 0, -1, vcc_lo
	s_delay_alu instid0(VALU_DEP_3) | instskip(NEXT) | instid1(VALU_DEP_2)
	v_cmp_ne_u32_e32 vcc_lo, 0, v5
	v_cndmask_b32_e64 v5, -1, v6, s4
	v_cndmask_b32_e32 v6, s8, v7, vcc_lo
	v_cndmask_b32_e32 v4, v3, v4, vcc_lo
	s_delay_alu instid0(VALU_DEP_3) | instskip(NEXT) | instid1(VALU_DEP_3)
	v_cmp_ne_u32_e32 vcc_lo, 0, v5
	v_cndmask_b32_e32 v3, s5, v6, vcc_lo
	s_delay_alu instid0(VALU_DEP_3)
	v_cndmask_b32_e32 v2, v2, v4, vcc_lo
	s_cbranch_execnz .LBB77_241
.LBB77_240:                             ;   in Loop: Header=BB77_15 Depth=1
	v_cvt_f32_u32_e32 v2, s33
	s_sub_i32 s4, 0, s33
	s_delay_alu instid0(VALU_DEP_1) | instskip(SKIP_2) | instid1(VALU_DEP_1)
	v_rcp_iflag_f32_e32 v2, v2
	s_waitcnt_depctr 0xfff
	v_mul_f32_e32 v2, 0x4f7ffffe, v2
	v_cvt_u32_f32_e32 v2, v2
	s_delay_alu instid0(VALU_DEP_1) | instskip(NEXT) | instid1(VALU_DEP_1)
	v_mul_lo_u32 v3, s4, v2
	v_mul_hi_u32 v3, v2, v3
	s_delay_alu instid0(VALU_DEP_1) | instskip(NEXT) | instid1(VALU_DEP_1)
	v_add_nc_u32_e32 v2, v2, v3
	v_mul_hi_u32 v2, s73, v2
	s_delay_alu instid0(VALU_DEP_1) | instskip(NEXT) | instid1(VALU_DEP_1)
	v_mul_lo_u32 v2, v2, s33
	v_sub_nc_u32_e32 v2, s73, v2
	s_delay_alu instid0(VALU_DEP_1) | instskip(SKIP_1) | instid1(VALU_DEP_2)
	v_subrev_nc_u32_e32 v3, s33, v2
	v_cmp_le_u32_e32 vcc_lo, s33, v2
	v_cndmask_b32_e32 v2, v2, v3, vcc_lo
	s_delay_alu instid0(VALU_DEP_1) | instskip(SKIP_1) | instid1(VALU_DEP_2)
	v_subrev_nc_u32_e32 v3, s33, v2
	v_cmp_le_u32_e32 vcc_lo, s33, v2
	v_cndmask_b32_e32 v12, v2, v3, vcc_lo
	s_delay_alu instid0(VALU_DEP_1)
	v_dual_mov_b32 v2, v12 :: v_dual_mov_b32 v3, v13
.LBB77_241:                             ;   in Loop: Header=BB77_15 Depth=1
	s_delay_alu instid0(VALU_DEP_1) | instskip(NEXT) | instid1(VALU_DEP_2)
	v_sub_co_u32 v2, vcc_lo, s73, v2
	v_sub_co_ci_u32_e32 v3, vcc_lo, s59, v3, vcc_lo
	s_mov_b32 s23, 0
	s_mov_b32 s5, exec_lo
                                        ; implicit-def: $vgpr24
	s_delay_alu instid0(VALU_DEP_1)
	v_cmpx_gt_u64_e64 v[2:3], v[0:1]
	s_cbranch_execz .LBB77_249
; %bb.242:                              ;   in Loop: Header=BB77_15 Depth=1
	v_dual_mov_b32 v5, v1 :: v_dual_mov_b32 v4, v0
	s_mov_b32 s8, 0
                                        ; implicit-def: $sgpr9
	s_branch .LBB77_244
.LBB77_243:                             ;   in Loop: Header=BB77_244 Depth=2
	s_or_b32 exec_lo, exec_lo, s4
	s_waitcnt lgkmcnt(0)
	s_barrier
	buffer_gl0_inv
	ds_load_u16 v6, v13 offset:3072
	v_add_co_u32 v4, vcc_lo, v4, s33
	v_add_co_ci_u32_e32 v5, vcc_lo, 0, v5, vcc_lo
	s_waitcnt lgkmcnt(0)
	s_barrier
	buffer_gl0_inv
	v_cmp_ge_u64_e32 vcc_lo, v[4:5], v[2:3]
	v_and_b32_e32 v7, 0xff, v6
	s_delay_alu instid0(VALU_DEP_1) | instskip(NEXT) | instid1(VALU_DEP_1)
	v_cmp_ne_u16_e64 s4, 0, v7
	s_or_b32 s18, vcc_lo, s4
	s_delay_alu instid0(SALU_CYCLE_1) | instskip(NEXT) | instid1(SALU_CYCLE_1)
	s_and_b32 s18, exec_lo, s18
	s_or_b32 s8, s18, s8
	s_and_not1_b32 s9, s9, exec_lo
	s_and_b32 s4, s4, exec_lo
	s_delay_alu instid0(SALU_CYCLE_1)
	s_or_b32 s9, s9, s4
	s_and_not1_b32 exec_lo, exec_lo, s8
	s_cbranch_execz .LBB77_248
.LBB77_244:                             ;   Parent Loop BB77_15 Depth=1
                                        ; =>  This Inner Loop Header: Depth=2
	s_delay_alu instid0(VALU_DEP_1)
	v_cmp_gt_u64_e32 vcc_lo, s[24:25], v[4:5]
	v_mov_b32_e32 v6, 0
	s_and_saveexec_b32 s4, vcc_lo
	s_cbranch_execz .LBB77_246
; %bb.245:                              ;   in Loop: Header=BB77_244 Depth=2
	v_mad_u64_u32 v[6:7], null, v4, s42, s[50:51]
	v_mul_lo_u32 v8, v4, s43
	v_mul_lo_u32 v9, v5, s42
	s_delay_alu instid0(VALU_DEP_1)
	v_add3_u32 v7, v9, v7, v8
	global_load_u8 v6, v[6:7], off
.LBB77_246:                             ;   in Loop: Header=BB77_244 Depth=2
	s_or_b32 exec_lo, exec_lo, s4
	s_waitcnt vmcnt(0)
	v_and_b32_e32 v7, s89, v6
	s_delay_alu instid0(VALU_DEP_1) | instskip(NEXT) | instid1(VALU_DEP_1)
	v_and_b32_e32 v7, 0xff, v7
	v_cmp_eq_u32_e64 s4, s88, v7
	s_delay_alu instid0(VALU_DEP_1) | instskip(NEXT) | instid1(SALU_CYCLE_1)
	s_and_b32 s18, vcc_lo, s4
	s_and_saveexec_b32 s4, s18
	s_cbranch_execz .LBB77_243
; %bb.247:                              ;   in Loop: Header=BB77_244 Depth=2
	v_lshlrev_b16 v6, 8, v6
	s_delay_alu instid0(VALU_DEP_1)
	v_or_b32_e32 v6, 1, v6
	ds_store_b16 v13, v6 offset:3072
	s_branch .LBB77_243
.LBB77_248:                             ;   in Loop: Header=BB77_15 Depth=1
	s_or_b32 exec_lo, exec_lo, s8
	v_lshrrev_b16 v24, 8, v6
	s_and_b32 s23, s9, exec_lo
.LBB77_249:                             ;   in Loop: Header=BB77_15 Depth=1
	s_or_b32 exec_lo, exec_lo, s5
	s_mov_b32 s18, -1
	s_mov_b32 s8, 0
	s_mov_b32 s9, 0
.LBB77_250:                             ;   in Loop: Header=BB77_15 Depth=1
	s_mov_b32 s62, 0
                                        ; implicit-def: $sgpr56
                                        ; implicit-def: $sgpr4_sgpr5
	s_and_saveexec_b32 s58, s23
	s_cbranch_execz .LBB77_263
; %bb.251:                              ;   in Loop: Header=BB77_15 Depth=1
	s_xor_b32 s17, s17, -1
	s_mov_b64 s[4:5], 1
	s_and_not1_b32 vcc_lo, exec_lo, s17
	s_mov_b32 s56, 1
	s_cbranch_vccnz .LBB77_262
; %bb.252:                              ;   in Loop: Header=BB77_15 Depth=1
	v_cmp_gt_u64_e64 s4, s[54:55], s[6:7]
	s_delay_alu instid0(VALU_DEP_1)
	s_and_b32 vcc_lo, exec_lo, s4
	s_cbranch_vccnz .LBB77_258
; %bb.253:                              ;   in Loop: Header=BB77_15 Depth=1
	ds_load_b64 v[2:3], v13 offset:5120
	s_waitcnt lgkmcnt(0)
	v_cmp_ne_u64_e32 vcc_lo, 0, v[2:3]
	s_cbranch_vccnz .LBB77_257
; %bb.254:                              ;   in Loop: Header=BB77_15 Depth=1
	s_and_saveexec_b32 s4, s2
	s_cbranch_execz .LBB77_256
; %bb.255:                              ;   in Loop: Header=BB77_15 Depth=1
	v_dual_mov_b32 v2, s6 :: v_dual_mov_b32 v3, s7
	ds_store_b64 v13, v[2:3] offset:5128
.LBB77_256:                             ;   in Loop: Header=BB77_15 Depth=1
	s_or_b32 exec_lo, exec_lo, s4
	s_waitcnt lgkmcnt(0)
	s_barrier
	buffer_gl0_inv
.LBB77_257:                             ;   in Loop: Header=BB77_15 Depth=1
	s_or_b32 s17, s88, s16
	s_or_b32 s16, s89, s16
	s_mov_b32 s4, 0
	s_mov_b32 s56, 8
	s_branch .LBB77_259
.LBB77_258:                             ;   in Loop: Header=BB77_15 Depth=1
	s_mov_b32 s4, -1
                                        ; implicit-def: $sgpr56
                                        ; implicit-def: $sgpr17
                                        ; implicit-def: $sgpr16
.LBB77_259:                             ;   in Loop: Header=BB77_15 Depth=1
	s_delay_alu instid0(SALU_CYCLE_1)
	s_and_not1_b32 vcc_lo, exec_lo, s4
	s_cbranch_vccnz .LBB77_261
; %bb.260:                              ;   in Loop: Header=BB77_15 Depth=1
	s_sub_u32 s54, s54, s6
	s_subb_u32 s55, s55, s7
	s_mov_b32 s56, 8
	s_mov_b32 s17, s88
	;; [unrolled: 1-line block ×3, first 2 shown]
.LBB77_261:                             ;   in Loop: Header=BB77_15 Depth=1
	s_mov_b64 s[4:5], s[54:55]
	s_mov_b32 s88, s17
	s_mov_b32 s89, s16
.LBB77_262:                             ;   in Loop: Header=BB77_15 Depth=1
	s_mov_b32 s62, exec_lo
.LBB77_263:                             ;   in Loop: Header=BB77_15 Depth=1
	s_or_b32 exec_lo, exec_lo, s58
	s_mov_b64 s[54:55], s[4:5]
.LBB77_264:                             ;   in Loop: Header=BB77_15 Depth=1
	s_and_not1_b32 s4, s10, exec_lo
	s_and_b32 s5, s8, exec_lo
	s_and_not1_b32 s6, s11, exec_lo
	s_or_b32 s10, s4, s5
	s_and_not1_b32 s4, s21, exec_lo
	s_and_b32 s5, s18, exec_lo
	s_and_b32 s7, s9, exec_lo
	s_or_b32 s21, s4, s5
	s_or_b32 s11, s6, s7
	s_and_b32 s5, s62, exec_lo
.LBB77_265:                             ;   in Loop: Header=BB77_15 Depth=1
	s_or_b32 exec_lo, exec_lo, s22
.LBB77_266:                             ;   in Loop: Header=BB77_15 Depth=1
	s_delay_alu instid0(SALU_CYCLE_1)
	s_and_not1_b32 s4, s13, exec_lo
	s_and_b32 s6, s10, exec_lo
	s_and_not1_b32 s7, s12, exec_lo
	s_or_b32 s13, s4, s6
	s_and_not1_b32 s4, s19, exec_lo
	s_and_b32 s6, s21, exec_lo
	s_and_b32 s8, s11, exec_lo
	s_or_b32 s19, s4, s6
	s_or_b32 s12, s7, s8
	s_and_b32 s5, s5, exec_lo
.LBB77_267:                             ;   in Loop: Header=BB77_15 Depth=1
	s_or_b32 exec_lo, exec_lo, s20
	s_and_saveexec_b32 s4, s5
	s_delay_alu instid0(SALU_CYCLE_1)
	s_xor_b32 s4, exec_lo, s4
	s_cbranch_execz .LBB77_13
.LBB77_268:                             ;   in Loop: Header=BB77_15 Depth=1
	s_and_b32 s5, s56, -9
	s_delay_alu instid0(SALU_CYCLE_1)
	s_cmp_eq_u32 s5, 0
	s_cbranch_scc1 .LBB77_11
; %bb.269:                              ;   in Loop: Header=BB77_15 Depth=1
	s_mov_b32 s5, -1
	s_mov_b32 s6, -1
                                        ; implicit-def: $sgpr89
                                        ; implicit-def: $sgpr54_sgpr55
                                        ; implicit-def: $sgpr82
                                        ; implicit-def: $sgpr86
	s_branch .LBB77_12
.LBB77_270:                             ;   in Loop: Header=BB77_15 Depth=1
                                        ; implicit-def: $vgpr2_vgpr3
	s_branch .LBB77_224
.LBB77_271:                             ;   in Loop: Header=BB77_15 Depth=1
                                        ; implicit-def: $vgpr2_vgpr3
	s_branch .LBB77_240
.LBB77_272:
	s_or_b32 exec_lo, exec_lo, s79
	s_xor_b32 s4, s83, -1
	s_xor_b32 s1, s80, -1
	;; [unrolled: 1-line block ×3, first 2 shown]
	s_mov_b32 s2, 0
	s_and_saveexec_b32 s5, s1
	s_delay_alu instid0(SALU_CYCLE_1)
	s_xor_b32 s1, exec_lo, s5
	s_cbranch_execz .LBB77_289
; %bb.273:
	s_and_saveexec_b32 s2, s4
	s_delay_alu instid0(SALU_CYCLE_1)
	s_xor_b32 s2, exec_lo, s2
	s_cbranch_execz .LBB77_287
; %bb.274:
	s_and_saveexec_b32 s4, s3
	s_delay_alu instid0(SALU_CYCLE_1)
	s_xor_b32 s3, exec_lo, s4
; %bb.275:
	v_mov_b32_e32 v24, v2
; %bb.276:
	s_or_b32 exec_lo, exec_lo, s3
	s_mul_i32 s3, s46, s45
	s_mul_hi_u32 s4, s46, s44
	s_mul_i32 s5, s46, s44
	s_add_i32 s4, s4, s3
	s_sub_u32 s3, s34, s5
	s_subb_u32 s4, 0, s4
	s_mul_i32 s5, s3, s39
	s_mul_hi_u32 s6, s3, s38
	s_mul_i32 s4, s4, s38
	s_add_i32 s5, s6, s5
	s_mul_hi_u32 s6, s46, s36
	s_add_i32 s5, s5, s4
	s_mul_i32 s4, s46, s37
	s_mul_i32 s7, s46, s36
	s_add_i32 s6, s6, s4
	s_mul_i32 s3, s3, s38
	s_add_u32 s4, s52, s7
	v_mov_b32_e32 v2, 0
	s_addc_u32 s6, s53, s6
	s_add_u32 s4, s4, s3
	s_addc_u32 s5, s6, s5
	global_store_b8 v2, v24, s[4:5]
	s_and_saveexec_b32 s3, s0
	s_cbranch_execz .LBB77_286
; %bb.277:
	v_and_b32_e32 v4, 0xff, v24
	s_mov_b32 s0, 0
                                        ; implicit-def: $sgpr4
                                        ; implicit-def: $sgpr6
                                        ; implicit-def: $sgpr5
	s_set_inst_prefetch_distance 0x1
	s_branch .LBB77_279
	.p2align	6
.LBB77_278:                             ;   in Loop: Header=BB77_279 Depth=1
	s_or_b32 exec_lo, exec_lo, s7
	s_delay_alu instid0(SALU_CYCLE_1) | instskip(NEXT) | instid1(SALU_CYCLE_1)
	s_and_b32 s7, exec_lo, s6
	s_or_b32 s0, s7, s0
	s_and_not1_b32 s4, s4, exec_lo
	s_and_b32 s7, s5, exec_lo
	s_delay_alu instid0(SALU_CYCLE_1)
	s_or_b32 s4, s4, s7
	s_and_not1_b32 exec_lo, exec_lo, s0
	s_cbranch_execz .LBB77_284
.LBB77_279:                             ; =>This Inner Loop Header: Depth=1
	v_dual_mov_b32 v3, v1 :: v_dual_mov_b32 v2, v0
	s_or_b32 s5, s5, exec_lo
	s_or_b32 s6, s6, exec_lo
	s_delay_alu instid0(VALU_DEP_1) | instskip(NEXT) | instid1(VALU_DEP_2)
	v_mul_lo_u32 v6, v3, s42
	v_mad_u64_u32 v[0:1], null, v2, s42, s[50:51]
	v_mul_lo_u32 v5, v2, s43
	s_delay_alu instid0(VALU_DEP_1)
	v_add3_u32 v1, v6, v1, v5
	global_load_u8 v0, v[0:1], off
	s_waitcnt vmcnt(0)
	v_cmp_ne_u16_e32 vcc_lo, v0, v4
                                        ; implicit-def: $vgpr0_vgpr1
	s_and_saveexec_b32 s7, vcc_lo
	s_cbranch_execz .LBB77_278
; %bb.280:                              ;   in Loop: Header=BB77_279 Depth=1
	v_add_co_u32 v0, vcc_lo, v2, s33
	v_add_co_ci_u32_e32 v1, vcc_lo, 0, v3, vcc_lo
	s_and_not1_b32 s6, s6, exec_lo
	s_and_not1_b32 s5, s5, exec_lo
	s_delay_alu instid0(VALU_DEP_1) | instskip(SKIP_1) | instid1(SALU_CYCLE_1)
	v_cmp_le_u64_e32 vcc_lo, s[24:25], v[0:1]
	s_and_b32 s8, vcc_lo, exec_lo
	s_or_b32 s6, s6, s8
	s_branch .LBB77_278
.LBB77_281:
	v_cvt_f32_u32_e32 v1, s44
	s_sub_i32 s3, 0, s44
	s_delay_alu instid0(VALU_DEP_1) | instskip(SKIP_2) | instid1(VALU_DEP_1)
	v_rcp_iflag_f32_e32 v1, v1
	s_waitcnt_depctr 0xfff
	v_mul_f32_e32 v1, 0x4f7ffffe, v1
	v_cvt_u32_f32_e32 v1, v1
	s_delay_alu instid0(VALU_DEP_1) | instskip(NEXT) | instid1(VALU_DEP_1)
	v_readfirstlane_b32 s2, v1
	s_mul_i32 s3, s3, s2
	s_delay_alu instid0(SALU_CYCLE_1) | instskip(NEXT) | instid1(SALU_CYCLE_1)
	s_mul_hi_u32 s3, s2, s3
	s_add_i32 s2, s2, s3
	s_delay_alu instid0(SALU_CYCLE_1) | instskip(NEXT) | instid1(SALU_CYCLE_1)
	s_mul_hi_u32 s2, s34, s2
	s_mul_i32 s3, s2, s44
	s_add_i32 s4, s2, 1
	s_sub_i32 s3, s34, s3
	s_delay_alu instid0(SALU_CYCLE_1)
	s_sub_i32 s5, s3, s44
	s_cmp_ge_u32 s3, s44
	s_cselect_b32 s2, s4, s2
	s_cselect_b32 s3, s5, s3
	s_add_i32 s4, s2, 1
	s_cmp_ge_u32 s3, s44
	s_cselect_b32 s46, s4, s2
	s_load_b64 s[42:43], s[0:1], 0x4f0
	v_cmp_lt_u64_e64 s2, s[34:35], s[26:27]
	s_delay_alu instid0(VALU_DEP_1)
	s_and_b32 vcc_lo, exec_lo, s2
	s_cbranch_vccnz .LBB77_3
.LBB77_282:
	v_cvt_f32_u32_e32 v1, s26
	s_sub_i32 s3, 0, s26
	s_delay_alu instid0(VALU_DEP_1) | instskip(SKIP_2) | instid1(VALU_DEP_1)
	v_rcp_iflag_f32_e32 v1, v1
	s_waitcnt_depctr 0xfff
	v_mul_f32_e32 v1, 0x4f7ffffe, v1
	v_cvt_u32_f32_e32 v1, v1
	s_delay_alu instid0(VALU_DEP_1) | instskip(NEXT) | instid1(VALU_DEP_1)
	v_readfirstlane_b32 s2, v1
	s_mul_i32 s3, s3, s2
	s_delay_alu instid0(SALU_CYCLE_1) | instskip(NEXT) | instid1(SALU_CYCLE_1)
	s_mul_hi_u32 s3, s2, s3
	s_add_i32 s2, s2, s3
	s_delay_alu instid0(SALU_CYCLE_1) | instskip(NEXT) | instid1(SALU_CYCLE_1)
	s_mul_hi_u32 s2, s34, s2
	s_mul_i32 s3, s2, s26
	s_add_i32 s4, s2, 1
	s_sub_i32 s3, s34, s3
	s_delay_alu instid0(SALU_CYCLE_1)
	s_sub_i32 s5, s3, s26
	s_cmp_ge_u32 s3, s26
	s_cselect_b32 s2, s4, s2
	s_cselect_b32 s3, s5, s3
	s_add_i32 s4, s2, 1
	s_cmp_ge_u32 s3, s26
	s_cselect_b32 s40, s4, s2
	v_cmp_lt_u64_e64 s2, s[34:35], s[14:15]
	s_mov_b64 s[16:17], 0
	s_delay_alu instid0(VALU_DEP_1)
	s_and_b32 vcc_lo, exec_lo, s2
	s_cbranch_vccnz .LBB77_4
.LBB77_283:
	v_cvt_f32_u32_e32 v1, s14
	s_sub_i32 s3, 0, s14
	s_delay_alu instid0(VALU_DEP_1) | instskip(SKIP_2) | instid1(VALU_DEP_1)
	v_rcp_iflag_f32_e32 v1, v1
	s_waitcnt_depctr 0xfff
	v_mul_f32_e32 v1, 0x4f7ffffe, v1
	v_cvt_u32_f32_e32 v1, v1
	s_delay_alu instid0(VALU_DEP_1) | instskip(NEXT) | instid1(VALU_DEP_1)
	v_readfirstlane_b32 s2, v1
	s_mul_i32 s3, s3, s2
	s_delay_alu instid0(SALU_CYCLE_1) | instskip(NEXT) | instid1(SALU_CYCLE_1)
	s_mul_hi_u32 s3, s2, s3
	s_add_i32 s2, s2, s3
	s_delay_alu instid0(SALU_CYCLE_1) | instskip(NEXT) | instid1(SALU_CYCLE_1)
	s_mul_hi_u32 s2, s34, s2
	s_mul_i32 s3, s2, s14
	s_add_i32 s4, s2, 1
	s_sub_i32 s3, s34, s3
	s_delay_alu instid0(SALU_CYCLE_1)
	s_sub_i32 s5, s3, s14
	s_cmp_ge_u32 s3, s14
	s_cselect_b32 s2, s4, s2
	s_cselect_b32 s3, s5, s3
	s_add_i32 s4, s2, 1
	s_cmp_ge_u32 s3, s14
	s_cselect_b32 s16, s4, s2
	v_cmp_eq_u32_e64 s2, 0, v0
	s_delay_alu instid0(VALU_DEP_1)
	s_and_saveexec_b32 s3, s2
	s_cbranch_execnz .LBB77_5
	s_branch .LBB77_6
.LBB77_284:
	s_set_inst_prefetch_distance 0x2
	s_or_b32 exec_lo, exec_lo, s0
	s_and_saveexec_b32 s0, s4
	s_delay_alu instid0(SALU_CYCLE_1)
	s_xor_b32 s0, exec_lo, s0
	s_cbranch_execz .LBB77_286
; %bb.285:
	s_mul_i32 s0, s40, s27
	s_mul_hi_u32 s4, s40, s26
	s_mul_i32 s5, s40, s26
	s_add_i32 s4, s4, s0
	s_sub_u32 s0, s34, s5
	s_subb_u32 s4, 0, s4
	s_mul_i32 s5, s0, s31
	s_mul_hi_u32 s6, s0, s30
	s_mul_hi_u32 s7, s40, s28
	s_add_i32 s6, s6, s5
	s_mul_i32 s5, s40, s29
	s_mul_i32 s8, s4, s30
	s_add_i32 s5, s7, s5
	s_mul_i32 s4, s40, s28
	s_add_i32 s7, s6, s8
	s_lshl_b64 s[4:5], s[4:5], 3
	s_mul_i32 s6, s0, s30
	s_add_u32 s0, s48, s4
	s_addc_u32 s8, s49, s5
	s_lshl_b64 s[4:5], s[6:7], 3
	v_mov_b32_e32 v0, 0
	s_add_u32 s4, s0, s4
	s_addc_u32 s5, s8, s5
	global_store_b64 v0, v[2:3], s[4:5]
.LBB77_286:
	s_or_b32 exec_lo, exec_lo, s3
.LBB77_287:
	s_or_saveexec_b32 s0, s2
	s_mov_b32 s2, 0
	s_xor_b32 exec_lo, exec_lo, s0
	s_cbranch_execnz .LBB77_295
.LBB77_288:
	s_or_b32 exec_lo, exec_lo, s0
	s_delay_alu instid0(SALU_CYCLE_1)
	s_and_b32 s2, s2, exec_lo
.LBB77_289:
	s_and_not1_saveexec_b32 s0, s1
	s_cbranch_execnz .LBB77_293
; %bb.290:
	s_or_b32 exec_lo, exec_lo, s0
	s_and_saveexec_b32 s0, s2
.LBB77_291:
	; divergent unreachable
.LBB77_292:
	s_nop 0
	s_sendmsg sendmsg(MSG_DEALLOC_VGPRS)
	s_endpgm
.LBB77_293:
	s_cbranch_execnz .LBB77_297
; %bb.294:
	s_or_b32 s2, s2, exec_lo
	s_or_b32 exec_lo, exec_lo, s0
	s_and_saveexec_b32 s0, s2
	s_cbranch_execnz .LBB77_291
	s_branch .LBB77_292
.LBB77_295:
	s_cbranch_execnz .LBB77_299
; %bb.296:
	s_mov_b32 s2, exec_lo
	s_branch .LBB77_288
.LBB77_297:
	s_trap 2
	s_sendmsg_rtn_b32 s0, sendmsg(MSG_RTN_GET_DOORBELL)
	s_mov_b32 ttmp2, m0
	s_waitcnt lgkmcnt(0)
	s_and_b32 s0, s0, 0x3ff
	s_delay_alu instid0(SALU_CYCLE_1) | instskip(NEXT) | instid1(SALU_CYCLE_1)
	s_bitset1_b32 s0, 10
	s_mov_b32 m0, s0
	s_sendmsg sendmsg(MSG_INTERRUPT)
	s_mov_b32 m0, ttmp2
.LBB77_298:                             ; =>This Inner Loop Header: Depth=1
	s_sethalt 5
	s_branch .LBB77_298
.LBB77_299:
	s_trap 2
	s_sendmsg_rtn_b32 s0, sendmsg(MSG_RTN_GET_DOORBELL)
	s_mov_b32 ttmp2, m0
	s_waitcnt lgkmcnt(0)
	s_and_b32 s0, s0, 0x3ff
	s_delay_alu instid0(SALU_CYCLE_1) | instskip(NEXT) | instid1(SALU_CYCLE_1)
	s_bitset1_b32 s0, 10
	s_mov_b32 m0, s0
	s_sendmsg sendmsg(MSG_INTERRUPT)
	s_mov_b32 m0, ttmp2
.LBB77_300:                             ; =>This Inner Loop Header: Depth=1
	s_sethalt 5
	s_branch .LBB77_300
	.section	.rodata,"a",@progbits
	.p2align	6, 0x0
	.amdhsa_kernel _ZN2at6native12_GLOBAL__N_112gatherMedianIhmLi2EEEvNS_4cuda6detail10TensorInfoIT_T0_EENS5_IlS7_EENS5_IKS6_S7_EES7_S7_S7_b
		.amdhsa_group_segment_fixed_size 5152
		.amdhsa_private_segment_fixed_size 0
		.amdhsa_kernarg_size 1536
		.amdhsa_user_sgpr_count 13
		.amdhsa_user_sgpr_dispatch_ptr 0
		.amdhsa_user_sgpr_queue_ptr 0
		.amdhsa_user_sgpr_kernarg_segment_ptr 1
		.amdhsa_user_sgpr_dispatch_id 0
		.amdhsa_user_sgpr_private_segment_size 0
		.amdhsa_wavefront_size32 1
		.amdhsa_uses_dynamic_stack 0
		.amdhsa_enable_private_segment 0
		.amdhsa_system_sgpr_workgroup_id_x 1
		.amdhsa_system_sgpr_workgroup_id_y 1
		.amdhsa_system_sgpr_workgroup_id_z 1
		.amdhsa_system_sgpr_workgroup_info 0
		.amdhsa_system_vgpr_workitem_id 0
		.amdhsa_next_free_vgpr 29
		.amdhsa_next_free_sgpr 92
		.amdhsa_reserve_vcc 1
		.amdhsa_float_round_mode_32 0
		.amdhsa_float_round_mode_16_64 0
		.amdhsa_float_denorm_mode_32 3
		.amdhsa_float_denorm_mode_16_64 3
		.amdhsa_dx10_clamp 1
		.amdhsa_ieee_mode 1
		.amdhsa_fp16_overflow 0
		.amdhsa_workgroup_processor_mode 1
		.amdhsa_memory_ordered 1
		.amdhsa_forward_progress 0
		.amdhsa_shared_vgpr_count 0
		.amdhsa_exception_fp_ieee_invalid_op 0
		.amdhsa_exception_fp_denorm_src 0
		.amdhsa_exception_fp_ieee_div_zero 0
		.amdhsa_exception_fp_ieee_overflow 0
		.amdhsa_exception_fp_ieee_underflow 0
		.amdhsa_exception_fp_ieee_inexact 0
		.amdhsa_exception_int_div_zero 0
	.end_amdhsa_kernel
	.section	.text._ZN2at6native12_GLOBAL__N_112gatherMedianIhmLi2EEEvNS_4cuda6detail10TensorInfoIT_T0_EENS5_IlS7_EENS5_IKS6_S7_EES7_S7_S7_b,"axG",@progbits,_ZN2at6native12_GLOBAL__N_112gatherMedianIhmLi2EEEvNS_4cuda6detail10TensorInfoIT_T0_EENS5_IlS7_EENS5_IKS6_S7_EES7_S7_S7_b,comdat
.Lfunc_end77:
	.size	_ZN2at6native12_GLOBAL__N_112gatherMedianIhmLi2EEEvNS_4cuda6detail10TensorInfoIT_T0_EENS5_IlS7_EENS5_IKS6_S7_EES7_S7_S7_b, .Lfunc_end77-_ZN2at6native12_GLOBAL__N_112gatherMedianIhmLi2EEEvNS_4cuda6detail10TensorInfoIT_T0_EENS5_IlS7_EENS5_IKS6_S7_EES7_S7_S7_b
                                        ; -- End function
	.section	.AMDGPU.csdata,"",@progbits
; Kernel info:
; codeLenInByte = 16912
; NumSgprs: 94
; NumVgprs: 29
; ScratchSize: 0
; MemoryBound: 0
; FloatMode: 240
; IeeeMode: 1
; LDSByteSize: 5152 bytes/workgroup (compile time only)
; SGPRBlocks: 11
; VGPRBlocks: 3
; NumSGPRsForWavesPerEU: 94
; NumVGPRsForWavesPerEU: 29
; Occupancy: 16
; WaveLimiterHint : 1
; COMPUTE_PGM_RSRC2:SCRATCH_EN: 0
; COMPUTE_PGM_RSRC2:USER_SGPR: 13
; COMPUTE_PGM_RSRC2:TRAP_HANDLER: 0
; COMPUTE_PGM_RSRC2:TGID_X_EN: 1
; COMPUTE_PGM_RSRC2:TGID_Y_EN: 1
; COMPUTE_PGM_RSRC2:TGID_Z_EN: 1
; COMPUTE_PGM_RSRC2:TIDIG_COMP_CNT: 0
	.section	.text._ZN2at6native12_GLOBAL__N_112gatherMedianIhmLi3EEEvNS_4cuda6detail10TensorInfoIT_T0_EENS5_IlS7_EENS5_IKS6_S7_EES7_S7_S7_b,"axG",@progbits,_ZN2at6native12_GLOBAL__N_112gatherMedianIhmLi3EEEvNS_4cuda6detail10TensorInfoIT_T0_EENS5_IlS7_EENS5_IKS6_S7_EES7_S7_S7_b,comdat
	.globl	_ZN2at6native12_GLOBAL__N_112gatherMedianIhmLi3EEEvNS_4cuda6detail10TensorInfoIT_T0_EENS5_IlS7_EENS5_IKS6_S7_EES7_S7_S7_b ; -- Begin function _ZN2at6native12_GLOBAL__N_112gatherMedianIhmLi3EEEvNS_4cuda6detail10TensorInfoIT_T0_EENS5_IlS7_EENS5_IKS6_S7_EES7_S7_S7_b
	.p2align	8
	.type	_ZN2at6native12_GLOBAL__N_112gatherMedianIhmLi3EEEvNS_4cuda6detail10TensorInfoIT_T0_EENS5_IlS7_EENS5_IKS6_S7_EES7_S7_S7_b,@function
_ZN2at6native12_GLOBAL__N_112gatherMedianIhmLi3EEEvNS_4cuda6detail10TensorInfoIT_T0_EENS5_IlS7_EENS5_IKS6_S7_EES7_S7_S7_b: ; @_ZN2at6native12_GLOBAL__N_112gatherMedianIhmLi3EEEvNS_4cuda6detail10TensorInfoIT_T0_EENS5_IlS7_EENS5_IKS6_S7_EES7_S7_S7_b
; %bb.0:
	s_clause 0x1
	s_load_b64 s[16:17], s[0:1], 0x500
	s_load_b128 s[24:27], s[0:1], 0x4e0
	s_add_u32 s18, s0, 0x500
	s_addc_u32 s19, s1, 0
	s_mov_b32 s35, 0
	s_waitcnt lgkmcnt(0)
	s_mul_i32 s2, s17, s15
	s_delay_alu instid0(SALU_CYCLE_1) | instskip(NEXT) | instid1(SALU_CYCLE_1)
	s_add_i32 s2, s2, s14
	s_mul_i32 s2, s2, s16
	s_delay_alu instid0(SALU_CYCLE_1) | instskip(NEXT) | instid1(SALU_CYCLE_1)
	s_add_i32 s34, s2, s13
	v_cmp_ge_u64_e64 s2, s[34:35], s[26:27]
	s_delay_alu instid0(VALU_DEP_1)
	s_and_b32 vcc_lo, exec_lo, s2
	s_cbranch_vccnz .LBB78_298
; %bb.1:
	s_load_b128 s[36:39], s[0:1], 0x10
	s_mov_b64 s[50:51], 0
	s_mov_b64 s[52:53], 0
	s_waitcnt lgkmcnt(0)
	v_cmp_lt_u64_e64 s2, s[34:35], s[38:39]
	s_delay_alu instid0(VALU_DEP_1)
	s_and_b32 vcc_lo, exec_lo, s2
	s_cbranch_vccnz .LBB78_3
; %bb.2:
	v_cvt_f32_u32_e32 v1, s38
	s_sub_i32 s3, 0, s38
	s_mov_b32 s53, 0
	s_delay_alu instid0(VALU_DEP_1) | instskip(SKIP_2) | instid1(VALU_DEP_1)
	v_rcp_iflag_f32_e32 v1, v1
	s_waitcnt_depctr 0xfff
	v_mul_f32_e32 v1, 0x4f7ffffe, v1
	v_cvt_u32_f32_e32 v1, v1
	s_delay_alu instid0(VALU_DEP_1) | instskip(NEXT) | instid1(VALU_DEP_1)
	v_readfirstlane_b32 s2, v1
	s_mul_i32 s3, s3, s2
	s_delay_alu instid0(SALU_CYCLE_1) | instskip(NEXT) | instid1(SALU_CYCLE_1)
	s_mul_hi_u32 s3, s2, s3
	s_add_i32 s2, s2, s3
	s_delay_alu instid0(SALU_CYCLE_1) | instskip(NEXT) | instid1(SALU_CYCLE_1)
	s_mul_hi_u32 s2, s34, s2
	s_mul_i32 s3, s2, s38
	s_add_i32 s4, s2, 1
	s_sub_i32 s3, s34, s3
	s_delay_alu instid0(SALU_CYCLE_1)
	s_sub_i32 s5, s3, s38
	s_cmp_ge_u32 s3, s38
	s_cselect_b32 s2, s4, s2
	s_cselect_b32 s3, s5, s3
	s_add_i32 s4, s2, 1
	s_cmp_ge_u32 s3, s38
	s_cselect_b32 s52, s4, s2
.LBB78_3:
	s_load_b128 s[28:31], s[0:1], 0x1b0
	v_cmp_lt_u64_e64 s2, s[52:53], s[36:37]
	s_delay_alu instid0(VALU_DEP_1)
	s_and_b32 vcc_lo, exec_lo, s2
	s_cbranch_vccnz .LBB78_5
; %bb.4:
	v_cvt_f32_u32_e32 v1, s36
	s_sub_i32 s3, 0, s36
	s_delay_alu instid0(VALU_DEP_1) | instskip(SKIP_2) | instid1(VALU_DEP_1)
	v_rcp_iflag_f32_e32 v1, v1
	s_waitcnt_depctr 0xfff
	v_mul_f32_e32 v1, 0x4f7ffffe, v1
	v_cvt_u32_f32_e32 v1, v1
	s_delay_alu instid0(VALU_DEP_1) | instskip(NEXT) | instid1(VALU_DEP_1)
	v_readfirstlane_b32 s2, v1
	s_mul_i32 s3, s3, s2
	s_delay_alu instid0(SALU_CYCLE_1) | instskip(NEXT) | instid1(SALU_CYCLE_1)
	s_mul_hi_u32 s3, s2, s3
	s_add_i32 s2, s2, s3
	s_delay_alu instid0(SALU_CYCLE_1) | instskip(NEXT) | instid1(SALU_CYCLE_1)
	s_mul_hi_u32 s2, s52, s2
	s_mul_i32 s3, s2, s36
	s_add_i32 s4, s2, 1
	s_sub_i32 s3, s52, s3
	s_delay_alu instid0(SALU_CYCLE_1)
	s_sub_i32 s5, s3, s36
	s_cmp_ge_u32 s3, s36
	s_cselect_b32 s2, s4, s2
	s_cselect_b32 s3, s5, s3
	s_add_i32 s4, s2, 1
	s_cmp_ge_u32 s3, s36
	s_cselect_b32 s50, s4, s2
.LBB78_5:
	s_waitcnt lgkmcnt(0)
	v_cmp_lt_u64_e64 s2, s[34:35], s[30:31]
	s_mov_b64 s[26:27], 0
	s_mov_b64 s[48:49], 0
	s_delay_alu instid0(VALU_DEP_1)
	s_and_b32 vcc_lo, exec_lo, s2
	s_cbranch_vccnz .LBB78_7
; %bb.6:
	v_cvt_f32_u32_e32 v1, s30
	s_sub_i32 s3, 0, s30
	s_mov_b32 s49, 0
	s_delay_alu instid0(VALU_DEP_1) | instskip(SKIP_2) | instid1(VALU_DEP_1)
	v_rcp_iflag_f32_e32 v1, v1
	s_waitcnt_depctr 0xfff
	v_mul_f32_e32 v1, 0x4f7ffffe, v1
	v_cvt_u32_f32_e32 v1, v1
	s_delay_alu instid0(VALU_DEP_1) | instskip(NEXT) | instid1(VALU_DEP_1)
	v_readfirstlane_b32 s2, v1
	s_mul_i32 s3, s3, s2
	s_delay_alu instid0(SALU_CYCLE_1) | instskip(NEXT) | instid1(SALU_CYCLE_1)
	s_mul_hi_u32 s3, s2, s3
	s_add_i32 s2, s2, s3
	s_delay_alu instid0(SALU_CYCLE_1) | instskip(NEXT) | instid1(SALU_CYCLE_1)
	s_mul_hi_u32 s2, s34, s2
	s_mul_i32 s3, s2, s30
	s_add_i32 s4, s2, 1
	s_sub_i32 s3, s34, s3
	s_delay_alu instid0(SALU_CYCLE_1)
	s_sub_i32 s5, s3, s30
	s_cmp_ge_u32 s3, s30
	s_cselect_b32 s2, s4, s2
	s_cselect_b32 s3, s5, s3
	s_add_i32 s4, s2, 1
	s_cmp_ge_u32 s3, s30
	s_cselect_b32 s48, s4, s2
.LBB78_7:
	s_load_b128 s[4:7], s[0:1], 0x350
	v_cmp_lt_u64_e64 s2, s[48:49], s[28:29]
	s_delay_alu instid0(VALU_DEP_1)
	s_and_b32 vcc_lo, exec_lo, s2
	s_cbranch_vccnz .LBB78_9
; %bb.8:
	v_cvt_f32_u32_e32 v1, s28
	s_sub_i32 s3, 0, s28
	s_delay_alu instid0(VALU_DEP_1) | instskip(SKIP_2) | instid1(VALU_DEP_1)
	v_rcp_iflag_f32_e32 v1, v1
	s_waitcnt_depctr 0xfff
	v_mul_f32_e32 v1, 0x4f7ffffe, v1
	v_cvt_u32_f32_e32 v1, v1
	s_delay_alu instid0(VALU_DEP_1) | instskip(NEXT) | instid1(VALU_DEP_1)
	v_readfirstlane_b32 s2, v1
	s_mul_i32 s3, s3, s2
	s_delay_alu instid0(SALU_CYCLE_1) | instskip(NEXT) | instid1(SALU_CYCLE_1)
	s_mul_hi_u32 s3, s2, s3
	s_add_i32 s2, s2, s3
	s_delay_alu instid0(SALU_CYCLE_1) | instskip(NEXT) | instid1(SALU_CYCLE_1)
	s_mul_hi_u32 s2, s48, s2
	s_mul_i32 s3, s2, s28
	s_add_i32 s8, s2, 1
	s_sub_i32 s3, s48, s3
	s_delay_alu instid0(SALU_CYCLE_1)
	s_sub_i32 s9, s3, s28
	s_cmp_ge_u32 s3, s28
	s_cselect_b32 s2, s8, s2
	s_cselect_b32 s3, s9, s3
	s_add_i32 s8, s2, 1
	s_cmp_ge_u32 s3, s28
	s_cselect_b32 s26, s8, s2
.LBB78_9:
	s_load_b64 s[54:55], s[0:1], 0x4f0
	s_waitcnt lgkmcnt(0)
	v_cmp_lt_u64_e64 s2, s[34:35], s[6:7]
	s_mov_b64 s[14:15], 0
	s_mov_b64 s[20:21], 0
	s_delay_alu instid0(VALU_DEP_1)
	s_and_b32 vcc_lo, exec_lo, s2
	s_cbranch_vccnz .LBB78_11
; %bb.10:
	v_cvt_f32_u32_e32 v1, s6
	s_sub_i32 s3, 0, s6
	s_mov_b32 s21, 0
	s_delay_alu instid0(VALU_DEP_1) | instskip(SKIP_2) | instid1(VALU_DEP_1)
	v_rcp_iflag_f32_e32 v1, v1
	s_waitcnt_depctr 0xfff
	v_mul_f32_e32 v1, 0x4f7ffffe, v1
	v_cvt_u32_f32_e32 v1, v1
	s_delay_alu instid0(VALU_DEP_1) | instskip(NEXT) | instid1(VALU_DEP_1)
	v_readfirstlane_b32 s2, v1
	s_mul_i32 s3, s3, s2
	s_delay_alu instid0(SALU_CYCLE_1) | instskip(NEXT) | instid1(SALU_CYCLE_1)
	s_mul_hi_u32 s3, s2, s3
	s_add_i32 s2, s2, s3
	s_delay_alu instid0(SALU_CYCLE_1) | instskip(NEXT) | instid1(SALU_CYCLE_1)
	s_mul_hi_u32 s2, s34, s2
	s_mul_i32 s3, s2, s6
	s_add_i32 s8, s2, 1
	s_sub_i32 s3, s34, s3
	s_delay_alu instid0(SALU_CYCLE_1)
	s_sub_i32 s9, s3, s6
	s_cmp_ge_u32 s3, s6
	s_cselect_b32 s2, s8, s2
	s_cselect_b32 s3, s9, s3
	s_add_i32 s8, s2, 1
	s_cmp_ge_u32 s3, s6
	s_cselect_b32 s20, s8, s2
.LBB78_11:
	s_delay_alu instid0(SALU_CYCLE_1) | instskip(NEXT) | instid1(VALU_DEP_1)
	v_cmp_lt_u64_e64 s2, s[20:21], s[4:5]
	s_and_b32 vcc_lo, exec_lo, s2
	s_cbranch_vccnz .LBB78_13
; %bb.12:
	v_cvt_f32_u32_e32 v1, s4
	s_sub_i32 s3, 0, s4
	s_delay_alu instid0(VALU_DEP_1) | instskip(SKIP_2) | instid1(VALU_DEP_1)
	v_rcp_iflag_f32_e32 v1, v1
	s_waitcnt_depctr 0xfff
	v_mul_f32_e32 v1, 0x4f7ffffe, v1
	v_cvt_u32_f32_e32 v1, v1
	s_delay_alu instid0(VALU_DEP_1) | instskip(NEXT) | instid1(VALU_DEP_1)
	v_readfirstlane_b32 s2, v1
	s_mul_i32 s3, s3, s2
	s_delay_alu instid0(SALU_CYCLE_1) | instskip(NEXT) | instid1(SALU_CYCLE_1)
	s_mul_hi_u32 s3, s2, s3
	s_add_i32 s2, s2, s3
	s_delay_alu instid0(SALU_CYCLE_1) | instskip(NEXT) | instid1(SALU_CYCLE_1)
	s_mul_hi_u32 s2, s20, s2
	s_mul_i32 s3, s2, s4
	s_add_i32 s8, s2, 1
	s_sub_i32 s3, s20, s3
	s_delay_alu instid0(SALU_CYCLE_1)
	s_sub_i32 s9, s3, s4
	s_cmp_ge_u32 s3, s4
	s_cselect_b32 s2, s8, s2
	s_cselect_b32 s3, s9, s3
	s_add_i32 s8, s2, 1
	s_cmp_ge_u32 s3, s4
	s_cselect_b32 s14, s8, s2
.LBB78_13:
	s_clause 0x1
	s_load_b64 s[22:23], s[0:1], 0x420
	s_load_b128 s[8:11], s[0:1], 0x410
	v_cmp_eq_u32_e64 s2, 0, v0
	s_delay_alu instid0(VALU_DEP_1)
	s_and_saveexec_b32 s3, s2
	s_cbranch_execz .LBB78_15
; %bb.14:
	v_mov_b32_e32 v1, 0
	s_delay_alu instid0(VALU_DEP_1)
	v_mov_b32_e32 v2, v1
	ds_store_b64 v1, v[1:2] offset:5136
.LBB78_15:
	s_or_b32 exec_lo, exec_lo, s3
	v_mov_b32_e32 v1, 0
	s_waitcnt lgkmcnt(0)
	s_barrier
	buffer_gl0_inv
	s_barrier
	buffer_gl0_inv
	ds_load_b64 v[1:2], v1 offset:5136
	s_clause 0x5
	s_load_b32 s3, s[0:1], 0x4f8
	s_load_b64 s[62:63], s[0:1], 0x340
	s_load_b64 s[56:57], s[0:1], 0x280
	s_load_b128 s[40:43], s[0:1], 0x270
	s_load_b64 s[60:61], s[0:1], 0xe0
	s_load_b128 s[44:47], s[0:1], 0xd0
	s_mov_b64 s[66:67], s[24:25]
	s_waitcnt lgkmcnt(0)
	s_bitcmp1_b32 s3, 0
	v_readfirstlane_b32 s58, v1
	v_readfirstlane_b32 s59, v2
	s_cselect_b32 s3, -1, 0
	s_delay_alu instid0(VALU_DEP_1) | instskip(NEXT) | instid1(VALU_DEP_1)
	v_cmp_lt_i64_e64 s12, s[58:59], 1
	s_or_b32 s3, s3, s12
	s_delay_alu instid0(SALU_CYCLE_1)
	s_and_not1_b32 vcc_lo, exec_lo, s3
	s_cbranch_vccnz .LBB78_17
; %bb.16:
	s_not_b64 s[58:59], s[58:59]
	s_delay_alu instid0(SALU_CYCLE_1) | instskip(SKIP_1) | instid1(SALU_CYCLE_1)
	s_add_u32 s58, s58, s24
	s_addc_u32 s59, s59, s25
	s_lshr_b64 s[58:59], s[58:59], 1
	s_delay_alu instid0(SALU_CYCLE_1)
	s_add_u32 s66, s58, 1
	s_addc_u32 s67, s59, 0
.LBB78_17:
	s_clause 0x1
	s_load_b64 s[58:59], s[0:1], 0x1a0
	s_load_b64 s[64:65], s[0:1], 0x0
	s_and_saveexec_b32 s0, s2
	s_cbranch_execz .LBB78_19
; %bb.18:
	v_dual_mov_b32 v1, 0 :: v_dual_mov_b32 v4, s25
	s_delay_alu instid0(VALU_DEP_1)
	v_dual_mov_b32 v3, s24 :: v_dual_mov_b32 v2, v1
	ds_store_b32 v1, v1 offset:5144
	ds_store_b128 v1, v[1:4] offset:5120
.LBB78_19:
	s_or_b32 exec_lo, exec_lo, s0
	s_mul_i32 s0, s20, s7
	s_mul_hi_u32 s1, s20, s6
	s_mul_i32 s3, s20, s6
	s_add_i32 s1, s1, s0
	s_sub_u32 s0, s34, s3
	s_subb_u32 s1, 0, s1
	s_mul_i32 s3, s0, s23
	s_mul_hi_u32 s6, s0, s22
	s_mul_i32 s1, s1, s22
	s_add_i32 s3, s6, s3
	s_mul_i32 s7, s14, s8
	s_add_i32 s3, s3, s1
	s_mul_i32 s1, s14, s5
	s_mul_hi_u32 s5, s14, s4
	s_mul_i32 s4, s14, s4
	s_add_i32 s5, s5, s1
	s_sub_u32 s1, s20, s4
	s_subb_u32 s5, s21, s5
	s_mul_i32 s4, s1, s11
	s_mul_hi_u32 s6, s1, s10
	s_mul_i32 s5, s5, s10
	s_add_i32 s4, s6, s4
	s_mul_hi_u32 s6, s14, s8
	s_add_i32 s4, s4, s5
	s_mul_i32 s5, s14, s9
	s_mul_i32 s1, s1, s10
	s_add_i32 s6, s6, s5
	s_add_u32 s5, s62, s7
	s_addc_u32 s6, s63, s6
	s_mul_i32 s0, s0, s22
	s_add_u32 s1, s5, s1
	s_addc_u32 s4, s6, s4
	s_add_u32 s62, s1, s0
	s_addc_u32 s63, s4, s3
	s_waitcnt lgkmcnt(0)
	s_barrier
	buffer_gl0_inv
	s_load_b32 s4, s[18:19], 0xc
	v_mad_u64_u32 v[10:11], null, v0, s54, s[62:63]
	v_mbcnt_lo_u32_b32 v20, -1, 0
	v_mov_b32_e32 v13, 0
	v_cmp_gt_u32_e32 vcc_lo, 32, v0
	v_cmp_lt_u64_e64 s35, 0xc00, s[24:25]
	v_lshlrev_b32_e32 v14, 2, v0
	v_cmp_gt_i32_e64 s3, 4, v20
	v_dual_mov_b32 v2, v11 :: v_dual_mov_b32 v1, v13
	v_cmp_eq_u32_e64 s1, 0, v20
	v_mov_b32_e32 v15, v13
	s_delay_alu instid0(VALU_DEP_4) | instskip(NEXT) | instid1(VALU_DEP_3)
	s_and_b32 s33, vcc_lo, s3
	v_mad_u64_u32 v[3:4], null, v0, s55, v[2:3]
	v_lshrrev_b32_e32 v4, 3, v0
	v_cmp_gt_u64_e64 s0, s[24:25], v[0:1]
	v_cmp_gt_u32_e64 s3, 2, v0
	v_lshl_or_b32 v23, v20, 3, 0xc00
	s_waitcnt lgkmcnt(0)
	s_and_b32 s27, s4, 0xffff
	s_bfe_u32 s5, s4, 0xb0005
	s_add_u32 s51, s27, -1
	s_addc_u32 s84, 0, -1
	s_add_u32 s85, s51, s24
	s_addc_u32 s71, s84, s25
	s_cmp_lt_u32 s13, s16
	v_dual_mov_b32 v11, v3 :: v_dual_mov_b32 v24, 0
	s_cselect_b32 s6, 12, 18
	v_lshlrev_b64 v[2:3], v20, -1
	s_add_u32 s72, s18, s6
	s_addc_u32 s73, s19, 0
	s_add_i32 s6, s5, -1
	s_bfe_u32 s86, s27, 0x30005
	s_cmp_gt_u32 s6, 6
	v_and_b32_e32 v21, 0x7c, v4
	v_not_b32_e32 v22, v2
	v_cmp_gt_u16_e64 s87, s4, 31
	s_cselect_b32 s88, -1, 0
	s_and_b32 s89, s5, 0x7f8
	s_cmp_lg_u32 s86, 0
	s_mov_b32 s69, 0
	s_mov_b32 s94, 6
	s_cselect_b32 s90, -1, 0
	s_mov_b32 s91, 0
	s_mov_b32 s98, 0
	;; [unrolled: 1-line block ×4, first 2 shown]
                                        ; implicit-def: $sgpr92
                                        ; implicit-def: $sgpr95
                                        ; implicit-def: $sgpr93
                                        ; implicit-def: $sgpr97
                                        ; implicit-def: $sgpr99
                                        ; implicit-def: $sgpr96
	s_branch .LBB78_24
.LBB78_20:                              ;   in Loop: Header=BB78_24 Depth=1
	s_xor_b32 s98, s98, 1
	s_add_i32 s7, s94, -2
	s_cmp_eq_u32 s94, 0
	s_mov_b32 s5, 0
	s_cselect_b32 s6, -1, 0
	s_mov_b32 s94, s7
.LBB78_21:                              ;   in Loop: Header=BB78_24 Depth=1
	s_and_not1_b32 s7, s13, exec_lo
	s_and_b32 s5, s5, exec_lo
	s_and_not1_b32 s19, s19, exec_lo
	s_or_b32 s13, s7, s5
	s_and_not1_b32 s12, s12, exec_lo
	s_or_not1_b32 s15, s6, exec_lo
.LBB78_22:                              ;   in Loop: Header=BB78_24 Depth=1
	s_or_b32 exec_lo, exec_lo, s4
	s_delay_alu instid0(SALU_CYCLE_1)
	s_and_not1_b32 s4, s96, exec_lo
	s_and_b32 s5, s13, exec_lo
	s_and_not1_b32 s6, s97, exec_lo
	s_or_b32 s96, s4, s5
	s_and_not1_b32 s4, s99, exec_lo
	s_and_b32 s5, s19, exec_lo
	s_and_b32 s7, s12, exec_lo
	s_or_b32 s99, s4, s5
	s_or_b32 s97, s6, s7
	s_or_not1_b32 s19, s15, exec_lo
.LBB78_23:                              ;   in Loop: Header=BB78_24 Depth=1
	s_or_b32 exec_lo, exec_lo, s14
	s_delay_alu instid0(SALU_CYCLE_1)
	s_and_b32 s4, exec_lo, s19
	v_mov_b32_e32 v2, s100
	s_or_b32 s91, s4, s91
	s_and_not1_b32 s4, s93, exec_lo
	s_and_b32 s5, s96, exec_lo
	s_and_not1_b32 s6, s92, exec_lo
	s_or_b32 s93, s4, s5
	s_and_not1_b32 s4, s95, exec_lo
	s_and_b32 s5, s99, exec_lo
	s_and_b32 s7, s97, exec_lo
	s_or_b32 s95, s4, s5
	s_or_b32 s92, s6, s7
	s_and_not1_b32 exec_lo, exec_lo, s91
	s_cbranch_execz .LBB78_281
.LBB78_24:                              ; =>This Loop Header: Depth=1
                                        ;     Child Loop BB78_29 Depth 2
                                        ;     Child Loop BB78_47 Depth 2
                                        ;     Child Loop BB78_74 Depth 2
                                        ;     Child Loop BB78_78 Depth 2
                                        ;     Child Loop BB78_60 Depth 2
                                        ;     Child Loop BB78_67 Depth 2
                                        ;     Child Loop BB78_87 Depth 2
                                        ;     Child Loop BB78_92 Depth 2
                                        ;     Child Loop BB78_118 Depth 2
                                        ;     Child Loop BB78_104 Depth 2
                                        ;     Child Loop BB78_163 Depth 2
                                        ;     Child Loop BB78_147 Depth 2
                                        ;     Child Loop BB78_208 Depth 2
                                        ;     Child Loop BB78_192 Depth 2
                                        ;     Child Loop BB78_253 Depth 2
                                        ;     Child Loop BB78_237 Depth 2
	ds_load_b128 v[2:5], v13 offset:5120
	s_waitcnt lgkmcnt(0)
	v_readfirstlane_b32 s75, v3
	v_readfirstlane_b32 s74, v2
	s_delay_alu instid0(VALU_DEP_1)
	s_cmp_lg_u64 s[74:75], 0
	s_cbranch_scc1 .LBB78_54
; %bb.25:                               ;   in Loop: Header=BB78_24 Depth=1
	s_and_b32 vcc_lo, exec_lo, s35
	s_cbranch_vccz .LBB78_37
; %bb.26:                               ;   in Loop: Header=BB78_24 Depth=1
	v_cmp_gt_u64_e32 vcc_lo, 0xc01, v[4:5]
	s_mov_b32 s6, 0
	s_mov_b32 s4, 0
	s_cbranch_vccz .LBB78_38
; %bb.27:                               ;   in Loop: Header=BB78_24 Depth=1
	global_load_u16 v2, v13, s[72:73]
	global_load_u8 v5, v[10:11], off
	s_mov_b32 s7, 0
	s_waitcnt vmcnt(1)
	v_dual_mov_b32 v3, v1 :: v_dual_and_b32 v4, 0xffff, v2
	v_mov_b32_e32 v2, v0
	s_branch .LBB78_29
.LBB78_28:                              ;   in Loop: Header=BB78_29 Depth=2
	s_or_b32 exec_lo, exec_lo, s5
	v_mov_b32_e32 v5, v6
	s_and_not1_b32 exec_lo, exec_lo, s7
	s_cbranch_execz .LBB78_39
.LBB78_29:                              ;   Parent Loop BB78_24 Depth=1
                                        ; =>  This Inner Loop Header: Depth=2
	s_delay_alu instid0(VALU_DEP_1) | instskip(NEXT) | instid1(VALU_DEP_3)
	v_add_co_u32 v2, vcc_lo, v2, v4
	v_add_co_ci_u32_e32 v3, vcc_lo, 0, v3, vcc_lo
	s_waitcnt lgkmcnt(0)
	v_dual_mov_b32 v7, 0 :: v_dual_mov_b32 v6, 0
	s_mov_b32 s5, exec_lo
	s_delay_alu instid0(VALU_DEP_2)
	v_cmp_le_u64_e32 vcc_lo, s[24:25], v[2:3]
	v_cmpx_gt_u64_e64 s[24:25], v[2:3]
	s_cbranch_execz .LBB78_31
; %bb.30:                               ;   in Loop: Header=BB78_29 Depth=2
	v_mad_u64_u32 v[8:9], null, v2, s54, s[62:63]
	v_mul_lo_u32 v6, v2, s55
	v_mul_lo_u32 v12, v3, s54
	s_delay_alu instid0(VALU_DEP_1)
	v_add3_u32 v9, v12, v9, v6
	global_load_u8 v6, v[8:9], off
.LBB78_31:                              ;   in Loop: Header=BB78_29 Depth=2
	s_or_b32 exec_lo, exec_lo, s5
	s_waitcnt vmcnt(0)
	v_and_b32_e32 v8, s101, v5
	s_delay_alu instid0(VALU_DEP_1) | instskip(NEXT) | instid1(VALU_DEP_1)
	v_and_b32_e32 v8, 0xff, v8
	v_cmp_eq_u32_e64 s4, s100, v8
	s_delay_alu instid0(VALU_DEP_1) | instskip(SKIP_1) | instid1(SALU_CYCLE_1)
	s_cmp_lg_u32 s4, 0
	s_cselect_b32 s5, -1, 0
	s_and_b32 s5, s1, s5
	s_delay_alu instid0(SALU_CYCLE_1)
	s_and_saveexec_b32 s8, s5
	s_cbranch_execz .LBB78_35
; %bb.32:                               ;   in Loop: Header=BB78_29 Depth=2
	s_mov_b32 s11, exec_lo
	s_bcnt1_i32_b32 s9, s4
	v_mbcnt_lo_u32_b32 v7, s11, 0
	s_mov_b32 s10, exec_lo
                                        ; implicit-def: $vgpr8
	s_delay_alu instid0(VALU_DEP_1)
	v_cmpx_eq_u32_e32 0, v7
	s_cbranch_execz .LBB78_34
; %bb.33:                               ;   in Loop: Header=BB78_29 Depth=2
	s_bcnt1_i32_b32 s5, s11
	s_delay_alu instid0(SALU_CYCLE_1) | instskip(NEXT) | instid1(SALU_CYCLE_1)
	s_mul_i32 s5, s9, s5
	v_mov_b32_e32 v8, s5
	ds_add_rtn_u32 v8, v13, v8 offset:5144
.LBB78_34:                              ;   in Loop: Header=BB78_29 Depth=2
	s_or_b32 exec_lo, exec_lo, s10
	s_waitcnt lgkmcnt(0)
	v_readfirstlane_b32 s5, v8
	s_delay_alu instid0(VALU_DEP_1)
	v_mad_u32_u24 v7, s9, v7, s5
.LBB78_35:                              ;   in Loop: Header=BB78_29 Depth=2
	s_or_b32 exec_lo, exec_lo, s8
	ds_bpermute_b32 v7, v13, v7
	s_and_b32 s5, exec_lo, vcc_lo
	s_delay_alu instid0(SALU_CYCLE_1)
	s_or_b32 s7, s5, s7
	s_and_saveexec_b32 s5, s4
	s_cbranch_execz .LBB78_28
; %bb.36:                               ;   in Loop: Header=BB78_29 Depth=2
	v_and_b32_e32 v8, s4, v22
	s_waitcnt lgkmcnt(0)
	s_delay_alu instid0(VALU_DEP_1)
	v_bcnt_u32_b32 v7, v8, v7
	ds_store_b8 v7, v5
	s_branch .LBB78_28
.LBB78_37:                              ;   in Loop: Header=BB78_24 Depth=1
	s_mov_b32 s4, 0
                                        ; implicit-def: $sgpr74_sgpr75
	s_cbranch_execnz .LBB78_42
	s_branch .LBB78_52
.LBB78_38:                              ;   in Loop: Header=BB78_24 Depth=1
	s_mov_b64 s[74:75], 0
	s_and_b32 vcc_lo, exec_lo, s6
	s_cbranch_vccnz .LBB78_42
	s_branch .LBB78_52
.LBB78_39:                              ;   in Loop: Header=BB78_24 Depth=1
	s_or_b32 exec_lo, exec_lo, s7
	s_waitcnt lgkmcnt(0)
	s_barrier
	buffer_gl0_inv
	s_and_saveexec_b32 s4, s2
	s_cbranch_execz .LBB78_41
; %bb.40:                               ;   in Loop: Header=BB78_24 Depth=1
	ds_load_b32 v2, v13 offset:5144
	s_waitcnt lgkmcnt(0)
	v_ashrrev_i32_e32 v3, 31, v2
	ds_store_b64 v13, v[2:3] offset:5120
.LBB78_41:                              ;   in Loop: Header=BB78_24 Depth=1
	s_or_b32 exec_lo, exec_lo, s4
	s_waitcnt lgkmcnt(0)
	s_mov_b32 s4, -1
	s_barrier
	s_mov_b64 s[74:75], 0
	s_and_b32 vcc_lo, exec_lo, s6
	s_cbranch_vccz .LBB78_52
.LBB78_42:                              ;   in Loop: Header=BB78_24 Depth=1
	v_mov_b32_e32 v4, 0
	s_and_saveexec_b32 s4, s0
	s_cbranch_execz .LBB78_44
; %bb.43:                               ;   in Loop: Header=BB78_24 Depth=1
	global_load_u8 v4, v[10:11], off
.LBB78_44:                              ;   in Loop: Header=BB78_24 Depth=1
	s_or_b32 exec_lo, exec_lo, s4
	s_and_saveexec_b32 s5, s0
	s_cbranch_execz .LBB78_49
; %bb.45:                               ;   in Loop: Header=BB78_24 Depth=1
	global_load_u16 v2, v13, s[72:73]
	v_mov_b32_e32 v5, v0
	s_mov_b32 s6, 0
	s_waitcnt vmcnt(0)
	v_dual_mov_b32 v3, v1 :: v_dual_and_b32 v6, 0xffff, v2
	v_mov_b32_e32 v2, v0
	s_set_inst_prefetch_distance 0x1
	s_branch .LBB78_47
	.p2align	6
.LBB78_46:                              ;   in Loop: Header=BB78_47 Depth=2
	s_or_b32 exec_lo, exec_lo, s7
	ds_store_b8 v5, v4
	s_waitcnt vmcnt(0)
	v_dual_mov_b32 v4, v7 :: v_dual_add_nc_u32 v5, v5, v6
	s_and_b32 s4, exec_lo, vcc_lo
	s_delay_alu instid0(SALU_CYCLE_1) | instskip(NEXT) | instid1(SALU_CYCLE_1)
	s_or_b32 s6, s4, s6
	s_and_not1_b32 exec_lo, exec_lo, s6
	s_cbranch_execz .LBB78_49
.LBB78_47:                              ;   Parent Loop BB78_24 Depth=1
                                        ; =>  This Inner Loop Header: Depth=2
	s_delay_alu instid0(VALU_DEP_1) | instskip(SKIP_3) | instid1(VALU_DEP_2)
	v_add_co_u32 v2, vcc_lo, v2, v6
	v_add_co_ci_u32_e32 v3, vcc_lo, 0, v3, vcc_lo
	v_mov_b32_e32 v7, 0
	s_mov_b32 s7, exec_lo
	v_cmp_le_u64_e32 vcc_lo, s[24:25], v[2:3]
	v_cmpx_gt_u64_e64 s[24:25], v[2:3]
	s_cbranch_execz .LBB78_46
; %bb.48:                               ;   in Loop: Header=BB78_47 Depth=2
	v_mad_u64_u32 v[7:8], null, v2, s54, s[62:63]
	v_mul_lo_u32 v9, v2, s55
	v_mul_lo_u32 v12, v3, s54
	s_delay_alu instid0(VALU_DEP_1)
	v_add3_u32 v8, v12, v8, v9
	global_load_u8 v7, v[7:8], off
	s_branch .LBB78_46
.LBB78_49:                              ;   in Loop: Header=BB78_24 Depth=1
	s_set_inst_prefetch_distance 0x2
	s_or_b32 exec_lo, exec_lo, s5
	s_waitcnt vmcnt(0) lgkmcnt(0)
	s_barrier
	buffer_gl0_inv
	s_and_saveexec_b32 s4, s2
	s_cbranch_execz .LBB78_51
; %bb.50:                               ;   in Loop: Header=BB78_24 Depth=1
	v_dual_mov_b32 v2, s24 :: v_dual_mov_b32 v3, s25
	ds_store_b64 v13, v[2:3] offset:5120
.LBB78_51:                              ;   in Loop: Header=BB78_24 Depth=1
	s_or_b32 exec_lo, exec_lo, s4
	s_mov_b32 s4, -1
	s_waitcnt lgkmcnt(0)
	s_barrier
                                        ; implicit-def: $sgpr74_sgpr75
.LBB78_52:                              ;   in Loop: Header=BB78_24 Depth=1
	s_and_b32 vcc_lo, exec_lo, s4
	s_cbranch_vccz .LBB78_54
; %bb.53:                               ;   in Loop: Header=BB78_24 Depth=1
	buffer_gl0_inv
	ds_load_b64 v[2:3], v13 offset:5120
	s_waitcnt lgkmcnt(0)
	v_readfirstlane_b32 s74, v2
.LBB78_54:                              ;   in Loop: Header=BB78_24 Depth=1
	s_delay_alu instid0(VALU_DEP_1)
	s_cmp_lt_i32 s74, 1
	s_cbranch_scc0 .LBB78_69
; %bb.55:                               ;   in Loop: Header=BB78_24 Depth=1
	global_load_u16 v25, v13, s[72:73]
	s_mov_b32 s5, s25
	s_waitcnt vmcnt(0)
	v_readfirstlane_b32 s4, v25
	s_delay_alu instid0(VALU_DEP_1)
	s_and_b32 s6, 0xffff, s4
	s_mov_b32 s4, s69
	s_lshl_b32 s68, s6, 2
	s_cmp_lg_u64 s[4:5], 0
	s_cbranch_scc0 .LBB78_89
; %bb.56:                               ;   in Loop: Header=BB78_24 Depth=1
	v_cvt_f32_u32_e32 v2, s68
	s_sub_u32 s6, 0, s68
	s_subb_u32 s7, 0, 0
	s_delay_alu instid0(VALU_DEP_1) | instskip(NEXT) | instid1(VALU_DEP_1)
	v_fmac_f32_e64 v2, 0, 0x4f800000
	v_rcp_f32_e32 v2, v2
	s_waitcnt_depctr 0xfff
	v_mul_f32_e32 v2, 0x5f7ffffc, v2
	s_delay_alu instid0(VALU_DEP_1) | instskip(NEXT) | instid1(VALU_DEP_1)
	v_mul_f32_e32 v3, 0x2f800000, v2
	v_trunc_f32_e32 v3, v3
	s_delay_alu instid0(VALU_DEP_1) | instskip(SKIP_1) | instid1(VALU_DEP_2)
	v_fmac_f32_e32 v2, 0xcf800000, v3
	v_cvt_u32_f32_e32 v3, v3
	v_cvt_u32_f32_e32 v2, v2
	s_delay_alu instid0(VALU_DEP_2) | instskip(NEXT) | instid1(VALU_DEP_2)
	v_readfirstlane_b32 s4, v3
	v_readfirstlane_b32 s5, v2
	s_delay_alu instid0(VALU_DEP_2) | instskip(NEXT) | instid1(VALU_DEP_1)
	s_mul_i32 s8, s6, s4
	s_mul_hi_u32 s10, s6, s5
	s_mul_i32 s9, s7, s5
	s_add_i32 s8, s10, s8
	s_mul_i32 s11, s6, s5
	s_add_i32 s8, s8, s9
	s_mul_hi_u32 s10, s5, s11
	s_mul_hi_u32 s12, s4, s11
	s_mul_i32 s9, s4, s11
	s_mul_hi_u32 s11, s5, s8
	s_mul_i32 s5, s5, s8
	s_mul_hi_u32 s13, s4, s8
	s_add_u32 s5, s10, s5
	s_addc_u32 s10, 0, s11
	s_add_u32 s5, s5, s9
	s_mul_i32 s8, s4, s8
	s_addc_u32 s5, s10, s12
	s_addc_u32 s9, s13, 0
	s_add_u32 s5, s5, s8
	s_addc_u32 s8, 0, s9
	v_add_co_u32 v2, s5, v2, s5
	s_delay_alu instid0(VALU_DEP_1) | instskip(SKIP_1) | instid1(VALU_DEP_1)
	s_cmp_lg_u32 s5, 0
	s_addc_u32 s4, s4, s8
	v_readfirstlane_b32 s5, v2
	s_mul_i32 s8, s6, s4
	s_delay_alu instid0(VALU_DEP_1)
	s_mul_hi_u32 s9, s6, s5
	s_mul_i32 s7, s7, s5
	s_add_i32 s8, s9, s8
	s_mul_i32 s6, s6, s5
	s_add_i32 s8, s8, s7
	s_mul_hi_u32 s9, s4, s6
	s_mul_i32 s10, s4, s6
	s_mul_hi_u32 s6, s5, s6
	s_mul_hi_u32 s11, s5, s8
	s_mul_i32 s5, s5, s8
	s_mul_hi_u32 s7, s4, s8
	s_add_u32 s5, s6, s5
	s_addc_u32 s6, 0, s11
	s_add_u32 s5, s5, s10
	s_mul_i32 s8, s4, s8
	s_addc_u32 s5, s6, s9
	s_addc_u32 s6, s7, 0
	s_add_u32 s5, s5, s8
	s_addc_u32 s6, 0, s6
	v_add_co_u32 v2, s5, v2, s5
	s_delay_alu instid0(VALU_DEP_1) | instskip(SKIP_1) | instid1(VALU_DEP_1)
	s_cmp_lg_u32 s5, 0
	s_addc_u32 s4, s4, s6
	v_readfirstlane_b32 s5, v2
	s_mul_i32 s7, s24, s4
	s_mul_hi_u32 s6, s24, s4
	s_mul_hi_u32 s8, s25, s4
	s_mul_i32 s4, s25, s4
	s_mul_hi_u32 s9, s24, s5
	s_mul_hi_u32 s10, s25, s5
	s_mul_i32 s5, s25, s5
	s_add_u32 s7, s9, s7
	s_addc_u32 s6, 0, s6
	s_add_u32 s5, s7, s5
	s_addc_u32 s5, s6, s10
	s_addc_u32 s6, s8, 0
	s_add_u32 s4, s5, s4
	s_addc_u32 s5, 0, s6
	s_mul_hi_u32 s6, s68, s4
	s_mul_i32 s4, s68, s4
	s_mul_i32 s5, s68, s5
	v_sub_co_u32 v2, s4, s24, s4
	s_add_i32 s6, s6, s5
	s_cmp_lg_u32 s4, 0
	s_delay_alu instid0(VALU_DEP_1) | instskip(SKIP_2) | instid1(VALU_DEP_1)
	v_sub_co_u32 v3, s4, v2, s68
	s_subb_u32 s5, s25, s6
	s_cmp_lg_u32 s4, 0
	v_cmp_le_u32_e32 vcc_lo, s68, v3
	v_sub_co_u32 v4, s4, v3, s68
	s_subb_u32 s6, s5, 0
	s_cmp_lg_u32 s4, 0
	v_cndmask_b32_e64 v5, 0, -1, vcc_lo
	s_subb_u32 s4, s6, 0
	s_cmp_eq_u32 s6, 0
	v_mov_b32_e32 v7, s4
	s_cselect_b32 vcc_lo, -1, 0
	s_cmp_eq_u32 s5, 0
	v_cndmask_b32_e32 v5, -1, v5, vcc_lo
	v_cmp_le_u32_e32 vcc_lo, s68, v2
	s_cselect_b32 s4, -1, 0
	v_cndmask_b32_e64 v6, 0, -1, vcc_lo
	s_delay_alu instid0(VALU_DEP_3) | instskip(NEXT) | instid1(VALU_DEP_2)
	v_cmp_ne_u32_e32 vcc_lo, 0, v5
	v_cndmask_b32_e64 v5, -1, v6, s4
	v_cndmask_b32_e32 v6, s6, v7, vcc_lo
	v_cndmask_b32_e32 v4, v3, v4, vcc_lo
	s_delay_alu instid0(VALU_DEP_3) | instskip(NEXT) | instid1(VALU_DEP_3)
	v_cmp_ne_u32_e32 vcc_lo, 0, v5
	v_cndmask_b32_e32 v3, s5, v6, vcc_lo
	s_delay_alu instid0(VALU_DEP_3)
	v_cndmask_b32_e32 v2, v2, v4, vcc_lo
	s_cbranch_execnz .LBB78_58
.LBB78_57:                              ;   in Loop: Header=BB78_24 Depth=1
	v_cvt_f32_u32_e32 v2, s68
	s_sub_i32 s4, 0, s68
	s_delay_alu instid0(VALU_DEP_1) | instskip(SKIP_2) | instid1(VALU_DEP_1)
	v_rcp_iflag_f32_e32 v2, v2
	s_waitcnt_depctr 0xfff
	v_mul_f32_e32 v2, 0x4f7ffffe, v2
	v_cvt_u32_f32_e32 v2, v2
	s_delay_alu instid0(VALU_DEP_1) | instskip(NEXT) | instid1(VALU_DEP_1)
	v_mul_lo_u32 v3, s4, v2
	v_mul_hi_u32 v3, v2, v3
	s_delay_alu instid0(VALU_DEP_1) | instskip(NEXT) | instid1(VALU_DEP_1)
	v_add_nc_u32_e32 v2, v2, v3
	v_mul_hi_u32 v2, s24, v2
	s_delay_alu instid0(VALU_DEP_1) | instskip(NEXT) | instid1(VALU_DEP_1)
	v_mul_lo_u32 v2, v2, s68
	v_sub_nc_u32_e32 v2, s24, v2
	s_delay_alu instid0(VALU_DEP_1) | instskip(SKIP_1) | instid1(VALU_DEP_2)
	v_subrev_nc_u32_e32 v3, s68, v2
	v_cmp_le_u32_e32 vcc_lo, s68, v2
	v_cndmask_b32_e32 v2, v2, v3, vcc_lo
	s_delay_alu instid0(VALU_DEP_1) | instskip(SKIP_1) | instid1(VALU_DEP_2)
	v_subrev_nc_u32_e32 v3, s68, v2
	v_cmp_le_u32_e32 vcc_lo, s68, v2
	v_cndmask_b32_e32 v12, v2, v3, vcc_lo
	s_delay_alu instid0(VALU_DEP_1)
	v_dual_mov_b32 v2, v12 :: v_dual_mov_b32 v3, v13
.LBB78_58:                              ;   in Loop: Header=BB78_24 Depth=1
	s_delay_alu instid0(VALU_DEP_1) | instskip(NEXT) | instid1(VALU_DEP_2)
	v_sub_co_u32 v16, vcc_lo, s24, v2
	v_sub_co_ci_u32_e32 v17, vcc_lo, s25, v3, vcc_lo
	v_mov_b32_e32 v2, 0
	v_mov_b32_e32 v3, 0
	s_mov_b64 s[22:23], 0
	s_mov_b32 s70, exec_lo
	s_delay_alu instid0(VALU_DEP_1)
	v_dual_mov_b32 v5, v3 :: v_dual_mov_b32 v4, v2
	v_dual_mov_b32 v7, v3 :: v_dual_mov_b32 v6, v2
	;; [unrolled: 1-line block ×3, first 2 shown]
	v_cmpx_gt_u64_e64 v[16:17], v[14:15]
	s_cbranch_execz .LBB78_62
; %bb.59:                               ;   in Loop: Header=BB78_24 Depth=1
	v_dual_mov_b32 v19, v15 :: v_dual_mov_b32 v18, v14
	s_and_b32 s82, s94, 0xfe
	s_mov_b32 s75, 0
	s_mov_b64 s[76:77], 0
	s_mov_b64 s[78:79], 0
	;; [unrolled: 1-line block ×3, first 2 shown]
.LBB78_60:                              ;   Parent Loop BB78_24 Depth=1
                                        ; =>  This Inner Loop Header: Depth=2
	v_mad_u64_u32 v[2:3], null, v18, s54, s[62:63]
	v_mul_lo_u32 v4, v18, s55
	v_mul_lo_u32 v5, v19, s54
	s_delay_alu instid0(VALU_DEP_1) | instskip(NEXT) | instid1(VALU_DEP_4)
	v_add3_u32 v3, v5, v3, v4
	v_add_co_u32 v4, vcc_lo, v2, s54
	s_delay_alu instid0(VALU_DEP_2)
	v_add_co_ci_u32_e32 v5, vcc_lo, s55, v3, vcc_lo
	s_clause 0x1
	global_load_u8 v6, v[2:3], off
	global_load_u8 v7, v[4:5], off
	v_add_co_u32 v2, vcc_lo, v4, s54
	v_add_co_ci_u32_e32 v3, vcc_lo, s55, v5, vcc_lo
	s_delay_alu instid0(VALU_DEP_2)
	v_add_co_u32 v4, vcc_lo, v2, s54
	global_load_u8 v2, v[2:3], off
	v_add_co_ci_u32_e32 v5, vcc_lo, s55, v3, vcc_lo
	v_add_co_u32 v18, vcc_lo, v18, s68
	v_add_co_ci_u32_e32 v19, vcc_lo, 0, v19, vcc_lo
	global_load_u8 v3, v[4:5], off
	v_cmp_ge_u64_e32 vcc_lo, v[18:19], v[16:17]
	s_waitcnt vmcnt(3)
	v_and_b32_e32 v4, s101, v6
	v_bfe_u32 v5, v6, s82, 2
	s_waitcnt vmcnt(2)
	v_bfe_u32 v6, v7, s82, 2
	s_delay_alu instid0(VALU_DEP_3) | instskip(SKIP_2) | instid1(VALU_DEP_4)
	v_cmp_eq_u32_e64 s4, s100, v4
	v_and_b32_e32 v4, s101, v7
	v_cmp_eq_u32_e64 s5, 0, v5
	v_cmp_eq_u32_e64 s10, 0, v6
	;; [unrolled: 1-line block ×5, first 2 shown]
	s_waitcnt vmcnt(1)
	v_and_b32_e32 v4, s101, v2
	v_bfe_u32 v2, v2, s82, 2
	s_and_b32 s5, s4, s5
	v_cmp_eq_u32_e64 s8, 3, v5
	v_cndmask_b32_e64 v5, 0, 1, s5
	v_cmp_eq_u32_e64 s13, s100, v4
	s_waitcnt vmcnt(0)
	v_and_b32_e32 v4, s101, v3
	v_bfe_u32 v3, v3, s82, 2
	v_cmp_eq_u32_e64 s14, 0, v2
	s_and_b32 s10, s9, s10
	v_cmp_ne_u32_e64 s15, 0, v5
	v_cndmask_b32_e64 v5, 0, 1, s10
	v_cmp_eq_u32_e64 s18, s100, v4
	v_cmp_eq_u32_e64 s19, 0, v3
	s_and_b32 s14, s13, s14
	v_cmp_eq_u32_e64 s10, 1, v2
	v_cmp_eq_u32_e64 s16, 2, v2
	;; [unrolled: 1-line block ×3, first 2 shown]
	s_bcnt1_i32_b32 s83, s15
	v_cmp_ne_u32_e64 s15, 0, v5
	v_cndmask_b32_e64 v2, 0, 1, s14
	s_and_b32 s19, s18, s19
	v_cmp_eq_u32_e64 s14, 1, v3
	v_cmp_eq_u32_e64 s20, 2, v3
	;; [unrolled: 1-line block ×3, first 2 shown]
	v_cndmask_b32_e64 v3, 0, 1, s19
	s_bcnt1_i32_b32 s19, s15
	v_cmp_ne_u32_e64 s15, 0, v2
	s_add_i32 s83, s19, s83
	v_cmp_eq_u32_e64 s5, 1, v6
	v_cmp_ne_u32_e64 s19, 0, v3
	v_cmp_eq_u32_e64 s11, 2, v6
	s_bcnt1_i32_b32 s15, s15
	v_cmp_eq_u32_e64 s12, 3, v6
	s_add_i32 s15, s83, s15
	s_bcnt1_i32_b32 s19, s19
	s_delay_alu instid0(SALU_CYCLE_1) | instskip(NEXT) | instid1(SALU_CYCLE_1)
	s_add_i32 s15, s15, s19
	s_add_u32 s80, s80, s15
	s_addc_u32 s81, s81, 0
	s_and_b32 s6, s4, s6
	s_and_b32 s5, s9, s5
	v_cndmask_b32_e64 v2, 0, 1, s6
	v_cndmask_b32_e64 v3, 0, 1, s5
	s_and_b32 s5, s13, s10
	s_delay_alu instid0(SALU_CYCLE_1) | instskip(SKIP_1) | instid1(VALU_DEP_2)
	v_cndmask_b32_e64 v4, 0, 1, s5
	s_and_b32 s5, s18, s14
	v_cmp_ne_u32_e64 s6, 0, v3
	v_cndmask_b32_e64 v5, 0, 1, s5
	v_cmp_ne_u32_e64 s5, 0, v2
	v_cmp_ne_u32_e64 s10, 0, v4
	s_delay_alu instid0(VALU_DEP_4) | instskip(NEXT) | instid1(VALU_DEP_3)
	s_bcnt1_i32_b32 s6, s6
	v_cmp_ne_u32_e64 s14, 0, v5
	s_delay_alu instid0(VALU_DEP_3) | instskip(NEXT) | instid1(VALU_DEP_2)
	s_bcnt1_i32_b32 s5, s5
	s_bcnt1_i32_b32 s10, s10
	s_add_i32 s5, s6, s5
	s_delay_alu instid0(VALU_DEP_1) | instskip(SKIP_1) | instid1(SALU_CYCLE_1)
	s_bcnt1_i32_b32 s14, s14
	s_add_i32 s5, s5, s10
	s_add_i32 s5, s5, s14
	s_delay_alu instid0(SALU_CYCLE_1) | instskip(SKIP_2) | instid1(SALU_CYCLE_1)
	s_add_u32 s78, s78, s5
	s_addc_u32 s79, s79, 0
	s_and_b32 s5, s4, s7
	v_cndmask_b32_e64 v2, 0, 1, s5
	s_and_b32 s5, s9, s11
	s_delay_alu instid0(SALU_CYCLE_1) | instskip(SKIP_1) | instid1(SALU_CYCLE_1)
	v_cndmask_b32_e64 v3, 0, 1, s5
	s_and_b32 s5, s13, s16
	v_cndmask_b32_e64 v4, 0, 1, s5
	s_and_b32 s5, s18, s20
	s_delay_alu instid0(VALU_DEP_2) | instskip(SKIP_3) | instid1(VALU_DEP_4)
	v_cmp_ne_u32_e64 s6, 0, v3
	v_cndmask_b32_e64 v5, 0, 1, s5
	v_cmp_ne_u32_e64 s5, 0, v2
	v_cmp_ne_u32_e64 s7, 0, v4
	s_bcnt1_i32_b32 s6, s6
	s_delay_alu instid0(VALU_DEP_3) | instskip(NEXT) | instid1(VALU_DEP_3)
	v_cmp_ne_u32_e64 s10, 0, v5
	s_bcnt1_i32_b32 s5, s5
	s_delay_alu instid0(VALU_DEP_2) | instskip(SKIP_1) | instid1(VALU_DEP_1)
	s_bcnt1_i32_b32 s7, s7
	s_add_i32 s5, s6, s5
	s_bcnt1_i32_b32 s10, s10
	s_add_i32 s5, s5, s7
	s_delay_alu instid0(SALU_CYCLE_1) | instskip(NEXT) | instid1(SALU_CYCLE_1)
	s_add_i32 s5, s5, s10
	s_add_u32 s76, s76, s5
	s_addc_u32 s77, s77, 0
	s_and_b32 s4, s4, s8
	v_mov_b32_e32 v6, s76
	v_cndmask_b32_e64 v2, 0, 1, s4
	s_and_b32 s4, s9, s12
	v_mov_b32_e32 v7, s77
	v_cndmask_b32_e64 v3, 0, 1, s4
	s_and_b32 s4, s13, s17
	s_delay_alu instid0(SALU_CYCLE_1) | instskip(SKIP_1) | instid1(VALU_DEP_2)
	v_cndmask_b32_e64 v4, 0, 1, s4
	s_and_b32 s4, s18, s21
	v_cmp_ne_u32_e64 s5, 0, v3
	v_cndmask_b32_e64 v5, 0, 1, s4
	v_cmp_ne_u32_e64 s4, 0, v2
	v_cmp_ne_u32_e64 s6, 0, v4
	v_mov_b32_e32 v2, s80
	s_bcnt1_i32_b32 s5, s5
	v_cmp_ne_u32_e64 s7, 0, v5
	s_bcnt1_i32_b32 s4, s4
	s_bcnt1_i32_b32 s6, s6
	s_add_i32 s4, s5, s4
	v_mov_b32_e32 v4, s78
	s_bcnt1_i32_b32 s5, s7
	s_add_i32 s4, s4, s6
	v_mov_b32_e32 v3, s81
	s_add_i32 s4, s4, s5
	v_mov_b32_e32 v5, s79
	s_add_u32 s22, s22, s4
	s_addc_u32 s23, s23, 0
	s_delay_alu instid0(SALU_CYCLE_1) | instskip(SKIP_1) | instid1(SALU_CYCLE_1)
	v_dual_mov_b32 v8, s22 :: v_dual_mov_b32 v9, s23
	s_or_b32 s75, vcc_lo, s75
	s_and_not1_b32 exec_lo, exec_lo, s75
	s_cbranch_execnz .LBB78_60
; %bb.61:                               ;   in Loop: Header=BB78_24 Depth=1
	s_or_b32 exec_lo, exec_lo, s75
.LBB78_62:                              ;   in Loop: Header=BB78_24 Depth=1
	s_delay_alu instid0(SALU_CYCLE_1) | instskip(SKIP_3) | instid1(VALU_DEP_2)
	s_or_b32 exec_lo, exec_lo, s70
	v_add_co_u32 v16, vcc_lo, v16, v0
	v_add_co_ci_u32_e32 v17, vcc_lo, 0, v17, vcc_lo
	v_dual_mov_b32 v19, 0 :: v_dual_and_b32 v12, 0xffff, v25
	v_cmp_gt_u64_e32 vcc_lo, s[24:25], v[16:17]
	s_and_saveexec_b32 s4, vcc_lo
	s_cbranch_execz .LBB78_64
; %bb.63:                               ;   in Loop: Header=BB78_24 Depth=1
	v_mad_u64_u32 v[18:19], null, v16, s54, s[62:63]
	v_mul_lo_u32 v25, v16, s55
	v_mul_lo_u32 v26, v17, s54
	s_delay_alu instid0(VALU_DEP_1)
	v_add3_u32 v19, v26, v19, v25
	global_load_u8 v19, v[18:19], off
.LBB78_64:                              ;   in Loop: Header=BB78_24 Depth=1
	s_or_b32 exec_lo, exec_lo, s4
	s_and_saveexec_b32 s7, vcc_lo
	s_cbranch_execz .LBB78_71
; %bb.65:                               ;   in Loop: Header=BB78_24 Depth=1
	s_and_b32 s9, s94, 0xfe
	s_mov_b32 s8, 0
	s_branch .LBB78_67
.LBB78_66:                              ;   in Loop: Header=BB78_67 Depth=2
	s_or_b32 exec_lo, exec_lo, s5
	s_waitcnt vmcnt(0)
	v_and_b32_e32 v19, 0xff, v19
	s_and_b32 s6, exec_lo, vcc_lo
	s_delay_alu instid0(SALU_CYCLE_1) | instskip(NEXT) | instid1(VALU_DEP_1)
	s_or_b32 s8, s6, s8
	v_and_b32_e32 v25, s101, v19
	v_bfe_u32 v19, v19, s9, 2
	s_delay_alu instid0(VALU_DEP_2) | instskip(NEXT) | instid1(VALU_DEP_2)
	v_cmp_eq_u32_e64 s4, s100, v25
	v_cmp_eq_u32_e64 s5, 0, v19
	v_cmp_eq_u32_e32 vcc_lo, 1, v19
	v_cmp_eq_u32_e64 s6, 2, v19
	s_delay_alu instid0(VALU_DEP_3) | instskip(NEXT) | instid1(SALU_CYCLE_1)
	s_and_b32 s5, s4, s5
	v_cndmask_b32_e64 v25, 0, 1, s5
	s_and_b32 s5, s4, vcc_lo
	v_cmp_eq_u32_e32 vcc_lo, 3, v19
	v_cndmask_b32_e64 v26, 0, 1, s5
	s_and_b32 s5, s4, s6
	s_delay_alu instid0(SALU_CYCLE_1) | instskip(SKIP_1) | instid1(VALU_DEP_3)
	v_cndmask_b32_e64 v19, 0, 1, s5
	v_cmp_ne_u32_e64 s5, 0, v25
	v_cmp_ne_u32_e64 s6, 0, v26
	s_and_b32 s4, s4, vcc_lo
	s_delay_alu instid0(SALU_CYCLE_1) | instskip(NEXT) | instid1(VALU_DEP_3)
	v_cndmask_b32_e64 v25, 0, 1, s4
	s_bcnt1_i32_b32 s4, s5
	v_cmp_ne_u32_e32 vcc_lo, 0, v19
	v_add_co_u32 v2, s4, v2, s4
	s_bcnt1_i32_b32 s5, s6
	v_add_co_ci_u32_e64 v3, s4, 0, v3, s4
	v_add_co_u32 v4, s4, v4, s5
	s_delay_alu instid0(VALU_DEP_1) | instskip(SKIP_3) | instid1(VALU_DEP_1)
	v_add_co_ci_u32_e64 v5, s4, 0, v5, s4
	s_bcnt1_i32_b32 s4, vcc_lo
	v_cmp_ne_u32_e32 vcc_lo, 0, v25
	v_add_co_u32 v6, s4, v6, s4
	v_add_co_ci_u32_e64 v7, s4, 0, v7, s4
	s_bcnt1_i32_b32 s4, vcc_lo
	v_mov_b32_e32 v19, v18
	v_add_co_u32 v8, vcc_lo, v8, s4
	v_add_co_ci_u32_e32 v9, vcc_lo, 0, v9, vcc_lo
	s_and_not1_b32 exec_lo, exec_lo, s8
	s_cbranch_execz .LBB78_70
.LBB78_67:                              ;   Parent Loop BB78_24 Depth=1
                                        ; =>  This Inner Loop Header: Depth=2
	v_add_co_u32 v16, vcc_lo, v16, v12
	v_add_co_ci_u32_e32 v17, vcc_lo, 0, v17, vcc_lo
	v_mov_b32_e32 v18, 0
	s_mov_b32 s5, exec_lo
	s_delay_alu instid0(VALU_DEP_2)
	v_cmp_le_u64_e32 vcc_lo, s[24:25], v[16:17]
	v_cmpx_gt_u64_e64 s[24:25], v[16:17]
	s_cbranch_execz .LBB78_66
; %bb.68:                               ;   in Loop: Header=BB78_67 Depth=2
	v_mad_u64_u32 v[25:26], null, v16, s54, s[62:63]
	v_mul_lo_u32 v18, v16, s55
	v_mul_lo_u32 v27, v17, s54
	s_delay_alu instid0(VALU_DEP_1)
	v_add3_u32 v26, v27, v26, v18
	global_load_u8 v18, v[25:26], off
	s_branch .LBB78_66
.LBB78_69:                              ;   in Loop: Header=BB78_24 Depth=1
                                        ; implicit-def: $vgpr8_vgpr9
                                        ; implicit-def: $vgpr4_vgpr5
	s_cbranch_execnz .LBB78_72
	s_branch .LBB78_81
.LBB78_70:                              ;   in Loop: Header=BB78_24 Depth=1
	s_or_b32 exec_lo, exec_lo, s8
.LBB78_71:                              ;   in Loop: Header=BB78_24 Depth=1
	s_delay_alu instid0(SALU_CYCLE_1)
	s_or_b32 exec_lo, exec_lo, s7
	s_branch .LBB78_81
.LBB78_72:                              ;   in Loop: Header=BB78_24 Depth=1
	global_load_u16 v12, v13, s[72:73]
	s_mov_b64 s[76:77], 0
	s_mov_b32 s75, exec_lo
	s_waitcnt vmcnt(0)
	v_readfirstlane_b32 s4, v12
	s_delay_alu instid0(VALU_DEP_1) | instskip(NEXT) | instid1(SALU_CYCLE_1)
	s_and_b32 s4, 0xffff, s4
	s_lshl_b32 s70, s4, 2
	s_delay_alu instid0(SALU_CYCLE_1) | instskip(SKIP_1) | instid1(VALU_DEP_1)
	v_cvt_f32_u32_e32 v2, s70
	s_sub_i32 s5, 0, s70
	v_rcp_iflag_f32_e32 v2, v2
	s_waitcnt_depctr 0xfff
	v_mul_f32_e32 v2, 0x4f7ffffe, v2
	s_delay_alu instid0(VALU_DEP_1) | instskip(NEXT) | instid1(VALU_DEP_1)
	v_cvt_u32_f32_e32 v2, v2
	v_readfirstlane_b32 s4, v2
	v_mov_b32_e32 v2, 0
	v_mov_b32_e32 v3, 0
	s_delay_alu instid0(VALU_DEP_3) | instskip(NEXT) | instid1(VALU_DEP_1)
	s_mul_i32 s5, s5, s4
	v_dual_mov_b32 v5, v3 :: v_dual_mov_b32 v4, v2
	s_mul_hi_u32 s5, s4, s5
	v_dual_mov_b32 v7, v3 :: v_dual_mov_b32 v6, v2
	s_add_i32 s4, s4, s5
	v_dual_mov_b32 v9, v3 :: v_dual_mov_b32 v8, v2
	s_mul_hi_u32 s4, s74, s4
	s_delay_alu instid0(SALU_CYCLE_1) | instskip(NEXT) | instid1(SALU_CYCLE_1)
	s_mul_i32 s4, s4, s70
	s_sub_i32 s4, s74, s4
	s_delay_alu instid0(SALU_CYCLE_1) | instskip(SKIP_2) | instid1(SALU_CYCLE_1)
	s_sub_i32 s5, s4, s70
	s_cmp_ge_u32 s4, s70
	s_cselect_b32 s4, s5, s4
	s_sub_i32 s5, s4, s70
	s_cmp_ge_u32 s4, s70
	s_cselect_b32 s4, s5, s4
	s_delay_alu instid0(SALU_CYCLE_1) | instskip(NEXT) | instid1(SALU_CYCLE_1)
	s_sub_i32 s68, s74, s4
	v_cmpx_gt_u32_e64 s68, v14
	s_cbranch_execz .LBB78_76
; %bb.73:                               ;   in Loop: Header=BB78_24 Depth=1
	v_dual_mov_b32 v18, v14 :: v_dual_mov_b32 v17, v15
	v_mov_b32_e32 v16, v14
	s_and_b32 s103, s94, 0xfe
	s_mov_b32 s102, 0
	s_mov_b64 s[78:79], 0
	s_mov_b64 s[80:81], 0
	;; [unrolled: 1-line block ×3, first 2 shown]
.LBB78_74:                              ;   Parent Loop BB78_24 Depth=1
                                        ; =>  This Inner Loop Header: Depth=2
	ds_load_b32 v2, v18
	v_add_co_u32 v16, vcc_lo, v16, s70
	v_add_co_ci_u32_e32 v17, vcc_lo, 0, v17, vcc_lo
	s_delay_alu instid0(VALU_DEP_1)
	v_cmp_le_u64_e32 vcc_lo, s[68:69], v[16:17]
	s_waitcnt lgkmcnt(0)
	v_and_b32_e32 v3, 0xff, v2
	v_bfe_u32 v4, v2, 8, 8
	v_bfe_u32 v5, v2, 16, 8
	v_lshrrev_b32_e32 v2, 24, v2
	s_delay_alu instid0(VALU_DEP_4)
	v_and_b32_e32 v6, s101, v3
	v_bfe_u32 v3, v3, s103, 2
	v_and_b32_e32 v7, s101, v4
	v_bfe_u32 v4, v4, s103, 2
	;; [unrolled: 2-line block ×3, first 2 shown]
	v_cmp_eq_u32_e64 s4, s100, v6
	v_cmp_eq_u32_e64 s8, 0, v3
	v_and_b32_e32 v9, s101, v2
	v_bfe_u32 v2, v2, s103, 2
	v_cmp_eq_u32_e64 s5, s100, v7
	v_cmp_eq_u32_e64 s9, 0, v4
	;; [unrolled: 1-line block ×4, first 2 shown]
	s_and_b32 s8, s4, s8
	v_cmp_eq_u32_e64 s7, s100, v9
	v_cmp_eq_u32_e64 s11, 0, v2
	v_cmp_eq_u32_e64 s15, 1, v2
	v_cmp_eq_u32_e64 s19, 2, v2
	v_cmp_eq_u32_e64 s23, 3, v2
	v_cndmask_b32_e64 v2, 0, 1, s8
	s_and_b32 s8, s5, s9
	v_cmp_eq_u32_e64 s12, 1, v3
	v_cmp_eq_u32_e64 s16, 2, v3
	v_cmp_eq_u32_e64 s20, 3, v3
	v_cndmask_b32_e64 v3, 0, 1, s8
	s_and_b32 s8, s6, s10
	v_cmp_eq_u32_e64 s13, 1, v4
	v_cmp_eq_u32_e64 s17, 2, v4
	v_cmp_eq_u32_e64 s21, 3, v4
	;; [unrolled: 5-line block ×3, first 2 shown]
	v_cndmask_b32_e64 v5, 0, 1, s8
	v_cmp_ne_u32_e64 s8, 0, v2
	v_cmp_ne_u32_e64 s9, 0, v3
	;; [unrolled: 1-line block ×3, first 2 shown]
	s_delay_alu instid0(VALU_DEP_4) | instskip(NEXT) | instid1(VALU_DEP_4)
	v_cmp_ne_u32_e64 s11, 0, v5
	s_bcnt1_i32_b32 s8, s8
	s_delay_alu instid0(VALU_DEP_3) | instskip(NEXT) | instid1(VALU_DEP_2)
	s_bcnt1_i32_b32 s9, s9
	s_bcnt1_i32_b32 s10, s10
	s_add_i32 s8, s9, s8
	s_bcnt1_i32_b32 s11, s11
	s_add_i32 s8, s8, s10
	s_delay_alu instid0(SALU_CYCLE_1) | instskip(NEXT) | instid1(SALU_CYCLE_1)
	s_add_i32 s8, s8, s11
	s_add_u32 s82, s82, s8
	s_addc_u32 s83, s83, 0
	s_and_b32 s8, s4, s12
	v_add_nc_u32_e32 v18, s70, v18
	v_cndmask_b32_e64 v2, 0, 1, s8
	s_and_b32 s8, s5, s13
	s_delay_alu instid0(SALU_CYCLE_1) | instskip(SKIP_1) | instid1(SALU_CYCLE_1)
	v_cndmask_b32_e64 v3, 0, 1, s8
	s_and_b32 s8, s6, s14
	v_cndmask_b32_e64 v4, 0, 1, s8
	s_and_b32 s8, s7, s15
	s_delay_alu instid0(VALU_DEP_2) | instskip(SKIP_3) | instid1(VALU_DEP_4)
	v_cmp_ne_u32_e64 s9, 0, v3
	v_cndmask_b32_e64 v5, 0, 1, s8
	v_cmp_ne_u32_e64 s8, 0, v2
	v_cmp_ne_u32_e64 s10, 0, v4
	s_bcnt1_i32_b32 s9, s9
	s_delay_alu instid0(VALU_DEP_3) | instskip(NEXT) | instid1(VALU_DEP_3)
	v_cmp_ne_u32_e64 s11, 0, v5
	s_bcnt1_i32_b32 s8, s8
	s_delay_alu instid0(VALU_DEP_2) | instskip(SKIP_1) | instid1(VALU_DEP_1)
	s_bcnt1_i32_b32 s10, s10
	s_add_i32 s8, s9, s8
	s_bcnt1_i32_b32 s11, s11
	s_add_i32 s8, s8, s10
	s_delay_alu instid0(SALU_CYCLE_1) | instskip(NEXT) | instid1(SALU_CYCLE_1)
	s_add_i32 s8, s8, s11
	s_add_u32 s80, s80, s8
	s_addc_u32 s81, s81, 0
	s_and_b32 s8, s4, s16
	s_delay_alu instid0(SALU_CYCLE_1) | instskip(SKIP_1) | instid1(SALU_CYCLE_1)
	v_cndmask_b32_e64 v2, 0, 1, s8
	s_and_b32 s8, s5, s17
	v_cndmask_b32_e64 v3, 0, 1, s8
	s_and_b32 s8, s6, s18
	s_delay_alu instid0(SALU_CYCLE_1) | instskip(SKIP_1) | instid1(VALU_DEP_2)
	v_cndmask_b32_e64 v4, 0, 1, s8
	s_and_b32 s8, s7, s19
	v_cmp_ne_u32_e64 s9, 0, v3
	v_cndmask_b32_e64 v5, 0, 1, s8
	v_cmp_ne_u32_e64 s8, 0, v2
	v_cmp_ne_u32_e64 s10, 0, v4
	s_delay_alu instid0(VALU_DEP_4) | instskip(NEXT) | instid1(VALU_DEP_3)
	s_bcnt1_i32_b32 s9, s9
	v_cmp_ne_u32_e64 s11, 0, v5
	s_delay_alu instid0(VALU_DEP_3) | instskip(NEXT) | instid1(VALU_DEP_2)
	s_bcnt1_i32_b32 s8, s8
	s_bcnt1_i32_b32 s10, s10
	s_add_i32 s8, s9, s8
	s_delay_alu instid0(VALU_DEP_1) | instskip(SKIP_1) | instid1(SALU_CYCLE_1)
	s_bcnt1_i32_b32 s11, s11
	s_add_i32 s8, s8, s10
	s_add_i32 s8, s8, s11
	s_delay_alu instid0(SALU_CYCLE_1)
	s_add_u32 s78, s78, s8
	s_addc_u32 s79, s79, 0
	s_and_b32 s4, s4, s20
	v_mov_b32_e32 v6, s78
	v_cndmask_b32_e64 v2, 0, 1, s4
	s_and_b32 s4, s5, s21
	v_mov_b32_e32 v7, s79
	v_cndmask_b32_e64 v3, 0, 1, s4
	s_and_b32 s4, s6, s22
	s_delay_alu instid0(SALU_CYCLE_1) | instskip(SKIP_1) | instid1(VALU_DEP_2)
	v_cndmask_b32_e64 v4, 0, 1, s4
	s_and_b32 s4, s7, s23
	v_cmp_ne_u32_e64 s5, 0, v3
	v_cndmask_b32_e64 v5, 0, 1, s4
	v_cmp_ne_u32_e64 s4, 0, v2
	v_cmp_ne_u32_e64 s6, 0, v4
	v_dual_mov_b32 v2, s82 :: v_dual_mov_b32 v3, s83
	s_delay_alu instid0(VALU_DEP_4) | instskip(NEXT) | instid1(VALU_DEP_4)
	v_cmp_ne_u32_e64 s7, 0, v5
	s_bcnt1_i32_b32 s4, s4
	s_bcnt1_i32_b32 s5, s5
	;; [unrolled: 1-line block ×3, first 2 shown]
	s_add_i32 s4, s5, s4
	s_bcnt1_i32_b32 s5, s7
	s_add_i32 s4, s4, s6
	v_mov_b32_e32 v4, s80
	s_add_i32 s4, s4, s5
	v_mov_b32_e32 v5, s81
	s_add_u32 s76, s76, s4
	s_addc_u32 s77, s77, 0
	s_delay_alu instid0(SALU_CYCLE_1) | instskip(SKIP_1) | instid1(SALU_CYCLE_1)
	v_dual_mov_b32 v8, s76 :: v_dual_mov_b32 v9, s77
	s_or_b32 s102, vcc_lo, s102
	s_and_not1_b32 exec_lo, exec_lo, s102
	s_cbranch_execnz .LBB78_74
; %bb.75:                               ;   in Loop: Header=BB78_24 Depth=1
	s_or_b32 exec_lo, exec_lo, s102
.LBB78_76:                              ;   in Loop: Header=BB78_24 Depth=1
	s_delay_alu instid0(SALU_CYCLE_1) | instskip(SKIP_3) | instid1(VALU_DEP_1)
	s_or_b32 exec_lo, exec_lo, s75
	v_and_b32_e32 v18, 0xffff, v12
	v_add_nc_u32_e32 v12, s68, v0
	s_mov_b32 s9, exec_lo
	v_cmpx_gt_u32_e64 s74, v12
	s_cbranch_execz .LBB78_80
; %bb.77:                               ;   in Loop: Header=BB78_24 Depth=1
	v_mov_b32_e32 v17, v13
	v_dual_mov_b32 v16, v12 :: v_dual_add_nc_u32 v19, s68, v0
	s_mov_b32 s11, 0
	s_and_b32 s10, s74, 0x7fffffff
	s_and_b32 s13, s94, 0xfe
	s_mov_b32 s12, s11
.LBB78_78:                              ;   Parent Loop BB78_24 Depth=1
                                        ; =>  This Inner Loop Header: Depth=2
	ds_load_u8 v12, v19
	v_add_co_u32 v16, vcc_lo, v16, v18
	v_add_co_ci_u32_e32 v17, vcc_lo, 0, v17, vcc_lo
	v_add_nc_u32_e32 v19, v19, v18
	s_delay_alu instid0(VALU_DEP_2) | instskip(SKIP_3) | instid1(VALU_DEP_2)
	v_cmp_le_u64_e32 vcc_lo, s[10:11], v[16:17]
	s_waitcnt lgkmcnt(0)
	v_and_b32_e32 v25, s101, v12
	v_bfe_u32 v12, v12, s13, 2
	v_cmp_eq_u32_e64 s4, s100, v25
	s_delay_alu instid0(VALU_DEP_2) | instskip(SKIP_3) | instid1(VALU_DEP_4)
	v_cmp_eq_u32_e64 s5, 0, v12
	v_cmp_eq_u32_e64 s6, 1, v12
	v_cmp_eq_u32_e64 s7, 2, v12
	v_cmp_eq_u32_e64 s8, 3, v12
	s_and_b32 s5, s4, s5
	s_delay_alu instid0(SALU_CYCLE_1) | instskip(SKIP_1) | instid1(SALU_CYCLE_1)
	v_cndmask_b32_e64 v12, 0, 1, s5
	s_and_b32 s5, s4, s6
	v_cndmask_b32_e64 v25, 0, 1, s5
	s_and_b32 s5, s4, s7
	s_and_b32 s4, s4, s8
	v_cndmask_b32_e64 v26, 0, 1, s5
	v_cndmask_b32_e64 v27, 0, 1, s4
	v_cmp_ne_u32_e64 s4, 0, v12
	v_cmp_ne_u32_e64 s5, 0, v25
	s_delay_alu instid0(VALU_DEP_4) | instskip(NEXT) | instid1(VALU_DEP_4)
	v_cmp_ne_u32_e64 s6, 0, v26
	v_cmp_ne_u32_e64 s7, 0, v27
	s_delay_alu instid0(VALU_DEP_4) | instskip(NEXT) | instid1(VALU_DEP_3)
	s_bcnt1_i32_b32 s4, s4
	s_bcnt1_i32_b32 s5, s5
	v_add_co_u32 v2, s4, v2, s4
	s_delay_alu instid0(VALU_DEP_1)
	v_add_co_ci_u32_e64 v3, s4, 0, v3, s4
	v_add_co_u32 v4, s4, v4, s5
	s_bcnt1_i32_b32 s6, s6
	v_add_co_ci_u32_e64 v5, s4, 0, v5, s4
	v_add_co_u32 v6, s4, v6, s6
	s_bcnt1_i32_b32 s7, s7
	v_add_co_ci_u32_e64 v7, s4, 0, v7, s4
	v_add_co_u32 v8, s4, v8, s7
	s_delay_alu instid0(VALU_DEP_1) | instskip(SKIP_1) | instid1(SALU_CYCLE_1)
	v_add_co_ci_u32_e64 v9, s4, 0, v9, s4
	s_or_b32 s12, vcc_lo, s12
	s_and_not1_b32 exec_lo, exec_lo, s12
	s_cbranch_execnz .LBB78_78
; %bb.79:                               ;   in Loop: Header=BB78_24 Depth=1
	s_or_b32 exec_lo, exec_lo, s12
.LBB78_80:                              ;   in Loop: Header=BB78_24 Depth=1
	s_delay_alu instid0(SALU_CYCLE_1)
	s_or_b32 exec_lo, exec_lo, s9
.LBB78_81:                              ;   in Loop: Header=BB78_24 Depth=1
	s_lshl_b32 s4, s98, 7
	s_and_saveexec_b32 s5, s1
	s_cbranch_execz .LBB78_83
; %bb.82:                               ;   in Loop: Header=BB78_24 Depth=1
	v_or_b32_e32 v12, s4, v21
	s_delay_alu instid0(VALU_DEP_1)
	v_lshlrev_b32_e32 v12, 3, v12
	ds_store_b128 v12, v[2:5] offset:3072
	ds_store_b128 v12, v[6:9] offset:3088
.LBB78_83:                              ;   in Loop: Header=BB78_24 Depth=1
	s_or_b32 exec_lo, exec_lo, s5
	s_waitcnt vmcnt(0) lgkmcnt(0)
	s_barrier
	buffer_gl0_inv
	s_and_saveexec_b32 s5, s33
	s_cbranch_execz .LBB78_94
; %bb.84:                               ;   in Loop: Header=BB78_24 Depth=1
	v_mov_b32_e32 v2, 0
	v_mov_b32_e32 v3, 0
	s_and_not1_b32 vcc_lo, exec_lo, s87
	s_cbranch_vccnz .LBB78_93
; %bb.85:                               ;   in Loop: Header=BB78_24 Depth=1
	v_mov_b32_e32 v2, 0
	v_mov_b32_e32 v3, 0
	s_and_not1_b32 vcc_lo, exec_lo, s88
	s_cbranch_vccnz .LBB78_90
; %bb.86:                               ;   in Loop: Header=BB78_24 Depth=1
	v_lshl_add_u32 v4, s98, 10, v23
	s_mov_b32 s6, 0
	s_set_inst_prefetch_distance 0x1
	.p2align	6
.LBB78_87:                              ;   Parent Loop BB78_24 Depth=1
                                        ; =>  This Inner Loop Header: Depth=2
	ds_load_2addr_b64 v[5:8], v4 offset1:4
	ds_load_2addr_b64 v[16:19], v4 offset0:8 offset1:12
	ds_load_2addr_b64 v[25:28], v4 offset0:16 offset1:20
	s_add_i32 s6, s6, 8
	s_delay_alu instid0(SALU_CYCLE_1) | instskip(SKIP_3) | instid1(VALU_DEP_2)
	s_cmp_eq_u32 s89, s6
	s_waitcnt lgkmcnt(2)
	v_add_co_u32 v2, vcc_lo, v5, v2
	v_add_co_ci_u32_e32 v3, vcc_lo, v6, v3, vcc_lo
	v_add_co_u32 v2, vcc_lo, v7, v2
	s_delay_alu instid0(VALU_DEP_2)
	v_add_co_ci_u32_e32 v3, vcc_lo, v8, v3, vcc_lo
	ds_load_2addr_b64 v[5:8], v4 offset0:24 offset1:28
	s_waitcnt lgkmcnt(2)
	v_add_co_u32 v2, vcc_lo, v16, v2
	v_add_co_ci_u32_e32 v3, vcc_lo, v17, v3, vcc_lo
	v_add_nc_u32_e32 v4, 0x100, v4
	s_delay_alu instid0(VALU_DEP_3) | instskip(NEXT) | instid1(VALU_DEP_3)
	v_add_co_u32 v2, vcc_lo, v18, v2
	v_add_co_ci_u32_e32 v3, vcc_lo, v19, v3, vcc_lo
	s_waitcnt lgkmcnt(1)
	s_delay_alu instid0(VALU_DEP_2) | instskip(NEXT) | instid1(VALU_DEP_2)
	v_add_co_u32 v2, vcc_lo, v25, v2
	v_add_co_ci_u32_e32 v3, vcc_lo, v26, v3, vcc_lo
	s_delay_alu instid0(VALU_DEP_2) | instskip(NEXT) | instid1(VALU_DEP_2)
	v_add_co_u32 v2, vcc_lo, v27, v2
	v_add_co_ci_u32_e32 v3, vcc_lo, v28, v3, vcc_lo
	s_waitcnt lgkmcnt(0)
	s_delay_alu instid0(VALU_DEP_2) | instskip(NEXT) | instid1(VALU_DEP_2)
	v_add_co_u32 v2, vcc_lo, v5, v2
	v_add_co_ci_u32_e32 v3, vcc_lo, v6, v3, vcc_lo
	s_delay_alu instid0(VALU_DEP_2) | instskip(NEXT) | instid1(VALU_DEP_2)
	v_add_co_u32 v2, vcc_lo, v7, v2
	v_add_co_ci_u32_e32 v3, vcc_lo, v8, v3, vcc_lo
	s_cbranch_scc0 .LBB78_87
; %bb.88:                               ;   in Loop: Header=BB78_24 Depth=1
	s_set_inst_prefetch_distance 0x2
	s_mov_b32 s6, s89
	s_and_not1_b32 vcc_lo, exec_lo, s90
	s_cbranch_vccz .LBB78_91
	s_branch .LBB78_93
.LBB78_89:                              ;   in Loop: Header=BB78_24 Depth=1
                                        ; implicit-def: $vgpr2_vgpr3
	s_branch .LBB78_57
.LBB78_90:                              ;   in Loop: Header=BB78_24 Depth=1
	s_mov_b32 s6, 0
	s_and_not1_b32 vcc_lo, exec_lo, s90
	s_cbranch_vccnz .LBB78_93
.LBB78_91:                              ;   in Loop: Header=BB78_24 Depth=1
	s_lshl_b32 s7, s98, 10
	s_lshl_b32 s6, s6, 5
	s_delay_alu instid0(SALU_CYCLE_1)
	v_add3_u32 v4, s7, s6, v23
	s_mov_b32 s6, s86
.LBB78_92:                              ;   Parent Loop BB78_24 Depth=1
                                        ; =>  This Inner Loop Header: Depth=2
	ds_load_b64 v[5:6], v4
	v_add_nc_u32_e32 v4, 32, v4
	s_add_i32 s6, s6, -1
	s_delay_alu instid0(SALU_CYCLE_1)
	s_cmp_lg_u32 s6, 0
	s_waitcnt lgkmcnt(0)
	v_add_co_u32 v2, vcc_lo, v5, v2
	v_add_co_ci_u32_e32 v3, vcc_lo, v6, v3, vcc_lo
	s_cbranch_scc1 .LBB78_92
.LBB78_93:                              ;   in Loop: Header=BB78_24 Depth=1
	v_add_lshl_u32 v4, s4, v20, 3
	ds_store_b64 v4, v[2:3] offset:3072
.LBB78_94:                              ;   in Loop: Header=BB78_24 Depth=1
	s_or_b32 exec_lo, exec_lo, s5
	s_lshl_b32 s4, s4, 3
	s_waitcnt lgkmcnt(0)
	v_mov_b32_e32 v6, s4
	s_barrier
	buffer_gl0_inv
	s_and_b32 s17, s94, 0xfe
	s_mov_b32 s19, -1
	ds_load_b128 v[2:5], v6 offset:3072
	ds_load_b128 v[6:9], v6 offset:3088
	s_lshl_b32 s16, 3, s17
	s_delay_alu instid0(SALU_CYCLE_1)
	s_not_b32 s18, s16
	s_waitcnt lgkmcnt(1)
	v_readfirstlane_b32 s13, v3
	v_readfirstlane_b32 s12, v2
	;; [unrolled: 1-line block ×4, first 2 shown]
	s_waitcnt lgkmcnt(0)
	v_readfirstlane_b32 s8, v6
	v_readfirstlane_b32 s9, v7
	s_cmp_eq_u64 s[12:13], 1
	v_readfirstlane_b32 s6, v8
	s_cselect_b32 s4, -1, 0
	s_cmp_eq_u64 s[66:67], 1
	v_readfirstlane_b32 s7, v9
	s_cselect_b32 s5, -1, 0
	s_delay_alu instid0(SALU_CYCLE_1) | instskip(NEXT) | instid1(SALU_CYCLE_1)
	s_and_b32 s20, s4, s5
	s_and_b32 vcc_lo, exec_lo, s20
	s_cbranch_vccz .LBB78_108
; %bb.95:                               ;   in Loop: Header=BB78_24 Depth=1
	ds_load_b64 v[2:3], v13 offset:5120
	s_waitcnt lgkmcnt(0)
	s_barrier
	buffer_gl0_inv
	v_readfirstlane_b32 s14, v2
	v_readfirstlane_b32 s15, v3
	s_and_saveexec_b32 s4, s3
	s_cbranch_execz .LBB78_97
; %bb.96:                               ;   in Loop: Header=BB78_24 Depth=1
	ds_store_b8 v0, v13 offset:3072
.LBB78_97:                              ;   in Loop: Header=BB78_24 Depth=1
	s_or_b32 exec_lo, exec_lo, s4
	s_and_b32 s100, s100, s18
	s_or_b32 s101, s101, s16
	s_cmp_eq_u64 s[14:15], 0
	s_waitcnt lgkmcnt(0)
	s_barrier
	buffer_gl0_inv
	s_cbranch_scc1 .LBB78_109
; %bb.98:                               ;   in Loop: Header=BB78_24 Depth=1
	s_add_u32 s21, s51, s14
	s_addc_u32 s5, s84, s15
	s_mov_b32 s4, s69
	s_delay_alu instid0(SALU_CYCLE_1)
	s_cmp_lg_u64 s[4:5], 0
	s_cbranch_scc0 .LBB78_152
; %bb.99:                               ;   in Loop: Header=BB78_24 Depth=1
	v_cvt_f32_u32_e32 v2, s27
	s_sub_u32 s23, 0, s27
	s_subb_u32 s68, 0, 0
	s_delay_alu instid0(VALU_DEP_1) | instskip(NEXT) | instid1(VALU_DEP_1)
	v_fmac_f32_e64 v2, 0, 0x4f800000
	v_rcp_f32_e32 v2, v2
	s_waitcnt_depctr 0xfff
	v_mul_f32_e32 v2, 0x5f7ffffc, v2
	s_delay_alu instid0(VALU_DEP_1) | instskip(NEXT) | instid1(VALU_DEP_1)
	v_mul_f32_e32 v3, 0x2f800000, v2
	v_trunc_f32_e32 v3, v3
	s_delay_alu instid0(VALU_DEP_1) | instskip(SKIP_1) | instid1(VALU_DEP_2)
	v_fmac_f32_e32 v2, 0xcf800000, v3
	v_cvt_u32_f32_e32 v3, v3
	v_cvt_u32_f32_e32 v2, v2
	s_delay_alu instid0(VALU_DEP_2) | instskip(NEXT) | instid1(VALU_DEP_2)
	v_readfirstlane_b32 s4, v3
	v_readfirstlane_b32 s22, v2
	s_delay_alu instid0(VALU_DEP_2) | instskip(NEXT) | instid1(VALU_DEP_1)
	s_mul_i32 s70, s23, s4
	s_mul_hi_u32 s75, s23, s22
	s_mul_i32 s74, s68, s22
	s_add_i32 s70, s75, s70
	s_mul_i32 s76, s23, s22
	s_add_i32 s70, s70, s74
	s_mul_hi_u32 s75, s22, s76
	s_mul_hi_u32 s77, s4, s76
	s_mul_i32 s74, s4, s76
	s_mul_hi_u32 s76, s22, s70
	s_mul_i32 s22, s22, s70
	s_mul_hi_u32 s78, s4, s70
	s_add_u32 s22, s75, s22
	s_addc_u32 s75, 0, s76
	s_add_u32 s22, s22, s74
	s_mul_i32 s70, s4, s70
	s_addc_u32 s22, s75, s77
	s_addc_u32 s74, s78, 0
	s_add_u32 s22, s22, s70
	s_addc_u32 s70, 0, s74
	v_add_co_u32 v2, s22, v2, s22
	s_delay_alu instid0(VALU_DEP_1) | instskip(SKIP_1) | instid1(VALU_DEP_1)
	s_cmp_lg_u32 s22, 0
	s_addc_u32 s4, s4, s70
	v_readfirstlane_b32 s22, v2
	s_mul_i32 s70, s23, s4
	s_delay_alu instid0(VALU_DEP_1)
	s_mul_hi_u32 s74, s23, s22
	s_mul_i32 s68, s68, s22
	s_add_i32 s70, s74, s70
	s_mul_i32 s23, s23, s22
	s_add_i32 s70, s70, s68
	s_mul_hi_u32 s74, s4, s23
	s_mul_i32 s75, s4, s23
	s_mul_hi_u32 s23, s22, s23
	s_mul_hi_u32 s76, s22, s70
	s_mul_i32 s22, s22, s70
	s_mul_hi_u32 s68, s4, s70
	s_add_u32 s22, s23, s22
	s_addc_u32 s23, 0, s76
	s_add_u32 s22, s22, s75
	s_mul_i32 s70, s4, s70
	s_addc_u32 s22, s23, s74
	s_addc_u32 s23, s68, 0
	s_add_u32 s22, s22, s70
	s_addc_u32 s23, 0, s23
	v_add_co_u32 v2, s22, v2, s22
	s_delay_alu instid0(VALU_DEP_1) | instskip(SKIP_1) | instid1(VALU_DEP_1)
	s_cmp_lg_u32 s22, 0
	s_addc_u32 s4, s4, s23
	v_readfirstlane_b32 s22, v2
	s_mul_i32 s68, s21, s4
	s_mul_hi_u32 s23, s21, s4
	s_mul_hi_u32 s70, s5, s4
	s_mul_i32 s4, s5, s4
	s_mul_hi_u32 s74, s21, s22
	s_mul_hi_u32 s75, s5, s22
	s_mul_i32 s22, s5, s22
	s_add_u32 s68, s74, s68
	s_addc_u32 s23, 0, s23
	s_add_u32 s22, s68, s22
	s_addc_u32 s22, s23, s75
	s_addc_u32 s23, s70, 0
	s_add_u32 s4, s22, s4
	s_addc_u32 s22, 0, s23
	s_mul_hi_u32 s23, s27, s4
	s_mul_i32 s4, s27, s4
	s_mul_i32 s22, s27, s22
	v_sub_co_u32 v2, s4, s21, s4
	s_add_i32 s23, s23, s22
	s_cmp_lg_u32 s4, 0
	s_delay_alu instid0(VALU_DEP_1) | instskip(SKIP_2) | instid1(VALU_DEP_1)
	v_sub_co_u32 v3, s4, v2, s27
	s_subb_u32 s22, s5, s23
	s_cmp_lg_u32 s4, 0
	v_cmp_le_u32_e32 vcc_lo, s27, v3
	v_sub_co_u32 v4, s4, v3, s27
	s_subb_u32 s23, s22, 0
	s_cmp_lg_u32 s4, 0
	v_cndmask_b32_e64 v5, 0, -1, vcc_lo
	s_subb_u32 s4, s23, 0
	s_cmp_eq_u32 s23, 0
	v_mov_b32_e32 v7, s4
	s_cselect_b32 vcc_lo, -1, 0
	s_cmp_eq_u32 s22, 0
	v_cndmask_b32_e32 v5, -1, v5, vcc_lo
	v_cmp_le_u32_e32 vcc_lo, s27, v2
	s_cselect_b32 s4, -1, 0
	v_cndmask_b32_e64 v6, 0, -1, vcc_lo
	s_delay_alu instid0(VALU_DEP_3) | instskip(NEXT) | instid1(VALU_DEP_2)
	v_cmp_ne_u32_e32 vcc_lo, 0, v5
	v_cndmask_b32_e64 v5, -1, v6, s4
	v_cndmask_b32_e32 v6, s23, v7, vcc_lo
	v_cndmask_b32_e32 v4, v3, v4, vcc_lo
	s_delay_alu instid0(VALU_DEP_3) | instskip(NEXT) | instid1(VALU_DEP_3)
	v_cmp_ne_u32_e32 vcc_lo, 0, v5
	v_cndmask_b32_e32 v3, s22, v6, vcc_lo
	s_delay_alu instid0(VALU_DEP_3)
	v_cndmask_b32_e32 v2, v2, v4, vcc_lo
	s_cbranch_execnz .LBB78_101
.LBB78_100:                             ;   in Loop: Header=BB78_24 Depth=1
	v_cvt_f32_u32_e32 v2, s27
	s_sub_i32 s4, 0, s27
	s_delay_alu instid0(VALU_DEP_1) | instskip(SKIP_2) | instid1(VALU_DEP_1)
	v_rcp_iflag_f32_e32 v2, v2
	s_waitcnt_depctr 0xfff
	v_mul_f32_e32 v2, 0x4f7ffffe, v2
	v_cvt_u32_f32_e32 v2, v2
	s_delay_alu instid0(VALU_DEP_1) | instskip(NEXT) | instid1(VALU_DEP_1)
	v_mul_lo_u32 v3, s4, v2
	v_mul_hi_u32 v3, v2, v3
	s_delay_alu instid0(VALU_DEP_1) | instskip(NEXT) | instid1(VALU_DEP_1)
	v_add_nc_u32_e32 v2, v2, v3
	v_mul_hi_u32 v2, s21, v2
	s_delay_alu instid0(VALU_DEP_1) | instskip(NEXT) | instid1(VALU_DEP_1)
	v_mul_lo_u32 v2, v2, s27
	v_sub_nc_u32_e32 v2, s21, v2
	s_delay_alu instid0(VALU_DEP_1) | instskip(SKIP_1) | instid1(VALU_DEP_2)
	v_subrev_nc_u32_e32 v3, s27, v2
	v_cmp_le_u32_e32 vcc_lo, s27, v2
	v_cndmask_b32_e32 v2, v2, v3, vcc_lo
	s_delay_alu instid0(VALU_DEP_1) | instskip(SKIP_1) | instid1(VALU_DEP_2)
	v_subrev_nc_u32_e32 v3, s27, v2
	v_cmp_le_u32_e32 vcc_lo, s27, v2
	v_cndmask_b32_e32 v12, v2, v3, vcc_lo
	s_delay_alu instid0(VALU_DEP_1)
	v_dual_mov_b32 v2, v12 :: v_dual_mov_b32 v3, v13
.LBB78_101:                             ;   in Loop: Header=BB78_24 Depth=1
	s_delay_alu instid0(VALU_DEP_1) | instskip(NEXT) | instid1(VALU_DEP_2)
	v_sub_co_u32 v2, vcc_lo, s21, v2
	v_sub_co_ci_u32_e32 v3, vcc_lo, s5, v3, vcc_lo
	s_mov_b32 s4, 0
	s_mov_b32 s5, exec_lo
                                        ; implicit-def: $vgpr24
	s_delay_alu instid0(VALU_DEP_1)
	v_cmpx_gt_u64_e64 v[2:3], v[0:1]
	s_cbranch_execz .LBB78_111
; %bb.102:                              ;   in Loop: Header=BB78_24 Depth=1
	v_dual_mov_b32 v6, v0 :: v_dual_mov_b32 v5, v1
	v_mov_b32_e32 v4, v0
	s_mov_b32 s21, 0
                                        ; implicit-def: $sgpr22
	s_set_inst_prefetch_distance 0x1
	s_branch .LBB78_104
	.p2align	6
.LBB78_103:                             ;   in Loop: Header=BB78_104 Depth=2
	s_or_b32 exec_lo, exec_lo, s4
	s_waitcnt lgkmcnt(0)
	s_barrier
	buffer_gl0_inv
	ds_load_u16 v7, v13 offset:3072
	v_add_co_u32 v4, vcc_lo, v4, s27
	v_add_co_ci_u32_e32 v5, vcc_lo, 0, v5, vcc_lo
	v_add_nc_u32_e32 v6, s27, v6
	s_waitcnt lgkmcnt(0)
	s_barrier
	s_delay_alu instid0(VALU_DEP_2) | instskip(SKIP_2) | instid1(VALU_DEP_1)
	v_cmp_ge_u64_e32 vcc_lo, v[4:5], v[2:3]
	buffer_gl0_inv
	v_and_b32_e32 v8, 0xff, v7
	v_cmp_ne_u16_e64 s4, 0, v8
	s_delay_alu instid0(VALU_DEP_1) | instskip(NEXT) | instid1(SALU_CYCLE_1)
	s_or_b32 s23, vcc_lo, s4
	s_and_b32 s23, exec_lo, s23
	s_delay_alu instid0(SALU_CYCLE_1) | instskip(SKIP_2) | instid1(SALU_CYCLE_1)
	s_or_b32 s21, s23, s21
	s_and_not1_b32 s22, s22, exec_lo
	s_and_b32 s4, s4, exec_lo
	s_or_b32 s22, s22, s4
	s_and_not1_b32 exec_lo, exec_lo, s21
	s_cbranch_execz .LBB78_110
.LBB78_104:                             ;   Parent Loop BB78_24 Depth=1
                                        ; =>  This Inner Loop Header: Depth=2
	s_delay_alu instid0(VALU_DEP_1)
	v_cmp_gt_u64_e32 vcc_lo, s[14:15], v[4:5]
	v_mov_b32_e32 v7, 0
	s_and_saveexec_b32 s4, vcc_lo
	s_cbranch_execz .LBB78_106
; %bb.105:                              ;   in Loop: Header=BB78_104 Depth=2
	ds_load_u8 v7, v6
.LBB78_106:                             ;   in Loop: Header=BB78_104 Depth=2
	s_or_b32 exec_lo, exec_lo, s4
	s_waitcnt lgkmcnt(0)
	v_and_b32_e32 v8, s101, v7
	s_delay_alu instid0(VALU_DEP_1) | instskip(NEXT) | instid1(VALU_DEP_1)
	v_and_b32_e32 v8, 0xff, v8
	v_cmp_eq_u32_e64 s4, s100, v8
	s_delay_alu instid0(VALU_DEP_1) | instskip(NEXT) | instid1(SALU_CYCLE_1)
	s_and_b32 s23, vcc_lo, s4
	s_and_saveexec_b32 s4, s23
	s_cbranch_execz .LBB78_103
; %bb.107:                              ;   in Loop: Header=BB78_104 Depth=2
	v_lshlrev_b16 v7, 8, v7
	s_delay_alu instid0(VALU_DEP_1)
	v_or_b32_e32 v7, 1, v7
	ds_store_b16 v13, v7 offset:3072
	s_branch .LBB78_103
.LBB78_108:                             ;   in Loop: Header=BB78_24 Depth=1
	s_mov_b32 s4, -1
                                        ; implicit-def: $sgpr5
                                        ; implicit-def: $sgpr15
                                        ; implicit-def: $sgpr14
	s_branch .LBB78_124
.LBB78_109:                             ;   in Loop: Header=BB78_24 Depth=1
	s_mov_b32 s5, -1
	s_mov_b32 s4, 0
                                        ; implicit-def: $sgpr14
                                        ; implicit-def: $vgpr24
	s_mov_b32 s15, s5
	s_cbranch_execnz .LBB78_112
	s_branch .LBB78_124
.LBB78_110:                             ;   in Loop: Header=BB78_24 Depth=1
	s_set_inst_prefetch_distance 0x2
	s_or_b32 exec_lo, exec_lo, s21
	v_lshrrev_b16 v24, 8, v7
	s_and_b32 s4, s22, exec_lo
.LBB78_111:                             ;   in Loop: Header=BB78_24 Depth=1
	s_or_b32 exec_lo, exec_lo, s5
	s_mov_b32 s14, -1
	s_mov_b32 s5, 0
	s_delay_alu instid0(SALU_CYCLE_1)
	s_mov_b32 s15, s5
	s_branch .LBB78_124
.LBB78_112:                             ;   in Loop: Header=BB78_24 Depth=1
	s_mov_b32 s70, s69
	s_delay_alu instid0(SALU_CYCLE_1)
	s_cmp_lg_u64 s[70:71], 0
	s_cbranch_scc0 .LBB78_153
; %bb.113:                              ;   in Loop: Header=BB78_24 Depth=1
	v_cvt_f32_u32_e32 v2, s27
	s_sub_u32 s14, 0, s27
	s_subb_u32 s15, 0, 0
	s_delay_alu instid0(VALU_DEP_1) | instskip(NEXT) | instid1(VALU_DEP_1)
	v_fmac_f32_e64 v2, 0, 0x4f800000
	v_rcp_f32_e32 v2, v2
	s_waitcnt_depctr 0xfff
	v_mul_f32_e32 v2, 0x5f7ffffc, v2
	s_delay_alu instid0(VALU_DEP_1) | instskip(NEXT) | instid1(VALU_DEP_1)
	v_mul_f32_e32 v3, 0x2f800000, v2
	v_trunc_f32_e32 v3, v3
	s_delay_alu instid0(VALU_DEP_1) | instskip(SKIP_1) | instid1(VALU_DEP_2)
	v_fmac_f32_e32 v2, 0xcf800000, v3
	v_cvt_u32_f32_e32 v3, v3
	v_cvt_u32_f32_e32 v2, v2
	s_delay_alu instid0(VALU_DEP_2) | instskip(NEXT) | instid1(VALU_DEP_2)
	v_readfirstlane_b32 s4, v3
	v_readfirstlane_b32 s5, v2
	s_delay_alu instid0(VALU_DEP_2) | instskip(NEXT) | instid1(VALU_DEP_1)
	s_mul_i32 s21, s14, s4
	s_mul_hi_u32 s23, s14, s5
	s_mul_i32 s22, s15, s5
	s_add_i32 s21, s23, s21
	s_mul_i32 s68, s14, s5
	s_add_i32 s21, s21, s22
	s_mul_hi_u32 s23, s5, s68
	s_mul_hi_u32 s70, s4, s68
	s_mul_i32 s22, s4, s68
	s_mul_hi_u32 s68, s5, s21
	s_mul_i32 s5, s5, s21
	s_mul_hi_u32 s74, s4, s21
	s_add_u32 s5, s23, s5
	s_addc_u32 s23, 0, s68
	s_add_u32 s5, s5, s22
	s_mul_i32 s21, s4, s21
	s_addc_u32 s5, s23, s70
	s_addc_u32 s22, s74, 0
	s_add_u32 s5, s5, s21
	s_addc_u32 s21, 0, s22
	v_add_co_u32 v2, s5, v2, s5
	s_delay_alu instid0(VALU_DEP_1) | instskip(SKIP_1) | instid1(VALU_DEP_1)
	s_cmp_lg_u32 s5, 0
	s_addc_u32 s4, s4, s21
	v_readfirstlane_b32 s5, v2
	s_mul_i32 s21, s14, s4
	s_delay_alu instid0(VALU_DEP_1)
	s_mul_hi_u32 s22, s14, s5
	s_mul_i32 s15, s15, s5
	s_add_i32 s21, s22, s21
	s_mul_i32 s14, s14, s5
	s_add_i32 s21, s21, s15
	s_mul_hi_u32 s22, s4, s14
	s_mul_i32 s23, s4, s14
	s_mul_hi_u32 s14, s5, s14
	s_mul_hi_u32 s68, s5, s21
	s_mul_i32 s5, s5, s21
	s_mul_hi_u32 s15, s4, s21
	s_add_u32 s5, s14, s5
	s_addc_u32 s14, 0, s68
	s_add_u32 s5, s5, s23
	s_mul_i32 s21, s4, s21
	s_addc_u32 s5, s14, s22
	s_addc_u32 s14, s15, 0
	s_add_u32 s5, s5, s21
	s_addc_u32 s14, 0, s14
	v_add_co_u32 v2, s5, v2, s5
	s_delay_alu instid0(VALU_DEP_1) | instskip(SKIP_1) | instid1(VALU_DEP_1)
	s_cmp_lg_u32 s5, 0
	s_addc_u32 s4, s4, s14
	v_readfirstlane_b32 s5, v2
	s_mul_i32 s15, s85, s4
	s_mul_hi_u32 s14, s85, s4
	s_mul_hi_u32 s21, s71, s4
	s_mul_i32 s4, s71, s4
	s_mul_hi_u32 s22, s85, s5
	s_mul_hi_u32 s23, s71, s5
	s_mul_i32 s5, s71, s5
	s_add_u32 s15, s22, s15
	s_addc_u32 s14, 0, s14
	s_add_u32 s5, s15, s5
	s_addc_u32 s5, s14, s23
	s_addc_u32 s14, s21, 0
	s_add_u32 s4, s5, s4
	s_addc_u32 s5, 0, s14
	s_mul_hi_u32 s14, s27, s4
	s_mul_i32 s4, s27, s4
	s_mul_i32 s5, s27, s5
	v_sub_co_u32 v2, s4, s85, s4
	s_add_i32 s14, s14, s5
	s_cmp_lg_u32 s4, 0
	s_delay_alu instid0(VALU_DEP_1) | instskip(SKIP_2) | instid1(VALU_DEP_1)
	v_sub_co_u32 v3, s4, v2, s27
	s_subb_u32 s5, s71, s14
	s_cmp_lg_u32 s4, 0
	v_cmp_le_u32_e32 vcc_lo, s27, v3
	v_sub_co_u32 v4, s4, v3, s27
	s_subb_u32 s14, s5, 0
	s_cmp_lg_u32 s4, 0
	v_cndmask_b32_e64 v5, 0, -1, vcc_lo
	s_subb_u32 s4, s14, 0
	s_cmp_eq_u32 s14, 0
	v_mov_b32_e32 v7, s4
	s_cselect_b32 vcc_lo, -1, 0
	s_cmp_eq_u32 s5, 0
	v_cndmask_b32_e32 v5, -1, v5, vcc_lo
	v_cmp_le_u32_e32 vcc_lo, s27, v2
	s_cselect_b32 s4, -1, 0
	v_cndmask_b32_e64 v6, 0, -1, vcc_lo
	s_delay_alu instid0(VALU_DEP_3) | instskip(NEXT) | instid1(VALU_DEP_2)
	v_cmp_ne_u32_e32 vcc_lo, 0, v5
	v_cndmask_b32_e64 v5, -1, v6, s4
	v_cndmask_b32_e32 v6, s14, v7, vcc_lo
	v_cndmask_b32_e32 v4, v3, v4, vcc_lo
	s_delay_alu instid0(VALU_DEP_3) | instskip(NEXT) | instid1(VALU_DEP_3)
	v_cmp_ne_u32_e32 vcc_lo, 0, v5
	v_cndmask_b32_e32 v3, s5, v6, vcc_lo
	s_delay_alu instid0(VALU_DEP_3)
	v_cndmask_b32_e32 v2, v2, v4, vcc_lo
	s_cbranch_execnz .LBB78_115
.LBB78_114:                             ;   in Loop: Header=BB78_24 Depth=1
	v_cvt_f32_u32_e32 v2, s27
	s_sub_i32 s4, 0, s27
	s_delay_alu instid0(VALU_DEP_1) | instskip(SKIP_2) | instid1(VALU_DEP_1)
	v_rcp_iflag_f32_e32 v2, v2
	s_waitcnt_depctr 0xfff
	v_mul_f32_e32 v2, 0x4f7ffffe, v2
	v_cvt_u32_f32_e32 v2, v2
	s_delay_alu instid0(VALU_DEP_1) | instskip(NEXT) | instid1(VALU_DEP_1)
	v_mul_lo_u32 v3, s4, v2
	v_mul_hi_u32 v3, v2, v3
	s_delay_alu instid0(VALU_DEP_1) | instskip(NEXT) | instid1(VALU_DEP_1)
	v_add_nc_u32_e32 v2, v2, v3
	v_mul_hi_u32 v2, s85, v2
	s_delay_alu instid0(VALU_DEP_1) | instskip(NEXT) | instid1(VALU_DEP_1)
	v_mul_lo_u32 v2, v2, s27
	v_sub_nc_u32_e32 v2, s85, v2
	s_delay_alu instid0(VALU_DEP_1) | instskip(SKIP_1) | instid1(VALU_DEP_2)
	v_subrev_nc_u32_e32 v3, s27, v2
	v_cmp_le_u32_e32 vcc_lo, s27, v2
	v_cndmask_b32_e32 v2, v2, v3, vcc_lo
	s_delay_alu instid0(VALU_DEP_1) | instskip(SKIP_1) | instid1(VALU_DEP_2)
	v_subrev_nc_u32_e32 v3, s27, v2
	v_cmp_le_u32_e32 vcc_lo, s27, v2
	v_cndmask_b32_e32 v12, v2, v3, vcc_lo
	s_delay_alu instid0(VALU_DEP_1)
	v_dual_mov_b32 v2, v12 :: v_dual_mov_b32 v3, v13
.LBB78_115:                             ;   in Loop: Header=BB78_24 Depth=1
	s_delay_alu instid0(VALU_DEP_1) | instskip(NEXT) | instid1(VALU_DEP_2)
	v_sub_co_u32 v2, vcc_lo, s85, v2
	v_sub_co_ci_u32_e32 v3, vcc_lo, s71, v3, vcc_lo
	s_mov_b32 s4, 0
	s_mov_b32 s5, exec_lo
                                        ; implicit-def: $vgpr24
	s_delay_alu instid0(VALU_DEP_1)
	v_cmpx_gt_u64_e64 v[2:3], v[0:1]
	s_cbranch_execz .LBB78_123
; %bb.116:                              ;   in Loop: Header=BB78_24 Depth=1
	v_dual_mov_b32 v5, v1 :: v_dual_mov_b32 v4, v0
	s_mov_b32 s14, 0
                                        ; implicit-def: $sgpr15
	s_branch .LBB78_118
.LBB78_117:                             ;   in Loop: Header=BB78_118 Depth=2
	s_or_b32 exec_lo, exec_lo, s4
	s_waitcnt lgkmcnt(0)
	s_barrier
	buffer_gl0_inv
	ds_load_u16 v6, v13 offset:3072
	v_add_co_u32 v4, vcc_lo, v4, s27
	v_add_co_ci_u32_e32 v5, vcc_lo, 0, v5, vcc_lo
	s_waitcnt lgkmcnt(0)
	s_barrier
	buffer_gl0_inv
	v_cmp_ge_u64_e32 vcc_lo, v[4:5], v[2:3]
	v_and_b32_e32 v7, 0xff, v6
	s_delay_alu instid0(VALU_DEP_1) | instskip(NEXT) | instid1(VALU_DEP_1)
	v_cmp_ne_u16_e64 s4, 0, v7
	s_or_b32 s21, vcc_lo, s4
	s_delay_alu instid0(SALU_CYCLE_1) | instskip(NEXT) | instid1(SALU_CYCLE_1)
	s_and_b32 s21, exec_lo, s21
	s_or_b32 s14, s21, s14
	s_and_not1_b32 s15, s15, exec_lo
	s_and_b32 s4, s4, exec_lo
	s_delay_alu instid0(SALU_CYCLE_1)
	s_or_b32 s15, s15, s4
	s_and_not1_b32 exec_lo, exec_lo, s14
	s_cbranch_execz .LBB78_122
.LBB78_118:                             ;   Parent Loop BB78_24 Depth=1
                                        ; =>  This Inner Loop Header: Depth=2
	s_delay_alu instid0(VALU_DEP_1)
	v_cmp_gt_u64_e32 vcc_lo, s[24:25], v[4:5]
	v_mov_b32_e32 v6, 0
	s_and_saveexec_b32 s4, vcc_lo
	s_cbranch_execz .LBB78_120
; %bb.119:                              ;   in Loop: Header=BB78_118 Depth=2
	v_mad_u64_u32 v[6:7], null, v4, s54, s[62:63]
	v_mul_lo_u32 v8, v4, s55
	v_mul_lo_u32 v9, v5, s54
	s_delay_alu instid0(VALU_DEP_1)
	v_add3_u32 v7, v9, v7, v8
	global_load_u8 v6, v[6:7], off
.LBB78_120:                             ;   in Loop: Header=BB78_118 Depth=2
	s_or_b32 exec_lo, exec_lo, s4
	s_waitcnt vmcnt(0)
	v_and_b32_e32 v7, s101, v6
	s_delay_alu instid0(VALU_DEP_1) | instskip(NEXT) | instid1(VALU_DEP_1)
	v_and_b32_e32 v7, 0xff, v7
	v_cmp_eq_u32_e64 s4, s100, v7
	s_delay_alu instid0(VALU_DEP_1) | instskip(NEXT) | instid1(SALU_CYCLE_1)
	s_and_b32 s21, vcc_lo, s4
	s_and_saveexec_b32 s4, s21
	s_cbranch_execz .LBB78_117
; %bb.121:                              ;   in Loop: Header=BB78_118 Depth=2
	v_lshlrev_b16 v6, 8, v6
	s_delay_alu instid0(VALU_DEP_1)
	v_or_b32_e32 v6, 1, v6
	ds_store_b16 v13, v6 offset:3072
	s_branch .LBB78_117
.LBB78_122:                             ;   in Loop: Header=BB78_24 Depth=1
	s_or_b32 exec_lo, exec_lo, s14
	v_lshrrev_b16 v24, 8, v6
	s_and_b32 s4, s15, exec_lo
.LBB78_123:                             ;   in Loop: Header=BB78_24 Depth=1
	s_or_b32 exec_lo, exec_lo, s5
	s_mov_b32 s15, -1
	s_mov_b32 s5, 0
	s_mov_b32 s14, 0
.LBB78_124:                             ;   in Loop: Header=BB78_24 Depth=1
	s_and_not1_b32 s21, s96, exec_lo
	s_and_b32 s5, s5, exec_lo
	s_and_b32 s15, s15, exec_lo
	s_or_b32 s96, s21, s5
	s_and_not1_b32 s5, s99, exec_lo
	s_and_not1_b32 s21, s97, exec_lo
	s_and_b32 s14, s14, exec_lo
	s_or_b32 s99, s5, s15
	s_or_b32 s97, s21, s14
	s_and_saveexec_b32 s14, s4
	s_cbranch_execz .LBB78_23
; %bb.125:                              ;   in Loop: Header=BB78_24 Depth=1
	s_xor_b32 s4, s20, -1
	s_mov_b32 s68, 1
	s_and_not1_b32 vcc_lo, exec_lo, s4
	s_cbranch_vccnz .LBB78_136
; %bb.126:                              ;   in Loop: Header=BB78_24 Depth=1
	v_cmp_gt_u64_e64 s4, s[66:67], s[12:13]
                                        ; implicit-def: $sgpr68
                                        ; implicit-def: $sgpr5
                                        ; implicit-def: $sgpr15
	s_delay_alu instid0(VALU_DEP_1)
	s_and_b32 vcc_lo, exec_lo, s4
	s_mov_b32 s4, -1
	s_cbranch_vccnz .LBB78_132
; %bb.127:                              ;   in Loop: Header=BB78_24 Depth=1
	ds_load_b64 v[2:3], v13 offset:5120
	s_waitcnt lgkmcnt(0)
	v_cmp_ne_u64_e32 vcc_lo, 0, v[2:3]
	s_cbranch_vccnz .LBB78_131
; %bb.128:                              ;   in Loop: Header=BB78_24 Depth=1
	s_and_saveexec_b32 s4, s2
	s_cbranch_execz .LBB78_130
; %bb.129:                              ;   in Loop: Header=BB78_24 Depth=1
	v_dual_mov_b32 v2, s12 :: v_dual_mov_b32 v3, s13
	ds_store_b64 v13, v[2:3] offset:5128
.LBB78_130:                             ;   in Loop: Header=BB78_24 Depth=1
	s_or_b32 exec_lo, exec_lo, s4
	s_waitcnt lgkmcnt(0)
	s_barrier
	buffer_gl0_inv
.LBB78_131:                             ;   in Loop: Header=BB78_24 Depth=1
	s_and_b32 s5, s100, s18
	s_or_b32 s15, s101, s16
	s_mov_b32 s4, 0
	s_mov_b32 s68, 8
.LBB78_132:                             ;   in Loop: Header=BB78_24 Depth=1
	s_and_not1_b32 vcc_lo, exec_lo, s4
	s_cbranch_vccnz .LBB78_134
; %bb.133:                              ;   in Loop: Header=BB78_24 Depth=1
	s_sub_u32 s66, s66, s12
	s_subb_u32 s67, s67, s13
	s_mov_b32 s4, -1
	s_mov_b32 s68, 0
	s_mov_b32 s5, s100
	;; [unrolled: 1-line block ×3, first 2 shown]
.LBB78_134:                             ;   in Loop: Header=BB78_24 Depth=1
	s_delay_alu instid0(SALU_CYCLE_1)
	s_mov_b32 s101, s15
	s_mov_b32 s100, s5
	s_and_b32 vcc_lo, exec_lo, s4
	s_mov_b32 s15, -1
	s_cbranch_vccnz .LBB78_137
.LBB78_135:                             ;   in Loop: Header=BB78_24 Depth=1
	s_mov_b32 s5, -1
                                        ; implicit-def: $sgpr12
                                        ; implicit-def: $sgpr19
                                        ; implicit-def: $sgpr13
	s_delay_alu instid0(SALU_CYCLE_1) | instskip(NEXT) | instid1(SALU_CYCLE_1)
	s_and_saveexec_b32 s4, s5
	s_xor_b32 s4, exec_lo, s4
	s_cbranch_execz .LBB78_22
	s_branch .LBB78_277
.LBB78_136:                             ;   in Loop: Header=BB78_24 Depth=1
	s_mov_b64 s[66:67], 1
	s_mov_b32 s15, -1
	s_branch .LBB78_135
.LBB78_137:                             ;   in Loop: Header=BB78_24 Depth=1
	s_cmp_eq_u64 s[10:11], 1
	s_cselect_b32 s4, -1, 0
	s_cmp_eq_u64 s[66:67], 1
	s_cselect_b32 s5, -1, 0
	s_delay_alu instid0(SALU_CYCLE_1)
	s_and_b32 s21, s4, s5
	s_mov_b32 s4, -1
	s_and_b32 vcc_lo, exec_lo, s21
	s_cbranch_vccz .LBB78_151
; %bb.138:                              ;   in Loop: Header=BB78_24 Depth=1
	ds_load_b64 v[2:3], v13 offset:5120
	s_waitcnt lgkmcnt(0)
	s_barrier
	buffer_gl0_inv
	v_readfirstlane_b32 s12, v2
	v_readfirstlane_b32 s13, v3
	s_and_saveexec_b32 s4, s3
	s_cbranch_execz .LBB78_140
; %bb.139:                              ;   in Loop: Header=BB78_24 Depth=1
	ds_store_b8 v0, v13 offset:3072
.LBB78_140:                             ;   in Loop: Header=BB78_24 Depth=1
	s_or_b32 exec_lo, exec_lo, s4
	s_lshl_b32 s4, 1, s17
	s_and_b32 s5, s100, s18
	s_or_b32 s101, s101, s16
	s_or_b32 s100, s5, s4
	s_cmp_eq_u64 s[12:13], 0
	s_waitcnt lgkmcnt(0)
	s_barrier
	buffer_gl0_inv
	s_cbranch_scc1 .LBB78_154
; %bb.141:                              ;   in Loop: Header=BB78_24 Depth=1
	s_add_u32 s19, s51, s12
	s_addc_u32 s5, s84, s13
	s_mov_b32 s4, s69
	s_delay_alu instid0(SALU_CYCLE_1)
	s_cmp_lg_u64 s[4:5], 0
	s_cbranch_scc0 .LBB78_197
; %bb.142:                              ;   in Loop: Header=BB78_24 Depth=1
	v_cvt_f32_u32_e32 v2, s27
	s_sub_u32 s22, 0, s27
	s_subb_u32 s23, 0, 0
	s_delay_alu instid0(VALU_DEP_1) | instskip(NEXT) | instid1(VALU_DEP_1)
	v_fmac_f32_e64 v2, 0, 0x4f800000
	v_rcp_f32_e32 v2, v2
	s_waitcnt_depctr 0xfff
	v_mul_f32_e32 v2, 0x5f7ffffc, v2
	s_delay_alu instid0(VALU_DEP_1) | instskip(NEXT) | instid1(VALU_DEP_1)
	v_mul_f32_e32 v3, 0x2f800000, v2
	v_trunc_f32_e32 v3, v3
	s_delay_alu instid0(VALU_DEP_1) | instskip(SKIP_1) | instid1(VALU_DEP_2)
	v_fmac_f32_e32 v2, 0xcf800000, v3
	v_cvt_u32_f32_e32 v3, v3
	v_cvt_u32_f32_e32 v2, v2
	s_delay_alu instid0(VALU_DEP_2) | instskip(NEXT) | instid1(VALU_DEP_2)
	v_readfirstlane_b32 s4, v3
	v_readfirstlane_b32 s20, v2
	s_delay_alu instid0(VALU_DEP_2) | instskip(NEXT) | instid1(VALU_DEP_1)
	s_mul_i32 s68, s22, s4
	s_mul_hi_u32 s74, s22, s20
	s_mul_i32 s70, s23, s20
	s_add_i32 s68, s74, s68
	s_mul_i32 s75, s22, s20
	s_add_i32 s68, s68, s70
	s_mul_hi_u32 s74, s20, s75
	s_mul_hi_u32 s76, s4, s75
	s_mul_i32 s70, s4, s75
	s_mul_hi_u32 s75, s20, s68
	s_mul_i32 s20, s20, s68
	s_mul_hi_u32 s77, s4, s68
	s_add_u32 s20, s74, s20
	s_addc_u32 s74, 0, s75
	s_add_u32 s20, s20, s70
	s_mul_i32 s68, s4, s68
	s_addc_u32 s20, s74, s76
	s_addc_u32 s70, s77, 0
	s_add_u32 s20, s20, s68
	s_addc_u32 s68, 0, s70
	v_add_co_u32 v2, s20, v2, s20
	s_delay_alu instid0(VALU_DEP_1) | instskip(SKIP_1) | instid1(VALU_DEP_1)
	s_cmp_lg_u32 s20, 0
	s_addc_u32 s4, s4, s68
	v_readfirstlane_b32 s20, v2
	s_mul_i32 s68, s22, s4
	s_delay_alu instid0(VALU_DEP_1)
	s_mul_hi_u32 s70, s22, s20
	s_mul_i32 s23, s23, s20
	s_add_i32 s68, s70, s68
	s_mul_i32 s22, s22, s20
	s_add_i32 s68, s68, s23
	s_mul_hi_u32 s70, s4, s22
	s_mul_i32 s74, s4, s22
	s_mul_hi_u32 s22, s20, s22
	s_mul_hi_u32 s75, s20, s68
	s_mul_i32 s20, s20, s68
	s_mul_hi_u32 s23, s4, s68
	s_add_u32 s20, s22, s20
	s_addc_u32 s22, 0, s75
	s_add_u32 s20, s20, s74
	s_mul_i32 s68, s4, s68
	s_addc_u32 s20, s22, s70
	s_addc_u32 s22, s23, 0
	s_add_u32 s20, s20, s68
	s_addc_u32 s22, 0, s22
	v_add_co_u32 v2, s20, v2, s20
	s_delay_alu instid0(VALU_DEP_1) | instskip(SKIP_1) | instid1(VALU_DEP_1)
	s_cmp_lg_u32 s20, 0
	s_addc_u32 s4, s4, s22
	v_readfirstlane_b32 s20, v2
	s_mul_i32 s23, s19, s4
	s_mul_hi_u32 s22, s19, s4
	s_mul_hi_u32 s68, s5, s4
	s_mul_i32 s4, s5, s4
	s_mul_hi_u32 s70, s19, s20
	s_mul_hi_u32 s74, s5, s20
	s_mul_i32 s20, s5, s20
	s_add_u32 s23, s70, s23
	s_addc_u32 s22, 0, s22
	s_add_u32 s20, s23, s20
	s_addc_u32 s20, s22, s74
	s_addc_u32 s22, s68, 0
	s_add_u32 s4, s20, s4
	s_addc_u32 s20, 0, s22
	s_mul_hi_u32 s22, s27, s4
	s_mul_i32 s4, s27, s4
	s_mul_i32 s20, s27, s20
	v_sub_co_u32 v2, s4, s19, s4
	s_add_i32 s22, s22, s20
	s_cmp_lg_u32 s4, 0
	s_delay_alu instid0(VALU_DEP_1) | instskip(SKIP_2) | instid1(VALU_DEP_1)
	v_sub_co_u32 v3, s4, v2, s27
	s_subb_u32 s20, s5, s22
	s_cmp_lg_u32 s4, 0
	v_cmp_le_u32_e32 vcc_lo, s27, v3
	v_sub_co_u32 v4, s4, v3, s27
	s_subb_u32 s22, s20, 0
	s_cmp_lg_u32 s4, 0
	v_cndmask_b32_e64 v5, 0, -1, vcc_lo
	s_subb_u32 s4, s22, 0
	s_cmp_eq_u32 s22, 0
	v_mov_b32_e32 v7, s4
	s_cselect_b32 vcc_lo, -1, 0
	s_cmp_eq_u32 s20, 0
	v_cndmask_b32_e32 v5, -1, v5, vcc_lo
	v_cmp_le_u32_e32 vcc_lo, s27, v2
	s_cselect_b32 s4, -1, 0
	v_cndmask_b32_e64 v6, 0, -1, vcc_lo
	s_delay_alu instid0(VALU_DEP_3) | instskip(NEXT) | instid1(VALU_DEP_2)
	v_cmp_ne_u32_e32 vcc_lo, 0, v5
	v_cndmask_b32_e64 v5, -1, v6, s4
	v_cndmask_b32_e32 v6, s22, v7, vcc_lo
	v_cndmask_b32_e32 v4, v3, v4, vcc_lo
	s_delay_alu instid0(VALU_DEP_3) | instskip(NEXT) | instid1(VALU_DEP_3)
	v_cmp_ne_u32_e32 vcc_lo, 0, v5
	v_cndmask_b32_e32 v3, s20, v6, vcc_lo
	s_delay_alu instid0(VALU_DEP_3)
	v_cndmask_b32_e32 v2, v2, v4, vcc_lo
	s_cbranch_execnz .LBB78_144
.LBB78_143:                             ;   in Loop: Header=BB78_24 Depth=1
	v_cvt_f32_u32_e32 v2, s27
	s_sub_i32 s4, 0, s27
	s_delay_alu instid0(VALU_DEP_1) | instskip(SKIP_2) | instid1(VALU_DEP_1)
	v_rcp_iflag_f32_e32 v2, v2
	s_waitcnt_depctr 0xfff
	v_mul_f32_e32 v2, 0x4f7ffffe, v2
	v_cvt_u32_f32_e32 v2, v2
	s_delay_alu instid0(VALU_DEP_1) | instskip(NEXT) | instid1(VALU_DEP_1)
	v_mul_lo_u32 v3, s4, v2
	v_mul_hi_u32 v3, v2, v3
	s_delay_alu instid0(VALU_DEP_1) | instskip(NEXT) | instid1(VALU_DEP_1)
	v_add_nc_u32_e32 v2, v2, v3
	v_mul_hi_u32 v2, s19, v2
	s_delay_alu instid0(VALU_DEP_1) | instskip(NEXT) | instid1(VALU_DEP_1)
	v_mul_lo_u32 v2, v2, s27
	v_sub_nc_u32_e32 v2, s19, v2
	s_delay_alu instid0(VALU_DEP_1) | instskip(SKIP_1) | instid1(VALU_DEP_2)
	v_subrev_nc_u32_e32 v3, s27, v2
	v_cmp_le_u32_e32 vcc_lo, s27, v2
	v_cndmask_b32_e32 v2, v2, v3, vcc_lo
	s_delay_alu instid0(VALU_DEP_1) | instskip(SKIP_1) | instid1(VALU_DEP_2)
	v_subrev_nc_u32_e32 v3, s27, v2
	v_cmp_le_u32_e32 vcc_lo, s27, v2
	v_cndmask_b32_e32 v12, v2, v3, vcc_lo
	s_delay_alu instid0(VALU_DEP_1)
	v_dual_mov_b32 v2, v12 :: v_dual_mov_b32 v3, v13
.LBB78_144:                             ;   in Loop: Header=BB78_24 Depth=1
	s_delay_alu instid0(VALU_DEP_1) | instskip(NEXT) | instid1(VALU_DEP_2)
	v_sub_co_u32 v2, vcc_lo, s19, v2
	v_sub_co_ci_u32_e32 v3, vcc_lo, s5, v3, vcc_lo
	s_mov_b32 s4, 0
	s_mov_b32 s5, exec_lo
                                        ; implicit-def: $vgpr24
	s_delay_alu instid0(VALU_DEP_1)
	v_cmpx_gt_u64_e64 v[2:3], v[0:1]
	s_cbranch_execz .LBB78_156
; %bb.145:                              ;   in Loop: Header=BB78_24 Depth=1
	v_dual_mov_b32 v6, v0 :: v_dual_mov_b32 v5, v1
	v_mov_b32_e32 v4, v0
	s_mov_b32 s19, 0
                                        ; implicit-def: $sgpr20
	s_set_inst_prefetch_distance 0x1
	s_branch .LBB78_147
	.p2align	6
.LBB78_146:                             ;   in Loop: Header=BB78_147 Depth=2
	s_or_b32 exec_lo, exec_lo, s4
	s_waitcnt lgkmcnt(0)
	s_barrier
	buffer_gl0_inv
	ds_load_u16 v7, v13 offset:3072
	v_add_co_u32 v4, vcc_lo, v4, s27
	v_add_co_ci_u32_e32 v5, vcc_lo, 0, v5, vcc_lo
	v_add_nc_u32_e32 v6, s27, v6
	s_waitcnt lgkmcnt(0)
	s_barrier
	s_delay_alu instid0(VALU_DEP_2) | instskip(SKIP_2) | instid1(VALU_DEP_1)
	v_cmp_ge_u64_e32 vcc_lo, v[4:5], v[2:3]
	buffer_gl0_inv
	v_and_b32_e32 v8, 0xff, v7
	v_cmp_ne_u16_e64 s4, 0, v8
	s_delay_alu instid0(VALU_DEP_1) | instskip(NEXT) | instid1(SALU_CYCLE_1)
	s_or_b32 s22, vcc_lo, s4
	s_and_b32 s22, exec_lo, s22
	s_delay_alu instid0(SALU_CYCLE_1) | instskip(SKIP_2) | instid1(SALU_CYCLE_1)
	s_or_b32 s19, s22, s19
	s_and_not1_b32 s20, s20, exec_lo
	s_and_b32 s4, s4, exec_lo
	s_or_b32 s20, s20, s4
	s_and_not1_b32 exec_lo, exec_lo, s19
	s_cbranch_execz .LBB78_155
.LBB78_147:                             ;   Parent Loop BB78_24 Depth=1
                                        ; =>  This Inner Loop Header: Depth=2
	s_delay_alu instid0(VALU_DEP_1)
	v_cmp_gt_u64_e32 vcc_lo, s[12:13], v[4:5]
	v_mov_b32_e32 v7, 0
	s_and_saveexec_b32 s4, vcc_lo
	s_cbranch_execz .LBB78_149
; %bb.148:                              ;   in Loop: Header=BB78_147 Depth=2
	ds_load_u8 v7, v6
.LBB78_149:                             ;   in Loop: Header=BB78_147 Depth=2
	s_or_b32 exec_lo, exec_lo, s4
	s_waitcnt lgkmcnt(0)
	v_and_b32_e32 v8, s101, v7
	s_delay_alu instid0(VALU_DEP_1) | instskip(NEXT) | instid1(VALU_DEP_1)
	v_and_b32_e32 v8, 0xff, v8
	v_cmp_eq_u32_e64 s4, s100, v8
	s_delay_alu instid0(VALU_DEP_1) | instskip(NEXT) | instid1(SALU_CYCLE_1)
	s_and_b32 s22, vcc_lo, s4
	s_and_saveexec_b32 s4, s22
	s_cbranch_execz .LBB78_146
; %bb.150:                              ;   in Loop: Header=BB78_147 Depth=2
	v_lshlrev_b16 v7, 8, v7
	s_delay_alu instid0(VALU_DEP_1)
	v_or_b32_e32 v7, 1, v7
	ds_store_b16 v13, v7 offset:3072
	s_branch .LBB78_146
.LBB78_151:                             ;   in Loop: Header=BB78_24 Depth=1
                                        ; implicit-def: $sgpr13
                                        ; implicit-def: $sgpr19
                                        ; implicit-def: $sgpr12
	s_branch .LBB78_169
.LBB78_152:                             ;   in Loop: Header=BB78_24 Depth=1
                                        ; implicit-def: $vgpr2_vgpr3
	s_branch .LBB78_100
.LBB78_153:                             ;   in Loop: Header=BB78_24 Depth=1
                                        ; implicit-def: $vgpr2_vgpr3
	s_branch .LBB78_114
.LBB78_154:                             ;   in Loop: Header=BB78_24 Depth=1
	s_mov_b32 s13, -1
	s_mov_b32 s4, 0
                                        ; implicit-def: $sgpr12
                                        ; implicit-def: $vgpr24
	s_mov_b32 s19, s13
	s_cbranch_execnz .LBB78_157
	s_branch .LBB78_169
.LBB78_155:                             ;   in Loop: Header=BB78_24 Depth=1
	s_set_inst_prefetch_distance 0x2
	s_or_b32 exec_lo, exec_lo, s19
	v_lshrrev_b16 v24, 8, v7
	s_and_b32 s4, s20, exec_lo
.LBB78_156:                             ;   in Loop: Header=BB78_24 Depth=1
	s_or_b32 exec_lo, exec_lo, s5
	s_mov_b32 s12, -1
	s_mov_b32 s13, 0
	s_delay_alu instid0(SALU_CYCLE_1)
	s_mov_b32 s19, s13
	s_branch .LBB78_169
.LBB78_157:                             ;   in Loop: Header=BB78_24 Depth=1
	s_mov_b32 s70, s69
	s_delay_alu instid0(SALU_CYCLE_1)
	s_cmp_lg_u64 s[70:71], 0
	s_cbranch_scc0 .LBB78_198
; %bb.158:                              ;   in Loop: Header=BB78_24 Depth=1
	v_cvt_f32_u32_e32 v2, s27
	s_sub_u32 s12, 0, s27
	s_subb_u32 s13, 0, 0
	s_delay_alu instid0(VALU_DEP_1) | instskip(NEXT) | instid1(VALU_DEP_1)
	v_fmac_f32_e64 v2, 0, 0x4f800000
	v_rcp_f32_e32 v2, v2
	s_waitcnt_depctr 0xfff
	v_mul_f32_e32 v2, 0x5f7ffffc, v2
	s_delay_alu instid0(VALU_DEP_1) | instskip(NEXT) | instid1(VALU_DEP_1)
	v_mul_f32_e32 v3, 0x2f800000, v2
	v_trunc_f32_e32 v3, v3
	s_delay_alu instid0(VALU_DEP_1) | instskip(SKIP_1) | instid1(VALU_DEP_2)
	v_fmac_f32_e32 v2, 0xcf800000, v3
	v_cvt_u32_f32_e32 v3, v3
	v_cvt_u32_f32_e32 v2, v2
	s_delay_alu instid0(VALU_DEP_2) | instskip(NEXT) | instid1(VALU_DEP_2)
	v_readfirstlane_b32 s4, v3
	v_readfirstlane_b32 s5, v2
	s_delay_alu instid0(VALU_DEP_2) | instskip(NEXT) | instid1(VALU_DEP_1)
	s_mul_i32 s19, s12, s4
	s_mul_hi_u32 s22, s12, s5
	s_mul_i32 s20, s13, s5
	s_add_i32 s19, s22, s19
	s_mul_i32 s23, s12, s5
	s_add_i32 s19, s19, s20
	s_mul_hi_u32 s22, s5, s23
	s_mul_hi_u32 s68, s4, s23
	s_mul_i32 s20, s4, s23
	s_mul_hi_u32 s23, s5, s19
	s_mul_i32 s5, s5, s19
	s_mul_hi_u32 s70, s4, s19
	s_add_u32 s5, s22, s5
	s_addc_u32 s22, 0, s23
	s_add_u32 s5, s5, s20
	s_mul_i32 s19, s4, s19
	s_addc_u32 s5, s22, s68
	s_addc_u32 s20, s70, 0
	s_add_u32 s5, s5, s19
	s_addc_u32 s19, 0, s20
	v_add_co_u32 v2, s5, v2, s5
	s_delay_alu instid0(VALU_DEP_1) | instskip(SKIP_1) | instid1(VALU_DEP_1)
	s_cmp_lg_u32 s5, 0
	s_addc_u32 s4, s4, s19
	v_readfirstlane_b32 s5, v2
	s_mul_i32 s19, s12, s4
	s_delay_alu instid0(VALU_DEP_1)
	s_mul_hi_u32 s20, s12, s5
	s_mul_i32 s13, s13, s5
	s_add_i32 s19, s20, s19
	s_mul_i32 s12, s12, s5
	s_add_i32 s19, s19, s13
	s_mul_hi_u32 s20, s4, s12
	s_mul_i32 s22, s4, s12
	s_mul_hi_u32 s12, s5, s12
	s_mul_hi_u32 s23, s5, s19
	s_mul_i32 s5, s5, s19
	s_mul_hi_u32 s13, s4, s19
	s_add_u32 s5, s12, s5
	s_addc_u32 s12, 0, s23
	s_add_u32 s5, s5, s22
	s_mul_i32 s19, s4, s19
	s_addc_u32 s5, s12, s20
	s_addc_u32 s12, s13, 0
	s_add_u32 s5, s5, s19
	s_addc_u32 s12, 0, s12
	v_add_co_u32 v2, s5, v2, s5
	s_delay_alu instid0(VALU_DEP_1) | instskip(SKIP_1) | instid1(VALU_DEP_1)
	s_cmp_lg_u32 s5, 0
	s_addc_u32 s4, s4, s12
	v_readfirstlane_b32 s5, v2
	s_mul_i32 s13, s85, s4
	s_mul_hi_u32 s12, s85, s4
	s_mul_hi_u32 s19, s71, s4
	s_mul_i32 s4, s71, s4
	s_mul_hi_u32 s20, s85, s5
	s_mul_hi_u32 s22, s71, s5
	s_mul_i32 s5, s71, s5
	s_add_u32 s13, s20, s13
	s_addc_u32 s12, 0, s12
	s_add_u32 s5, s13, s5
	s_addc_u32 s5, s12, s22
	s_addc_u32 s12, s19, 0
	s_add_u32 s4, s5, s4
	s_addc_u32 s5, 0, s12
	s_mul_hi_u32 s12, s27, s4
	s_mul_i32 s4, s27, s4
	s_mul_i32 s5, s27, s5
	v_sub_co_u32 v2, s4, s85, s4
	s_add_i32 s12, s12, s5
	s_cmp_lg_u32 s4, 0
	s_delay_alu instid0(VALU_DEP_1) | instskip(SKIP_2) | instid1(VALU_DEP_1)
	v_sub_co_u32 v3, s4, v2, s27
	s_subb_u32 s5, s71, s12
	s_cmp_lg_u32 s4, 0
	v_cmp_le_u32_e32 vcc_lo, s27, v3
	v_sub_co_u32 v4, s4, v3, s27
	s_subb_u32 s12, s5, 0
	s_cmp_lg_u32 s4, 0
	v_cndmask_b32_e64 v5, 0, -1, vcc_lo
	s_subb_u32 s4, s12, 0
	s_cmp_eq_u32 s12, 0
	v_mov_b32_e32 v7, s4
	s_cselect_b32 vcc_lo, -1, 0
	s_cmp_eq_u32 s5, 0
	v_cndmask_b32_e32 v5, -1, v5, vcc_lo
	v_cmp_le_u32_e32 vcc_lo, s27, v2
	s_cselect_b32 s4, -1, 0
	v_cndmask_b32_e64 v6, 0, -1, vcc_lo
	s_delay_alu instid0(VALU_DEP_3) | instskip(NEXT) | instid1(VALU_DEP_2)
	v_cmp_ne_u32_e32 vcc_lo, 0, v5
	v_cndmask_b32_e64 v5, -1, v6, s4
	v_cndmask_b32_e32 v6, s12, v7, vcc_lo
	v_cndmask_b32_e32 v4, v3, v4, vcc_lo
	s_delay_alu instid0(VALU_DEP_3) | instskip(NEXT) | instid1(VALU_DEP_3)
	v_cmp_ne_u32_e32 vcc_lo, 0, v5
	v_cndmask_b32_e32 v3, s5, v6, vcc_lo
	s_delay_alu instid0(VALU_DEP_3)
	v_cndmask_b32_e32 v2, v2, v4, vcc_lo
	s_cbranch_execnz .LBB78_160
.LBB78_159:                             ;   in Loop: Header=BB78_24 Depth=1
	v_cvt_f32_u32_e32 v2, s27
	s_sub_i32 s4, 0, s27
	s_delay_alu instid0(VALU_DEP_1) | instskip(SKIP_2) | instid1(VALU_DEP_1)
	v_rcp_iflag_f32_e32 v2, v2
	s_waitcnt_depctr 0xfff
	v_mul_f32_e32 v2, 0x4f7ffffe, v2
	v_cvt_u32_f32_e32 v2, v2
	s_delay_alu instid0(VALU_DEP_1) | instskip(NEXT) | instid1(VALU_DEP_1)
	v_mul_lo_u32 v3, s4, v2
	v_mul_hi_u32 v3, v2, v3
	s_delay_alu instid0(VALU_DEP_1) | instskip(NEXT) | instid1(VALU_DEP_1)
	v_add_nc_u32_e32 v2, v2, v3
	v_mul_hi_u32 v2, s85, v2
	s_delay_alu instid0(VALU_DEP_1) | instskip(NEXT) | instid1(VALU_DEP_1)
	v_mul_lo_u32 v2, v2, s27
	v_sub_nc_u32_e32 v2, s85, v2
	s_delay_alu instid0(VALU_DEP_1) | instskip(SKIP_1) | instid1(VALU_DEP_2)
	v_subrev_nc_u32_e32 v3, s27, v2
	v_cmp_le_u32_e32 vcc_lo, s27, v2
	v_cndmask_b32_e32 v2, v2, v3, vcc_lo
	s_delay_alu instid0(VALU_DEP_1) | instskip(SKIP_1) | instid1(VALU_DEP_2)
	v_subrev_nc_u32_e32 v3, s27, v2
	v_cmp_le_u32_e32 vcc_lo, s27, v2
	v_cndmask_b32_e32 v12, v2, v3, vcc_lo
	s_delay_alu instid0(VALU_DEP_1)
	v_dual_mov_b32 v2, v12 :: v_dual_mov_b32 v3, v13
.LBB78_160:                             ;   in Loop: Header=BB78_24 Depth=1
	s_delay_alu instid0(VALU_DEP_1) | instskip(NEXT) | instid1(VALU_DEP_2)
	v_sub_co_u32 v2, vcc_lo, s85, v2
	v_sub_co_ci_u32_e32 v3, vcc_lo, s71, v3, vcc_lo
	s_mov_b32 s4, 0
	s_mov_b32 s5, exec_lo
                                        ; implicit-def: $vgpr24
	s_delay_alu instid0(VALU_DEP_1)
	v_cmpx_gt_u64_e64 v[2:3], v[0:1]
	s_cbranch_execz .LBB78_168
; %bb.161:                              ;   in Loop: Header=BB78_24 Depth=1
	v_dual_mov_b32 v5, v1 :: v_dual_mov_b32 v4, v0
	s_mov_b32 s12, 0
                                        ; implicit-def: $sgpr13
	s_branch .LBB78_163
.LBB78_162:                             ;   in Loop: Header=BB78_163 Depth=2
	s_or_b32 exec_lo, exec_lo, s4
	s_waitcnt lgkmcnt(0)
	s_barrier
	buffer_gl0_inv
	ds_load_u16 v6, v13 offset:3072
	v_add_co_u32 v4, vcc_lo, v4, s27
	v_add_co_ci_u32_e32 v5, vcc_lo, 0, v5, vcc_lo
	s_waitcnt lgkmcnt(0)
	s_barrier
	buffer_gl0_inv
	v_cmp_ge_u64_e32 vcc_lo, v[4:5], v[2:3]
	v_and_b32_e32 v7, 0xff, v6
	s_delay_alu instid0(VALU_DEP_1) | instskip(NEXT) | instid1(VALU_DEP_1)
	v_cmp_ne_u16_e64 s4, 0, v7
	s_or_b32 s19, vcc_lo, s4
	s_delay_alu instid0(SALU_CYCLE_1) | instskip(NEXT) | instid1(SALU_CYCLE_1)
	s_and_b32 s19, exec_lo, s19
	s_or_b32 s12, s19, s12
	s_and_not1_b32 s13, s13, exec_lo
	s_and_b32 s4, s4, exec_lo
	s_delay_alu instid0(SALU_CYCLE_1)
	s_or_b32 s13, s13, s4
	s_and_not1_b32 exec_lo, exec_lo, s12
	s_cbranch_execz .LBB78_167
.LBB78_163:                             ;   Parent Loop BB78_24 Depth=1
                                        ; =>  This Inner Loop Header: Depth=2
	s_delay_alu instid0(VALU_DEP_1)
	v_cmp_gt_u64_e32 vcc_lo, s[24:25], v[4:5]
	v_mov_b32_e32 v6, 0
	s_and_saveexec_b32 s4, vcc_lo
	s_cbranch_execz .LBB78_165
; %bb.164:                              ;   in Loop: Header=BB78_163 Depth=2
	v_mad_u64_u32 v[6:7], null, v4, s54, s[62:63]
	v_mul_lo_u32 v8, v4, s55
	v_mul_lo_u32 v9, v5, s54
	s_delay_alu instid0(VALU_DEP_1)
	v_add3_u32 v7, v9, v7, v8
	global_load_u8 v6, v[6:7], off
.LBB78_165:                             ;   in Loop: Header=BB78_163 Depth=2
	s_or_b32 exec_lo, exec_lo, s4
	s_waitcnt vmcnt(0)
	v_and_b32_e32 v7, s101, v6
	s_delay_alu instid0(VALU_DEP_1) | instskip(NEXT) | instid1(VALU_DEP_1)
	v_and_b32_e32 v7, 0xff, v7
	v_cmp_eq_u32_e64 s4, s100, v7
	s_delay_alu instid0(VALU_DEP_1) | instskip(NEXT) | instid1(SALU_CYCLE_1)
	s_and_b32 s19, vcc_lo, s4
	s_and_saveexec_b32 s4, s19
	s_cbranch_execz .LBB78_162
; %bb.166:                              ;   in Loop: Header=BB78_163 Depth=2
	v_lshlrev_b16 v6, 8, v6
	s_delay_alu instid0(VALU_DEP_1)
	v_or_b32_e32 v6, 1, v6
	ds_store_b16 v13, v6 offset:3072
	s_branch .LBB78_162
.LBB78_167:                             ;   in Loop: Header=BB78_24 Depth=1
	s_or_b32 exec_lo, exec_lo, s12
	v_lshrrev_b16 v24, 8, v6
	s_and_b32 s4, s13, exec_lo
.LBB78_168:                             ;   in Loop: Header=BB78_24 Depth=1
	s_or_b32 exec_lo, exec_lo, s5
	s_mov_b32 s19, -1
	s_mov_b32 s13, 0
	s_mov_b32 s12, 0
.LBB78_169:                             ;   in Loop: Header=BB78_24 Depth=1
	s_mov_b32 s5, 0
                                        ; implicit-def: $sgpr68
	s_and_saveexec_b32 s20, s4
	s_cbranch_execz .LBB78_276
; %bb.170:                              ;   in Loop: Header=BB78_24 Depth=1
	s_xor_b32 s4, s21, -1
	s_mov_b32 s68, 1
	s_and_not1_b32 vcc_lo, exec_lo, s4
	s_cbranch_vccnz .LBB78_181
; %bb.171:                              ;   in Loop: Header=BB78_24 Depth=1
	v_cmp_gt_u64_e64 s4, s[66:67], s[10:11]
                                        ; implicit-def: $sgpr68
                                        ; implicit-def: $sgpr5
                                        ; implicit-def: $sgpr21
	s_delay_alu instid0(VALU_DEP_1)
	s_and_b32 vcc_lo, exec_lo, s4
	s_mov_b32 s4, -1
	s_cbranch_vccnz .LBB78_177
; %bb.172:                              ;   in Loop: Header=BB78_24 Depth=1
	ds_load_b64 v[2:3], v13 offset:5120
	s_waitcnt lgkmcnt(0)
	v_cmp_ne_u64_e32 vcc_lo, 0, v[2:3]
	s_cbranch_vccnz .LBB78_176
; %bb.173:                              ;   in Loop: Header=BB78_24 Depth=1
	s_and_saveexec_b32 s4, s2
	s_cbranch_execz .LBB78_175
; %bb.174:                              ;   in Loop: Header=BB78_24 Depth=1
	v_dual_mov_b32 v2, s10 :: v_dual_mov_b32 v3, s11
	ds_store_b64 v13, v[2:3] offset:5128
.LBB78_175:                             ;   in Loop: Header=BB78_24 Depth=1
	s_or_b32 exec_lo, exec_lo, s4
	s_waitcnt lgkmcnt(0)
	s_barrier
	buffer_gl0_inv
.LBB78_176:                             ;   in Loop: Header=BB78_24 Depth=1
	s_lshl_b32 s4, 1, s17
	s_and_b32 s5, s100, s18
	s_or_b32 s21, s101, s16
	s_or_b32 s5, s5, s4
	s_mov_b32 s4, 0
	s_mov_b32 s68, 8
.LBB78_177:                             ;   in Loop: Header=BB78_24 Depth=1
	s_and_not1_b32 vcc_lo, exec_lo, s4
	s_cbranch_vccnz .LBB78_179
; %bb.178:                              ;   in Loop: Header=BB78_24 Depth=1
	s_sub_u32 s66, s66, s10
	s_subb_u32 s67, s67, s11
	s_mov_b32 s4, -1
	s_mov_b32 s68, 0
	s_mov_b32 s5, s100
	;; [unrolled: 1-line block ×3, first 2 shown]
.LBB78_179:                             ;   in Loop: Header=BB78_24 Depth=1
	s_delay_alu instid0(SALU_CYCLE_1)
	s_mov_b32 s101, s21
	s_mov_b32 s100, s5
	s_and_not1_b32 vcc_lo, exec_lo, s4
	s_mov_b32 s5, -1
	s_cbranch_vccz .LBB78_182
.LBB78_180:                             ;   in Loop: Header=BB78_24 Depth=1
                                        ; implicit-def: $sgpr11
                                        ; implicit-def: $sgpr21
                                        ; implicit-def: $sgpr10
	s_branch .LBB78_275
.LBB78_181:                             ;   in Loop: Header=BB78_24 Depth=1
	s_mov_b64 s[66:67], 1
	s_mov_b32 s5, -1
	s_cbranch_execnz .LBB78_180
.LBB78_182:                             ;   in Loop: Header=BB78_24 Depth=1
	s_cmp_eq_u64 s[8:9], 1
	s_cselect_b32 s4, -1, 0
	s_cmp_eq_u64 s[66:67], 1
	s_cselect_b32 s5, -1, 0
	s_delay_alu instid0(SALU_CYCLE_1)
	s_and_b32 s23, s4, s5
	s_mov_b32 s4, -1
	s_and_b32 vcc_lo, exec_lo, s23
	s_cbranch_vccz .LBB78_196
; %bb.183:                              ;   in Loop: Header=BB78_24 Depth=1
	ds_load_b64 v[2:3], v13 offset:5120
	s_waitcnt lgkmcnt(0)
	s_barrier
	buffer_gl0_inv
	v_readfirstlane_b32 s10, v2
	v_readfirstlane_b32 s11, v3
	s_and_saveexec_b32 s4, s3
	s_cbranch_execz .LBB78_185
; %bb.184:                              ;   in Loop: Header=BB78_24 Depth=1
	ds_store_b8 v0, v13 offset:3072
.LBB78_185:                             ;   in Loop: Header=BB78_24 Depth=1
	s_or_b32 exec_lo, exec_lo, s4
	s_lshl_b32 s4, 2, s17
	s_and_b32 s5, s100, s18
	s_or_b32 s101, s101, s16
	s_or_b32 s100, s5, s4
	s_cmp_eq_u64 s[10:11], 0
	s_waitcnt lgkmcnt(0)
	s_barrier
	buffer_gl0_inv
	s_cbranch_scc1 .LBB78_199
; %bb.186:                              ;   in Loop: Header=BB78_24 Depth=1
	s_add_u32 s21, s51, s10
	s_addc_u32 s5, s84, s11
	s_mov_b32 s4, s69
	s_delay_alu instid0(SALU_CYCLE_1)
	s_cmp_lg_u64 s[4:5], 0
	s_cbranch_scc0 .LBB78_242
; %bb.187:                              ;   in Loop: Header=BB78_24 Depth=1
	v_cvt_f32_u32_e32 v2, s27
	s_sub_u32 s68, 0, s27
	s_subb_u32 s70, 0, 0
	s_delay_alu instid0(VALU_DEP_1) | instskip(NEXT) | instid1(VALU_DEP_1)
	v_fmac_f32_e64 v2, 0, 0x4f800000
	v_rcp_f32_e32 v2, v2
	s_waitcnt_depctr 0xfff
	v_mul_f32_e32 v2, 0x5f7ffffc, v2
	s_delay_alu instid0(VALU_DEP_1) | instskip(NEXT) | instid1(VALU_DEP_1)
	v_mul_f32_e32 v3, 0x2f800000, v2
	v_trunc_f32_e32 v3, v3
	s_delay_alu instid0(VALU_DEP_1) | instskip(SKIP_1) | instid1(VALU_DEP_2)
	v_fmac_f32_e32 v2, 0xcf800000, v3
	v_cvt_u32_f32_e32 v3, v3
	v_cvt_u32_f32_e32 v2, v2
	s_delay_alu instid0(VALU_DEP_2) | instskip(NEXT) | instid1(VALU_DEP_2)
	v_readfirstlane_b32 s4, v3
	v_readfirstlane_b32 s22, v2
	s_delay_alu instid0(VALU_DEP_2) | instskip(NEXT) | instid1(VALU_DEP_1)
	s_mul_i32 s74, s68, s4
	s_mul_hi_u32 s76, s68, s22
	s_mul_i32 s75, s70, s22
	s_add_i32 s74, s76, s74
	s_mul_i32 s77, s68, s22
	s_add_i32 s74, s74, s75
	s_mul_hi_u32 s76, s22, s77
	s_mul_hi_u32 s78, s4, s77
	s_mul_i32 s75, s4, s77
	s_mul_hi_u32 s77, s22, s74
	s_mul_i32 s22, s22, s74
	s_mul_hi_u32 s79, s4, s74
	s_add_u32 s22, s76, s22
	s_addc_u32 s76, 0, s77
	s_add_u32 s22, s22, s75
	s_mul_i32 s74, s4, s74
	s_addc_u32 s22, s76, s78
	s_addc_u32 s75, s79, 0
	s_add_u32 s22, s22, s74
	s_addc_u32 s74, 0, s75
	v_add_co_u32 v2, s22, v2, s22
	s_delay_alu instid0(VALU_DEP_1) | instskip(SKIP_1) | instid1(VALU_DEP_1)
	s_cmp_lg_u32 s22, 0
	s_addc_u32 s4, s4, s74
	v_readfirstlane_b32 s22, v2
	s_mul_i32 s74, s68, s4
	s_delay_alu instid0(VALU_DEP_1)
	s_mul_hi_u32 s75, s68, s22
	s_mul_i32 s70, s70, s22
	s_add_i32 s74, s75, s74
	s_mul_i32 s68, s68, s22
	s_add_i32 s74, s74, s70
	s_mul_hi_u32 s75, s4, s68
	s_mul_i32 s76, s4, s68
	s_mul_hi_u32 s68, s22, s68
	s_mul_hi_u32 s77, s22, s74
	s_mul_i32 s22, s22, s74
	s_mul_hi_u32 s70, s4, s74
	s_add_u32 s22, s68, s22
	s_addc_u32 s68, 0, s77
	s_add_u32 s22, s22, s76
	s_mul_i32 s74, s4, s74
	s_addc_u32 s22, s68, s75
	s_addc_u32 s68, s70, 0
	s_add_u32 s22, s22, s74
	s_addc_u32 s68, 0, s68
	v_add_co_u32 v2, s22, v2, s22
	s_delay_alu instid0(VALU_DEP_1) | instskip(SKIP_1) | instid1(VALU_DEP_1)
	s_cmp_lg_u32 s22, 0
	s_addc_u32 s4, s4, s68
	v_readfirstlane_b32 s22, v2
	s_mul_i32 s70, s21, s4
	s_mul_hi_u32 s68, s21, s4
	s_mul_hi_u32 s74, s5, s4
	s_mul_i32 s4, s5, s4
	s_mul_hi_u32 s75, s21, s22
	s_mul_hi_u32 s76, s5, s22
	s_mul_i32 s22, s5, s22
	s_add_u32 s70, s75, s70
	s_addc_u32 s68, 0, s68
	s_add_u32 s22, s70, s22
	s_addc_u32 s22, s68, s76
	s_addc_u32 s68, s74, 0
	s_add_u32 s4, s22, s4
	s_addc_u32 s22, 0, s68
	s_mul_hi_u32 s68, s27, s4
	s_mul_i32 s4, s27, s4
	s_mul_i32 s22, s27, s22
	v_sub_co_u32 v2, s4, s21, s4
	s_add_i32 s68, s68, s22
	s_cmp_lg_u32 s4, 0
	s_delay_alu instid0(VALU_DEP_1) | instskip(SKIP_2) | instid1(VALU_DEP_1)
	v_sub_co_u32 v3, s4, v2, s27
	s_subb_u32 s22, s5, s68
	s_cmp_lg_u32 s4, 0
	v_cmp_le_u32_e32 vcc_lo, s27, v3
	v_sub_co_u32 v4, s4, v3, s27
	s_subb_u32 s68, s22, 0
	s_cmp_lg_u32 s4, 0
	v_cndmask_b32_e64 v5, 0, -1, vcc_lo
	s_subb_u32 s4, s68, 0
	s_cmp_eq_u32 s68, 0
	v_mov_b32_e32 v7, s4
	s_cselect_b32 vcc_lo, -1, 0
	s_cmp_eq_u32 s22, 0
	v_cndmask_b32_e32 v5, -1, v5, vcc_lo
	v_cmp_le_u32_e32 vcc_lo, s27, v2
	s_cselect_b32 s4, -1, 0
	v_cndmask_b32_e64 v6, 0, -1, vcc_lo
	s_delay_alu instid0(VALU_DEP_3) | instskip(NEXT) | instid1(VALU_DEP_2)
	v_cmp_ne_u32_e32 vcc_lo, 0, v5
	v_cndmask_b32_e64 v5, -1, v6, s4
	v_cndmask_b32_e32 v6, s68, v7, vcc_lo
	v_cndmask_b32_e32 v4, v3, v4, vcc_lo
	s_delay_alu instid0(VALU_DEP_3) | instskip(NEXT) | instid1(VALU_DEP_3)
	v_cmp_ne_u32_e32 vcc_lo, 0, v5
	v_cndmask_b32_e32 v3, s22, v6, vcc_lo
	s_delay_alu instid0(VALU_DEP_3)
	v_cndmask_b32_e32 v2, v2, v4, vcc_lo
	s_cbranch_execnz .LBB78_189
.LBB78_188:                             ;   in Loop: Header=BB78_24 Depth=1
	v_cvt_f32_u32_e32 v2, s27
	s_sub_i32 s4, 0, s27
	s_delay_alu instid0(VALU_DEP_1) | instskip(SKIP_2) | instid1(VALU_DEP_1)
	v_rcp_iflag_f32_e32 v2, v2
	s_waitcnt_depctr 0xfff
	v_mul_f32_e32 v2, 0x4f7ffffe, v2
	v_cvt_u32_f32_e32 v2, v2
	s_delay_alu instid0(VALU_DEP_1) | instskip(NEXT) | instid1(VALU_DEP_1)
	v_mul_lo_u32 v3, s4, v2
	v_mul_hi_u32 v3, v2, v3
	s_delay_alu instid0(VALU_DEP_1) | instskip(NEXT) | instid1(VALU_DEP_1)
	v_add_nc_u32_e32 v2, v2, v3
	v_mul_hi_u32 v2, s21, v2
	s_delay_alu instid0(VALU_DEP_1) | instskip(NEXT) | instid1(VALU_DEP_1)
	v_mul_lo_u32 v2, v2, s27
	v_sub_nc_u32_e32 v2, s21, v2
	s_delay_alu instid0(VALU_DEP_1) | instskip(SKIP_1) | instid1(VALU_DEP_2)
	v_subrev_nc_u32_e32 v3, s27, v2
	v_cmp_le_u32_e32 vcc_lo, s27, v2
	v_cndmask_b32_e32 v2, v2, v3, vcc_lo
	s_delay_alu instid0(VALU_DEP_1) | instskip(SKIP_1) | instid1(VALU_DEP_2)
	v_subrev_nc_u32_e32 v3, s27, v2
	v_cmp_le_u32_e32 vcc_lo, s27, v2
	v_cndmask_b32_e32 v12, v2, v3, vcc_lo
	s_delay_alu instid0(VALU_DEP_1)
	v_dual_mov_b32 v2, v12 :: v_dual_mov_b32 v3, v13
.LBB78_189:                             ;   in Loop: Header=BB78_24 Depth=1
	s_delay_alu instid0(VALU_DEP_1) | instskip(NEXT) | instid1(VALU_DEP_2)
	v_sub_co_u32 v2, vcc_lo, s21, v2
	v_sub_co_ci_u32_e32 v3, vcc_lo, s5, v3, vcc_lo
	s_mov_b32 s4, 0
	s_mov_b32 s5, exec_lo
                                        ; implicit-def: $vgpr24
	s_delay_alu instid0(VALU_DEP_1)
	v_cmpx_gt_u64_e64 v[2:3], v[0:1]
	s_cbranch_execz .LBB78_201
; %bb.190:                              ;   in Loop: Header=BB78_24 Depth=1
	v_dual_mov_b32 v6, v0 :: v_dual_mov_b32 v5, v1
	v_mov_b32_e32 v4, v0
	s_mov_b32 s21, 0
                                        ; implicit-def: $sgpr22
	s_set_inst_prefetch_distance 0x1
	s_branch .LBB78_192
	.p2align	6
.LBB78_191:                             ;   in Loop: Header=BB78_192 Depth=2
	s_or_b32 exec_lo, exec_lo, s4
	s_waitcnt lgkmcnt(0)
	s_barrier
	buffer_gl0_inv
	ds_load_u16 v7, v13 offset:3072
	v_add_co_u32 v4, vcc_lo, v4, s27
	v_add_co_ci_u32_e32 v5, vcc_lo, 0, v5, vcc_lo
	v_add_nc_u32_e32 v6, s27, v6
	s_waitcnt lgkmcnt(0)
	s_barrier
	s_delay_alu instid0(VALU_DEP_2) | instskip(SKIP_2) | instid1(VALU_DEP_1)
	v_cmp_ge_u64_e32 vcc_lo, v[4:5], v[2:3]
	buffer_gl0_inv
	v_and_b32_e32 v8, 0xff, v7
	v_cmp_ne_u16_e64 s4, 0, v8
	s_delay_alu instid0(VALU_DEP_1) | instskip(NEXT) | instid1(SALU_CYCLE_1)
	s_or_b32 s68, vcc_lo, s4
	s_and_b32 s68, exec_lo, s68
	s_delay_alu instid0(SALU_CYCLE_1) | instskip(SKIP_2) | instid1(SALU_CYCLE_1)
	s_or_b32 s21, s68, s21
	s_and_not1_b32 s22, s22, exec_lo
	s_and_b32 s4, s4, exec_lo
	s_or_b32 s22, s22, s4
	s_and_not1_b32 exec_lo, exec_lo, s21
	s_cbranch_execz .LBB78_200
.LBB78_192:                             ;   Parent Loop BB78_24 Depth=1
                                        ; =>  This Inner Loop Header: Depth=2
	s_delay_alu instid0(VALU_DEP_1)
	v_cmp_gt_u64_e32 vcc_lo, s[10:11], v[4:5]
	v_mov_b32_e32 v7, 0
	s_and_saveexec_b32 s4, vcc_lo
	s_cbranch_execz .LBB78_194
; %bb.193:                              ;   in Loop: Header=BB78_192 Depth=2
	ds_load_u8 v7, v6
.LBB78_194:                             ;   in Loop: Header=BB78_192 Depth=2
	s_or_b32 exec_lo, exec_lo, s4
	s_waitcnt lgkmcnt(0)
	v_and_b32_e32 v8, s101, v7
	s_delay_alu instid0(VALU_DEP_1) | instskip(NEXT) | instid1(VALU_DEP_1)
	v_and_b32_e32 v8, 0xff, v8
	v_cmp_eq_u32_e64 s4, s100, v8
	s_delay_alu instid0(VALU_DEP_1) | instskip(NEXT) | instid1(SALU_CYCLE_1)
	s_and_b32 s68, vcc_lo, s4
	s_and_saveexec_b32 s4, s68
	s_cbranch_execz .LBB78_191
; %bb.195:                              ;   in Loop: Header=BB78_192 Depth=2
	v_lshlrev_b16 v7, 8, v7
	s_delay_alu instid0(VALU_DEP_1)
	v_or_b32_e32 v7, 1, v7
	ds_store_b16 v13, v7 offset:3072
	s_branch .LBB78_191
.LBB78_196:                             ;   in Loop: Header=BB78_24 Depth=1
                                        ; implicit-def: $sgpr10
                                        ; implicit-def: $sgpr21
                                        ; implicit-def: $sgpr11
	s_branch .LBB78_214
.LBB78_197:                             ;   in Loop: Header=BB78_24 Depth=1
                                        ; implicit-def: $vgpr2_vgpr3
	s_branch .LBB78_143
.LBB78_198:                             ;   in Loop: Header=BB78_24 Depth=1
                                        ; implicit-def: $vgpr2_vgpr3
	s_branch .LBB78_159
.LBB78_199:                             ;   in Loop: Header=BB78_24 Depth=1
	s_mov_b32 s10, -1
	s_mov_b32 s4, 0
                                        ; implicit-def: $sgpr11
                                        ; implicit-def: $vgpr24
	s_mov_b32 s21, s10
	s_cbranch_execnz .LBB78_202
	s_branch .LBB78_214
.LBB78_200:                             ;   in Loop: Header=BB78_24 Depth=1
	s_set_inst_prefetch_distance 0x2
	s_or_b32 exec_lo, exec_lo, s21
	v_lshrrev_b16 v24, 8, v7
	s_and_b32 s4, s22, exec_lo
.LBB78_201:                             ;   in Loop: Header=BB78_24 Depth=1
	s_or_b32 exec_lo, exec_lo, s5
	s_mov_b32 s11, -1
	s_mov_b32 s10, 0
	s_delay_alu instid0(SALU_CYCLE_1)
	s_mov_b32 s21, s10
	s_branch .LBB78_214
.LBB78_202:                             ;   in Loop: Header=BB78_24 Depth=1
	s_mov_b32 s70, s69
	s_delay_alu instid0(SALU_CYCLE_1)
	s_cmp_lg_u64 s[70:71], 0
	s_cbranch_scc0 .LBB78_243
; %bb.203:                              ;   in Loop: Header=BB78_24 Depth=1
	v_cvt_f32_u32_e32 v2, s27
	s_sub_u32 s10, 0, s27
	s_subb_u32 s11, 0, 0
	s_delay_alu instid0(VALU_DEP_1) | instskip(NEXT) | instid1(VALU_DEP_1)
	v_fmac_f32_e64 v2, 0, 0x4f800000
	v_rcp_f32_e32 v2, v2
	s_waitcnt_depctr 0xfff
	v_mul_f32_e32 v2, 0x5f7ffffc, v2
	s_delay_alu instid0(VALU_DEP_1) | instskip(NEXT) | instid1(VALU_DEP_1)
	v_mul_f32_e32 v3, 0x2f800000, v2
	v_trunc_f32_e32 v3, v3
	s_delay_alu instid0(VALU_DEP_1) | instskip(SKIP_1) | instid1(VALU_DEP_2)
	v_fmac_f32_e32 v2, 0xcf800000, v3
	v_cvt_u32_f32_e32 v3, v3
	v_cvt_u32_f32_e32 v2, v2
	s_delay_alu instid0(VALU_DEP_2) | instskip(NEXT) | instid1(VALU_DEP_2)
	v_readfirstlane_b32 s4, v3
	v_readfirstlane_b32 s5, v2
	s_delay_alu instid0(VALU_DEP_2) | instskip(NEXT) | instid1(VALU_DEP_1)
	s_mul_i32 s21, s10, s4
	s_mul_hi_u32 s68, s10, s5
	s_mul_i32 s22, s11, s5
	s_add_i32 s21, s68, s21
	s_mul_i32 s70, s10, s5
	s_add_i32 s21, s21, s22
	s_mul_hi_u32 s68, s5, s70
	s_mul_hi_u32 s74, s4, s70
	s_mul_i32 s22, s4, s70
	s_mul_hi_u32 s70, s5, s21
	s_mul_i32 s5, s5, s21
	s_mul_hi_u32 s75, s4, s21
	s_add_u32 s5, s68, s5
	s_addc_u32 s68, 0, s70
	s_add_u32 s5, s5, s22
	s_mul_i32 s21, s4, s21
	s_addc_u32 s5, s68, s74
	s_addc_u32 s22, s75, 0
	s_add_u32 s5, s5, s21
	s_addc_u32 s21, 0, s22
	v_add_co_u32 v2, s5, v2, s5
	s_delay_alu instid0(VALU_DEP_1) | instskip(SKIP_1) | instid1(VALU_DEP_1)
	s_cmp_lg_u32 s5, 0
	s_addc_u32 s4, s4, s21
	v_readfirstlane_b32 s5, v2
	s_mul_i32 s21, s10, s4
	s_delay_alu instid0(VALU_DEP_1)
	s_mul_hi_u32 s22, s10, s5
	s_mul_i32 s11, s11, s5
	s_add_i32 s21, s22, s21
	s_mul_i32 s10, s10, s5
	s_add_i32 s21, s21, s11
	s_mul_hi_u32 s22, s4, s10
	s_mul_i32 s68, s4, s10
	s_mul_hi_u32 s10, s5, s10
	s_mul_hi_u32 s70, s5, s21
	s_mul_i32 s5, s5, s21
	s_mul_hi_u32 s11, s4, s21
	s_add_u32 s5, s10, s5
	s_addc_u32 s10, 0, s70
	s_add_u32 s5, s5, s68
	s_mul_i32 s21, s4, s21
	s_addc_u32 s5, s10, s22
	s_addc_u32 s10, s11, 0
	s_add_u32 s5, s5, s21
	s_addc_u32 s10, 0, s10
	v_add_co_u32 v2, s5, v2, s5
	s_delay_alu instid0(VALU_DEP_1) | instskip(SKIP_1) | instid1(VALU_DEP_1)
	s_cmp_lg_u32 s5, 0
	s_addc_u32 s4, s4, s10
	v_readfirstlane_b32 s5, v2
	s_mul_i32 s11, s85, s4
	s_mul_hi_u32 s10, s85, s4
	s_mul_hi_u32 s21, s71, s4
	s_mul_i32 s4, s71, s4
	s_mul_hi_u32 s22, s85, s5
	s_mul_hi_u32 s68, s71, s5
	s_mul_i32 s5, s71, s5
	s_add_u32 s11, s22, s11
	s_addc_u32 s10, 0, s10
	s_add_u32 s5, s11, s5
	s_addc_u32 s5, s10, s68
	s_addc_u32 s10, s21, 0
	s_add_u32 s4, s5, s4
	s_addc_u32 s5, 0, s10
	s_mul_hi_u32 s10, s27, s4
	s_mul_i32 s4, s27, s4
	s_mul_i32 s5, s27, s5
	v_sub_co_u32 v2, s4, s85, s4
	s_add_i32 s10, s10, s5
	s_cmp_lg_u32 s4, 0
	s_delay_alu instid0(VALU_DEP_1) | instskip(SKIP_2) | instid1(VALU_DEP_1)
	v_sub_co_u32 v3, s4, v2, s27
	s_subb_u32 s5, s71, s10
	s_cmp_lg_u32 s4, 0
	v_cmp_le_u32_e32 vcc_lo, s27, v3
	v_sub_co_u32 v4, s4, v3, s27
	s_subb_u32 s10, s5, 0
	s_cmp_lg_u32 s4, 0
	v_cndmask_b32_e64 v5, 0, -1, vcc_lo
	s_subb_u32 s4, s10, 0
	s_cmp_eq_u32 s10, 0
	v_mov_b32_e32 v7, s4
	s_cselect_b32 vcc_lo, -1, 0
	s_cmp_eq_u32 s5, 0
	v_cndmask_b32_e32 v5, -1, v5, vcc_lo
	v_cmp_le_u32_e32 vcc_lo, s27, v2
	s_cselect_b32 s4, -1, 0
	v_cndmask_b32_e64 v6, 0, -1, vcc_lo
	s_delay_alu instid0(VALU_DEP_3) | instskip(NEXT) | instid1(VALU_DEP_2)
	v_cmp_ne_u32_e32 vcc_lo, 0, v5
	v_cndmask_b32_e64 v5, -1, v6, s4
	v_cndmask_b32_e32 v6, s10, v7, vcc_lo
	v_cndmask_b32_e32 v4, v3, v4, vcc_lo
	s_delay_alu instid0(VALU_DEP_3) | instskip(NEXT) | instid1(VALU_DEP_3)
	v_cmp_ne_u32_e32 vcc_lo, 0, v5
	v_cndmask_b32_e32 v3, s5, v6, vcc_lo
	s_delay_alu instid0(VALU_DEP_3)
	v_cndmask_b32_e32 v2, v2, v4, vcc_lo
	s_cbranch_execnz .LBB78_205
.LBB78_204:                             ;   in Loop: Header=BB78_24 Depth=1
	v_cvt_f32_u32_e32 v2, s27
	s_sub_i32 s4, 0, s27
	s_delay_alu instid0(VALU_DEP_1) | instskip(SKIP_2) | instid1(VALU_DEP_1)
	v_rcp_iflag_f32_e32 v2, v2
	s_waitcnt_depctr 0xfff
	v_mul_f32_e32 v2, 0x4f7ffffe, v2
	v_cvt_u32_f32_e32 v2, v2
	s_delay_alu instid0(VALU_DEP_1) | instskip(NEXT) | instid1(VALU_DEP_1)
	v_mul_lo_u32 v3, s4, v2
	v_mul_hi_u32 v3, v2, v3
	s_delay_alu instid0(VALU_DEP_1) | instskip(NEXT) | instid1(VALU_DEP_1)
	v_add_nc_u32_e32 v2, v2, v3
	v_mul_hi_u32 v2, s85, v2
	s_delay_alu instid0(VALU_DEP_1) | instskip(NEXT) | instid1(VALU_DEP_1)
	v_mul_lo_u32 v2, v2, s27
	v_sub_nc_u32_e32 v2, s85, v2
	s_delay_alu instid0(VALU_DEP_1) | instskip(SKIP_1) | instid1(VALU_DEP_2)
	v_subrev_nc_u32_e32 v3, s27, v2
	v_cmp_le_u32_e32 vcc_lo, s27, v2
	v_cndmask_b32_e32 v2, v2, v3, vcc_lo
	s_delay_alu instid0(VALU_DEP_1) | instskip(SKIP_1) | instid1(VALU_DEP_2)
	v_subrev_nc_u32_e32 v3, s27, v2
	v_cmp_le_u32_e32 vcc_lo, s27, v2
	v_cndmask_b32_e32 v12, v2, v3, vcc_lo
	s_delay_alu instid0(VALU_DEP_1)
	v_dual_mov_b32 v2, v12 :: v_dual_mov_b32 v3, v13
.LBB78_205:                             ;   in Loop: Header=BB78_24 Depth=1
	s_delay_alu instid0(VALU_DEP_1) | instskip(NEXT) | instid1(VALU_DEP_2)
	v_sub_co_u32 v2, vcc_lo, s85, v2
	v_sub_co_ci_u32_e32 v3, vcc_lo, s71, v3, vcc_lo
	s_mov_b32 s4, 0
	s_mov_b32 s5, exec_lo
                                        ; implicit-def: $vgpr24
	s_delay_alu instid0(VALU_DEP_1)
	v_cmpx_gt_u64_e64 v[2:3], v[0:1]
	s_cbranch_execz .LBB78_213
; %bb.206:                              ;   in Loop: Header=BB78_24 Depth=1
	v_dual_mov_b32 v5, v1 :: v_dual_mov_b32 v4, v0
	s_mov_b32 s10, 0
                                        ; implicit-def: $sgpr11
	s_branch .LBB78_208
.LBB78_207:                             ;   in Loop: Header=BB78_208 Depth=2
	s_or_b32 exec_lo, exec_lo, s4
	s_waitcnt lgkmcnt(0)
	s_barrier
	buffer_gl0_inv
	ds_load_u16 v6, v13 offset:3072
	v_add_co_u32 v4, vcc_lo, v4, s27
	v_add_co_ci_u32_e32 v5, vcc_lo, 0, v5, vcc_lo
	s_waitcnt lgkmcnt(0)
	s_barrier
	buffer_gl0_inv
	v_cmp_ge_u64_e32 vcc_lo, v[4:5], v[2:3]
	v_and_b32_e32 v7, 0xff, v6
	s_delay_alu instid0(VALU_DEP_1) | instskip(NEXT) | instid1(VALU_DEP_1)
	v_cmp_ne_u16_e64 s4, 0, v7
	s_or_b32 s21, vcc_lo, s4
	s_delay_alu instid0(SALU_CYCLE_1) | instskip(NEXT) | instid1(SALU_CYCLE_1)
	s_and_b32 s21, exec_lo, s21
	s_or_b32 s10, s21, s10
	s_and_not1_b32 s11, s11, exec_lo
	s_and_b32 s4, s4, exec_lo
	s_delay_alu instid0(SALU_CYCLE_1)
	s_or_b32 s11, s11, s4
	s_and_not1_b32 exec_lo, exec_lo, s10
	s_cbranch_execz .LBB78_212
.LBB78_208:                             ;   Parent Loop BB78_24 Depth=1
                                        ; =>  This Inner Loop Header: Depth=2
	s_delay_alu instid0(VALU_DEP_1)
	v_cmp_gt_u64_e32 vcc_lo, s[24:25], v[4:5]
	v_mov_b32_e32 v6, 0
	s_and_saveexec_b32 s4, vcc_lo
	s_cbranch_execz .LBB78_210
; %bb.209:                              ;   in Loop: Header=BB78_208 Depth=2
	v_mad_u64_u32 v[6:7], null, v4, s54, s[62:63]
	v_mul_lo_u32 v8, v4, s55
	v_mul_lo_u32 v9, v5, s54
	s_delay_alu instid0(VALU_DEP_1)
	v_add3_u32 v7, v9, v7, v8
	global_load_u8 v6, v[6:7], off
.LBB78_210:                             ;   in Loop: Header=BB78_208 Depth=2
	s_or_b32 exec_lo, exec_lo, s4
	s_waitcnt vmcnt(0)
	v_and_b32_e32 v7, s101, v6
	s_delay_alu instid0(VALU_DEP_1) | instskip(NEXT) | instid1(VALU_DEP_1)
	v_and_b32_e32 v7, 0xff, v7
	v_cmp_eq_u32_e64 s4, s100, v7
	s_delay_alu instid0(VALU_DEP_1) | instskip(NEXT) | instid1(SALU_CYCLE_1)
	s_and_b32 s21, vcc_lo, s4
	s_and_saveexec_b32 s4, s21
	s_cbranch_execz .LBB78_207
; %bb.211:                              ;   in Loop: Header=BB78_208 Depth=2
	v_lshlrev_b16 v6, 8, v6
	s_delay_alu instid0(VALU_DEP_1)
	v_or_b32_e32 v6, 1, v6
	ds_store_b16 v13, v6 offset:3072
	s_branch .LBB78_207
.LBB78_212:                             ;   in Loop: Header=BB78_24 Depth=1
	s_or_b32 exec_lo, exec_lo, s10
	v_lshrrev_b16 v24, 8, v6
	s_and_b32 s4, s11, exec_lo
.LBB78_213:                             ;   in Loop: Header=BB78_24 Depth=1
	s_or_b32 exec_lo, exec_lo, s5
	s_mov_b32 s21, -1
	s_mov_b32 s10, 0
	s_mov_b32 s11, 0
.LBB78_214:                             ;   in Loop: Header=BB78_24 Depth=1
	s_mov_b32 s5, 0
                                        ; implicit-def: $sgpr68
	s_and_saveexec_b32 s22, s4
	s_cbranch_execz .LBB78_274
; %bb.215:                              ;   in Loop: Header=BB78_24 Depth=1
	s_xor_b32 s4, s23, -1
	s_mov_b32 s68, 1
	s_and_not1_b32 vcc_lo, exec_lo, s4
	s_cbranch_vccnz .LBB78_226
; %bb.216:                              ;   in Loop: Header=BB78_24 Depth=1
	v_cmp_gt_u64_e64 s4, s[66:67], s[8:9]
                                        ; implicit-def: $sgpr68
                                        ; implicit-def: $sgpr5
                                        ; implicit-def: $sgpr23
	s_delay_alu instid0(VALU_DEP_1)
	s_and_b32 vcc_lo, exec_lo, s4
	s_mov_b32 s4, -1
	s_cbranch_vccnz .LBB78_222
; %bb.217:                              ;   in Loop: Header=BB78_24 Depth=1
	ds_load_b64 v[2:3], v13 offset:5120
	s_waitcnt lgkmcnt(0)
	v_cmp_ne_u64_e32 vcc_lo, 0, v[2:3]
	s_cbranch_vccnz .LBB78_221
; %bb.218:                              ;   in Loop: Header=BB78_24 Depth=1
	s_and_saveexec_b32 s4, s2
	s_cbranch_execz .LBB78_220
; %bb.219:                              ;   in Loop: Header=BB78_24 Depth=1
	v_dual_mov_b32 v2, s8 :: v_dual_mov_b32 v3, s9
	ds_store_b64 v13, v[2:3] offset:5128
.LBB78_220:                             ;   in Loop: Header=BB78_24 Depth=1
	s_or_b32 exec_lo, exec_lo, s4
	s_waitcnt lgkmcnt(0)
	s_barrier
	buffer_gl0_inv
.LBB78_221:                             ;   in Loop: Header=BB78_24 Depth=1
	s_lshl_b32 s4, 2, s17
	s_and_b32 s5, s100, s18
	s_or_b32 s23, s101, s16
	s_or_b32 s5, s5, s4
	s_mov_b32 s4, 0
	s_mov_b32 s68, 8
.LBB78_222:                             ;   in Loop: Header=BB78_24 Depth=1
	s_and_not1_b32 vcc_lo, exec_lo, s4
	s_cbranch_vccnz .LBB78_224
; %bb.223:                              ;   in Loop: Header=BB78_24 Depth=1
	s_sub_u32 s66, s66, s8
	s_subb_u32 s67, s67, s9
	s_mov_b32 s4, -1
	s_mov_b32 s68, 0
	s_mov_b32 s5, s100
	;; [unrolled: 1-line block ×3, first 2 shown]
.LBB78_224:                             ;   in Loop: Header=BB78_24 Depth=1
	s_delay_alu instid0(SALU_CYCLE_1)
	s_mov_b32 s101, s23
	s_mov_b32 s100, s5
	s_and_not1_b32 vcc_lo, exec_lo, s4
	s_mov_b32 s74, -1
	s_cbranch_vccz .LBB78_227
.LBB78_225:                             ;   in Loop: Header=BB78_24 Depth=1
                                        ; implicit-def: $sgpr8
                                        ; implicit-def: $sgpr18
                                        ; implicit-def: $sgpr9
	s_branch .LBB78_273
.LBB78_226:                             ;   in Loop: Header=BB78_24 Depth=1
	s_mov_b64 s[66:67], 1
	s_mov_b32 s74, -1
	s_cbranch_execnz .LBB78_225
.LBB78_227:                             ;   in Loop: Header=BB78_24 Depth=1
	s_cmp_eq_u64 s[6:7], 1
	s_mov_b32 s23, -1
	s_cselect_b32 s4, -1, 0
	s_cmp_eq_u64 s[66:67], 1
	s_cselect_b32 s5, -1, 0
	s_delay_alu instid0(SALU_CYCLE_1) | instskip(NEXT) | instid1(SALU_CYCLE_1)
	s_and_b32 s17, s4, s5
	s_and_b32 vcc_lo, exec_lo, s17
	s_cbranch_vccz .LBB78_241
; %bb.228:                              ;   in Loop: Header=BB78_24 Depth=1
	ds_load_b64 v[2:3], v13 offset:5120
	s_waitcnt lgkmcnt(0)
	s_barrier
	buffer_gl0_inv
	v_readfirstlane_b32 s8, v2
	v_readfirstlane_b32 s9, v3
	s_and_saveexec_b32 s4, s3
	s_cbranch_execz .LBB78_230
; %bb.229:                              ;   in Loop: Header=BB78_24 Depth=1
	ds_store_b8 v0, v13 offset:3072
.LBB78_230:                             ;   in Loop: Header=BB78_24 Depth=1
	s_or_b32 exec_lo, exec_lo, s4
	s_or_b32 s100, s100, s16
	s_or_b32 s101, s101, s16
	s_cmp_eq_u64 s[8:9], 0
	s_waitcnt lgkmcnt(0)
	s_barrier
	buffer_gl0_inv
	s_cbranch_scc1 .LBB78_244
; %bb.231:                              ;   in Loop: Header=BB78_24 Depth=1
	s_add_u32 s18, s51, s8
	s_addc_u32 s5, s84, s9
	s_mov_b32 s4, s69
	s_delay_alu instid0(SALU_CYCLE_1)
	s_cmp_lg_u64 s[4:5], 0
	s_cbranch_scc0 .LBB78_279
; %bb.232:                              ;   in Loop: Header=BB78_24 Depth=1
	v_cvt_f32_u32_e32 v2, s27
	s_sub_u32 s68, 0, s27
	s_subb_u32 s70, 0, 0
	s_delay_alu instid0(VALU_DEP_1) | instskip(NEXT) | instid1(VALU_DEP_1)
	v_fmac_f32_e64 v2, 0, 0x4f800000
	v_rcp_f32_e32 v2, v2
	s_waitcnt_depctr 0xfff
	v_mul_f32_e32 v2, 0x5f7ffffc, v2
	s_delay_alu instid0(VALU_DEP_1) | instskip(NEXT) | instid1(VALU_DEP_1)
	v_mul_f32_e32 v3, 0x2f800000, v2
	v_trunc_f32_e32 v3, v3
	s_delay_alu instid0(VALU_DEP_1) | instskip(SKIP_1) | instid1(VALU_DEP_2)
	v_fmac_f32_e32 v2, 0xcf800000, v3
	v_cvt_u32_f32_e32 v3, v3
	v_cvt_u32_f32_e32 v2, v2
	s_delay_alu instid0(VALU_DEP_2) | instskip(NEXT) | instid1(VALU_DEP_2)
	v_readfirstlane_b32 s4, v3
	v_readfirstlane_b32 s23, v2
	s_delay_alu instid0(VALU_DEP_2) | instskip(NEXT) | instid1(VALU_DEP_1)
	s_mul_i32 s74, s68, s4
	s_mul_hi_u32 s76, s68, s23
	s_mul_i32 s75, s70, s23
	s_add_i32 s74, s76, s74
	s_mul_i32 s77, s68, s23
	s_add_i32 s74, s74, s75
	s_mul_hi_u32 s76, s23, s77
	s_mul_hi_u32 s78, s4, s77
	s_mul_i32 s75, s4, s77
	s_mul_hi_u32 s77, s23, s74
	s_mul_i32 s23, s23, s74
	s_mul_hi_u32 s79, s4, s74
	s_add_u32 s23, s76, s23
	s_addc_u32 s76, 0, s77
	s_add_u32 s23, s23, s75
	s_mul_i32 s74, s4, s74
	s_addc_u32 s23, s76, s78
	s_addc_u32 s75, s79, 0
	s_add_u32 s23, s23, s74
	s_addc_u32 s74, 0, s75
	v_add_co_u32 v2, s23, v2, s23
	s_delay_alu instid0(VALU_DEP_1) | instskip(SKIP_1) | instid1(VALU_DEP_1)
	s_cmp_lg_u32 s23, 0
	s_addc_u32 s4, s4, s74
	v_readfirstlane_b32 s23, v2
	s_mul_i32 s74, s68, s4
	s_delay_alu instid0(VALU_DEP_1)
	s_mul_hi_u32 s75, s68, s23
	s_mul_i32 s70, s70, s23
	s_add_i32 s74, s75, s74
	s_mul_i32 s68, s68, s23
	s_add_i32 s74, s74, s70
	s_mul_hi_u32 s75, s4, s68
	s_mul_i32 s76, s4, s68
	s_mul_hi_u32 s68, s23, s68
	s_mul_hi_u32 s77, s23, s74
	s_mul_i32 s23, s23, s74
	s_mul_hi_u32 s70, s4, s74
	s_add_u32 s23, s68, s23
	s_addc_u32 s68, 0, s77
	s_add_u32 s23, s23, s76
	s_mul_i32 s74, s4, s74
	s_addc_u32 s23, s68, s75
	s_addc_u32 s68, s70, 0
	s_add_u32 s23, s23, s74
	s_addc_u32 s68, 0, s68
	v_add_co_u32 v2, s23, v2, s23
	s_delay_alu instid0(VALU_DEP_1) | instskip(SKIP_1) | instid1(VALU_DEP_1)
	s_cmp_lg_u32 s23, 0
	s_addc_u32 s4, s4, s68
	v_readfirstlane_b32 s23, v2
	s_mul_i32 s70, s18, s4
	s_mul_hi_u32 s68, s18, s4
	s_mul_hi_u32 s74, s5, s4
	s_mul_i32 s4, s5, s4
	s_mul_hi_u32 s75, s18, s23
	s_mul_hi_u32 s76, s5, s23
	s_mul_i32 s23, s5, s23
	s_add_u32 s70, s75, s70
	s_addc_u32 s68, 0, s68
	s_add_u32 s23, s70, s23
	s_addc_u32 s23, s68, s76
	s_addc_u32 s68, s74, 0
	s_add_u32 s4, s23, s4
	s_addc_u32 s23, 0, s68
	s_mul_hi_u32 s68, s27, s4
	s_mul_i32 s4, s27, s4
	s_mul_i32 s23, s27, s23
	v_sub_co_u32 v2, s4, s18, s4
	s_add_i32 s68, s68, s23
	s_cmp_lg_u32 s4, 0
	s_delay_alu instid0(VALU_DEP_1) | instskip(SKIP_2) | instid1(VALU_DEP_1)
	v_sub_co_u32 v3, s4, v2, s27
	s_subb_u32 s23, s5, s68
	s_cmp_lg_u32 s4, 0
	v_cmp_le_u32_e32 vcc_lo, s27, v3
	v_sub_co_u32 v4, s4, v3, s27
	s_subb_u32 s68, s23, 0
	s_cmp_lg_u32 s4, 0
	v_cndmask_b32_e64 v5, 0, -1, vcc_lo
	s_subb_u32 s4, s68, 0
	s_cmp_eq_u32 s68, 0
	v_mov_b32_e32 v7, s4
	s_cselect_b32 vcc_lo, -1, 0
	s_cmp_eq_u32 s23, 0
	v_cndmask_b32_e32 v5, -1, v5, vcc_lo
	v_cmp_le_u32_e32 vcc_lo, s27, v2
	s_cselect_b32 s4, -1, 0
	v_cndmask_b32_e64 v6, 0, -1, vcc_lo
	s_delay_alu instid0(VALU_DEP_3) | instskip(NEXT) | instid1(VALU_DEP_2)
	v_cmp_ne_u32_e32 vcc_lo, 0, v5
	v_cndmask_b32_e64 v5, -1, v6, s4
	v_cndmask_b32_e32 v6, s68, v7, vcc_lo
	v_cndmask_b32_e32 v4, v3, v4, vcc_lo
	s_delay_alu instid0(VALU_DEP_3) | instskip(NEXT) | instid1(VALU_DEP_3)
	v_cmp_ne_u32_e32 vcc_lo, 0, v5
	v_cndmask_b32_e32 v3, s23, v6, vcc_lo
	s_delay_alu instid0(VALU_DEP_3)
	v_cndmask_b32_e32 v2, v2, v4, vcc_lo
	s_cbranch_execnz .LBB78_234
.LBB78_233:                             ;   in Loop: Header=BB78_24 Depth=1
	v_cvt_f32_u32_e32 v2, s27
	s_sub_i32 s4, 0, s27
	s_delay_alu instid0(VALU_DEP_1) | instskip(SKIP_2) | instid1(VALU_DEP_1)
	v_rcp_iflag_f32_e32 v2, v2
	s_waitcnt_depctr 0xfff
	v_mul_f32_e32 v2, 0x4f7ffffe, v2
	v_cvt_u32_f32_e32 v2, v2
	s_delay_alu instid0(VALU_DEP_1) | instskip(NEXT) | instid1(VALU_DEP_1)
	v_mul_lo_u32 v3, s4, v2
	v_mul_hi_u32 v3, v2, v3
	s_delay_alu instid0(VALU_DEP_1) | instskip(NEXT) | instid1(VALU_DEP_1)
	v_add_nc_u32_e32 v2, v2, v3
	v_mul_hi_u32 v2, s18, v2
	s_delay_alu instid0(VALU_DEP_1) | instskip(NEXT) | instid1(VALU_DEP_1)
	v_mul_lo_u32 v2, v2, s27
	v_sub_nc_u32_e32 v2, s18, v2
	s_delay_alu instid0(VALU_DEP_1) | instskip(SKIP_1) | instid1(VALU_DEP_2)
	v_subrev_nc_u32_e32 v3, s27, v2
	v_cmp_le_u32_e32 vcc_lo, s27, v2
	v_cndmask_b32_e32 v2, v2, v3, vcc_lo
	s_delay_alu instid0(VALU_DEP_1) | instskip(SKIP_1) | instid1(VALU_DEP_2)
	v_subrev_nc_u32_e32 v3, s27, v2
	v_cmp_le_u32_e32 vcc_lo, s27, v2
	v_cndmask_b32_e32 v12, v2, v3, vcc_lo
	s_delay_alu instid0(VALU_DEP_1)
	v_dual_mov_b32 v2, v12 :: v_dual_mov_b32 v3, v13
.LBB78_234:                             ;   in Loop: Header=BB78_24 Depth=1
	s_delay_alu instid0(VALU_DEP_1) | instskip(NEXT) | instid1(VALU_DEP_2)
	v_sub_co_u32 v2, vcc_lo, s18, v2
	v_sub_co_ci_u32_e32 v3, vcc_lo, s5, v3, vcc_lo
	s_mov_b32 s23, 0
	s_mov_b32 s5, exec_lo
                                        ; implicit-def: $vgpr24
	s_delay_alu instid0(VALU_DEP_1)
	v_cmpx_gt_u64_e64 v[2:3], v[0:1]
	s_cbranch_execz .LBB78_246
; %bb.235:                              ;   in Loop: Header=BB78_24 Depth=1
	v_dual_mov_b32 v6, v0 :: v_dual_mov_b32 v5, v1
	v_mov_b32_e32 v4, v0
	s_mov_b32 s18, 0
                                        ; implicit-def: $sgpr23
	s_set_inst_prefetch_distance 0x1
	s_branch .LBB78_237
	.p2align	6
.LBB78_236:                             ;   in Loop: Header=BB78_237 Depth=2
	s_or_b32 exec_lo, exec_lo, s4
	s_waitcnt lgkmcnt(0)
	s_barrier
	buffer_gl0_inv
	ds_load_u16 v7, v13 offset:3072
	v_add_co_u32 v4, vcc_lo, v4, s27
	v_add_co_ci_u32_e32 v5, vcc_lo, 0, v5, vcc_lo
	v_add_nc_u32_e32 v6, s27, v6
	s_waitcnt lgkmcnt(0)
	s_barrier
	s_delay_alu instid0(VALU_DEP_2) | instskip(SKIP_2) | instid1(VALU_DEP_1)
	v_cmp_ge_u64_e32 vcc_lo, v[4:5], v[2:3]
	buffer_gl0_inv
	v_and_b32_e32 v8, 0xff, v7
	v_cmp_ne_u16_e64 s4, 0, v8
	s_delay_alu instid0(VALU_DEP_1) | instskip(NEXT) | instid1(SALU_CYCLE_1)
	s_or_b32 s68, vcc_lo, s4
	s_and_b32 s68, exec_lo, s68
	s_delay_alu instid0(SALU_CYCLE_1) | instskip(SKIP_2) | instid1(SALU_CYCLE_1)
	s_or_b32 s18, s68, s18
	s_and_not1_b32 s23, s23, exec_lo
	s_and_b32 s4, s4, exec_lo
	s_or_b32 s23, s23, s4
	s_and_not1_b32 exec_lo, exec_lo, s18
	s_cbranch_execz .LBB78_245
.LBB78_237:                             ;   Parent Loop BB78_24 Depth=1
                                        ; =>  This Inner Loop Header: Depth=2
	s_delay_alu instid0(VALU_DEP_1)
	v_cmp_gt_u64_e32 vcc_lo, s[8:9], v[4:5]
	v_mov_b32_e32 v7, 0
	s_and_saveexec_b32 s4, vcc_lo
	s_cbranch_execz .LBB78_239
; %bb.238:                              ;   in Loop: Header=BB78_237 Depth=2
	ds_load_u8 v7, v6
.LBB78_239:                             ;   in Loop: Header=BB78_237 Depth=2
	s_or_b32 exec_lo, exec_lo, s4
	s_waitcnt lgkmcnt(0)
	v_and_b32_e32 v8, s101, v7
	s_delay_alu instid0(VALU_DEP_1) | instskip(NEXT) | instid1(VALU_DEP_1)
	v_and_b32_e32 v8, 0xff, v8
	v_cmp_eq_u32_e64 s4, s100, v8
	s_delay_alu instid0(VALU_DEP_1) | instskip(NEXT) | instid1(SALU_CYCLE_1)
	s_and_b32 s68, vcc_lo, s4
	s_and_saveexec_b32 s4, s68
	s_cbranch_execz .LBB78_236
; %bb.240:                              ;   in Loop: Header=BB78_237 Depth=2
	v_lshlrev_b16 v7, 8, v7
	s_delay_alu instid0(VALU_DEP_1)
	v_or_b32_e32 v7, 1, v7
	ds_store_b16 v13, v7 offset:3072
	s_branch .LBB78_236
.LBB78_241:                             ;   in Loop: Header=BB78_24 Depth=1
                                        ; implicit-def: $sgpr8
                                        ; implicit-def: $sgpr18
                                        ; implicit-def: $sgpr9
	s_branch .LBB78_259
.LBB78_242:                             ;   in Loop: Header=BB78_24 Depth=1
                                        ; implicit-def: $vgpr2_vgpr3
	s_branch .LBB78_188
.LBB78_243:                             ;   in Loop: Header=BB78_24 Depth=1
                                        ; implicit-def: $vgpr2_vgpr3
	s_branch .LBB78_204
.LBB78_244:                             ;   in Loop: Header=BB78_24 Depth=1
	s_mov_b32 s8, -1
	s_mov_b32 s23, 0
                                        ; implicit-def: $sgpr9
                                        ; implicit-def: $vgpr24
	s_mov_b32 s18, s8
	s_cbranch_execnz .LBB78_247
	s_branch .LBB78_259
.LBB78_245:                             ;   in Loop: Header=BB78_24 Depth=1
	s_set_inst_prefetch_distance 0x2
	s_or_b32 exec_lo, exec_lo, s18
	v_lshrrev_b16 v24, 8, v7
	s_and_b32 s23, s23, exec_lo
.LBB78_246:                             ;   in Loop: Header=BB78_24 Depth=1
	s_or_b32 exec_lo, exec_lo, s5
	s_mov_b32 s9, -1
	s_mov_b32 s8, 0
	s_delay_alu instid0(SALU_CYCLE_1)
	s_mov_b32 s18, s8
	s_branch .LBB78_259
.LBB78_247:                             ;   in Loop: Header=BB78_24 Depth=1
	s_mov_b32 s70, s69
	s_delay_alu instid0(SALU_CYCLE_1)
	s_cmp_lg_u64 s[70:71], 0
	s_cbranch_scc0 .LBB78_280
; %bb.248:                              ;   in Loop: Header=BB78_24 Depth=1
	v_cvt_f32_u32_e32 v2, s27
	s_sub_u32 s8, 0, s27
	s_subb_u32 s9, 0, 0
	s_delay_alu instid0(VALU_DEP_1) | instskip(NEXT) | instid1(VALU_DEP_1)
	v_fmac_f32_e64 v2, 0, 0x4f800000
	v_rcp_f32_e32 v2, v2
	s_waitcnt_depctr 0xfff
	v_mul_f32_e32 v2, 0x5f7ffffc, v2
	s_delay_alu instid0(VALU_DEP_1) | instskip(NEXT) | instid1(VALU_DEP_1)
	v_mul_f32_e32 v3, 0x2f800000, v2
	v_trunc_f32_e32 v3, v3
	s_delay_alu instid0(VALU_DEP_1) | instskip(SKIP_1) | instid1(VALU_DEP_2)
	v_fmac_f32_e32 v2, 0xcf800000, v3
	v_cvt_u32_f32_e32 v3, v3
	v_cvt_u32_f32_e32 v2, v2
	s_delay_alu instid0(VALU_DEP_2) | instskip(NEXT) | instid1(VALU_DEP_2)
	v_readfirstlane_b32 s4, v3
	v_readfirstlane_b32 s5, v2
	s_delay_alu instid0(VALU_DEP_2) | instskip(NEXT) | instid1(VALU_DEP_1)
	s_mul_i32 s18, s8, s4
	s_mul_hi_u32 s68, s8, s5
	s_mul_i32 s23, s9, s5
	s_add_i32 s18, s68, s18
	s_mul_i32 s70, s8, s5
	s_add_i32 s18, s18, s23
	s_mul_hi_u32 s68, s5, s70
	s_mul_hi_u32 s74, s4, s70
	s_mul_i32 s23, s4, s70
	s_mul_hi_u32 s70, s5, s18
	s_mul_i32 s5, s5, s18
	s_mul_hi_u32 s75, s4, s18
	s_add_u32 s5, s68, s5
	s_addc_u32 s68, 0, s70
	s_add_u32 s5, s5, s23
	s_mul_i32 s18, s4, s18
	s_addc_u32 s5, s68, s74
	s_addc_u32 s23, s75, 0
	s_add_u32 s5, s5, s18
	s_addc_u32 s18, 0, s23
	v_add_co_u32 v2, s5, v2, s5
	s_delay_alu instid0(VALU_DEP_1) | instskip(SKIP_1) | instid1(VALU_DEP_1)
	s_cmp_lg_u32 s5, 0
	s_addc_u32 s4, s4, s18
	v_readfirstlane_b32 s5, v2
	s_mul_i32 s18, s8, s4
	s_delay_alu instid0(VALU_DEP_1)
	s_mul_hi_u32 s23, s8, s5
	s_mul_i32 s9, s9, s5
	s_add_i32 s18, s23, s18
	s_mul_i32 s8, s8, s5
	s_add_i32 s18, s18, s9
	s_mul_hi_u32 s23, s4, s8
	s_mul_i32 s68, s4, s8
	s_mul_hi_u32 s8, s5, s8
	s_mul_hi_u32 s70, s5, s18
	s_mul_i32 s5, s5, s18
	s_mul_hi_u32 s9, s4, s18
	s_add_u32 s5, s8, s5
	s_addc_u32 s8, 0, s70
	s_add_u32 s5, s5, s68
	s_mul_i32 s18, s4, s18
	s_addc_u32 s5, s8, s23
	s_addc_u32 s8, s9, 0
	s_add_u32 s5, s5, s18
	s_addc_u32 s8, 0, s8
	v_add_co_u32 v2, s5, v2, s5
	s_delay_alu instid0(VALU_DEP_1) | instskip(SKIP_1) | instid1(VALU_DEP_1)
	s_cmp_lg_u32 s5, 0
	s_addc_u32 s4, s4, s8
	v_readfirstlane_b32 s5, v2
	s_mul_i32 s9, s85, s4
	s_mul_hi_u32 s8, s85, s4
	s_mul_hi_u32 s18, s71, s4
	s_mul_i32 s4, s71, s4
	s_mul_hi_u32 s23, s85, s5
	s_mul_hi_u32 s68, s71, s5
	s_mul_i32 s5, s71, s5
	s_add_u32 s9, s23, s9
	s_addc_u32 s8, 0, s8
	s_add_u32 s5, s9, s5
	s_addc_u32 s5, s8, s68
	s_addc_u32 s8, s18, 0
	s_add_u32 s4, s5, s4
	s_addc_u32 s5, 0, s8
	s_mul_hi_u32 s8, s27, s4
	s_mul_i32 s4, s27, s4
	s_mul_i32 s5, s27, s5
	v_sub_co_u32 v2, s4, s85, s4
	s_add_i32 s8, s8, s5
	s_cmp_lg_u32 s4, 0
	s_delay_alu instid0(VALU_DEP_1) | instskip(SKIP_2) | instid1(VALU_DEP_1)
	v_sub_co_u32 v3, s4, v2, s27
	s_subb_u32 s5, s71, s8
	s_cmp_lg_u32 s4, 0
	v_cmp_le_u32_e32 vcc_lo, s27, v3
	v_sub_co_u32 v4, s4, v3, s27
	s_subb_u32 s8, s5, 0
	s_cmp_lg_u32 s4, 0
	v_cndmask_b32_e64 v5, 0, -1, vcc_lo
	s_subb_u32 s4, s8, 0
	s_cmp_eq_u32 s8, 0
	v_mov_b32_e32 v7, s4
	s_cselect_b32 vcc_lo, -1, 0
	s_cmp_eq_u32 s5, 0
	v_cndmask_b32_e32 v5, -1, v5, vcc_lo
	v_cmp_le_u32_e32 vcc_lo, s27, v2
	s_cselect_b32 s4, -1, 0
	v_cndmask_b32_e64 v6, 0, -1, vcc_lo
	s_delay_alu instid0(VALU_DEP_3) | instskip(NEXT) | instid1(VALU_DEP_2)
	v_cmp_ne_u32_e32 vcc_lo, 0, v5
	v_cndmask_b32_e64 v5, -1, v6, s4
	v_cndmask_b32_e32 v6, s8, v7, vcc_lo
	v_cndmask_b32_e32 v4, v3, v4, vcc_lo
	s_delay_alu instid0(VALU_DEP_3) | instskip(NEXT) | instid1(VALU_DEP_3)
	v_cmp_ne_u32_e32 vcc_lo, 0, v5
	v_cndmask_b32_e32 v3, s5, v6, vcc_lo
	s_delay_alu instid0(VALU_DEP_3)
	v_cndmask_b32_e32 v2, v2, v4, vcc_lo
	s_cbranch_execnz .LBB78_250
.LBB78_249:                             ;   in Loop: Header=BB78_24 Depth=1
	v_cvt_f32_u32_e32 v2, s27
	s_sub_i32 s4, 0, s27
	s_delay_alu instid0(VALU_DEP_1) | instskip(SKIP_2) | instid1(VALU_DEP_1)
	v_rcp_iflag_f32_e32 v2, v2
	s_waitcnt_depctr 0xfff
	v_mul_f32_e32 v2, 0x4f7ffffe, v2
	v_cvt_u32_f32_e32 v2, v2
	s_delay_alu instid0(VALU_DEP_1) | instskip(NEXT) | instid1(VALU_DEP_1)
	v_mul_lo_u32 v3, s4, v2
	v_mul_hi_u32 v3, v2, v3
	s_delay_alu instid0(VALU_DEP_1) | instskip(NEXT) | instid1(VALU_DEP_1)
	v_add_nc_u32_e32 v2, v2, v3
	v_mul_hi_u32 v2, s85, v2
	s_delay_alu instid0(VALU_DEP_1) | instskip(NEXT) | instid1(VALU_DEP_1)
	v_mul_lo_u32 v2, v2, s27
	v_sub_nc_u32_e32 v2, s85, v2
	s_delay_alu instid0(VALU_DEP_1) | instskip(SKIP_1) | instid1(VALU_DEP_2)
	v_subrev_nc_u32_e32 v3, s27, v2
	v_cmp_le_u32_e32 vcc_lo, s27, v2
	v_cndmask_b32_e32 v2, v2, v3, vcc_lo
	s_delay_alu instid0(VALU_DEP_1) | instskip(SKIP_1) | instid1(VALU_DEP_2)
	v_subrev_nc_u32_e32 v3, s27, v2
	v_cmp_le_u32_e32 vcc_lo, s27, v2
	v_cndmask_b32_e32 v12, v2, v3, vcc_lo
	s_delay_alu instid0(VALU_DEP_1)
	v_dual_mov_b32 v2, v12 :: v_dual_mov_b32 v3, v13
.LBB78_250:                             ;   in Loop: Header=BB78_24 Depth=1
	s_delay_alu instid0(VALU_DEP_1) | instskip(NEXT) | instid1(VALU_DEP_2)
	v_sub_co_u32 v2, vcc_lo, s85, v2
	v_sub_co_ci_u32_e32 v3, vcc_lo, s71, v3, vcc_lo
	s_mov_b32 s23, 0
	s_mov_b32 s5, exec_lo
                                        ; implicit-def: $vgpr24
	s_delay_alu instid0(VALU_DEP_1)
	v_cmpx_gt_u64_e64 v[2:3], v[0:1]
	s_cbranch_execz .LBB78_258
; %bb.251:                              ;   in Loop: Header=BB78_24 Depth=1
	v_dual_mov_b32 v5, v1 :: v_dual_mov_b32 v4, v0
	s_mov_b32 s8, 0
                                        ; implicit-def: $sgpr9
	s_branch .LBB78_253
.LBB78_252:                             ;   in Loop: Header=BB78_253 Depth=2
	s_or_b32 exec_lo, exec_lo, s4
	s_waitcnt lgkmcnt(0)
	s_barrier
	buffer_gl0_inv
	ds_load_u16 v6, v13 offset:3072
	v_add_co_u32 v4, vcc_lo, v4, s27
	v_add_co_ci_u32_e32 v5, vcc_lo, 0, v5, vcc_lo
	s_waitcnt lgkmcnt(0)
	s_barrier
	buffer_gl0_inv
	v_cmp_ge_u64_e32 vcc_lo, v[4:5], v[2:3]
	v_and_b32_e32 v7, 0xff, v6
	s_delay_alu instid0(VALU_DEP_1) | instskip(NEXT) | instid1(VALU_DEP_1)
	v_cmp_ne_u16_e64 s4, 0, v7
	s_or_b32 s18, vcc_lo, s4
	s_delay_alu instid0(SALU_CYCLE_1) | instskip(NEXT) | instid1(SALU_CYCLE_1)
	s_and_b32 s18, exec_lo, s18
	s_or_b32 s8, s18, s8
	s_and_not1_b32 s9, s9, exec_lo
	s_and_b32 s4, s4, exec_lo
	s_delay_alu instid0(SALU_CYCLE_1)
	s_or_b32 s9, s9, s4
	s_and_not1_b32 exec_lo, exec_lo, s8
	s_cbranch_execz .LBB78_257
.LBB78_253:                             ;   Parent Loop BB78_24 Depth=1
                                        ; =>  This Inner Loop Header: Depth=2
	s_delay_alu instid0(VALU_DEP_1)
	v_cmp_gt_u64_e32 vcc_lo, s[24:25], v[4:5]
	v_mov_b32_e32 v6, 0
	s_and_saveexec_b32 s4, vcc_lo
	s_cbranch_execz .LBB78_255
; %bb.254:                              ;   in Loop: Header=BB78_253 Depth=2
	v_mad_u64_u32 v[6:7], null, v4, s54, s[62:63]
	v_mul_lo_u32 v8, v4, s55
	v_mul_lo_u32 v9, v5, s54
	s_delay_alu instid0(VALU_DEP_1)
	v_add3_u32 v7, v9, v7, v8
	global_load_u8 v6, v[6:7], off
.LBB78_255:                             ;   in Loop: Header=BB78_253 Depth=2
	s_or_b32 exec_lo, exec_lo, s4
	s_waitcnt vmcnt(0)
	v_and_b32_e32 v7, s101, v6
	s_delay_alu instid0(VALU_DEP_1) | instskip(NEXT) | instid1(VALU_DEP_1)
	v_and_b32_e32 v7, 0xff, v7
	v_cmp_eq_u32_e64 s4, s100, v7
	s_delay_alu instid0(VALU_DEP_1) | instskip(NEXT) | instid1(SALU_CYCLE_1)
	s_and_b32 s18, vcc_lo, s4
	s_and_saveexec_b32 s4, s18
	s_cbranch_execz .LBB78_252
; %bb.256:                              ;   in Loop: Header=BB78_253 Depth=2
	v_lshlrev_b16 v6, 8, v6
	s_delay_alu instid0(VALU_DEP_1)
	v_or_b32_e32 v6, 1, v6
	ds_store_b16 v13, v6 offset:3072
	s_branch .LBB78_252
.LBB78_257:                             ;   in Loop: Header=BB78_24 Depth=1
	s_or_b32 exec_lo, exec_lo, s8
	v_lshrrev_b16 v24, 8, v6
	s_and_b32 s23, s9, exec_lo
.LBB78_258:                             ;   in Loop: Header=BB78_24 Depth=1
	s_or_b32 exec_lo, exec_lo, s5
	s_mov_b32 s18, -1
	s_mov_b32 s8, 0
	s_mov_b32 s9, 0
.LBB78_259:                             ;   in Loop: Header=BB78_24 Depth=1
	s_mov_b32 s74, 0
                                        ; implicit-def: $sgpr68
                                        ; implicit-def: $sgpr4_sgpr5
	s_and_saveexec_b32 s70, s23
	s_cbranch_execz .LBB78_272
; %bb.260:                              ;   in Loop: Header=BB78_24 Depth=1
	s_xor_b32 s17, s17, -1
	s_mov_b64 s[4:5], 1
	s_and_not1_b32 vcc_lo, exec_lo, s17
	s_mov_b32 s68, 1
	s_cbranch_vccnz .LBB78_271
; %bb.261:                              ;   in Loop: Header=BB78_24 Depth=1
	v_cmp_gt_u64_e64 s4, s[66:67], s[6:7]
	s_delay_alu instid0(VALU_DEP_1)
	s_and_b32 vcc_lo, exec_lo, s4
	s_cbranch_vccnz .LBB78_267
; %bb.262:                              ;   in Loop: Header=BB78_24 Depth=1
	ds_load_b64 v[2:3], v13 offset:5120
	s_waitcnt lgkmcnt(0)
	v_cmp_ne_u64_e32 vcc_lo, 0, v[2:3]
	s_cbranch_vccnz .LBB78_266
; %bb.263:                              ;   in Loop: Header=BB78_24 Depth=1
	s_and_saveexec_b32 s4, s2
	s_cbranch_execz .LBB78_265
; %bb.264:                              ;   in Loop: Header=BB78_24 Depth=1
	v_dual_mov_b32 v2, s6 :: v_dual_mov_b32 v3, s7
	ds_store_b64 v13, v[2:3] offset:5128
.LBB78_265:                             ;   in Loop: Header=BB78_24 Depth=1
	s_or_b32 exec_lo, exec_lo, s4
	s_waitcnt lgkmcnt(0)
	s_barrier
	buffer_gl0_inv
.LBB78_266:                             ;   in Loop: Header=BB78_24 Depth=1
	s_or_b32 s17, s100, s16
	s_or_b32 s16, s101, s16
	s_mov_b32 s4, 0
	s_mov_b32 s68, 8
	s_branch .LBB78_268
.LBB78_267:                             ;   in Loop: Header=BB78_24 Depth=1
	s_mov_b32 s4, -1
                                        ; implicit-def: $sgpr68
                                        ; implicit-def: $sgpr17
                                        ; implicit-def: $sgpr16
.LBB78_268:                             ;   in Loop: Header=BB78_24 Depth=1
	s_delay_alu instid0(SALU_CYCLE_1)
	s_and_not1_b32 vcc_lo, exec_lo, s4
	s_cbranch_vccnz .LBB78_270
; %bb.269:                              ;   in Loop: Header=BB78_24 Depth=1
	s_sub_u32 s66, s66, s6
	s_subb_u32 s67, s67, s7
	s_mov_b32 s68, 8
	s_mov_b32 s17, s100
	;; [unrolled: 1-line block ×3, first 2 shown]
.LBB78_270:                             ;   in Loop: Header=BB78_24 Depth=1
	s_mov_b64 s[4:5], s[66:67]
	s_mov_b32 s100, s17
	s_mov_b32 s101, s16
.LBB78_271:                             ;   in Loop: Header=BB78_24 Depth=1
	s_mov_b32 s74, exec_lo
.LBB78_272:                             ;   in Loop: Header=BB78_24 Depth=1
	s_or_b32 exec_lo, exec_lo, s70
	s_mov_b64 s[66:67], s[4:5]
.LBB78_273:                             ;   in Loop: Header=BB78_24 Depth=1
	s_and_not1_b32 s4, s10, exec_lo
	s_and_b32 s5, s8, exec_lo
	s_and_not1_b32 s6, s11, exec_lo
	s_or_b32 s10, s4, s5
	s_and_not1_b32 s4, s21, exec_lo
	s_and_b32 s5, s18, exec_lo
	s_and_b32 s7, s9, exec_lo
	s_or_b32 s21, s4, s5
	s_or_b32 s11, s6, s7
	s_and_b32 s5, s74, exec_lo
.LBB78_274:                             ;   in Loop: Header=BB78_24 Depth=1
	s_or_b32 exec_lo, exec_lo, s22
.LBB78_275:                             ;   in Loop: Header=BB78_24 Depth=1
	s_delay_alu instid0(SALU_CYCLE_1)
	s_and_not1_b32 s4, s13, exec_lo
	s_and_b32 s6, s10, exec_lo
	s_and_not1_b32 s7, s12, exec_lo
	s_or_b32 s13, s4, s6
	s_and_not1_b32 s4, s19, exec_lo
	s_and_b32 s6, s21, exec_lo
	s_and_b32 s8, s11, exec_lo
	s_or_b32 s19, s4, s6
	s_or_b32 s12, s7, s8
	s_and_b32 s5, s5, exec_lo
.LBB78_276:                             ;   in Loop: Header=BB78_24 Depth=1
	s_or_b32 exec_lo, exec_lo, s20
	s_and_saveexec_b32 s4, s5
	s_delay_alu instid0(SALU_CYCLE_1)
	s_xor_b32 s4, exec_lo, s4
	s_cbranch_execz .LBB78_22
.LBB78_277:                             ;   in Loop: Header=BB78_24 Depth=1
	s_and_b32 s5, s68, -9
	s_delay_alu instid0(SALU_CYCLE_1)
	s_cmp_eq_u32 s5, 0
	s_cbranch_scc1 .LBB78_20
; %bb.278:                              ;   in Loop: Header=BB78_24 Depth=1
	s_mov_b32 s5, -1
	s_mov_b32 s6, -1
                                        ; implicit-def: $sgpr101
                                        ; implicit-def: $sgpr66_sgpr67
                                        ; implicit-def: $sgpr94
                                        ; implicit-def: $sgpr98
	s_branch .LBB78_21
.LBB78_279:                             ;   in Loop: Header=BB78_24 Depth=1
                                        ; implicit-def: $vgpr2_vgpr3
	s_branch .LBB78_233
.LBB78_280:                             ;   in Loop: Header=BB78_24 Depth=1
                                        ; implicit-def: $vgpr2_vgpr3
	s_branch .LBB78_249
.LBB78_281:
	s_or_b32 exec_lo, exec_lo, s91
	s_xor_b32 s4, s95, -1
	s_xor_b32 s1, s92, -1
	;; [unrolled: 1-line block ×3, first 2 shown]
	s_mov_b32 s2, 0
	s_and_saveexec_b32 s5, s1
	s_delay_alu instid0(SALU_CYCLE_1)
	s_xor_b32 s1, exec_lo, s5
	s_cbranch_execz .LBB78_295
; %bb.282:
	s_and_saveexec_b32 s2, s4
	s_delay_alu instid0(SALU_CYCLE_1)
	s_xor_b32 s2, exec_lo, s2
	s_cbranch_execz .LBB78_293
; %bb.283:
	s_and_saveexec_b32 s4, s3
	s_delay_alu instid0(SALU_CYCLE_1)
	s_xor_b32 s3, exec_lo, s4
; %bb.284:
	v_mov_b32_e32 v24, v2
; %bb.285:
	s_or_b32 exec_lo, exec_lo, s3
	s_mul_i32 s3, s50, s37
	s_mul_hi_u32 s4, s50, s36
	s_mul_i32 s5, s50, s36
	s_add_i32 s4, s4, s3
	s_sub_u32 s3, s52, s5
	s_subb_u32 s4, s53, s4
	s_mul_i32 s5, s3, s47
	s_mul_hi_u32 s6, s3, s46
	s_mul_i32 s4, s4, s46
	s_add_i32 s5, s6, s5
	s_mul_i32 s6, s50, s45
	s_mul_hi_u32 s7, s50, s44
	s_add_i32 s5, s5, s4
	s_add_i32 s7, s7, s6
	s_mul_i32 s4, s52, s39
	s_mul_hi_u32 s6, s52, s38
	s_mul_i32 s8, s52, s38
	s_add_i32 s6, s6, s4
	s_sub_u32 s4, s34, s8
	s_subb_u32 s6, 0, s6
	s_mul_i32 s8, s4, s61
	s_mul_hi_u32 s9, s4, s60
	s_mul_i32 s6, s6, s60
	s_add_i32 s8, s9, s8
	s_mul_i32 s9, s50, s44
	s_add_i32 s8, s8, s6
	s_mul_i32 s3, s3, s46
	s_add_u32 s6, s64, s9
	s_addc_u32 s7, s65, s7
	s_mul_i32 s4, s4, s60
	s_add_u32 s3, s6, s3
	v_mov_b32_e32 v2, 0
	s_addc_u32 s5, s7, s5
	s_add_u32 s4, s3, s4
	s_addc_u32 s5, s5, s8
	global_store_b8 v2, v24, s[4:5]
	s_and_saveexec_b32 s3, s0
	s_cbranch_execz .LBB78_292
; %bb.286:
	v_and_b32_e32 v4, 0xff, v24
	s_mov_b32 s0, 0
                                        ; implicit-def: $sgpr4
                                        ; implicit-def: $sgpr6
                                        ; implicit-def: $sgpr5
	s_set_inst_prefetch_distance 0x1
	s_branch .LBB78_288
	.p2align	6
.LBB78_287:                             ;   in Loop: Header=BB78_288 Depth=1
	s_or_b32 exec_lo, exec_lo, s7
	s_delay_alu instid0(SALU_CYCLE_1) | instskip(NEXT) | instid1(SALU_CYCLE_1)
	s_and_b32 s7, exec_lo, s6
	s_or_b32 s0, s7, s0
	s_and_not1_b32 s4, s4, exec_lo
	s_and_b32 s7, s5, exec_lo
	s_delay_alu instid0(SALU_CYCLE_1)
	s_or_b32 s4, s4, s7
	s_and_not1_b32 exec_lo, exec_lo, s0
	s_cbranch_execz .LBB78_290
.LBB78_288:                             ; =>This Inner Loop Header: Depth=1
	v_dual_mov_b32 v3, v1 :: v_dual_mov_b32 v2, v0
	s_or_b32 s5, s5, exec_lo
	s_or_b32 s6, s6, exec_lo
	s_delay_alu instid0(VALU_DEP_1) | instskip(NEXT) | instid1(VALU_DEP_2)
	v_mul_lo_u32 v6, v3, s54
	v_mad_u64_u32 v[0:1], null, v2, s54, s[62:63]
	v_mul_lo_u32 v5, v2, s55
	s_delay_alu instid0(VALU_DEP_1)
	v_add3_u32 v1, v6, v1, v5
	global_load_u8 v0, v[0:1], off
	s_waitcnt vmcnt(0)
	v_cmp_ne_u16_e32 vcc_lo, v0, v4
                                        ; implicit-def: $vgpr0_vgpr1
	s_and_saveexec_b32 s7, vcc_lo
	s_cbranch_execz .LBB78_287
; %bb.289:                              ;   in Loop: Header=BB78_288 Depth=1
	v_add_co_u32 v0, vcc_lo, v2, s27
	v_add_co_ci_u32_e32 v1, vcc_lo, 0, v3, vcc_lo
	s_and_not1_b32 s6, s6, exec_lo
	s_and_not1_b32 s5, s5, exec_lo
	s_delay_alu instid0(VALU_DEP_1) | instskip(SKIP_1) | instid1(SALU_CYCLE_1)
	v_cmp_le_u64_e32 vcc_lo, s[24:25], v[0:1]
	s_and_b32 s8, vcc_lo, exec_lo
	s_or_b32 s6, s6, s8
	s_branch .LBB78_287
.LBB78_290:
	s_set_inst_prefetch_distance 0x2
	s_or_b32 exec_lo, exec_lo, s0
	s_and_saveexec_b32 s0, s4
	s_delay_alu instid0(SALU_CYCLE_1)
	s_xor_b32 s0, exec_lo, s0
	s_cbranch_execz .LBB78_292
; %bb.291:
	s_mul_i32 s0, s26, s29
	s_mul_hi_u32 s4, s26, s28
	s_mul_i32 s5, s26, s28
	s_add_i32 s4, s4, s0
	s_sub_u32 s0, s48, s5
	s_subb_u32 s4, s49, s4
	s_mul_i32 s5, s0, s43
	s_mul_hi_u32 s6, s0, s42
	s_mul_i32 s4, s4, s42
	s_add_i32 s5, s6, s5
	s_mul_i32 s6, s26, s41
	s_mul_hi_u32 s7, s26, s40
	s_add_i32 s5, s5, s4
	s_mul_i32 s4, s0, s42
	s_add_i32 s7, s7, s6
	s_mul_i32 s0, s48, s31
	s_mul_hi_u32 s6, s48, s30
	s_mul_i32 s8, s48, s30
	s_add_i32 s0, s6, s0
	s_sub_u32 s8, s34, s8
	s_subb_u32 s0, 0, s0
	s_mul_i32 s9, s8, s57
	s_mul_hi_u32 s10, s8, s56
	s_mul_i32 s6, s26, s40
	s_add_i32 s9, s10, s9
	s_mul_i32 s0, s0, s56
	s_lshl_b64 s[6:7], s[6:7], 3
	s_add_i32 s9, s9, s0
	s_add_u32 s0, s58, s6
	s_addc_u32 s6, s59, s7
	s_lshl_b64 s[4:5], s[4:5], 3
	s_mul_i32 s8, s8, s56
	s_add_u32 s0, s0, s4
	s_addc_u32 s6, s6, s5
	s_lshl_b64 s[4:5], s[8:9], 3
	v_mov_b32_e32 v0, 0
	s_add_u32 s4, s0, s4
	s_addc_u32 s5, s6, s5
	global_store_b64 v0, v[2:3], s[4:5]
.LBB78_292:
	s_or_b32 exec_lo, exec_lo, s3
.LBB78_293:
	s_or_saveexec_b32 s0, s2
	s_mov_b32 s2, 0
	s_xor_b32 exec_lo, exec_lo, s0
	s_cbranch_execnz .LBB78_301
.LBB78_294:
	s_or_b32 exec_lo, exec_lo, s0
	s_delay_alu instid0(SALU_CYCLE_1)
	s_and_b32 s2, s2, exec_lo
.LBB78_295:
	s_and_not1_saveexec_b32 s0, s1
	s_cbranch_execnz .LBB78_299
; %bb.296:
	s_or_b32 exec_lo, exec_lo, s0
	s_and_saveexec_b32 s0, s2
.LBB78_297:
	; divergent unreachable
.LBB78_298:
	s_nop 0
	s_sendmsg sendmsg(MSG_DEALLOC_VGPRS)
	s_endpgm
.LBB78_299:
	s_cbranch_execnz .LBB78_303
; %bb.300:
	s_or_b32 s2, s2, exec_lo
	s_or_b32 exec_lo, exec_lo, s0
	s_and_saveexec_b32 s0, s2
	s_cbranch_execnz .LBB78_297
	s_branch .LBB78_298
.LBB78_301:
	s_cbranch_execnz .LBB78_305
; %bb.302:
	s_mov_b32 s2, exec_lo
	s_branch .LBB78_294
.LBB78_303:
	s_trap 2
	s_sendmsg_rtn_b32 s0, sendmsg(MSG_RTN_GET_DOORBELL)
	s_mov_b32 ttmp2, m0
	s_waitcnt lgkmcnt(0)
	s_and_b32 s0, s0, 0x3ff
	s_delay_alu instid0(SALU_CYCLE_1) | instskip(NEXT) | instid1(SALU_CYCLE_1)
	s_bitset1_b32 s0, 10
	s_mov_b32 m0, s0
	s_sendmsg sendmsg(MSG_INTERRUPT)
	s_mov_b32 m0, ttmp2
.LBB78_304:                             ; =>This Inner Loop Header: Depth=1
	s_sethalt 5
	s_branch .LBB78_304
.LBB78_305:
	s_trap 2
	s_sendmsg_rtn_b32 s0, sendmsg(MSG_RTN_GET_DOORBELL)
	s_mov_b32 ttmp2, m0
	s_waitcnt lgkmcnt(0)
	s_and_b32 s0, s0, 0x3ff
	s_delay_alu instid0(SALU_CYCLE_1) | instskip(NEXT) | instid1(SALU_CYCLE_1)
	s_bitset1_b32 s0, 10
	s_mov_b32 m0, s0
	s_sendmsg sendmsg(MSG_INTERRUPT)
	s_mov_b32 m0, ttmp2
.LBB78_306:                             ; =>This Inner Loop Header: Depth=1
	s_sethalt 5
	s_branch .LBB78_306
	.section	.rodata,"a",@progbits
	.p2align	6, 0x0
	.amdhsa_kernel _ZN2at6native12_GLOBAL__N_112gatherMedianIhmLi3EEEvNS_4cuda6detail10TensorInfoIT_T0_EENS5_IlS7_EENS5_IKS6_S7_EES7_S7_S7_b
		.amdhsa_group_segment_fixed_size 5152
		.amdhsa_private_segment_fixed_size 0
		.amdhsa_kernarg_size 1536
		.amdhsa_user_sgpr_count 13
		.amdhsa_user_sgpr_dispatch_ptr 0
		.amdhsa_user_sgpr_queue_ptr 0
		.amdhsa_user_sgpr_kernarg_segment_ptr 1
		.amdhsa_user_sgpr_dispatch_id 0
		.amdhsa_user_sgpr_private_segment_size 0
		.amdhsa_wavefront_size32 1
		.amdhsa_uses_dynamic_stack 0
		.amdhsa_enable_private_segment 0
		.amdhsa_system_sgpr_workgroup_id_x 1
		.amdhsa_system_sgpr_workgroup_id_y 1
		.amdhsa_system_sgpr_workgroup_id_z 1
		.amdhsa_system_sgpr_workgroup_info 0
		.amdhsa_system_vgpr_workitem_id 0
		.amdhsa_next_free_vgpr 29
		.amdhsa_next_free_sgpr 104
		.amdhsa_reserve_vcc 1
		.amdhsa_float_round_mode_32 0
		.amdhsa_float_round_mode_16_64 0
		.amdhsa_float_denorm_mode_32 3
		.amdhsa_float_denorm_mode_16_64 3
		.amdhsa_dx10_clamp 1
		.amdhsa_ieee_mode 1
		.amdhsa_fp16_overflow 0
		.amdhsa_workgroup_processor_mode 1
		.amdhsa_memory_ordered 1
		.amdhsa_forward_progress 0
		.amdhsa_shared_vgpr_count 0
		.amdhsa_exception_fp_ieee_invalid_op 0
		.amdhsa_exception_fp_denorm_src 0
		.amdhsa_exception_fp_ieee_div_zero 0
		.amdhsa_exception_fp_ieee_overflow 0
		.amdhsa_exception_fp_ieee_underflow 0
		.amdhsa_exception_fp_ieee_inexact 0
		.amdhsa_exception_int_div_zero 0
	.end_amdhsa_kernel
	.section	.text._ZN2at6native12_GLOBAL__N_112gatherMedianIhmLi3EEEvNS_4cuda6detail10TensorInfoIT_T0_EENS5_IlS7_EENS5_IKS6_S7_EES7_S7_S7_b,"axG",@progbits,_ZN2at6native12_GLOBAL__N_112gatherMedianIhmLi3EEEvNS_4cuda6detail10TensorInfoIT_T0_EENS5_IlS7_EENS5_IKS6_S7_EES7_S7_S7_b,comdat
.Lfunc_end78:
	.size	_ZN2at6native12_GLOBAL__N_112gatherMedianIhmLi3EEEvNS_4cuda6detail10TensorInfoIT_T0_EENS5_IlS7_EENS5_IKS6_S7_EES7_S7_S7_b, .Lfunc_end78-_ZN2at6native12_GLOBAL__N_112gatherMedianIhmLi3EEEvNS_4cuda6detail10TensorInfoIT_T0_EENS5_IlS7_EENS5_IKS6_S7_EES7_S7_S7_b
                                        ; -- End function
	.section	.AMDGPU.csdata,"",@progbits
; Kernel info:
; codeLenInByte = 17444
; NumSgprs: 106
; NumVgprs: 29
; ScratchSize: 0
; MemoryBound: 0
; FloatMode: 240
; IeeeMode: 1
; LDSByteSize: 5152 bytes/workgroup (compile time only)
; SGPRBlocks: 13
; VGPRBlocks: 3
; NumSGPRsForWavesPerEU: 106
; NumVGPRsForWavesPerEU: 29
; Occupancy: 16
; WaveLimiterHint : 1
; COMPUTE_PGM_RSRC2:SCRATCH_EN: 0
; COMPUTE_PGM_RSRC2:USER_SGPR: 13
; COMPUTE_PGM_RSRC2:TRAP_HANDLER: 0
; COMPUTE_PGM_RSRC2:TGID_X_EN: 1
; COMPUTE_PGM_RSRC2:TGID_Y_EN: 1
; COMPUTE_PGM_RSRC2:TGID_Z_EN: 1
; COMPUTE_PGM_RSRC2:TIDIG_COMP_CNT: 0
	.section	.text._ZN2at6native12_GLOBAL__N_112gatherMedianIhmLin1EEEvNS_4cuda6detail10TensorInfoIT_T0_EENS5_IlS7_EENS5_IKS6_S7_EES7_S7_S7_b,"axG",@progbits,_ZN2at6native12_GLOBAL__N_112gatherMedianIhmLin1EEEvNS_4cuda6detail10TensorInfoIT_T0_EENS5_IlS7_EENS5_IKS6_S7_EES7_S7_S7_b,comdat
	.globl	_ZN2at6native12_GLOBAL__N_112gatherMedianIhmLin1EEEvNS_4cuda6detail10TensorInfoIT_T0_EENS5_IlS7_EENS5_IKS6_S7_EES7_S7_S7_b ; -- Begin function _ZN2at6native12_GLOBAL__N_112gatherMedianIhmLin1EEEvNS_4cuda6detail10TensorInfoIT_T0_EENS5_IlS7_EENS5_IKS6_S7_EES7_S7_S7_b
	.p2align	8
	.type	_ZN2at6native12_GLOBAL__N_112gatherMedianIhmLin1EEEvNS_4cuda6detail10TensorInfoIT_T0_EENS5_IlS7_EENS5_IKS6_S7_EES7_S7_S7_b,@function
_ZN2at6native12_GLOBAL__N_112gatherMedianIhmLin1EEEvNS_4cuda6detail10TensorInfoIT_T0_EENS5_IlS7_EENS5_IKS6_S7_EES7_S7_S7_b: ; @_ZN2at6native12_GLOBAL__N_112gatherMedianIhmLin1EEEvNS_4cuda6detail10TensorInfoIT_T0_EENS5_IlS7_EENS5_IKS6_S7_EES7_S7_S7_b
; %bb.0:
	s_clause 0x1
	s_load_b64 s[4:5], s[0:1], 0x500
	s_load_b128 s[24:27], s[0:1], 0x4e0
	s_add_u32 s6, s0, 0x500
	s_addc_u32 s7, s1, 0
	s_mov_b32 s3, 0
	s_waitcnt lgkmcnt(0)
	s_mul_i32 s2, s5, s15
	s_delay_alu instid0(SALU_CYCLE_1) | instskip(NEXT) | instid1(SALU_CYCLE_1)
	s_add_i32 s2, s2, s14
	s_mul_i32 s2, s2, s4
	s_delay_alu instid0(SALU_CYCLE_1) | instskip(NEXT) | instid1(SALU_CYCLE_1)
	s_add_i32 s2, s2, s13
	v_cmp_ge_u64_e64 s5, s[2:3], s[26:27]
	s_delay_alu instid0(VALU_DEP_1)
	s_and_b32 vcc_lo, exec_lo, s5
	s_cbranch_vccnz .LBB79_311
; %bb.1:
	s_clause 0x1
	s_load_b32 s5, s[0:1], 0x198
	s_load_b64 s[28:29], s[0:1], 0x4f0
	s_mov_b64 s[26:27], 0
	s_mov_b64 s[34:35], s[2:3]
	s_waitcnt lgkmcnt(0)
	s_cmp_lt_i32 s5, 2
	s_cbranch_scc1 .LBB79_9
; %bb.2:
	s_mov_b32 s8, 0
	s_add_i32 s10, s5, -1
	s_mov_b32 s11, s8
	s_add_i32 s5, s5, 1
	s_lshl_b64 s[10:11], s[10:11], 3
	s_mov_b64 s[14:15], s[2:3]
	s_add_u32 s9, s10, s0
	s_addc_u32 s11, s11, s1
	s_add_u32 s10, s9, 8
	s_addc_u32 s11, s11, 0
.LBB79_3:                               ; =>This Inner Loop Header: Depth=1
	s_load_b64 s[16:17], s[10:11], 0x0
                                        ; implicit-def: $sgpr34_sgpr35
	s_waitcnt lgkmcnt(0)
	s_or_b64 s[18:19], s[14:15], s[16:17]
	s_delay_alu instid0(SALU_CYCLE_1) | instskip(NEXT) | instid1(SALU_CYCLE_1)
	s_mov_b32 s9, s19
	s_cmp_lg_u64 s[8:9], 0
	s_mov_b32 s9, -1
	s_cbranch_scc0 .LBB79_5
; %bb.4:                                ;   in Loop: Header=BB79_3 Depth=1
	v_cvt_f32_u32_e32 v1, s16
	v_cvt_f32_u32_e32 v2, s17
	s_sub_u32 s18, 0, s16
	s_subb_u32 s19, 0, s17
	s_waitcnt_depctr 0xfff
	v_fmac_f32_e32 v1, 0x4f800000, v2
	s_delay_alu instid0(VALU_DEP_1) | instskip(SKIP_2) | instid1(VALU_DEP_1)
	v_rcp_f32_e32 v1, v1
	s_waitcnt_depctr 0xfff
	v_mul_f32_e32 v1, 0x5f7ffffc, v1
	v_mul_f32_e32 v2, 0x2f800000, v1
	s_delay_alu instid0(VALU_DEP_1) | instskip(NEXT) | instid1(VALU_DEP_1)
	v_trunc_f32_e32 v2, v2
	v_fmac_f32_e32 v1, 0xcf800000, v2
	v_cvt_u32_f32_e32 v2, v2
	s_delay_alu instid0(VALU_DEP_2) | instskip(NEXT) | instid1(VALU_DEP_2)
	v_cvt_u32_f32_e32 v1, v1
	v_readfirstlane_b32 s9, v2
	s_delay_alu instid0(VALU_DEP_2) | instskip(NEXT) | instid1(VALU_DEP_2)
	v_readfirstlane_b32 s12, v1
	s_mul_i32 s20, s18, s9
	s_delay_alu instid0(VALU_DEP_1)
	s_mul_hi_u32 s22, s18, s12
	s_mul_i32 s21, s19, s12
	s_add_i32 s20, s22, s20
	s_mul_i32 s23, s18, s12
	s_add_i32 s20, s20, s21
	s_mul_hi_u32 s22, s12, s23
	s_mul_hi_u32 s30, s9, s23
	s_mul_i32 s21, s9, s23
	s_mul_hi_u32 s23, s12, s20
	s_mul_i32 s12, s12, s20
	s_mul_hi_u32 s31, s9, s20
	s_add_u32 s12, s22, s12
	s_addc_u32 s22, 0, s23
	s_add_u32 s12, s12, s21
	s_mul_i32 s20, s9, s20
	s_addc_u32 s12, s22, s30
	s_addc_u32 s21, s31, 0
	s_add_u32 s12, s12, s20
	s_addc_u32 s20, 0, s21
	v_add_co_u32 v1, s12, v1, s12
	s_delay_alu instid0(VALU_DEP_1) | instskip(SKIP_1) | instid1(VALU_DEP_1)
	s_cmp_lg_u32 s12, 0
	s_addc_u32 s9, s9, s20
	v_readfirstlane_b32 s12, v1
	s_mul_i32 s20, s18, s9
	s_delay_alu instid0(VALU_DEP_1)
	s_mul_hi_u32 s21, s18, s12
	s_mul_i32 s19, s19, s12
	s_add_i32 s20, s21, s20
	s_mul_i32 s18, s18, s12
	s_add_i32 s20, s20, s19
	s_mul_hi_u32 s21, s9, s18
	s_mul_i32 s22, s9, s18
	s_mul_hi_u32 s18, s12, s18
	s_mul_hi_u32 s23, s12, s20
	s_mul_i32 s12, s12, s20
	s_mul_hi_u32 s19, s9, s20
	s_add_u32 s12, s18, s12
	s_addc_u32 s18, 0, s23
	s_add_u32 s12, s12, s22
	s_mul_i32 s20, s9, s20
	s_addc_u32 s12, s18, s21
	s_addc_u32 s18, s19, 0
	s_add_u32 s12, s12, s20
	s_addc_u32 s18, 0, s18
	v_add_co_u32 v1, s12, v1, s12
	s_delay_alu instid0(VALU_DEP_1) | instskip(SKIP_1) | instid1(VALU_DEP_1)
	s_cmp_lg_u32 s12, 0
	s_addc_u32 s9, s9, s18
	v_readfirstlane_b32 s12, v1
	s_mul_i32 s19, s14, s9
	s_mul_hi_u32 s18, s14, s9
	s_mul_hi_u32 s20, s15, s9
	s_mul_i32 s9, s15, s9
	s_mul_hi_u32 s21, s14, s12
	s_mul_hi_u32 s22, s15, s12
	s_mul_i32 s12, s15, s12
	s_add_u32 s19, s21, s19
	s_addc_u32 s18, 0, s18
	s_add_u32 s12, s19, s12
	s_addc_u32 s12, s18, s22
	s_addc_u32 s18, s20, 0
	s_add_u32 s12, s12, s9
	s_addc_u32 s18, 0, s18
	s_mul_hi_u32 s9, s16, s12
	s_mul_i32 s20, s16, s18
	s_mul_i32 s21, s16, s12
	s_add_i32 s9, s9, s20
	v_sub_co_u32 v1, s20, s14, s21
	s_mul_i32 s19, s17, s12
	s_delay_alu instid0(SALU_CYCLE_1) | instskip(NEXT) | instid1(VALU_DEP_1)
	s_add_i32 s9, s9, s19
	v_sub_co_u32 v2, s21, v1, s16
	s_sub_i32 s19, s15, s9
	s_cmp_lg_u32 s20, 0
	s_subb_u32 s19, s19, s17
	s_cmp_lg_u32 s21, 0
	v_readfirstlane_b32 s21, v2
	s_subb_u32 s19, s19, 0
	s_delay_alu instid0(SALU_CYCLE_1) | instskip(SKIP_1) | instid1(VALU_DEP_1)
	s_cmp_ge_u32 s19, s17
	s_cselect_b32 s22, -1, 0
	s_cmp_ge_u32 s21, s16
	s_cselect_b32 s21, -1, 0
	s_cmp_eq_u32 s19, s17
	s_cselect_b32 s19, s21, s22
	s_add_u32 s21, s12, 1
	s_addc_u32 s22, s18, 0
	s_add_u32 s23, s12, 2
	s_addc_u32 s30, s18, 0
	s_cmp_lg_u32 s19, 0
	s_cselect_b32 s19, s23, s21
	s_cselect_b32 s21, s30, s22
	s_cmp_lg_u32 s20, 0
	v_readfirstlane_b32 s20, v1
	s_subb_u32 s9, s15, s9
	s_delay_alu instid0(SALU_CYCLE_1) | instskip(SKIP_1) | instid1(VALU_DEP_1)
	s_cmp_ge_u32 s9, s17
	s_cselect_b32 s22, -1, 0
	s_cmp_ge_u32 s20, s16
	s_cselect_b32 s20, -1, 0
	s_cmp_eq_u32 s9, s17
	s_cselect_b32 s9, s20, s22
	s_delay_alu instid0(SALU_CYCLE_1)
	s_cmp_lg_u32 s9, 0
	s_mov_b32 s9, 0
	s_cselect_b32 s35, s21, s18
	s_cselect_b32 s34, s19, s12
.LBB79_5:                               ;   in Loop: Header=BB79_3 Depth=1
	s_and_not1_b32 vcc_lo, exec_lo, s9
	s_cbranch_vccnz .LBB79_7
; %bb.6:                                ;   in Loop: Header=BB79_3 Depth=1
	v_cvt_f32_u32_e32 v1, s16
	s_sub_i32 s12, 0, s16
	s_mov_b32 s35, s8
	s_waitcnt_depctr 0xfff
	v_rcp_iflag_f32_e32 v1, v1
	s_waitcnt_depctr 0xfff
	v_mul_f32_e32 v1, 0x4f7ffffe, v1
	s_delay_alu instid0(VALU_DEP_1) | instskip(NEXT) | instid1(VALU_DEP_1)
	v_cvt_u32_f32_e32 v1, v1
	v_readfirstlane_b32 s9, v1
	s_delay_alu instid0(VALU_DEP_1) | instskip(NEXT) | instid1(SALU_CYCLE_1)
	s_mul_i32 s12, s12, s9
	s_mul_hi_u32 s12, s9, s12
	s_delay_alu instid0(SALU_CYCLE_1) | instskip(NEXT) | instid1(SALU_CYCLE_1)
	s_add_i32 s9, s9, s12
	s_mul_hi_u32 s9, s14, s9
	s_delay_alu instid0(SALU_CYCLE_1) | instskip(SKIP_2) | instid1(SALU_CYCLE_1)
	s_mul_i32 s12, s9, s16
	s_add_i32 s18, s9, 1
	s_sub_i32 s12, s14, s12
	s_sub_i32 s19, s12, s16
	s_cmp_ge_u32 s12, s16
	s_cselect_b32 s9, s18, s9
	s_cselect_b32 s12, s19, s12
	s_add_i32 s18, s9, 1
	s_cmp_ge_u32 s12, s16
	s_cselect_b32 s34, s18, s9
.LBB79_7:                               ;   in Loop: Header=BB79_3 Depth=1
	s_load_b64 s[18:19], s[10:11], 0xc8
	s_mul_i32 s9, s34, s17
	s_mul_hi_u32 s12, s34, s16
	s_mul_i32 s17, s35, s16
	s_add_i32 s9, s12, s9
	s_mul_i32 s12, s34, s16
	s_add_i32 s9, s9, s17
	s_sub_u32 s12, s14, s12
	s_subb_u32 s9, s15, s9
	s_waitcnt lgkmcnt(0)
	s_mul_i32 s9, s18, s9
	s_mul_hi_u32 s14, s18, s12
	s_mul_i32 s15, s19, s12
	s_add_i32 s9, s14, s9
	s_mul_i32 s12, s18, s12
	s_add_i32 s9, s9, s15
	s_add_u32 s26, s12, s26
	s_addc_u32 s27, s9, s27
	s_add_i32 s5, s5, -1
	s_add_u32 s10, s10, -8
	s_addc_u32 s11, s11, -1
	s_cmp_gt_u32 s5, 2
	s_cbranch_scc0 .LBB79_9
; %bb.8:                                ;   in Loop: Header=BB79_3 Depth=1
	s_mov_b64 s[14:15], s[34:35]
	s_branch .LBB79_3
.LBB79_9:
	s_clause 0x1
	s_load_b32 s5, s[0:1], 0x338
	s_load_b64 s[36:37], s[0:1], 0xd0
	s_add_u32 s8, s0, 0x1a0
	s_addc_u32 s9, s1, 0
	s_mov_b64 s[30:31], 0
	s_mov_b64 s[38:39], s[2:3]
	s_waitcnt lgkmcnt(0)
	s_cmp_lt_i32 s5, 2
	s_cbranch_scc1 .LBB79_17
; %bb.10:
	s_mov_b32 s10, 0
	s_add_i32 s14, s5, -1
	s_mov_b32 s15, s10
	s_add_i32 s5, s5, 1
	s_lshl_b64 s[14:15], s[14:15], 3
	s_mov_b64 s[16:17], s[2:3]
	s_add_u32 s11, s14, s8
	s_addc_u32 s12, s15, s9
	s_add_u32 s14, s11, 8
	s_addc_u32 s15, s12, 0
.LBB79_11:                              ; =>This Inner Loop Header: Depth=1
	s_load_b64 s[18:19], s[14:15], 0x0
                                        ; implicit-def: $sgpr38_sgpr39
	s_waitcnt lgkmcnt(0)
	s_or_b64 s[20:21], s[16:17], s[18:19]
	s_delay_alu instid0(SALU_CYCLE_1) | instskip(NEXT) | instid1(SALU_CYCLE_1)
	s_mov_b32 s11, s21
	s_cmp_lg_u64 s[10:11], 0
	s_mov_b32 s11, -1
	s_cbranch_scc0 .LBB79_13
; %bb.12:                               ;   in Loop: Header=BB79_11 Depth=1
	v_cvt_f32_u32_e32 v1, s18
	v_cvt_f32_u32_e32 v2, s19
	s_sub_u32 s20, 0, s18
	s_subb_u32 s21, 0, s19
	s_waitcnt_depctr 0xfff
	v_fmac_f32_e32 v1, 0x4f800000, v2
	s_delay_alu instid0(VALU_DEP_1) | instskip(SKIP_2) | instid1(VALU_DEP_1)
	v_rcp_f32_e32 v1, v1
	s_waitcnt_depctr 0xfff
	v_mul_f32_e32 v1, 0x5f7ffffc, v1
	v_mul_f32_e32 v2, 0x2f800000, v1
	s_delay_alu instid0(VALU_DEP_1) | instskip(NEXT) | instid1(VALU_DEP_1)
	v_trunc_f32_e32 v2, v2
	v_fmac_f32_e32 v1, 0xcf800000, v2
	v_cvt_u32_f32_e32 v2, v2
	s_delay_alu instid0(VALU_DEP_2) | instskip(NEXT) | instid1(VALU_DEP_2)
	v_cvt_u32_f32_e32 v1, v1
	v_readfirstlane_b32 s11, v2
	s_delay_alu instid0(VALU_DEP_2) | instskip(NEXT) | instid1(VALU_DEP_2)
	v_readfirstlane_b32 s12, v1
	s_mul_i32 s22, s20, s11
	s_delay_alu instid0(VALU_DEP_1)
	s_mul_hi_u32 s33, s20, s12
	s_mul_i32 s23, s21, s12
	s_add_i32 s22, s33, s22
	s_mul_i32 s38, s20, s12
	s_add_i32 s22, s22, s23
	s_mul_hi_u32 s33, s12, s38
	s_mul_hi_u32 s39, s11, s38
	s_mul_i32 s23, s11, s38
	s_mul_hi_u32 s38, s12, s22
	s_mul_i32 s12, s12, s22
	s_mul_hi_u32 s40, s11, s22
	s_add_u32 s12, s33, s12
	s_addc_u32 s33, 0, s38
	s_add_u32 s12, s12, s23
	s_mul_i32 s22, s11, s22
	s_addc_u32 s12, s33, s39
	s_addc_u32 s23, s40, 0
	s_add_u32 s12, s12, s22
	s_addc_u32 s22, 0, s23
	v_add_co_u32 v1, s12, v1, s12
	s_delay_alu instid0(VALU_DEP_1) | instskip(SKIP_1) | instid1(VALU_DEP_1)
	s_cmp_lg_u32 s12, 0
	s_addc_u32 s11, s11, s22
	v_readfirstlane_b32 s12, v1
	s_mul_i32 s22, s20, s11
	s_delay_alu instid0(VALU_DEP_1)
	s_mul_hi_u32 s23, s20, s12
	s_mul_i32 s21, s21, s12
	s_add_i32 s22, s23, s22
	s_mul_i32 s20, s20, s12
	s_add_i32 s22, s22, s21
	s_mul_hi_u32 s23, s11, s20
	s_mul_i32 s33, s11, s20
	s_mul_hi_u32 s20, s12, s20
	s_mul_hi_u32 s38, s12, s22
	s_mul_i32 s12, s12, s22
	s_mul_hi_u32 s21, s11, s22
	s_add_u32 s12, s20, s12
	s_addc_u32 s20, 0, s38
	s_add_u32 s12, s12, s33
	s_mul_i32 s22, s11, s22
	s_addc_u32 s12, s20, s23
	s_addc_u32 s20, s21, 0
	s_add_u32 s12, s12, s22
	s_addc_u32 s20, 0, s20
	v_add_co_u32 v1, s12, v1, s12
	s_delay_alu instid0(VALU_DEP_1) | instskip(SKIP_1) | instid1(VALU_DEP_1)
	s_cmp_lg_u32 s12, 0
	s_addc_u32 s11, s11, s20
	v_readfirstlane_b32 s12, v1
	s_mul_i32 s21, s16, s11
	s_mul_hi_u32 s20, s16, s11
	s_mul_hi_u32 s22, s17, s11
	s_mul_i32 s11, s17, s11
	s_mul_hi_u32 s23, s16, s12
	s_mul_hi_u32 s33, s17, s12
	s_mul_i32 s12, s17, s12
	s_add_u32 s21, s23, s21
	s_addc_u32 s20, 0, s20
	s_add_u32 s12, s21, s12
	s_addc_u32 s12, s20, s33
	s_addc_u32 s20, s22, 0
	s_add_u32 s12, s12, s11
	s_addc_u32 s20, 0, s20
	s_mul_hi_u32 s11, s18, s12
	s_mul_i32 s22, s18, s20
	s_mul_i32 s23, s18, s12
	s_add_i32 s11, s11, s22
	v_sub_co_u32 v1, s22, s16, s23
	s_mul_i32 s21, s19, s12
	s_delay_alu instid0(SALU_CYCLE_1) | instskip(NEXT) | instid1(VALU_DEP_1)
	s_add_i32 s11, s11, s21
	v_sub_co_u32 v2, s23, v1, s18
	s_sub_i32 s21, s17, s11
	s_cmp_lg_u32 s22, 0
	s_subb_u32 s21, s21, s19
	s_cmp_lg_u32 s23, 0
	v_readfirstlane_b32 s23, v2
	s_subb_u32 s21, s21, 0
	s_delay_alu instid0(SALU_CYCLE_1) | instskip(SKIP_1) | instid1(VALU_DEP_1)
	s_cmp_ge_u32 s21, s19
	s_cselect_b32 s33, -1, 0
	s_cmp_ge_u32 s23, s18
	s_cselect_b32 s23, -1, 0
	s_cmp_eq_u32 s21, s19
	s_cselect_b32 s21, s23, s33
	s_add_u32 s23, s12, 1
	s_addc_u32 s33, s20, 0
	s_add_u32 s38, s12, 2
	s_addc_u32 s39, s20, 0
	s_cmp_lg_u32 s21, 0
	s_cselect_b32 s21, s38, s23
	s_cselect_b32 s23, s39, s33
	s_cmp_lg_u32 s22, 0
	v_readfirstlane_b32 s22, v1
	s_subb_u32 s11, s17, s11
	s_delay_alu instid0(SALU_CYCLE_1) | instskip(SKIP_1) | instid1(VALU_DEP_1)
	s_cmp_ge_u32 s11, s19
	s_cselect_b32 s33, -1, 0
	s_cmp_ge_u32 s22, s18
	s_cselect_b32 s22, -1, 0
	s_cmp_eq_u32 s11, s19
	s_cselect_b32 s11, s22, s33
	s_delay_alu instid0(SALU_CYCLE_1)
	s_cmp_lg_u32 s11, 0
	s_mov_b32 s11, 0
	s_cselect_b32 s39, s23, s20
	s_cselect_b32 s38, s21, s12
.LBB79_13:                              ;   in Loop: Header=BB79_11 Depth=1
	s_and_not1_b32 vcc_lo, exec_lo, s11
	s_cbranch_vccnz .LBB79_15
; %bb.14:                               ;   in Loop: Header=BB79_11 Depth=1
	v_cvt_f32_u32_e32 v1, s18
	s_sub_i32 s12, 0, s18
	s_mov_b32 s39, s10
	s_waitcnt_depctr 0xfff
	v_rcp_iflag_f32_e32 v1, v1
	s_waitcnt_depctr 0xfff
	v_mul_f32_e32 v1, 0x4f7ffffe, v1
	s_delay_alu instid0(VALU_DEP_1) | instskip(NEXT) | instid1(VALU_DEP_1)
	v_cvt_u32_f32_e32 v1, v1
	v_readfirstlane_b32 s11, v1
	s_delay_alu instid0(VALU_DEP_1) | instskip(NEXT) | instid1(SALU_CYCLE_1)
	s_mul_i32 s12, s12, s11
	s_mul_hi_u32 s12, s11, s12
	s_delay_alu instid0(SALU_CYCLE_1) | instskip(NEXT) | instid1(SALU_CYCLE_1)
	s_add_i32 s11, s11, s12
	s_mul_hi_u32 s11, s16, s11
	s_delay_alu instid0(SALU_CYCLE_1) | instskip(SKIP_2) | instid1(SALU_CYCLE_1)
	s_mul_i32 s12, s11, s18
	s_add_i32 s20, s11, 1
	s_sub_i32 s12, s16, s12
	s_sub_i32 s21, s12, s18
	s_cmp_ge_u32 s12, s18
	s_cselect_b32 s11, s20, s11
	s_cselect_b32 s12, s21, s12
	s_add_i32 s20, s11, 1
	s_cmp_ge_u32 s12, s18
	s_cselect_b32 s38, s20, s11
.LBB79_15:                              ;   in Loop: Header=BB79_11 Depth=1
	s_load_b64 s[20:21], s[14:15], 0xc8
	s_mul_i32 s11, s38, s19
	s_mul_hi_u32 s12, s38, s18
	s_mul_i32 s19, s39, s18
	s_add_i32 s11, s12, s11
	s_mul_i32 s12, s38, s18
	s_add_i32 s11, s11, s19
	s_sub_u32 s12, s16, s12
	s_subb_u32 s11, s17, s11
	s_waitcnt lgkmcnt(0)
	s_mul_i32 s11, s20, s11
	s_mul_hi_u32 s16, s20, s12
	s_mul_i32 s17, s21, s12
	s_add_i32 s11, s16, s11
	s_mul_i32 s12, s20, s12
	s_add_i32 s11, s11, s17
	s_add_u32 s30, s12, s30
	s_addc_u32 s31, s11, s31
	s_add_i32 s5, s5, -1
	s_add_u32 s14, s14, -8
	s_addc_u32 s15, s15, -1
	s_cmp_gt_u32 s5, 2
	s_cbranch_scc0 .LBB79_17
; %bb.16:                               ;   in Loop: Header=BB79_11 Depth=1
	s_mov_b64 s[16:17], s[38:39]
	s_branch .LBB79_11
.LBB79_17:
	s_clause 0x1
	s_load_b32 s5, s[0:1], 0x4d8
	s_load_b64 s[40:41], s[8:9], 0xd0
	s_add_u32 s11, s0, 0x340
	s_addc_u32 s12, s1, 0
	s_mov_b64 s[8:9], 0
	s_waitcnt lgkmcnt(0)
	s_cmp_lt_i32 s5, 2
	s_cbranch_scc1 .LBB79_25
; %bb.18:
	s_mov_b32 s10, 0
	s_add_i32 s8, s5, -1
	s_mov_b32 s9, s10
	s_add_i32 s5, s5, 1
	s_lshl_b64 s[8:9], s[8:9], 3
	s_delay_alu instid0(SALU_CYCLE_1)
	s_add_u32 s8, s8, s11
	s_addc_u32 s9, s9, s12
	s_add_u32 s14, s8, 8
	s_addc_u32 s15, s9, 0
	s_mov_b64 s[8:9], 0
.LBB79_19:                              ; =>This Inner Loop Header: Depth=1
	s_load_b64 s[16:17], s[14:15], 0x0
	s_waitcnt lgkmcnt(0)
	s_or_b64 s[18:19], s[2:3], s[16:17]
	s_delay_alu instid0(SALU_CYCLE_1) | instskip(NEXT) | instid1(SALU_CYCLE_1)
	s_mov_b32 s11, s19
                                        ; implicit-def: $sgpr18_sgpr19
	s_cmp_lg_u64 s[10:11], 0
	s_mov_b32 s11, -1
	s_cbranch_scc0 .LBB79_21
; %bb.20:                               ;   in Loop: Header=BB79_19 Depth=1
	v_cvt_f32_u32_e32 v1, s16
	v_cvt_f32_u32_e32 v2, s17
	s_sub_u32 s18, 0, s16
	s_subb_u32 s19, 0, s17
	s_waitcnt_depctr 0xfff
	v_fmac_f32_e32 v1, 0x4f800000, v2
	s_delay_alu instid0(VALU_DEP_1) | instskip(SKIP_2) | instid1(VALU_DEP_1)
	v_rcp_f32_e32 v1, v1
	s_waitcnt_depctr 0xfff
	v_mul_f32_e32 v1, 0x5f7ffffc, v1
	v_mul_f32_e32 v2, 0x2f800000, v1
	s_delay_alu instid0(VALU_DEP_1) | instskip(NEXT) | instid1(VALU_DEP_1)
	v_trunc_f32_e32 v2, v2
	v_fmac_f32_e32 v1, 0xcf800000, v2
	v_cvt_u32_f32_e32 v2, v2
	s_delay_alu instid0(VALU_DEP_2) | instskip(NEXT) | instid1(VALU_DEP_2)
	v_cvt_u32_f32_e32 v1, v1
	v_readfirstlane_b32 s11, v2
	s_delay_alu instid0(VALU_DEP_2) | instskip(NEXT) | instid1(VALU_DEP_2)
	v_readfirstlane_b32 s12, v1
	s_mul_i32 s20, s18, s11
	s_delay_alu instid0(VALU_DEP_1)
	s_mul_hi_u32 s22, s18, s12
	s_mul_i32 s21, s19, s12
	s_add_i32 s20, s22, s20
	s_mul_i32 s23, s18, s12
	s_add_i32 s20, s20, s21
	s_mul_hi_u32 s22, s12, s23
	s_mul_hi_u32 s33, s11, s23
	s_mul_i32 s21, s11, s23
	s_mul_hi_u32 s23, s12, s20
	s_mul_i32 s12, s12, s20
	s_mul_hi_u32 s42, s11, s20
	s_add_u32 s12, s22, s12
	s_addc_u32 s22, 0, s23
	s_add_u32 s12, s12, s21
	s_mul_i32 s20, s11, s20
	s_addc_u32 s12, s22, s33
	s_addc_u32 s21, s42, 0
	s_add_u32 s12, s12, s20
	s_addc_u32 s20, 0, s21
	v_add_co_u32 v1, s12, v1, s12
	s_delay_alu instid0(VALU_DEP_1) | instskip(SKIP_1) | instid1(VALU_DEP_1)
	s_cmp_lg_u32 s12, 0
	s_addc_u32 s11, s11, s20
	v_readfirstlane_b32 s12, v1
	s_mul_i32 s20, s18, s11
	s_delay_alu instid0(VALU_DEP_1)
	s_mul_hi_u32 s21, s18, s12
	s_mul_i32 s19, s19, s12
	s_add_i32 s20, s21, s20
	s_mul_i32 s18, s18, s12
	s_add_i32 s20, s20, s19
	s_mul_hi_u32 s21, s11, s18
	s_mul_i32 s22, s11, s18
	s_mul_hi_u32 s18, s12, s18
	s_mul_hi_u32 s23, s12, s20
	s_mul_i32 s12, s12, s20
	s_mul_hi_u32 s19, s11, s20
	s_add_u32 s12, s18, s12
	s_addc_u32 s18, 0, s23
	s_add_u32 s12, s12, s22
	s_mul_i32 s20, s11, s20
	s_addc_u32 s12, s18, s21
	s_addc_u32 s18, s19, 0
	s_add_u32 s12, s12, s20
	s_addc_u32 s18, 0, s18
	v_add_co_u32 v1, s12, v1, s12
	s_delay_alu instid0(VALU_DEP_1) | instskip(SKIP_1) | instid1(VALU_DEP_1)
	s_cmp_lg_u32 s12, 0
	s_addc_u32 s11, s11, s18
	v_readfirstlane_b32 s12, v1
	s_mul_i32 s19, s2, s11
	s_mul_hi_u32 s18, s2, s11
	s_mul_hi_u32 s20, s3, s11
	s_mul_i32 s11, s3, s11
	s_mul_hi_u32 s21, s2, s12
	s_mul_hi_u32 s22, s3, s12
	s_mul_i32 s12, s3, s12
	s_add_u32 s19, s21, s19
	s_addc_u32 s18, 0, s18
	s_add_u32 s12, s19, s12
	s_addc_u32 s12, s18, s22
	s_addc_u32 s18, s20, 0
	s_add_u32 s12, s12, s11
	s_addc_u32 s18, 0, s18
	s_mul_hi_u32 s11, s16, s12
	s_mul_i32 s20, s16, s18
	s_mul_i32 s21, s16, s12
	s_add_i32 s11, s11, s20
	v_sub_co_u32 v1, s20, s2, s21
	s_mul_i32 s19, s17, s12
	s_delay_alu instid0(SALU_CYCLE_1) | instskip(NEXT) | instid1(VALU_DEP_1)
	s_add_i32 s11, s11, s19
	v_sub_co_u32 v2, s21, v1, s16
	s_sub_i32 s19, s3, s11
	s_cmp_lg_u32 s20, 0
	s_subb_u32 s19, s19, s17
	s_cmp_lg_u32 s21, 0
	v_readfirstlane_b32 s21, v2
	s_subb_u32 s19, s19, 0
	s_delay_alu instid0(SALU_CYCLE_1) | instskip(SKIP_1) | instid1(VALU_DEP_1)
	s_cmp_ge_u32 s19, s17
	s_cselect_b32 s22, -1, 0
	s_cmp_ge_u32 s21, s16
	s_cselect_b32 s21, -1, 0
	s_cmp_eq_u32 s19, s17
	s_cselect_b32 s19, s21, s22
	s_add_u32 s21, s12, 1
	s_addc_u32 s22, s18, 0
	s_add_u32 s23, s12, 2
	s_addc_u32 s33, s18, 0
	s_cmp_lg_u32 s19, 0
	s_cselect_b32 s21, s23, s21
	s_cselect_b32 s19, s33, s22
	s_cmp_lg_u32 s20, 0
	v_readfirstlane_b32 s20, v1
	s_subb_u32 s11, s3, s11
	s_delay_alu instid0(SALU_CYCLE_1) | instskip(SKIP_1) | instid1(VALU_DEP_1)
	s_cmp_ge_u32 s11, s17
	s_cselect_b32 s22, -1, 0
	s_cmp_ge_u32 s20, s16
	s_cselect_b32 s20, -1, 0
	s_cmp_eq_u32 s11, s17
	s_cselect_b32 s11, s20, s22
	s_delay_alu instid0(SALU_CYCLE_1)
	s_cmp_lg_u32 s11, 0
	s_mov_b32 s11, 0
	s_cselect_b32 s19, s19, s18
	s_cselect_b32 s18, s21, s12
.LBB79_21:                              ;   in Loop: Header=BB79_19 Depth=1
	s_and_not1_b32 vcc_lo, exec_lo, s11
	s_cbranch_vccnz .LBB79_23
; %bb.22:                               ;   in Loop: Header=BB79_19 Depth=1
	v_cvt_f32_u32_e32 v1, s16
	s_sub_i32 s12, 0, s16
	s_waitcnt_depctr 0xfff
	v_rcp_iflag_f32_e32 v1, v1
	s_waitcnt_depctr 0xfff
	v_mul_f32_e32 v1, 0x4f7ffffe, v1
	s_delay_alu instid0(VALU_DEP_1) | instskip(NEXT) | instid1(VALU_DEP_1)
	v_cvt_u32_f32_e32 v1, v1
	v_readfirstlane_b32 s11, v1
	s_delay_alu instid0(VALU_DEP_1) | instskip(NEXT) | instid1(SALU_CYCLE_1)
	s_mul_i32 s12, s12, s11
	s_mul_hi_u32 s12, s11, s12
	s_delay_alu instid0(SALU_CYCLE_1) | instskip(NEXT) | instid1(SALU_CYCLE_1)
	s_add_i32 s11, s11, s12
	s_mul_hi_u32 s11, s2, s11
	s_delay_alu instid0(SALU_CYCLE_1) | instskip(SKIP_2) | instid1(SALU_CYCLE_1)
	s_mul_i32 s12, s11, s16
	s_add_i32 s18, s11, 1
	s_sub_i32 s12, s2, s12
	s_sub_i32 s19, s12, s16
	s_cmp_ge_u32 s12, s16
	s_cselect_b32 s11, s18, s11
	s_cselect_b32 s12, s19, s12
	s_add_i32 s18, s11, 1
	s_cmp_ge_u32 s12, s16
	s_mov_b32 s19, s10
	s_cselect_b32 s18, s18, s11
.LBB79_23:                              ;   in Loop: Header=BB79_19 Depth=1
	s_load_b64 s[20:21], s[14:15], 0xc8
	s_mul_i32 s11, s18, s17
	s_mul_hi_u32 s12, s18, s16
	s_mul_i32 s17, s19, s16
	s_add_i32 s11, s12, s11
	s_mul_i32 s12, s18, s16
	s_add_i32 s11, s11, s17
	s_sub_u32 s2, s2, s12
	s_subb_u32 s3, s3, s11
	s_waitcnt lgkmcnt(0)
	s_mul_i32 s3, s20, s3
	s_mul_hi_u32 s11, s20, s2
	s_mul_i32 s12, s21, s2
	s_add_i32 s3, s11, s3
	s_mul_i32 s2, s20, s2
	s_add_i32 s3, s3, s12
	s_add_u32 s8, s2, s8
	s_addc_u32 s9, s3, s9
	s_add_i32 s5, s5, -1
	s_add_u32 s14, s14, -8
	s_addc_u32 s15, s15, -1
	s_cmp_gt_u32 s5, 2
	s_cbranch_scc0 .LBB79_26
; %bb.24:                               ;   in Loop: Header=BB79_19 Depth=1
	s_mov_b64 s[2:3], s[18:19]
	s_branch .LBB79_19
.LBB79_25:
	s_mov_b64 s[18:19], s[2:3]
.LBB79_26:
	v_cmp_eq_u32_e64 s2, 0, v0
	s_delay_alu instid0(VALU_DEP_1)
	s_and_saveexec_b32 s3, s2
	s_cbranch_execz .LBB79_28
; %bb.27:
	v_mov_b32_e32 v1, 0
	s_delay_alu instid0(VALU_DEP_1)
	v_mov_b32_e32 v2, v1
	ds_store_b64 v1, v[1:2] offset:5136
.LBB79_28:
	s_or_b32 exec_lo, exec_lo, s3
	v_mov_b32_e32 v1, 0
	s_waitcnt lgkmcnt(0)
	s_barrier
	buffer_gl0_inv
	s_barrier
	buffer_gl0_inv
	ds_load_b64 v[1:2], v1 offset:5136
	s_clause 0x2
	s_load_b32 s3, s[0:1], 0x4f8
	s_load_b64 s[14:15], s[0:1], 0x410
	s_load_b64 s[10:11], s[0:1], 0x340
	s_mov_b64 s[46:47], s[24:25]
	s_waitcnt lgkmcnt(0)
	v_readfirstlane_b32 s16, v1
	v_readfirstlane_b32 s17, v2
	s_bitcmp1_b32 s3, 0
	s_cselect_b32 s3, -1, 0
	s_delay_alu instid0(VALU_DEP_1) | instskip(NEXT) | instid1(VALU_DEP_1)
	v_cmp_lt_i64_e64 s5, s[16:17], 1
	s_or_b32 s3, s3, s5
	s_delay_alu instid0(SALU_CYCLE_1)
	s_and_not1_b32 vcc_lo, exec_lo, s3
	s_cbranch_vccnz .LBB79_30
; %bb.29:
	s_not_b64 s[16:17], s[16:17]
	s_delay_alu instid0(SALU_CYCLE_1) | instskip(SKIP_1) | instid1(SALU_CYCLE_1)
	s_add_u32 s16, s16, s24
	s_addc_u32 s17, s17, s25
	s_lshr_b64 s[16:17], s[16:17], 1
	s_delay_alu instid0(SALU_CYCLE_1)
	s_add_u32 s46, s16, 1
	s_addc_u32 s47, s17, 0
.LBB79_30:
	s_clause 0x1
	s_load_b64 s[44:45], s[0:1], 0x0
	s_load_b64 s[42:43], s[0:1], 0x1a0
	s_and_saveexec_b32 s0, s2
	s_cbranch_execz .LBB79_32
; %bb.31:
	v_dual_mov_b32 v1, 0 :: v_dual_mov_b32 v4, s25
	s_delay_alu instid0(VALU_DEP_1)
	v_dual_mov_b32 v3, s24 :: v_dual_mov_b32 v2, v1
	ds_store_b32 v1, v1 offset:5144
	ds_store_b128 v1, v[1:4] offset:5120
.LBB79_32:
	s_or_b32 exec_lo, exec_lo, s0
	v_mad_u64_u32 v[2:3], null, v0, s28, 0
	s_mul_i32 s0, s14, s19
	s_mul_hi_u32 s1, s14, s18
	s_mul_i32 s5, s14, s18
	s_waitcnt lgkmcnt(0)
	s_barrier
	buffer_gl0_inv
	s_load_b32 s14, s[6:7], 0xc
	v_dual_mov_b32 v11, 0 :: v_dual_lshlrev_b32 v16, 2, v0
	v_mad_u64_u32 v[4:5], null, v0, s29, v[3:4]
	v_mbcnt_lo_u32_b32 v31, -1, 0
	s_add_i32 s0, s1, s0
	s_delay_alu instid0(VALU_DEP_3)
	v_or_b32_e32 v9, 3, v16
	v_or_b32_e32 v10, 2, v16
	s_mul_i32 s1, s15, s18
	v_cmp_gt_u32_e32 vcc_lo, 32, v0
	s_add_i32 s12, s0, s1
	v_mad_u64_u32 v[18:19], null, s28, v9, 0
	v_mov_b32_e32 v3, v4
	v_lshrrev_b32_e32 v4, 3, v0
	v_mad_u64_u32 v[20:21], null, s28, v10, 0
	v_cmp_gt_i32_e64 s3, 4, v31
	s_add_u32 s0, s10, s5
	s_delay_alu instid0(VALU_DEP_3)
	v_dual_mov_b32 v1, v11 :: v_dual_and_b32 v32, 0x7c, v4
	v_lshlrev_b64 v[4:5], v31, -1
	s_addc_u32 s1, s11, s12
	s_add_u32 s48, s0, s8
	s_addc_u32 s49, s1, s9
	s_waitcnt lgkmcnt(0)
	s_and_b32 s33, s14, 0xffff
	v_mad_u64_u32 v[22:23], null, s28, v16, s[28:29]
	s_and_b32 s72, vcc_lo, s3
	s_bfe_u32 s15, s14, 0xb0005
	s_add_u32 s74, s33, -1
	s_addc_u32 s75, 0, -1
	v_not_b32_e32 v33, v4
	v_dual_mov_b32 v4, v19 :: v_dual_mov_b32 v5, v21
	s_delay_alu instid0(VALU_DEP_3)
	v_mov_b32_e32 v6, v23
	s_add_u32 s76, s74, s24
	s_addc_u32 s53, s75, s25
	s_cmp_lt_u32 s13, s4
	v_mad_u64_u32 v[7:8], null, s29, v9, v[4:5]
	s_cselect_b32 s4, 12, 18
	v_mad_u64_u32 v[8:9], null, s29, v10, v[5:6]
	s_add_u32 s54, s6, s4
	s_addc_u32 s55, s7, 0
	s_add_i32 s4, s15, -1
	s_bfe_u32 s78, s33, 0x30005
	s_cmp_gt_u32 s4, 6
	v_mad_u64_u32 v[4:5], null, s29, v16, v[6:7]
	s_cselect_b32 s79, -1, 0
	s_and_b32 s80, s15, 0x7f8
	s_cmp_lg_u32 s78, 0
	v_add_co_u32 v14, vcc_lo, s48, v2
	s_cselect_b32 s81, -1, 0
	s_add_u32 s4, s8, s5
	s_addc_u32 s5, s9, s12
	s_add_u32 s56, s10, s4
	v_add_co_ci_u32_e32 v15, vcc_lo, s49, v3, vcc_lo
	s_addc_u32 s57, s11, s5
	v_add_co_u32 v12, vcc_lo, s56, v2
	v_cmp_gt_u64_e64 s0, s[24:25], v[0:1]
	v_cmp_lt_u64_e64 s73, 0xc00, s[24:25]
	v_lshlrev_b64 v[23:24], 2, v[2:3]
	v_cmp_eq_u32_e64 s1, 0, v31
	v_cmp_gt_u32_e64 s3, 2, v0
	v_dual_mov_b32 v17, v11 :: v_dual_mov_b32 v34, v4
	v_cmp_gt_u16_e64 s77, s14, 31
	v_dual_mov_b32 v19, v7 :: v_dual_mov_b32 v36, 0
	v_mov_b32_e32 v21, v8
	v_lshl_or_b32 v35, v31, 3, 0xc00
	v_add_co_ci_u32_e32 v13, vcc_lo, s57, v3, vcc_lo
	s_mul_i32 s4, s29, s33
	s_mul_hi_u32 s5, s28, s33
	s_mov_b32 s51, 0
	s_mov_b32 s82, 6
	s_lshl_b64 s[58:59], s[28:29], 2
	s_add_i32 s70, s5, s4
	s_mul_i32 s71, s28, s33
	s_mov_b32 s83, 0
	s_mov_b32 s89, 0
	;; [unrolled: 1-line block ×4, first 2 shown]
                                        ; implicit-def: $sgpr84
                                        ; implicit-def: $sgpr86
                                        ; implicit-def: $sgpr85
                                        ; implicit-def: $sgpr88
                                        ; implicit-def: $sgpr90
                                        ; implicit-def: $sgpr87
	s_branch .LBB79_37
.LBB79_33:                              ;   in Loop: Header=BB79_37 Depth=1
	s_xor_b32 s89, s89, 1
	s_add_i32 s7, s82, -2
	s_cmp_eq_u32 s82, 0
	s_mov_b32 s5, 0
	s_cselect_b32 s6, -1, 0
	s_mov_b32 s82, s7
.LBB79_34:                              ;   in Loop: Header=BB79_37 Depth=1
	s_and_not1_b32 s7, s13, exec_lo
	s_and_b32 s5, s5, exec_lo
	s_and_not1_b32 s19, s19, exec_lo
	s_or_b32 s13, s7, s5
	s_and_not1_b32 s12, s12, exec_lo
	s_or_not1_b32 s15, s6, exec_lo
.LBB79_35:                              ;   in Loop: Header=BB79_37 Depth=1
	s_or_b32 exec_lo, exec_lo, s4
	s_delay_alu instid0(SALU_CYCLE_1)
	s_and_not1_b32 s4, s87, exec_lo
	s_and_b32 s5, s13, exec_lo
	s_and_not1_b32 s6, s88, exec_lo
	s_or_b32 s87, s4, s5
	s_and_not1_b32 s4, s90, exec_lo
	s_and_b32 s5, s19, exec_lo
	s_and_b32 s7, s12, exec_lo
	s_or_b32 s90, s4, s5
	s_or_b32 s88, s6, s7
	s_or_not1_b32 s19, s15, exec_lo
.LBB79_36:                              ;   in Loop: Header=BB79_37 Depth=1
	s_or_b32 exec_lo, exec_lo, s14
	s_delay_alu instid0(SALU_CYCLE_1)
	s_and_b32 s4, exec_lo, s19
	v_mov_b32_e32 v2, s91
	s_or_b32 s83, s4, s83
	s_and_not1_b32 s4, s85, exec_lo
	s_and_b32 s5, s87, exec_lo
	s_and_not1_b32 s6, s84, exec_lo
	s_or_b32 s85, s4, s5
	s_and_not1_b32 s4, s86, exec_lo
	s_and_b32 s5, s90, exec_lo
	s_and_b32 s7, s88, exec_lo
	s_or_b32 s86, s4, s5
	s_or_b32 s84, s6, s7
	s_and_not1_b32 exec_lo, exec_lo, s83
	s_cbranch_execz .LBB79_294
.LBB79_37:                              ; =>This Loop Header: Depth=1
                                        ;     Child Loop BB79_42 Depth 2
                                        ;     Child Loop BB79_60 Depth 2
	;; [unrolled: 1-line block ×16, first 2 shown]
	ds_load_b128 v[2:5], v11 offset:5120
	s_waitcnt lgkmcnt(0)
	v_readfirstlane_b32 s61, v3
	v_readfirstlane_b32 s60, v2
	s_delay_alu instid0(VALU_DEP_1)
	s_cmp_lg_u64 s[60:61], 0
	s_cbranch_scc1 .LBB79_67
; %bb.38:                               ;   in Loop: Header=BB79_37 Depth=1
	s_and_b32 vcc_lo, exec_lo, s73
	s_cbranch_vccz .LBB79_50
; %bb.39:                               ;   in Loop: Header=BB79_37 Depth=1
	v_cmp_gt_u64_e32 vcc_lo, 0xc01, v[4:5]
	s_mov_b32 s6, 0
	s_mov_b32 s4, 0
	s_cbranch_vccz .LBB79_51
; %bb.40:                               ;   in Loop: Header=BB79_37 Depth=1
	global_load_u16 v6, v11, s[54:55]
	global_load_u8 v7, v[14:15], off
	s_mov_b32 s8, 0
	s_waitcnt vmcnt(1)
	v_readfirstlane_b32 s4, v6
	v_and_b32_e32 v6, 0xffff, v6
	s_delay_alu instid0(VALU_DEP_2) | instskip(NEXT) | instid1(SALU_CYCLE_1)
	s_and_b32 s4, 0xffff, s4
	v_add_nc_u32_e32 v8, s4, v0
	s_mul_i32 s5, s29, s4
	s_mul_hi_u32 s7, s28, s4
	s_mul_i32 s9, s28, s4
	s_add_i32 s7, s7, s5
	v_mad_u64_u32 v[2:3], null, s28, v8, s[56:57]
	s_delay_alu instid0(VALU_DEP_1) | instskip(NEXT) | instid1(VALU_DEP_1)
	v_mad_u64_u32 v[4:5], null, s29, v8, v[3:4]
	v_mov_b32_e32 v3, v4
	v_dual_mov_b32 v5, v1 :: v_dual_mov_b32 v4, v0
	s_branch .LBB79_42
.LBB79_41:                              ;   in Loop: Header=BB79_42 Depth=2
	s_or_b32 exec_lo, exec_lo, s5
	v_add_co_u32 v2, vcc_lo, v2, s9
	v_add_co_ci_u32_e32 v3, vcc_lo, s7, v3, vcc_lo
	v_mov_b32_e32 v7, v8
	s_and_not1_b32 exec_lo, exec_lo, s8
	s_cbranch_execz .LBB79_52
.LBB79_42:                              ;   Parent Loop BB79_37 Depth=1
                                        ; =>  This Inner Loop Header: Depth=2
	s_delay_alu instid0(VALU_DEP_1) | instskip(NEXT) | instid1(VALU_DEP_2)
	v_add_co_u32 v4, vcc_lo, v4, v6
	v_add_co_ci_u32_e32 v5, vcc_lo, 0, v5, vcc_lo
	s_waitcnt lgkmcnt(0)
	v_dual_mov_b32 v9, 0 :: v_dual_mov_b32 v8, 0
	s_mov_b32 s5, exec_lo
	s_delay_alu instid0(VALU_DEP_2)
	v_cmp_le_u64_e32 vcc_lo, s[24:25], v[4:5]
	v_cmpx_gt_u64_e64 s[24:25], v[4:5]
	s_cbranch_execz .LBB79_44
; %bb.43:                               ;   in Loop: Header=BB79_42 Depth=2
	global_load_u8 v8, v[2:3], off
.LBB79_44:                              ;   in Loop: Header=BB79_42 Depth=2
	s_or_b32 exec_lo, exec_lo, s5
	s_waitcnt vmcnt(0)
	v_and_b32_e32 v10, s92, v7
	s_delay_alu instid0(VALU_DEP_1) | instskip(NEXT) | instid1(VALU_DEP_1)
	v_and_b32_e32 v10, 0xff, v10
	v_cmp_eq_u32_e64 s4, s91, v10
	s_delay_alu instid0(VALU_DEP_1) | instskip(SKIP_1) | instid1(SALU_CYCLE_1)
	s_cmp_lg_u32 s4, 0
	s_cselect_b32 s5, -1, 0
	s_and_b32 s5, s1, s5
	s_delay_alu instid0(SALU_CYCLE_1)
	s_and_saveexec_b32 s10, s5
	s_cbranch_execz .LBB79_48
; %bb.45:                               ;   in Loop: Header=BB79_42 Depth=2
	s_mov_b32 s13, exec_lo
	s_bcnt1_i32_b32 s11, s4
	v_mbcnt_lo_u32_b32 v9, s13, 0
	s_mov_b32 s12, exec_lo
                                        ; implicit-def: $vgpr10
	s_delay_alu instid0(VALU_DEP_1)
	v_cmpx_eq_u32_e32 0, v9
	s_cbranch_execz .LBB79_47
; %bb.46:                               ;   in Loop: Header=BB79_42 Depth=2
	s_bcnt1_i32_b32 s5, s13
	s_delay_alu instid0(SALU_CYCLE_1) | instskip(NEXT) | instid1(SALU_CYCLE_1)
	s_mul_i32 s5, s11, s5
	v_mov_b32_e32 v10, s5
	ds_add_rtn_u32 v10, v11, v10 offset:5144
.LBB79_47:                              ;   in Loop: Header=BB79_42 Depth=2
	s_or_b32 exec_lo, exec_lo, s12
	s_waitcnt lgkmcnt(0)
	v_readfirstlane_b32 s5, v10
	s_delay_alu instid0(VALU_DEP_1)
	v_mad_u32_u24 v9, s11, v9, s5
.LBB79_48:                              ;   in Loop: Header=BB79_42 Depth=2
	s_or_b32 exec_lo, exec_lo, s10
	ds_bpermute_b32 v9, v11, v9
	s_and_b32 s5, exec_lo, vcc_lo
	s_delay_alu instid0(SALU_CYCLE_1)
	s_or_b32 s8, s5, s8
	s_and_saveexec_b32 s5, s4
	s_cbranch_execz .LBB79_41
; %bb.49:                               ;   in Loop: Header=BB79_42 Depth=2
	v_and_b32_e32 v10, s4, v33
	s_waitcnt lgkmcnt(0)
	s_delay_alu instid0(VALU_DEP_1)
	v_bcnt_u32_b32 v9, v10, v9
	ds_store_b8 v9, v7
	s_branch .LBB79_41
.LBB79_50:                              ;   in Loop: Header=BB79_37 Depth=1
	s_mov_b32 s4, 0
                                        ; implicit-def: $sgpr60_sgpr61
	s_cbranch_execnz .LBB79_55
	s_branch .LBB79_65
.LBB79_51:                              ;   in Loop: Header=BB79_37 Depth=1
	s_mov_b64 s[60:61], 0
	s_and_b32 vcc_lo, exec_lo, s6
	s_cbranch_vccnz .LBB79_55
	s_branch .LBB79_65
.LBB79_52:                              ;   in Loop: Header=BB79_37 Depth=1
	s_or_b32 exec_lo, exec_lo, s8
	s_waitcnt lgkmcnt(0)
	s_barrier
	buffer_gl0_inv
	s_and_saveexec_b32 s4, s2
	s_cbranch_execz .LBB79_54
; %bb.53:                               ;   in Loop: Header=BB79_37 Depth=1
	ds_load_b32 v2, v11 offset:5144
	s_waitcnt lgkmcnt(0)
	v_ashrrev_i32_e32 v3, 31, v2
	ds_store_b64 v11, v[2:3] offset:5120
.LBB79_54:                              ;   in Loop: Header=BB79_37 Depth=1
	s_or_b32 exec_lo, exec_lo, s4
	s_waitcnt lgkmcnt(0)
	s_mov_b32 s4, -1
	s_barrier
	s_mov_b64 s[60:61], 0
	s_and_b32 vcc_lo, exec_lo, s6
	s_cbranch_vccz .LBB79_65
.LBB79_55:                              ;   in Loop: Header=BB79_37 Depth=1
	v_mov_b32_e32 v6, 0
	s_and_saveexec_b32 s4, s0
	s_cbranch_execz .LBB79_57
; %bb.56:                               ;   in Loop: Header=BB79_37 Depth=1
	global_load_u8 v6, v[14:15], off
.LBB79_57:                              ;   in Loop: Header=BB79_37 Depth=1
	s_or_b32 exec_lo, exec_lo, s4
	s_and_saveexec_b32 s5, s0
	s_cbranch_execz .LBB79_62
; %bb.58:                               ;   in Loop: Header=BB79_37 Depth=1
	global_load_u16 v8, v11, s[54:55]
	s_mov_b32 s9, 0
	s_waitcnt vmcnt(0)
	v_readfirstlane_b32 s4, v8
	v_and_b32_e32 v8, 0xffff, v8
	s_delay_alu instid0(VALU_DEP_2) | instskip(NEXT) | instid1(SALU_CYCLE_1)
	s_and_b32 s6, 0xffff, s4
	v_add_nc_u32_e32 v7, s6, v0
	s_mul_i32 s4, s29, s6
	s_mul_hi_u32 s7, s28, s6
	s_mul_i32 s8, s28, s6
	s_add_i32 s7, s7, s4
	v_mad_u64_u32 v[2:3], null, s28, v7, s[56:57]
	s_delay_alu instid0(VALU_DEP_1) | instskip(SKIP_1) | instid1(VALU_DEP_2)
	v_mad_u64_u32 v[4:5], null, s29, v7, v[3:4]
	v_mov_b32_e32 v7, v0
	v_mov_b32_e32 v3, v4
	v_dual_mov_b32 v5, v1 :: v_dual_mov_b32 v4, v0
	s_branch .LBB79_60
	.p2align	6
.LBB79_59:                              ;   in Loop: Header=BB79_60 Depth=2
	s_or_b32 exec_lo, exec_lo, s10
	s_delay_alu instid0(SALU_CYCLE_1)
	s_and_b32 s4, exec_lo, vcc_lo
	v_add_co_u32 v2, vcc_lo, v2, s8
	ds_store_b8 v7, v6
	s_waitcnt vmcnt(0)
	v_dual_mov_b32 v6, v9 :: v_dual_add_nc_u32 v7, s6, v7
	v_add_co_ci_u32_e32 v3, vcc_lo, s7, v3, vcc_lo
	s_or_b32 s9, s4, s9
	s_delay_alu instid0(SALU_CYCLE_1)
	s_and_not1_b32 exec_lo, exec_lo, s9
	s_cbranch_execz .LBB79_62
.LBB79_60:                              ;   Parent Loop BB79_37 Depth=1
                                        ; =>  This Inner Loop Header: Depth=2
	s_delay_alu instid0(VALU_DEP_1) | instskip(NEXT) | instid1(VALU_DEP_2)
	v_add_co_u32 v4, vcc_lo, v4, v8
	v_add_co_ci_u32_e32 v5, vcc_lo, 0, v5, vcc_lo
	v_mov_b32_e32 v9, 0
	s_mov_b32 s10, exec_lo
	s_delay_alu instid0(VALU_DEP_2)
	v_cmp_le_u64_e32 vcc_lo, s[24:25], v[4:5]
	v_cmpx_gt_u64_e64 s[24:25], v[4:5]
	s_cbranch_execz .LBB79_59
; %bb.61:                               ;   in Loop: Header=BB79_60 Depth=2
	global_load_u8 v9, v[2:3], off
	s_branch .LBB79_59
.LBB79_62:                              ;   in Loop: Header=BB79_37 Depth=1
	s_or_b32 exec_lo, exec_lo, s5
	s_waitcnt vmcnt(0) lgkmcnt(0)
	s_barrier
	buffer_gl0_inv
	s_and_saveexec_b32 s4, s2
	s_cbranch_execz .LBB79_64
; %bb.63:                               ;   in Loop: Header=BB79_37 Depth=1
	v_dual_mov_b32 v2, s24 :: v_dual_mov_b32 v3, s25
	ds_store_b64 v11, v[2:3] offset:5120
.LBB79_64:                              ;   in Loop: Header=BB79_37 Depth=1
	s_or_b32 exec_lo, exec_lo, s4
	s_mov_b32 s4, -1
	s_waitcnt lgkmcnt(0)
	s_barrier
                                        ; implicit-def: $sgpr60_sgpr61
.LBB79_65:                              ;   in Loop: Header=BB79_37 Depth=1
	s_and_b32 vcc_lo, exec_lo, s4
	s_cbranch_vccz .LBB79_67
; %bb.66:                               ;   in Loop: Header=BB79_37 Depth=1
	buffer_gl0_inv
	ds_load_b64 v[2:3], v11 offset:5120
	s_waitcnt lgkmcnt(0)
	v_readfirstlane_b32 s60, v2
.LBB79_67:                              ;   in Loop: Header=BB79_37 Depth=1
	s_delay_alu instid0(VALU_DEP_1)
	s_cmp_lt_i32 s60, 1
	s_cbranch_scc0 .LBB79_82
; %bb.68:                               ;   in Loop: Header=BB79_37 Depth=1
	global_load_u16 v4, v11, s[54:55]
	s_mov_b32 s5, s25
	s_waitcnt vmcnt(0)
	v_readfirstlane_b32 s4, v4
	s_delay_alu instid0(VALU_DEP_1)
	s_and_b32 s6, 0xffff, s4
	s_mov_b32 s4, s51
	s_lshl_b32 s50, s6, 2
	s_cmp_lg_u64 s[4:5], 0
	s_cbranch_scc0 .LBB79_102
; %bb.69:                               ;   in Loop: Header=BB79_37 Depth=1
	v_cvt_f32_u32_e32 v2, s50
	s_sub_u32 s6, 0, s50
	s_subb_u32 s7, 0, 0
	s_delay_alu instid0(VALU_DEP_1) | instskip(NEXT) | instid1(VALU_DEP_1)
	v_fmac_f32_e64 v2, 0, 0x4f800000
	v_rcp_f32_e32 v2, v2
	s_waitcnt_depctr 0xfff
	v_mul_f32_e32 v2, 0x5f7ffffc, v2
	s_delay_alu instid0(VALU_DEP_1) | instskip(NEXT) | instid1(VALU_DEP_1)
	v_mul_f32_e32 v3, 0x2f800000, v2
	v_trunc_f32_e32 v3, v3
	s_delay_alu instid0(VALU_DEP_1) | instskip(SKIP_1) | instid1(VALU_DEP_2)
	v_fmac_f32_e32 v2, 0xcf800000, v3
	v_cvt_u32_f32_e32 v3, v3
	v_cvt_u32_f32_e32 v2, v2
	s_delay_alu instid0(VALU_DEP_2) | instskip(NEXT) | instid1(VALU_DEP_2)
	v_readfirstlane_b32 s4, v3
	v_readfirstlane_b32 s5, v2
	s_delay_alu instid0(VALU_DEP_2) | instskip(NEXT) | instid1(VALU_DEP_1)
	s_mul_i32 s8, s6, s4
	s_mul_hi_u32 s10, s6, s5
	s_mul_i32 s9, s7, s5
	s_add_i32 s8, s10, s8
	s_mul_i32 s11, s6, s5
	s_add_i32 s8, s8, s9
	s_mul_hi_u32 s10, s5, s11
	s_mul_hi_u32 s12, s4, s11
	s_mul_i32 s9, s4, s11
	s_mul_hi_u32 s11, s5, s8
	s_mul_i32 s5, s5, s8
	s_mul_hi_u32 s13, s4, s8
	s_add_u32 s5, s10, s5
	s_addc_u32 s10, 0, s11
	s_add_u32 s5, s5, s9
	s_mul_i32 s8, s4, s8
	s_addc_u32 s5, s10, s12
	s_addc_u32 s9, s13, 0
	s_add_u32 s5, s5, s8
	s_addc_u32 s8, 0, s9
	v_add_co_u32 v2, s5, v2, s5
	s_delay_alu instid0(VALU_DEP_1) | instskip(SKIP_1) | instid1(VALU_DEP_1)
	s_cmp_lg_u32 s5, 0
	s_addc_u32 s4, s4, s8
	v_readfirstlane_b32 s5, v2
	s_mul_i32 s8, s6, s4
	s_delay_alu instid0(VALU_DEP_1)
	s_mul_hi_u32 s9, s6, s5
	s_mul_i32 s7, s7, s5
	s_add_i32 s8, s9, s8
	s_mul_i32 s6, s6, s5
	s_add_i32 s8, s8, s7
	s_mul_hi_u32 s9, s4, s6
	s_mul_i32 s10, s4, s6
	s_mul_hi_u32 s6, s5, s6
	s_mul_hi_u32 s11, s5, s8
	s_mul_i32 s5, s5, s8
	s_mul_hi_u32 s7, s4, s8
	s_add_u32 s5, s6, s5
	s_addc_u32 s6, 0, s11
	s_add_u32 s5, s5, s10
	s_mul_i32 s8, s4, s8
	s_addc_u32 s5, s6, s9
	s_addc_u32 s6, s7, 0
	s_add_u32 s5, s5, s8
	s_addc_u32 s6, 0, s6
	v_add_co_u32 v2, s5, v2, s5
	s_delay_alu instid0(VALU_DEP_1) | instskip(SKIP_1) | instid1(VALU_DEP_1)
	s_cmp_lg_u32 s5, 0
	s_addc_u32 s4, s4, s6
	v_readfirstlane_b32 s5, v2
	s_mul_i32 s7, s24, s4
	s_mul_hi_u32 s6, s24, s4
	s_mul_hi_u32 s8, s25, s4
	s_mul_i32 s4, s25, s4
	s_mul_hi_u32 s9, s24, s5
	s_mul_hi_u32 s10, s25, s5
	s_mul_i32 s5, s25, s5
	s_add_u32 s7, s9, s7
	s_addc_u32 s6, 0, s6
	s_add_u32 s5, s7, s5
	s_addc_u32 s5, s6, s10
	s_addc_u32 s6, s8, 0
	s_add_u32 s4, s5, s4
	s_addc_u32 s5, 0, s6
	s_mul_hi_u32 s6, s50, s4
	s_mul_i32 s4, s50, s4
	s_mul_i32 s5, s50, s5
	v_sub_co_u32 v2, s4, s24, s4
	s_add_i32 s6, s6, s5
	s_cmp_lg_u32 s4, 0
	s_delay_alu instid0(VALU_DEP_1) | instskip(SKIP_2) | instid1(VALU_DEP_1)
	v_sub_co_u32 v3, s4, v2, s50
	s_subb_u32 s5, s25, s6
	s_cmp_lg_u32 s4, 0
	v_cmp_le_u32_e32 vcc_lo, s50, v3
	v_sub_co_u32 v5, s4, v3, s50
	s_subb_u32 s6, s5, 0
	s_cmp_lg_u32 s4, 0
	v_cndmask_b32_e64 v6, 0, -1, vcc_lo
	s_subb_u32 s4, s6, 0
	s_cmp_eq_u32 s6, 0
	v_mov_b32_e32 v8, s4
	s_cselect_b32 vcc_lo, -1, 0
	s_cmp_eq_u32 s5, 0
	v_cndmask_b32_e32 v6, -1, v6, vcc_lo
	v_cmp_le_u32_e32 vcc_lo, s50, v2
	s_cselect_b32 s4, -1, 0
	v_cndmask_b32_e64 v7, 0, -1, vcc_lo
	s_delay_alu instid0(VALU_DEP_3) | instskip(NEXT) | instid1(VALU_DEP_2)
	v_cmp_ne_u32_e32 vcc_lo, 0, v6
	v_cndmask_b32_e64 v6, -1, v7, s4
	v_cndmask_b32_e32 v7, s6, v8, vcc_lo
	v_cndmask_b32_e32 v5, v3, v5, vcc_lo
	s_delay_alu instid0(VALU_DEP_3) | instskip(NEXT) | instid1(VALU_DEP_3)
	v_cmp_ne_u32_e32 vcc_lo, 0, v6
	v_cndmask_b32_e32 v3, s5, v7, vcc_lo
	s_delay_alu instid0(VALU_DEP_3)
	v_cndmask_b32_e32 v2, v2, v5, vcc_lo
	s_cbranch_execnz .LBB79_71
.LBB79_70:                              ;   in Loop: Header=BB79_37 Depth=1
	v_cvt_f32_u32_e32 v2, s50
	s_sub_i32 s4, 0, s50
	s_delay_alu instid0(VALU_DEP_1) | instskip(SKIP_2) | instid1(VALU_DEP_1)
	v_rcp_iflag_f32_e32 v2, v2
	s_waitcnt_depctr 0xfff
	v_mul_f32_e32 v2, 0x4f7ffffe, v2
	v_cvt_u32_f32_e32 v2, v2
	s_delay_alu instid0(VALU_DEP_1) | instskip(NEXT) | instid1(VALU_DEP_1)
	v_mul_lo_u32 v3, s4, v2
	v_mul_hi_u32 v3, v2, v3
	s_delay_alu instid0(VALU_DEP_1) | instskip(NEXT) | instid1(VALU_DEP_1)
	v_add_nc_u32_e32 v2, v2, v3
	v_mul_hi_u32 v2, s24, v2
	s_delay_alu instid0(VALU_DEP_1) | instskip(NEXT) | instid1(VALU_DEP_1)
	v_mul_lo_u32 v2, v2, s50
	v_sub_nc_u32_e32 v2, s24, v2
	s_delay_alu instid0(VALU_DEP_1) | instskip(SKIP_1) | instid1(VALU_DEP_2)
	v_subrev_nc_u32_e32 v3, s50, v2
	v_cmp_le_u32_e32 vcc_lo, s50, v2
	v_cndmask_b32_e32 v2, v2, v3, vcc_lo
	s_delay_alu instid0(VALU_DEP_1) | instskip(SKIP_1) | instid1(VALU_DEP_2)
	v_subrev_nc_u32_e32 v3, s50, v2
	v_cmp_le_u32_e32 vcc_lo, s50, v2
	v_cndmask_b32_e32 v10, v2, v3, vcc_lo
	s_delay_alu instid0(VALU_DEP_1)
	v_dual_mov_b32 v2, v10 :: v_dual_mov_b32 v3, v11
.LBB79_71:                              ;   in Loop: Header=BB79_37 Depth=1
	s_delay_alu instid0(VALU_DEP_1) | instskip(NEXT) | instid1(VALU_DEP_2)
	v_sub_co_u32 v25, vcc_lo, s24, v2
	v_sub_co_ci_u32_e32 v26, vcc_lo, s25, v3, vcc_lo
	v_mov_b32_e32 v2, 0
	v_dual_mov_b32 v3, 0 :: v_dual_and_b32 v10, 0xffff, v4
	s_mov_b64 s[62:63], 0
	s_mov_b32 s52, exec_lo
	s_delay_alu instid0(VALU_DEP_1)
	v_dual_mov_b32 v5, v3 :: v_dual_mov_b32 v4, v2
	v_dual_mov_b32 v7, v3 :: v_dual_mov_b32 v6, v2
	;; [unrolled: 1-line block ×3, first 2 shown]
	v_cmpx_gt_u64_e64 v[25:26], v[16:17]
	s_cbranch_execz .LBB79_75
; %bb.72:                               ;   in Loop: Header=BB79_37 Depth=1
	v_mul_lo_u32 v2, s59, v10
	v_mul_hi_u32 v3, s58, v10
	v_mul_lo_u32 v37, s58, v10
	v_dual_mov_b32 v30, v17 :: v_dual_mov_b32 v27, s48
	v_mov_b32_e32 v28, s49
	s_and_b32 s61, s82, 0xfe
	s_mov_b32 s93, 0
	s_delay_alu instid0(VALU_DEP_4)
	v_dual_mov_b32 v29, v16 :: v_dual_add_nc_u32 v38, v3, v2
	s_mov_b64 s[64:65], 0
	s_mov_b64 s[66:67], 0
	;; [unrolled: 1-line block ×3, first 2 shown]
.LBB79_73:                              ;   Parent Loop BB79_37 Depth=1
                                        ; =>  This Inner Loop Header: Depth=2
	v_add_co_u32 v2, vcc_lo, v27, v23
	v_add_co_ci_u32_e32 v3, vcc_lo, v28, v24, vcc_lo
	v_add_co_u32 v4, vcc_lo, v27, v22
	v_add_co_ci_u32_e32 v5, vcc_lo, v28, v34, vcc_lo
	;; [unrolled: 2-line block ×4, first 2 shown]
	s_clause 0x3
	global_load_u8 v2, v[2:3], off
	global_load_u8 v3, v[4:5], off
	;; [unrolled: 1-line block ×4, first 2 shown]
	v_add_co_u32 v29, vcc_lo, v29, s50
	v_add_co_ci_u32_e32 v30, vcc_lo, 0, v30, vcc_lo
	v_add_co_u32 v27, vcc_lo, v27, v37
	v_add_co_ci_u32_e32 v28, vcc_lo, v28, v38, vcc_lo
	s_delay_alu instid0(VALU_DEP_3)
	v_cmp_ge_u64_e32 vcc_lo, v[29:30], v[25:26]
	s_waitcnt vmcnt(3)
	v_and_b32_e32 v6, s92, v2
	v_bfe_u32 v2, v2, s61, 2
	s_waitcnt vmcnt(2)
	v_and_b32_e32 v7, s92, v3
	v_bfe_u32 v3, v3, s61, 2
	;; [unrolled: 3-line block ×3, first 2 shown]
	v_cmp_eq_u32_e64 s4, s91, v6
	v_cmp_eq_u32_e64 s8, 0, v2
	s_waitcnt vmcnt(0)
	v_and_b32_e32 v9, s92, v5
	v_bfe_u32 v5, v5, s61, 2
	v_cmp_eq_u32_e64 s5, s91, v7
	v_cmp_eq_u32_e64 s9, 0, v3
	;; [unrolled: 1-line block ×4, first 2 shown]
	s_and_b32 s8, s4, s8
	v_cmp_eq_u32_e64 s7, s91, v9
	v_cmp_eq_u32_e64 s11, 0, v5
	;; [unrolled: 1-line block ×5, first 2 shown]
	v_cndmask_b32_e64 v2, 0, 1, s8
	s_and_b32 s8, s5, s9
	v_cmp_eq_u32_e64 s13, 1, v3
	v_cmp_eq_u32_e64 s17, 2, v3
	v_cmp_eq_u32_e64 s21, 3, v3
	v_cndmask_b32_e64 v3, 0, 1, s8
	s_and_b32 s8, s6, s10
	v_cmp_eq_u32_e64 s14, 1, v4
	v_cmp_eq_u32_e64 s18, 2, v4
	v_cmp_eq_u32_e64 s22, 3, v4
	;; [unrolled: 5-line block ×3, first 2 shown]
	v_cndmask_b32_e64 v5, 0, 1, s8
	v_cmp_ne_u32_e64 s8, 0, v2
	v_cmp_ne_u32_e64 s9, 0, v3
	;; [unrolled: 1-line block ×3, first 2 shown]
	s_delay_alu instid0(VALU_DEP_4) | instskip(NEXT) | instid1(VALU_DEP_4)
	v_cmp_ne_u32_e64 s11, 0, v5
	s_bcnt1_i32_b32 s8, s8
	s_delay_alu instid0(VALU_DEP_3) | instskip(NEXT) | instid1(VALU_DEP_2)
	s_bcnt1_i32_b32 s9, s9
	s_bcnt1_i32_b32 s10, s10
	s_add_i32 s8, s9, s8
	s_bcnt1_i32_b32 s11, s11
	s_add_i32 s8, s8, s10
	s_delay_alu instid0(SALU_CYCLE_1) | instskip(NEXT) | instid1(SALU_CYCLE_1)
	s_add_i32 s8, s8, s11
	s_add_u32 s68, s68, s8
	s_addc_u32 s69, s69, 0
	s_and_b32 s8, s4, s12
	s_delay_alu instid0(SALU_CYCLE_1) | instskip(SKIP_1) | instid1(SALU_CYCLE_1)
	v_cndmask_b32_e64 v2, 0, 1, s8
	s_and_b32 s8, s5, s13
	v_cndmask_b32_e64 v3, 0, 1, s8
	s_and_b32 s8, s6, s14
	s_delay_alu instid0(SALU_CYCLE_1) | instskip(SKIP_1) | instid1(VALU_DEP_2)
	v_cndmask_b32_e64 v4, 0, 1, s8
	s_and_b32 s8, s7, s15
	v_cmp_ne_u32_e64 s9, 0, v3
	v_cndmask_b32_e64 v5, 0, 1, s8
	v_cmp_ne_u32_e64 s8, 0, v2
	v_cmp_ne_u32_e64 s10, 0, v4
	s_delay_alu instid0(VALU_DEP_4) | instskip(NEXT) | instid1(VALU_DEP_3)
	s_bcnt1_i32_b32 s9, s9
	v_cmp_ne_u32_e64 s11, 0, v5
	s_delay_alu instid0(VALU_DEP_3) | instskip(NEXT) | instid1(VALU_DEP_2)
	s_bcnt1_i32_b32 s8, s8
	s_bcnt1_i32_b32 s10, s10
	s_add_i32 s8, s9, s8
	s_delay_alu instid0(VALU_DEP_1) | instskip(SKIP_1) | instid1(SALU_CYCLE_1)
	s_bcnt1_i32_b32 s11, s11
	s_add_i32 s8, s8, s10
	s_add_i32 s8, s8, s11
	s_delay_alu instid0(SALU_CYCLE_1) | instskip(SKIP_2) | instid1(SALU_CYCLE_1)
	s_add_u32 s66, s66, s8
	s_addc_u32 s67, s67, 0
	s_and_b32 s8, s4, s16
	v_cndmask_b32_e64 v2, 0, 1, s8
	s_and_b32 s8, s5, s17
	s_delay_alu instid0(SALU_CYCLE_1) | instskip(SKIP_1) | instid1(SALU_CYCLE_1)
	v_cndmask_b32_e64 v3, 0, 1, s8
	s_and_b32 s8, s6, s18
	v_cndmask_b32_e64 v4, 0, 1, s8
	s_and_b32 s8, s7, s19
	s_delay_alu instid0(VALU_DEP_2) | instskip(SKIP_3) | instid1(VALU_DEP_4)
	v_cmp_ne_u32_e64 s9, 0, v3
	v_cndmask_b32_e64 v5, 0, 1, s8
	v_cmp_ne_u32_e64 s8, 0, v2
	v_cmp_ne_u32_e64 s10, 0, v4
	s_bcnt1_i32_b32 s9, s9
	s_delay_alu instid0(VALU_DEP_3) | instskip(NEXT) | instid1(VALU_DEP_3)
	v_cmp_ne_u32_e64 s11, 0, v5
	s_bcnt1_i32_b32 s8, s8
	s_delay_alu instid0(VALU_DEP_2) | instskip(SKIP_1) | instid1(VALU_DEP_1)
	s_bcnt1_i32_b32 s10, s10
	s_add_i32 s8, s9, s8
	s_bcnt1_i32_b32 s11, s11
	s_add_i32 s8, s8, s10
	s_delay_alu instid0(SALU_CYCLE_1) | instskip(NEXT) | instid1(SALU_CYCLE_1)
	s_add_i32 s8, s8, s11
	s_add_u32 s64, s64, s8
	s_addc_u32 s65, s65, 0
	s_and_b32 s4, s4, s20
	v_dual_mov_b32 v6, s64 :: v_dual_mov_b32 v7, s65
	v_cndmask_b32_e64 v2, 0, 1, s4
	s_and_b32 s4, s5, s21
	s_delay_alu instid0(SALU_CYCLE_1) | instskip(SKIP_1) | instid1(SALU_CYCLE_1)
	v_cndmask_b32_e64 v3, 0, 1, s4
	s_and_b32 s4, s6, s22
	v_cndmask_b32_e64 v4, 0, 1, s4
	s_and_b32 s4, s7, s23
	s_delay_alu instid0(VALU_DEP_2)
	v_cmp_ne_u32_e64 s5, 0, v3
	v_cndmask_b32_e64 v5, 0, 1, s4
	v_cmp_ne_u32_e64 s4, 0, v2
	v_cmp_ne_u32_e64 s6, 0, v4
	v_mov_b32_e32 v2, s68
	s_bcnt1_i32_b32 s5, s5
	v_cmp_ne_u32_e64 s7, 0, v5
	s_bcnt1_i32_b32 s4, s4
	s_bcnt1_i32_b32 s6, s6
	s_add_i32 s4, s5, s4
	v_mov_b32_e32 v4, s66
	s_bcnt1_i32_b32 s5, s7
	s_add_i32 s4, s4, s6
	v_mov_b32_e32 v3, s69
	s_add_i32 s4, s4, s5
	v_mov_b32_e32 v5, s67
	s_add_u32 s62, s62, s4
	s_addc_u32 s63, s63, 0
	s_delay_alu instid0(SALU_CYCLE_1) | instskip(SKIP_1) | instid1(SALU_CYCLE_1)
	v_dual_mov_b32 v8, s62 :: v_dual_mov_b32 v9, s63
	s_or_b32 s93, vcc_lo, s93
	s_and_not1_b32 exec_lo, exec_lo, s93
	s_cbranch_execnz .LBB79_73
; %bb.74:                               ;   in Loop: Header=BB79_37 Depth=1
	s_or_b32 exec_lo, exec_lo, s93
.LBB79_75:                              ;   in Loop: Header=BB79_37 Depth=1
	s_delay_alu instid0(SALU_CYCLE_1) | instskip(SKIP_3) | instid1(VALU_DEP_2)
	s_or_b32 exec_lo, exec_lo, s52
	v_add_co_u32 v25, vcc_lo, v25, v0
	v_add_co_ci_u32_e32 v26, vcc_lo, 0, v26, vcc_lo
	v_mov_b32_e32 v28, 0
	v_cmp_gt_u64_e32 vcc_lo, s[24:25], v[25:26]
	s_and_saveexec_b32 s4, vcc_lo
	s_cbranch_execz .LBB79_77
; %bb.76:                               ;   in Loop: Header=BB79_37 Depth=1
	v_mad_u64_u32 v[27:28], null, v25, s28, s[48:49]
	v_mul_lo_u32 v29, v25, s29
	v_mul_lo_u32 v30, v26, s28
	s_delay_alu instid0(VALU_DEP_1)
	v_add3_u32 v28, v30, v28, v29
	global_load_u8 v28, v[27:28], off
.LBB79_77:                              ;   in Loop: Header=BB79_37 Depth=1
	s_or_b32 exec_lo, exec_lo, s4
	s_and_saveexec_b32 s7, vcc_lo
	s_cbranch_execz .LBB79_84
; %bb.78:                               ;   in Loop: Header=BB79_37 Depth=1
	s_and_b32 s9, s82, 0xfe
	s_mov_b32 s8, 0
	s_branch .LBB79_80
.LBB79_79:                              ;   in Loop: Header=BB79_80 Depth=2
	s_or_b32 exec_lo, exec_lo, s5
	s_waitcnt vmcnt(0)
	v_and_b32_e32 v28, 0xff, v28
	s_and_b32 s6, exec_lo, vcc_lo
	s_delay_alu instid0(SALU_CYCLE_1) | instskip(NEXT) | instid1(VALU_DEP_1)
	s_or_b32 s8, s6, s8
	v_and_b32_e32 v29, s92, v28
	v_bfe_u32 v28, v28, s9, 2
	s_delay_alu instid0(VALU_DEP_2) | instskip(NEXT) | instid1(VALU_DEP_2)
	v_cmp_eq_u32_e64 s4, s91, v29
	v_cmp_eq_u32_e64 s5, 0, v28
	v_cmp_eq_u32_e32 vcc_lo, 1, v28
	v_cmp_eq_u32_e64 s6, 2, v28
	s_delay_alu instid0(VALU_DEP_3) | instskip(NEXT) | instid1(SALU_CYCLE_1)
	s_and_b32 s5, s4, s5
	v_cndmask_b32_e64 v29, 0, 1, s5
	s_and_b32 s5, s4, vcc_lo
	v_cmp_eq_u32_e32 vcc_lo, 3, v28
	v_cndmask_b32_e64 v30, 0, 1, s5
	s_and_b32 s5, s4, s6
	s_delay_alu instid0(SALU_CYCLE_1) | instskip(SKIP_1) | instid1(VALU_DEP_3)
	v_cndmask_b32_e64 v28, 0, 1, s5
	v_cmp_ne_u32_e64 s5, 0, v29
	v_cmp_ne_u32_e64 s6, 0, v30
	s_and_b32 s4, s4, vcc_lo
	s_delay_alu instid0(SALU_CYCLE_1) | instskip(NEXT) | instid1(VALU_DEP_3)
	v_cndmask_b32_e64 v29, 0, 1, s4
	s_bcnt1_i32_b32 s4, s5
	v_cmp_ne_u32_e32 vcc_lo, 0, v28
	v_mov_b32_e32 v28, v27
	v_add_co_u32 v2, s4, v2, s4
	s_bcnt1_i32_b32 s5, s6
	v_add_co_ci_u32_e64 v3, s4, 0, v3, s4
	v_add_co_u32 v4, s4, v4, s5
	s_delay_alu instid0(VALU_DEP_1) | instskip(SKIP_3) | instid1(VALU_DEP_1)
	v_add_co_ci_u32_e64 v5, s4, 0, v5, s4
	s_bcnt1_i32_b32 s4, vcc_lo
	v_cmp_ne_u32_e32 vcc_lo, 0, v29
	v_add_co_u32 v6, s4, v6, s4
	v_add_co_ci_u32_e64 v7, s4, 0, v7, s4
	s_bcnt1_i32_b32 s4, vcc_lo
	s_delay_alu instid0(SALU_CYCLE_1)
	v_add_co_u32 v8, vcc_lo, v8, s4
	v_add_co_ci_u32_e32 v9, vcc_lo, 0, v9, vcc_lo
	s_and_not1_b32 exec_lo, exec_lo, s8
	s_cbranch_execz .LBB79_83
.LBB79_80:                              ;   Parent Loop BB79_37 Depth=1
                                        ; =>  This Inner Loop Header: Depth=2
	v_add_co_u32 v25, vcc_lo, v25, v10
	v_add_co_ci_u32_e32 v26, vcc_lo, 0, v26, vcc_lo
	v_mov_b32_e32 v27, 0
	s_mov_b32 s5, exec_lo
	s_delay_alu instid0(VALU_DEP_2)
	v_cmp_le_u64_e32 vcc_lo, s[24:25], v[25:26]
	v_cmpx_gt_u64_e64 s[24:25], v[25:26]
	s_cbranch_execz .LBB79_79
; %bb.81:                               ;   in Loop: Header=BB79_80 Depth=2
	v_mad_u64_u32 v[29:30], null, v25, s28, s[48:49]
	v_mul_lo_u32 v27, v25, s29
	v_mul_lo_u32 v37, v26, s28
	s_delay_alu instid0(VALU_DEP_1)
	v_add3_u32 v30, v37, v30, v27
	global_load_u8 v27, v[29:30], off
	s_branch .LBB79_79
.LBB79_82:                              ;   in Loop: Header=BB79_37 Depth=1
                                        ; implicit-def: $vgpr8_vgpr9
                                        ; implicit-def: $vgpr4_vgpr5
	s_cbranch_execnz .LBB79_85
	s_branch .LBB79_94
.LBB79_83:                              ;   in Loop: Header=BB79_37 Depth=1
	s_or_b32 exec_lo, exec_lo, s8
.LBB79_84:                              ;   in Loop: Header=BB79_37 Depth=1
	s_delay_alu instid0(SALU_CYCLE_1)
	s_or_b32 exec_lo, exec_lo, s7
	s_branch .LBB79_94
.LBB79_85:                              ;   in Loop: Header=BB79_37 Depth=1
	global_load_u16 v10, v11, s[54:55]
	s_mov_b64 s[62:63], 0
	s_mov_b32 s61, exec_lo
	s_waitcnt vmcnt(0)
	v_readfirstlane_b32 s4, v10
	s_delay_alu instid0(VALU_DEP_1) | instskip(NEXT) | instid1(SALU_CYCLE_1)
	s_and_b32 s4, 0xffff, s4
	s_lshl_b32 s52, s4, 2
	s_delay_alu instid0(SALU_CYCLE_1) | instskip(SKIP_1) | instid1(VALU_DEP_1)
	v_cvt_f32_u32_e32 v2, s52
	s_sub_i32 s5, 0, s52
	v_rcp_iflag_f32_e32 v2, v2
	s_waitcnt_depctr 0xfff
	v_mul_f32_e32 v2, 0x4f7ffffe, v2
	s_delay_alu instid0(VALU_DEP_1) | instskip(NEXT) | instid1(VALU_DEP_1)
	v_cvt_u32_f32_e32 v2, v2
	v_readfirstlane_b32 s4, v2
	v_mov_b32_e32 v2, 0
	v_mov_b32_e32 v3, 0
	s_delay_alu instid0(VALU_DEP_3) | instskip(NEXT) | instid1(VALU_DEP_1)
	s_mul_i32 s5, s5, s4
	v_dual_mov_b32 v5, v3 :: v_dual_mov_b32 v4, v2
	s_mul_hi_u32 s5, s4, s5
	v_dual_mov_b32 v7, v3 :: v_dual_mov_b32 v6, v2
	s_add_i32 s4, s4, s5
	v_dual_mov_b32 v9, v3 :: v_dual_mov_b32 v8, v2
	s_mul_hi_u32 s4, s60, s4
	s_delay_alu instid0(SALU_CYCLE_1) | instskip(NEXT) | instid1(SALU_CYCLE_1)
	s_mul_i32 s4, s4, s52
	s_sub_i32 s4, s60, s4
	s_delay_alu instid0(SALU_CYCLE_1) | instskip(SKIP_2) | instid1(SALU_CYCLE_1)
	s_sub_i32 s5, s4, s52
	s_cmp_ge_u32 s4, s52
	s_cselect_b32 s4, s5, s4
	s_sub_i32 s5, s4, s52
	s_cmp_ge_u32 s4, s52
	s_cselect_b32 s4, s5, s4
	s_delay_alu instid0(SALU_CYCLE_1) | instskip(NEXT) | instid1(SALU_CYCLE_1)
	s_sub_i32 s50, s60, s4
	v_cmpx_gt_u32_e64 s50, v16
	s_cbranch_execz .LBB79_89
; %bb.86:                               ;   in Loop: Header=BB79_37 Depth=1
	v_dual_mov_b32 v27, v16 :: v_dual_mov_b32 v26, v17
	v_mov_b32_e32 v25, v16
	s_and_b32 s94, s82, 0xfe
	s_mov_b32 s93, 0
	s_mov_b64 s[64:65], 0
	s_mov_b64 s[66:67], 0
	;; [unrolled: 1-line block ×3, first 2 shown]
.LBB79_87:                              ;   Parent Loop BB79_37 Depth=1
                                        ; =>  This Inner Loop Header: Depth=2
	ds_load_b32 v2, v27
	v_add_co_u32 v25, vcc_lo, v25, s52
	v_add_co_ci_u32_e32 v26, vcc_lo, 0, v26, vcc_lo
	s_delay_alu instid0(VALU_DEP_1)
	v_cmp_le_u64_e32 vcc_lo, s[50:51], v[25:26]
	s_waitcnt lgkmcnt(0)
	v_and_b32_e32 v3, 0xff, v2
	v_bfe_u32 v4, v2, 8, 8
	v_bfe_u32 v5, v2, 16, 8
	v_lshrrev_b32_e32 v2, 24, v2
	s_delay_alu instid0(VALU_DEP_4)
	v_and_b32_e32 v6, s92, v3
	v_bfe_u32 v3, v3, s94, 2
	v_and_b32_e32 v7, s92, v4
	v_bfe_u32 v4, v4, s94, 2
	;; [unrolled: 2-line block ×3, first 2 shown]
	v_cmp_eq_u32_e64 s4, s91, v6
	v_cmp_eq_u32_e64 s8, 0, v3
	v_and_b32_e32 v9, s92, v2
	v_bfe_u32 v2, v2, s94, 2
	v_cmp_eq_u32_e64 s5, s91, v7
	v_cmp_eq_u32_e64 s9, 0, v4
	;; [unrolled: 1-line block ×4, first 2 shown]
	s_and_b32 s8, s4, s8
	v_cmp_eq_u32_e64 s7, s91, v9
	v_cmp_eq_u32_e64 s11, 0, v2
	;; [unrolled: 1-line block ×5, first 2 shown]
	v_cndmask_b32_e64 v2, 0, 1, s8
	s_and_b32 s8, s5, s9
	v_cmp_eq_u32_e64 s12, 1, v3
	v_cmp_eq_u32_e64 s16, 2, v3
	v_cmp_eq_u32_e64 s20, 3, v3
	v_cndmask_b32_e64 v3, 0, 1, s8
	s_and_b32 s8, s6, s10
	v_cmp_eq_u32_e64 s13, 1, v4
	v_cmp_eq_u32_e64 s17, 2, v4
	v_cmp_eq_u32_e64 s21, 3, v4
	;; [unrolled: 5-line block ×3, first 2 shown]
	v_cndmask_b32_e64 v5, 0, 1, s8
	v_cmp_ne_u32_e64 s8, 0, v2
	v_cmp_ne_u32_e64 s9, 0, v3
	;; [unrolled: 1-line block ×3, first 2 shown]
	s_delay_alu instid0(VALU_DEP_4) | instskip(NEXT) | instid1(VALU_DEP_4)
	v_cmp_ne_u32_e64 s11, 0, v5
	s_bcnt1_i32_b32 s8, s8
	s_delay_alu instid0(VALU_DEP_3) | instskip(NEXT) | instid1(VALU_DEP_2)
	s_bcnt1_i32_b32 s9, s9
	s_bcnt1_i32_b32 s10, s10
	s_add_i32 s8, s9, s8
	s_bcnt1_i32_b32 s11, s11
	s_add_i32 s8, s8, s10
	s_delay_alu instid0(SALU_CYCLE_1) | instskip(NEXT) | instid1(SALU_CYCLE_1)
	s_add_i32 s8, s8, s11
	s_add_u32 s68, s68, s8
	s_addc_u32 s69, s69, 0
	s_and_b32 s8, s4, s12
	v_add_nc_u32_e32 v27, s52, v27
	v_cndmask_b32_e64 v2, 0, 1, s8
	s_and_b32 s8, s5, s13
	s_delay_alu instid0(SALU_CYCLE_1) | instskip(SKIP_1) | instid1(SALU_CYCLE_1)
	v_cndmask_b32_e64 v3, 0, 1, s8
	s_and_b32 s8, s6, s14
	v_cndmask_b32_e64 v4, 0, 1, s8
	s_and_b32 s8, s7, s15
	s_delay_alu instid0(VALU_DEP_2) | instskip(SKIP_3) | instid1(VALU_DEP_4)
	v_cmp_ne_u32_e64 s9, 0, v3
	v_cndmask_b32_e64 v5, 0, 1, s8
	v_cmp_ne_u32_e64 s8, 0, v2
	v_cmp_ne_u32_e64 s10, 0, v4
	s_bcnt1_i32_b32 s9, s9
	s_delay_alu instid0(VALU_DEP_3) | instskip(NEXT) | instid1(VALU_DEP_3)
	v_cmp_ne_u32_e64 s11, 0, v5
	s_bcnt1_i32_b32 s8, s8
	s_delay_alu instid0(VALU_DEP_2) | instskip(SKIP_1) | instid1(VALU_DEP_1)
	s_bcnt1_i32_b32 s10, s10
	s_add_i32 s8, s9, s8
	s_bcnt1_i32_b32 s11, s11
	s_add_i32 s8, s8, s10
	s_delay_alu instid0(SALU_CYCLE_1) | instskip(NEXT) | instid1(SALU_CYCLE_1)
	s_add_i32 s8, s8, s11
	s_add_u32 s66, s66, s8
	s_addc_u32 s67, s67, 0
	s_and_b32 s8, s4, s16
	s_delay_alu instid0(SALU_CYCLE_1) | instskip(SKIP_1) | instid1(SALU_CYCLE_1)
	v_cndmask_b32_e64 v2, 0, 1, s8
	s_and_b32 s8, s5, s17
	v_cndmask_b32_e64 v3, 0, 1, s8
	s_and_b32 s8, s6, s18
	s_delay_alu instid0(SALU_CYCLE_1) | instskip(SKIP_1) | instid1(VALU_DEP_2)
	v_cndmask_b32_e64 v4, 0, 1, s8
	s_and_b32 s8, s7, s19
	v_cmp_ne_u32_e64 s9, 0, v3
	v_cndmask_b32_e64 v5, 0, 1, s8
	v_cmp_ne_u32_e64 s8, 0, v2
	v_cmp_ne_u32_e64 s10, 0, v4
	s_delay_alu instid0(VALU_DEP_4) | instskip(NEXT) | instid1(VALU_DEP_3)
	s_bcnt1_i32_b32 s9, s9
	v_cmp_ne_u32_e64 s11, 0, v5
	s_delay_alu instid0(VALU_DEP_3) | instskip(NEXT) | instid1(VALU_DEP_2)
	s_bcnt1_i32_b32 s8, s8
	s_bcnt1_i32_b32 s10, s10
	s_add_i32 s8, s9, s8
	s_delay_alu instid0(VALU_DEP_1) | instskip(SKIP_1) | instid1(SALU_CYCLE_1)
	s_bcnt1_i32_b32 s11, s11
	s_add_i32 s8, s8, s10
	s_add_i32 s8, s8, s11
	s_delay_alu instid0(SALU_CYCLE_1)
	s_add_u32 s64, s64, s8
	s_addc_u32 s65, s65, 0
	s_and_b32 s4, s4, s20
	v_mov_b32_e32 v6, s64
	v_cndmask_b32_e64 v2, 0, 1, s4
	s_and_b32 s4, s5, s21
	v_mov_b32_e32 v7, s65
	v_cndmask_b32_e64 v3, 0, 1, s4
	s_and_b32 s4, s6, s22
	s_delay_alu instid0(SALU_CYCLE_1) | instskip(SKIP_1) | instid1(VALU_DEP_2)
	v_cndmask_b32_e64 v4, 0, 1, s4
	s_and_b32 s4, s7, s23
	v_cmp_ne_u32_e64 s5, 0, v3
	v_cndmask_b32_e64 v5, 0, 1, s4
	v_cmp_ne_u32_e64 s4, 0, v2
	v_mov_b32_e32 v2, s68
	v_cmp_ne_u32_e64 s6, 0, v4
	s_bcnt1_i32_b32 s5, s5
	v_cmp_ne_u32_e64 s7, 0, v5
	s_bcnt1_i32_b32 s4, s4
	v_mov_b32_e32 v4, s66
	s_bcnt1_i32_b32 s6, s6
	s_add_i32 s4, s5, s4
	s_bcnt1_i32_b32 s5, s7
	s_add_i32 s4, s4, s6
	v_mov_b32_e32 v3, s69
	s_add_i32 s4, s4, s5
	v_mov_b32_e32 v5, s67
	s_add_u32 s62, s62, s4
	s_addc_u32 s63, s63, 0
	s_delay_alu instid0(SALU_CYCLE_1) | instskip(SKIP_1) | instid1(SALU_CYCLE_1)
	v_dual_mov_b32 v8, s62 :: v_dual_mov_b32 v9, s63
	s_or_b32 s93, vcc_lo, s93
	s_and_not1_b32 exec_lo, exec_lo, s93
	s_cbranch_execnz .LBB79_87
; %bb.88:                               ;   in Loop: Header=BB79_37 Depth=1
	s_or_b32 exec_lo, exec_lo, s93
.LBB79_89:                              ;   in Loop: Header=BB79_37 Depth=1
	s_delay_alu instid0(SALU_CYCLE_1) | instskip(SKIP_3) | instid1(VALU_DEP_1)
	s_or_b32 exec_lo, exec_lo, s61
	v_and_b32_e32 v27, 0xffff, v10
	v_add_nc_u32_e32 v10, s50, v0
	s_mov_b32 s9, exec_lo
	v_cmpx_gt_u32_e64 s60, v10
	s_cbranch_execz .LBB79_93
; %bb.90:                               ;   in Loop: Header=BB79_37 Depth=1
	v_mov_b32_e32 v26, v11
	v_dual_mov_b32 v25, v10 :: v_dual_add_nc_u32 v28, s50, v0
	s_mov_b32 s11, 0
	s_and_b32 s10, s60, 0x7fffffff
	s_and_b32 s13, s82, 0xfe
	s_mov_b32 s12, s11
.LBB79_91:                              ;   Parent Loop BB79_37 Depth=1
                                        ; =>  This Inner Loop Header: Depth=2
	ds_load_u8 v10, v28
	v_add_co_u32 v25, vcc_lo, v25, v27
	v_add_co_ci_u32_e32 v26, vcc_lo, 0, v26, vcc_lo
	v_add_nc_u32_e32 v28, v28, v27
	s_delay_alu instid0(VALU_DEP_2) | instskip(SKIP_3) | instid1(VALU_DEP_2)
	v_cmp_le_u64_e32 vcc_lo, s[10:11], v[25:26]
	s_waitcnt lgkmcnt(0)
	v_and_b32_e32 v29, s92, v10
	v_bfe_u32 v10, v10, s13, 2
	v_cmp_eq_u32_e64 s4, s91, v29
	s_delay_alu instid0(VALU_DEP_2) | instskip(SKIP_3) | instid1(VALU_DEP_4)
	v_cmp_eq_u32_e64 s5, 0, v10
	v_cmp_eq_u32_e64 s6, 1, v10
	;; [unrolled: 1-line block ×4, first 2 shown]
	s_and_b32 s5, s4, s5
	s_delay_alu instid0(SALU_CYCLE_1) | instskip(SKIP_1) | instid1(SALU_CYCLE_1)
	v_cndmask_b32_e64 v10, 0, 1, s5
	s_and_b32 s5, s4, s6
	v_cndmask_b32_e64 v29, 0, 1, s5
	s_and_b32 s5, s4, s7
	s_and_b32 s4, s4, s8
	v_cndmask_b32_e64 v30, 0, 1, s5
	v_cndmask_b32_e64 v37, 0, 1, s4
	v_cmp_ne_u32_e64 s4, 0, v10
	v_cmp_ne_u32_e64 s5, 0, v29
	s_delay_alu instid0(VALU_DEP_4) | instskip(NEXT) | instid1(VALU_DEP_4)
	v_cmp_ne_u32_e64 s6, 0, v30
	v_cmp_ne_u32_e64 s7, 0, v37
	s_delay_alu instid0(VALU_DEP_4) | instskip(NEXT) | instid1(VALU_DEP_3)
	s_bcnt1_i32_b32 s4, s4
	s_bcnt1_i32_b32 s5, s5
	v_add_co_u32 v2, s4, v2, s4
	s_delay_alu instid0(VALU_DEP_1)
	v_add_co_ci_u32_e64 v3, s4, 0, v3, s4
	v_add_co_u32 v4, s4, v4, s5
	s_bcnt1_i32_b32 s6, s6
	v_add_co_ci_u32_e64 v5, s4, 0, v5, s4
	v_add_co_u32 v6, s4, v6, s6
	s_bcnt1_i32_b32 s7, s7
	v_add_co_ci_u32_e64 v7, s4, 0, v7, s4
	v_add_co_u32 v8, s4, v8, s7
	s_delay_alu instid0(VALU_DEP_1) | instskip(SKIP_1) | instid1(SALU_CYCLE_1)
	v_add_co_ci_u32_e64 v9, s4, 0, v9, s4
	s_or_b32 s12, vcc_lo, s12
	s_and_not1_b32 exec_lo, exec_lo, s12
	s_cbranch_execnz .LBB79_91
; %bb.92:                               ;   in Loop: Header=BB79_37 Depth=1
	s_or_b32 exec_lo, exec_lo, s12
.LBB79_93:                              ;   in Loop: Header=BB79_37 Depth=1
	s_delay_alu instid0(SALU_CYCLE_1)
	s_or_b32 exec_lo, exec_lo, s9
.LBB79_94:                              ;   in Loop: Header=BB79_37 Depth=1
	s_lshl_b32 s4, s89, 7
	s_and_saveexec_b32 s5, s1
	s_cbranch_execz .LBB79_96
; %bb.95:                               ;   in Loop: Header=BB79_37 Depth=1
	v_or_b32_e32 v10, s4, v32
	s_delay_alu instid0(VALU_DEP_1)
	v_lshlrev_b32_e32 v10, 3, v10
	ds_store_b128 v10, v[2:5] offset:3072
	ds_store_b128 v10, v[6:9] offset:3088
.LBB79_96:                              ;   in Loop: Header=BB79_37 Depth=1
	s_or_b32 exec_lo, exec_lo, s5
	s_waitcnt vmcnt(0) lgkmcnt(0)
	s_barrier
	buffer_gl0_inv
	s_and_saveexec_b32 s5, s72
	s_cbranch_execz .LBB79_107
; %bb.97:                               ;   in Loop: Header=BB79_37 Depth=1
	v_mov_b32_e32 v2, 0
	v_mov_b32_e32 v3, 0
	s_and_not1_b32 vcc_lo, exec_lo, s77
	s_cbranch_vccnz .LBB79_106
; %bb.98:                               ;   in Loop: Header=BB79_37 Depth=1
	v_mov_b32_e32 v2, 0
	v_mov_b32_e32 v3, 0
	s_and_not1_b32 vcc_lo, exec_lo, s79
	s_cbranch_vccnz .LBB79_103
; %bb.99:                               ;   in Loop: Header=BB79_37 Depth=1
	v_lshl_add_u32 v4, s89, 10, v35
	s_mov_b32 s6, 0
	s_set_inst_prefetch_distance 0x1
	.p2align	6
.LBB79_100:                             ;   Parent Loop BB79_37 Depth=1
                                        ; =>  This Inner Loop Header: Depth=2
	ds_load_2addr_b64 v[5:8], v4 offset1:4
	ds_load_2addr_b64 v[25:28], v4 offset0:8 offset1:12
	ds_load_2addr_b64 v[37:40], v4 offset0:16 offset1:20
	s_add_i32 s6, s6, 8
	s_delay_alu instid0(SALU_CYCLE_1) | instskip(SKIP_3) | instid1(VALU_DEP_2)
	s_cmp_eq_u32 s80, s6
	s_waitcnt lgkmcnt(2)
	v_add_co_u32 v2, vcc_lo, v5, v2
	v_add_co_ci_u32_e32 v3, vcc_lo, v6, v3, vcc_lo
	v_add_co_u32 v2, vcc_lo, v7, v2
	s_delay_alu instid0(VALU_DEP_2)
	v_add_co_ci_u32_e32 v3, vcc_lo, v8, v3, vcc_lo
	ds_load_2addr_b64 v[5:8], v4 offset0:24 offset1:28
	s_waitcnt lgkmcnt(2)
	v_add_co_u32 v2, vcc_lo, v25, v2
	v_add_co_ci_u32_e32 v3, vcc_lo, v26, v3, vcc_lo
	v_add_nc_u32_e32 v4, 0x100, v4
	s_delay_alu instid0(VALU_DEP_3) | instskip(NEXT) | instid1(VALU_DEP_3)
	v_add_co_u32 v2, vcc_lo, v27, v2
	v_add_co_ci_u32_e32 v3, vcc_lo, v28, v3, vcc_lo
	s_waitcnt lgkmcnt(1)
	s_delay_alu instid0(VALU_DEP_2) | instskip(NEXT) | instid1(VALU_DEP_2)
	v_add_co_u32 v2, vcc_lo, v37, v2
	v_add_co_ci_u32_e32 v3, vcc_lo, v38, v3, vcc_lo
	s_delay_alu instid0(VALU_DEP_2) | instskip(NEXT) | instid1(VALU_DEP_2)
	v_add_co_u32 v2, vcc_lo, v39, v2
	v_add_co_ci_u32_e32 v3, vcc_lo, v40, v3, vcc_lo
	s_waitcnt lgkmcnt(0)
	s_delay_alu instid0(VALU_DEP_2) | instskip(NEXT) | instid1(VALU_DEP_2)
	v_add_co_u32 v2, vcc_lo, v5, v2
	v_add_co_ci_u32_e32 v3, vcc_lo, v6, v3, vcc_lo
	s_delay_alu instid0(VALU_DEP_2) | instskip(NEXT) | instid1(VALU_DEP_2)
	v_add_co_u32 v2, vcc_lo, v7, v2
	v_add_co_ci_u32_e32 v3, vcc_lo, v8, v3, vcc_lo
	s_cbranch_scc0 .LBB79_100
; %bb.101:                              ;   in Loop: Header=BB79_37 Depth=1
	s_set_inst_prefetch_distance 0x2
	s_mov_b32 s6, s80
	s_and_not1_b32 vcc_lo, exec_lo, s81
	s_cbranch_vccz .LBB79_104
	s_branch .LBB79_106
.LBB79_102:                             ;   in Loop: Header=BB79_37 Depth=1
                                        ; implicit-def: $vgpr2_vgpr3
	s_branch .LBB79_70
.LBB79_103:                             ;   in Loop: Header=BB79_37 Depth=1
	s_mov_b32 s6, 0
	s_and_not1_b32 vcc_lo, exec_lo, s81
	s_cbranch_vccnz .LBB79_106
.LBB79_104:                             ;   in Loop: Header=BB79_37 Depth=1
	s_lshl_b32 s7, s89, 10
	s_lshl_b32 s6, s6, 5
	s_delay_alu instid0(SALU_CYCLE_1)
	v_add3_u32 v4, s7, s6, v35
	s_mov_b32 s6, s78
.LBB79_105:                             ;   Parent Loop BB79_37 Depth=1
                                        ; =>  This Inner Loop Header: Depth=2
	ds_load_b64 v[5:6], v4
	v_add_nc_u32_e32 v4, 32, v4
	s_add_i32 s6, s6, -1
	s_delay_alu instid0(SALU_CYCLE_1)
	s_cmp_lg_u32 s6, 0
	s_waitcnt lgkmcnt(0)
	v_add_co_u32 v2, vcc_lo, v5, v2
	v_add_co_ci_u32_e32 v3, vcc_lo, v6, v3, vcc_lo
	s_cbranch_scc1 .LBB79_105
.LBB79_106:                             ;   in Loop: Header=BB79_37 Depth=1
	v_add_lshl_u32 v4, s4, v31, 3
	ds_store_b64 v4, v[2:3] offset:3072
.LBB79_107:                             ;   in Loop: Header=BB79_37 Depth=1
	s_or_b32 exec_lo, exec_lo, s5
	s_lshl_b32 s4, s4, 3
	s_waitcnt lgkmcnt(0)
	v_mov_b32_e32 v6, s4
	s_barrier
	buffer_gl0_inv
	s_and_b32 s17, s82, 0xfe
	s_mov_b32 s19, -1
	ds_load_b128 v[2:5], v6 offset:3072
	ds_load_b128 v[6:9], v6 offset:3088
	s_lshl_b32 s16, 3, s17
	s_delay_alu instid0(SALU_CYCLE_1)
	s_not_b32 s18, s16
	s_waitcnt lgkmcnt(1)
	v_readfirstlane_b32 s13, v3
	v_readfirstlane_b32 s12, v2
	;; [unrolled: 1-line block ×4, first 2 shown]
	s_waitcnt lgkmcnt(0)
	v_readfirstlane_b32 s8, v6
	v_readfirstlane_b32 s9, v7
	s_cmp_eq_u64 s[12:13], 1
	v_readfirstlane_b32 s6, v8
	s_cselect_b32 s4, -1, 0
	s_cmp_eq_u64 s[46:47], 1
	v_readfirstlane_b32 s7, v9
	s_cselect_b32 s5, -1, 0
	s_delay_alu instid0(SALU_CYCLE_1) | instskip(NEXT) | instid1(SALU_CYCLE_1)
	s_and_b32 s20, s4, s5
	s_and_b32 vcc_lo, exec_lo, s20
	s_cbranch_vccz .LBB79_121
; %bb.108:                              ;   in Loop: Header=BB79_37 Depth=1
	ds_load_b64 v[2:3], v11 offset:5120
	s_waitcnt lgkmcnt(0)
	s_barrier
	buffer_gl0_inv
	v_readfirstlane_b32 s14, v2
	v_readfirstlane_b32 s15, v3
	s_and_saveexec_b32 s4, s3
	s_cbranch_execz .LBB79_110
; %bb.109:                              ;   in Loop: Header=BB79_37 Depth=1
	ds_store_b8 v0, v11 offset:3072
.LBB79_110:                             ;   in Loop: Header=BB79_37 Depth=1
	s_or_b32 exec_lo, exec_lo, s4
	s_and_b32 s91, s91, s18
	s_or_b32 s92, s92, s16
	s_cmp_eq_u64 s[14:15], 0
	s_waitcnt lgkmcnt(0)
	s_barrier
	buffer_gl0_inv
	s_cbranch_scc1 .LBB79_122
; %bb.111:                              ;   in Loop: Header=BB79_37 Depth=1
	s_add_u32 s21, s74, s14
	s_addc_u32 s5, s75, s15
	s_mov_b32 s4, s51
	s_delay_alu instid0(SALU_CYCLE_1)
	s_cmp_lg_u64 s[4:5], 0
	s_cbranch_scc0 .LBB79_165
; %bb.112:                              ;   in Loop: Header=BB79_37 Depth=1
	v_cvt_f32_u32_e32 v2, s33
	s_sub_u32 s23, 0, s33
	s_subb_u32 s50, 0, 0
	s_delay_alu instid0(VALU_DEP_1) | instskip(NEXT) | instid1(VALU_DEP_1)
	v_fmac_f32_e64 v2, 0, 0x4f800000
	v_rcp_f32_e32 v2, v2
	s_waitcnt_depctr 0xfff
	v_mul_f32_e32 v2, 0x5f7ffffc, v2
	s_delay_alu instid0(VALU_DEP_1) | instskip(NEXT) | instid1(VALU_DEP_1)
	v_mul_f32_e32 v3, 0x2f800000, v2
	v_trunc_f32_e32 v3, v3
	s_delay_alu instid0(VALU_DEP_1) | instskip(SKIP_1) | instid1(VALU_DEP_2)
	v_fmac_f32_e32 v2, 0xcf800000, v3
	v_cvt_u32_f32_e32 v3, v3
	v_cvt_u32_f32_e32 v2, v2
	s_delay_alu instid0(VALU_DEP_2) | instskip(NEXT) | instid1(VALU_DEP_2)
	v_readfirstlane_b32 s4, v3
	v_readfirstlane_b32 s22, v2
	s_delay_alu instid0(VALU_DEP_2) | instskip(NEXT) | instid1(VALU_DEP_1)
	s_mul_i32 s52, s23, s4
	s_mul_hi_u32 s61, s23, s22
	s_mul_i32 s60, s50, s22
	s_add_i32 s52, s61, s52
	s_mul_i32 s62, s23, s22
	s_add_i32 s52, s52, s60
	s_mul_hi_u32 s61, s22, s62
	s_mul_hi_u32 s63, s4, s62
	s_mul_i32 s60, s4, s62
	s_mul_hi_u32 s62, s22, s52
	s_mul_i32 s22, s22, s52
	s_mul_hi_u32 s64, s4, s52
	s_add_u32 s22, s61, s22
	s_addc_u32 s61, 0, s62
	s_add_u32 s22, s22, s60
	s_mul_i32 s52, s4, s52
	s_addc_u32 s22, s61, s63
	s_addc_u32 s60, s64, 0
	s_add_u32 s22, s22, s52
	s_addc_u32 s52, 0, s60
	v_add_co_u32 v2, s22, v2, s22
	s_delay_alu instid0(VALU_DEP_1) | instskip(SKIP_1) | instid1(VALU_DEP_1)
	s_cmp_lg_u32 s22, 0
	s_addc_u32 s4, s4, s52
	v_readfirstlane_b32 s22, v2
	s_mul_i32 s52, s23, s4
	s_delay_alu instid0(VALU_DEP_1)
	s_mul_hi_u32 s60, s23, s22
	s_mul_i32 s50, s50, s22
	s_add_i32 s52, s60, s52
	s_mul_i32 s23, s23, s22
	s_add_i32 s52, s52, s50
	s_mul_hi_u32 s60, s4, s23
	s_mul_i32 s61, s4, s23
	s_mul_hi_u32 s23, s22, s23
	s_mul_hi_u32 s62, s22, s52
	s_mul_i32 s22, s22, s52
	s_mul_hi_u32 s50, s4, s52
	s_add_u32 s22, s23, s22
	s_addc_u32 s23, 0, s62
	s_add_u32 s22, s22, s61
	s_mul_i32 s52, s4, s52
	s_addc_u32 s22, s23, s60
	s_addc_u32 s23, s50, 0
	s_add_u32 s22, s22, s52
	s_addc_u32 s23, 0, s23
	v_add_co_u32 v2, s22, v2, s22
	s_delay_alu instid0(VALU_DEP_1) | instskip(SKIP_1) | instid1(VALU_DEP_1)
	s_cmp_lg_u32 s22, 0
	s_addc_u32 s4, s4, s23
	v_readfirstlane_b32 s22, v2
	s_mul_i32 s50, s21, s4
	s_mul_hi_u32 s23, s21, s4
	s_mul_hi_u32 s52, s5, s4
	s_mul_i32 s4, s5, s4
	s_mul_hi_u32 s60, s21, s22
	s_mul_hi_u32 s61, s5, s22
	s_mul_i32 s22, s5, s22
	s_add_u32 s50, s60, s50
	s_addc_u32 s23, 0, s23
	s_add_u32 s22, s50, s22
	s_addc_u32 s22, s23, s61
	s_addc_u32 s23, s52, 0
	s_add_u32 s4, s22, s4
	s_addc_u32 s22, 0, s23
	s_mul_hi_u32 s23, s33, s4
	s_mul_i32 s4, s33, s4
	s_mul_i32 s22, s33, s22
	v_sub_co_u32 v2, s4, s21, s4
	s_add_i32 s23, s23, s22
	s_cmp_lg_u32 s4, 0
	s_delay_alu instid0(VALU_DEP_1) | instskip(SKIP_2) | instid1(VALU_DEP_1)
	v_sub_co_u32 v3, s4, v2, s33
	s_subb_u32 s22, s5, s23
	s_cmp_lg_u32 s4, 0
	v_cmp_le_u32_e32 vcc_lo, s33, v3
	v_sub_co_u32 v4, s4, v3, s33
	s_subb_u32 s23, s22, 0
	s_cmp_lg_u32 s4, 0
	v_cndmask_b32_e64 v5, 0, -1, vcc_lo
	s_subb_u32 s4, s23, 0
	s_cmp_eq_u32 s23, 0
	v_mov_b32_e32 v7, s4
	s_cselect_b32 vcc_lo, -1, 0
	s_cmp_eq_u32 s22, 0
	v_cndmask_b32_e32 v5, -1, v5, vcc_lo
	v_cmp_le_u32_e32 vcc_lo, s33, v2
	s_cselect_b32 s4, -1, 0
	v_cndmask_b32_e64 v6, 0, -1, vcc_lo
	s_delay_alu instid0(VALU_DEP_3) | instskip(NEXT) | instid1(VALU_DEP_2)
	v_cmp_ne_u32_e32 vcc_lo, 0, v5
	v_cndmask_b32_e64 v5, -1, v6, s4
	v_cndmask_b32_e32 v6, s23, v7, vcc_lo
	v_cndmask_b32_e32 v4, v3, v4, vcc_lo
	s_delay_alu instid0(VALU_DEP_3) | instskip(NEXT) | instid1(VALU_DEP_3)
	v_cmp_ne_u32_e32 vcc_lo, 0, v5
	v_cndmask_b32_e32 v3, s22, v6, vcc_lo
	s_delay_alu instid0(VALU_DEP_3)
	v_cndmask_b32_e32 v2, v2, v4, vcc_lo
	s_cbranch_execnz .LBB79_114
.LBB79_113:                             ;   in Loop: Header=BB79_37 Depth=1
	v_cvt_f32_u32_e32 v2, s33
	s_sub_i32 s4, 0, s33
	s_delay_alu instid0(VALU_DEP_1) | instskip(SKIP_2) | instid1(VALU_DEP_1)
	v_rcp_iflag_f32_e32 v2, v2
	s_waitcnt_depctr 0xfff
	v_mul_f32_e32 v2, 0x4f7ffffe, v2
	v_cvt_u32_f32_e32 v2, v2
	s_delay_alu instid0(VALU_DEP_1) | instskip(NEXT) | instid1(VALU_DEP_1)
	v_mul_lo_u32 v3, s4, v2
	v_mul_hi_u32 v3, v2, v3
	s_delay_alu instid0(VALU_DEP_1) | instskip(NEXT) | instid1(VALU_DEP_1)
	v_add_nc_u32_e32 v2, v2, v3
	v_mul_hi_u32 v2, s21, v2
	s_delay_alu instid0(VALU_DEP_1) | instskip(NEXT) | instid1(VALU_DEP_1)
	v_mul_lo_u32 v2, v2, s33
	v_sub_nc_u32_e32 v2, s21, v2
	s_delay_alu instid0(VALU_DEP_1) | instskip(SKIP_1) | instid1(VALU_DEP_2)
	v_subrev_nc_u32_e32 v3, s33, v2
	v_cmp_le_u32_e32 vcc_lo, s33, v2
	v_cndmask_b32_e32 v2, v2, v3, vcc_lo
	s_delay_alu instid0(VALU_DEP_1) | instskip(SKIP_1) | instid1(VALU_DEP_2)
	v_subrev_nc_u32_e32 v3, s33, v2
	v_cmp_le_u32_e32 vcc_lo, s33, v2
	v_cndmask_b32_e32 v10, v2, v3, vcc_lo
	s_delay_alu instid0(VALU_DEP_1)
	v_dual_mov_b32 v2, v10 :: v_dual_mov_b32 v3, v11
.LBB79_114:                             ;   in Loop: Header=BB79_37 Depth=1
	s_delay_alu instid0(VALU_DEP_1) | instskip(NEXT) | instid1(VALU_DEP_2)
	v_sub_co_u32 v2, vcc_lo, s21, v2
	v_sub_co_ci_u32_e32 v3, vcc_lo, s5, v3, vcc_lo
	s_mov_b32 s4, 0
	s_mov_b32 s5, exec_lo
                                        ; implicit-def: $vgpr36
	s_delay_alu instid0(VALU_DEP_1)
	v_cmpx_gt_u64_e64 v[2:3], v[0:1]
	s_cbranch_execz .LBB79_124
; %bb.115:                              ;   in Loop: Header=BB79_37 Depth=1
	v_dual_mov_b32 v6, v0 :: v_dual_mov_b32 v5, v1
	v_mov_b32_e32 v4, v0
	s_mov_b32 s21, 0
                                        ; implicit-def: $sgpr22
	s_set_inst_prefetch_distance 0x1
	s_branch .LBB79_117
	.p2align	6
.LBB79_116:                             ;   in Loop: Header=BB79_117 Depth=2
	s_or_b32 exec_lo, exec_lo, s4
	s_waitcnt lgkmcnt(0)
	s_barrier
	buffer_gl0_inv
	ds_load_u16 v7, v11 offset:3072
	v_add_co_u32 v4, vcc_lo, v4, s33
	v_add_co_ci_u32_e32 v5, vcc_lo, 0, v5, vcc_lo
	v_add_nc_u32_e32 v6, s33, v6
	s_waitcnt lgkmcnt(0)
	s_barrier
	s_delay_alu instid0(VALU_DEP_2) | instskip(SKIP_2) | instid1(VALU_DEP_1)
	v_cmp_ge_u64_e32 vcc_lo, v[4:5], v[2:3]
	buffer_gl0_inv
	v_and_b32_e32 v8, 0xff, v7
	v_cmp_ne_u16_e64 s4, 0, v8
	s_delay_alu instid0(VALU_DEP_1) | instskip(NEXT) | instid1(SALU_CYCLE_1)
	s_or_b32 s23, vcc_lo, s4
	s_and_b32 s23, exec_lo, s23
	s_delay_alu instid0(SALU_CYCLE_1) | instskip(SKIP_2) | instid1(SALU_CYCLE_1)
	s_or_b32 s21, s23, s21
	s_and_not1_b32 s22, s22, exec_lo
	s_and_b32 s4, s4, exec_lo
	s_or_b32 s22, s22, s4
	s_and_not1_b32 exec_lo, exec_lo, s21
	s_cbranch_execz .LBB79_123
.LBB79_117:                             ;   Parent Loop BB79_37 Depth=1
                                        ; =>  This Inner Loop Header: Depth=2
	s_delay_alu instid0(VALU_DEP_1)
	v_cmp_gt_u64_e32 vcc_lo, s[14:15], v[4:5]
	v_mov_b32_e32 v7, 0
	s_and_saveexec_b32 s4, vcc_lo
	s_cbranch_execz .LBB79_119
; %bb.118:                              ;   in Loop: Header=BB79_117 Depth=2
	ds_load_u8 v7, v6
.LBB79_119:                             ;   in Loop: Header=BB79_117 Depth=2
	s_or_b32 exec_lo, exec_lo, s4
	s_waitcnt lgkmcnt(0)
	v_and_b32_e32 v8, s92, v7
	s_delay_alu instid0(VALU_DEP_1) | instskip(NEXT) | instid1(VALU_DEP_1)
	v_and_b32_e32 v8, 0xff, v8
	v_cmp_eq_u32_e64 s4, s91, v8
	s_delay_alu instid0(VALU_DEP_1) | instskip(NEXT) | instid1(SALU_CYCLE_1)
	s_and_b32 s23, vcc_lo, s4
	s_and_saveexec_b32 s4, s23
	s_cbranch_execz .LBB79_116
; %bb.120:                              ;   in Loop: Header=BB79_117 Depth=2
	v_lshlrev_b16 v7, 8, v7
	s_delay_alu instid0(VALU_DEP_1)
	v_or_b32_e32 v7, 1, v7
	ds_store_b16 v11, v7 offset:3072
	s_branch .LBB79_116
.LBB79_121:                             ;   in Loop: Header=BB79_37 Depth=1
	s_mov_b32 s4, -1
                                        ; implicit-def: $sgpr5
                                        ; implicit-def: $sgpr15
                                        ; implicit-def: $sgpr14
	s_branch .LBB79_137
.LBB79_122:                             ;   in Loop: Header=BB79_37 Depth=1
	s_mov_b32 s5, -1
	s_mov_b32 s4, 0
                                        ; implicit-def: $sgpr14
                                        ; implicit-def: $vgpr36
	s_mov_b32 s15, s5
	s_cbranch_execnz .LBB79_125
	s_branch .LBB79_137
.LBB79_123:                             ;   in Loop: Header=BB79_37 Depth=1
	s_set_inst_prefetch_distance 0x2
	s_or_b32 exec_lo, exec_lo, s21
	v_lshrrev_b16 v36, 8, v7
	s_and_b32 s4, s22, exec_lo
.LBB79_124:                             ;   in Loop: Header=BB79_37 Depth=1
	s_or_b32 exec_lo, exec_lo, s5
	s_mov_b32 s14, -1
	s_mov_b32 s5, 0
	s_delay_alu instid0(SALU_CYCLE_1)
	s_mov_b32 s15, s5
	s_branch .LBB79_137
.LBB79_125:                             ;   in Loop: Header=BB79_37 Depth=1
	s_mov_b32 s52, s51
	s_delay_alu instid0(SALU_CYCLE_1)
	s_cmp_lg_u64 s[52:53], 0
	s_cbranch_scc0 .LBB79_166
; %bb.126:                              ;   in Loop: Header=BB79_37 Depth=1
	v_cvt_f32_u32_e32 v2, s33
	s_sub_u32 s14, 0, s33
	s_subb_u32 s15, 0, 0
	s_delay_alu instid0(VALU_DEP_1) | instskip(NEXT) | instid1(VALU_DEP_1)
	v_fmac_f32_e64 v2, 0, 0x4f800000
	v_rcp_f32_e32 v2, v2
	s_waitcnt_depctr 0xfff
	v_mul_f32_e32 v2, 0x5f7ffffc, v2
	s_delay_alu instid0(VALU_DEP_1) | instskip(NEXT) | instid1(VALU_DEP_1)
	v_mul_f32_e32 v3, 0x2f800000, v2
	v_trunc_f32_e32 v3, v3
	s_delay_alu instid0(VALU_DEP_1) | instskip(SKIP_1) | instid1(VALU_DEP_2)
	v_fmac_f32_e32 v2, 0xcf800000, v3
	v_cvt_u32_f32_e32 v3, v3
	v_cvt_u32_f32_e32 v2, v2
	s_delay_alu instid0(VALU_DEP_2) | instskip(NEXT) | instid1(VALU_DEP_2)
	v_readfirstlane_b32 s4, v3
	v_readfirstlane_b32 s5, v2
	s_delay_alu instid0(VALU_DEP_2) | instskip(NEXT) | instid1(VALU_DEP_1)
	s_mul_i32 s21, s14, s4
	s_mul_hi_u32 s23, s14, s5
	s_mul_i32 s22, s15, s5
	s_add_i32 s21, s23, s21
	s_mul_i32 s50, s14, s5
	s_add_i32 s21, s21, s22
	s_mul_hi_u32 s23, s5, s50
	s_mul_hi_u32 s52, s4, s50
	s_mul_i32 s22, s4, s50
	s_mul_hi_u32 s50, s5, s21
	s_mul_i32 s5, s5, s21
	s_mul_hi_u32 s60, s4, s21
	s_add_u32 s5, s23, s5
	s_addc_u32 s23, 0, s50
	s_add_u32 s5, s5, s22
	s_mul_i32 s21, s4, s21
	s_addc_u32 s5, s23, s52
	s_addc_u32 s22, s60, 0
	s_add_u32 s5, s5, s21
	s_addc_u32 s21, 0, s22
	v_add_co_u32 v2, s5, v2, s5
	s_delay_alu instid0(VALU_DEP_1) | instskip(SKIP_1) | instid1(VALU_DEP_1)
	s_cmp_lg_u32 s5, 0
	s_addc_u32 s4, s4, s21
	v_readfirstlane_b32 s5, v2
	s_mul_i32 s21, s14, s4
	s_delay_alu instid0(VALU_DEP_1)
	s_mul_hi_u32 s22, s14, s5
	s_mul_i32 s15, s15, s5
	s_add_i32 s21, s22, s21
	s_mul_i32 s14, s14, s5
	s_add_i32 s21, s21, s15
	s_mul_hi_u32 s22, s4, s14
	s_mul_i32 s23, s4, s14
	s_mul_hi_u32 s14, s5, s14
	s_mul_hi_u32 s50, s5, s21
	s_mul_i32 s5, s5, s21
	s_mul_hi_u32 s15, s4, s21
	s_add_u32 s5, s14, s5
	s_addc_u32 s14, 0, s50
	s_add_u32 s5, s5, s23
	s_mul_i32 s21, s4, s21
	s_addc_u32 s5, s14, s22
	s_addc_u32 s14, s15, 0
	s_add_u32 s5, s5, s21
	s_addc_u32 s14, 0, s14
	v_add_co_u32 v2, s5, v2, s5
	s_delay_alu instid0(VALU_DEP_1) | instskip(SKIP_1) | instid1(VALU_DEP_1)
	s_cmp_lg_u32 s5, 0
	s_addc_u32 s4, s4, s14
	v_readfirstlane_b32 s5, v2
	s_mul_i32 s15, s76, s4
	s_mul_hi_u32 s14, s76, s4
	s_mul_hi_u32 s21, s53, s4
	s_mul_i32 s4, s53, s4
	s_mul_hi_u32 s22, s76, s5
	s_mul_hi_u32 s23, s53, s5
	s_mul_i32 s5, s53, s5
	s_add_u32 s15, s22, s15
	s_addc_u32 s14, 0, s14
	s_add_u32 s5, s15, s5
	s_addc_u32 s5, s14, s23
	s_addc_u32 s14, s21, 0
	s_add_u32 s4, s5, s4
	s_addc_u32 s5, 0, s14
	s_mul_hi_u32 s14, s33, s4
	s_mul_i32 s4, s33, s4
	s_mul_i32 s5, s33, s5
	v_sub_co_u32 v2, s4, s76, s4
	s_add_i32 s14, s14, s5
	s_cmp_lg_u32 s4, 0
	s_delay_alu instid0(VALU_DEP_1) | instskip(SKIP_2) | instid1(VALU_DEP_1)
	v_sub_co_u32 v3, s4, v2, s33
	s_subb_u32 s5, s53, s14
	s_cmp_lg_u32 s4, 0
	v_cmp_le_u32_e32 vcc_lo, s33, v3
	v_sub_co_u32 v4, s4, v3, s33
	s_subb_u32 s14, s5, 0
	s_cmp_lg_u32 s4, 0
	v_cndmask_b32_e64 v5, 0, -1, vcc_lo
	s_subb_u32 s4, s14, 0
	s_cmp_eq_u32 s14, 0
	v_mov_b32_e32 v7, s4
	s_cselect_b32 vcc_lo, -1, 0
	s_cmp_eq_u32 s5, 0
	v_cndmask_b32_e32 v5, -1, v5, vcc_lo
	v_cmp_le_u32_e32 vcc_lo, s33, v2
	s_cselect_b32 s4, -1, 0
	v_cndmask_b32_e64 v6, 0, -1, vcc_lo
	s_delay_alu instid0(VALU_DEP_3) | instskip(NEXT) | instid1(VALU_DEP_2)
	v_cmp_ne_u32_e32 vcc_lo, 0, v5
	v_cndmask_b32_e64 v5, -1, v6, s4
	v_cndmask_b32_e32 v6, s14, v7, vcc_lo
	v_cndmask_b32_e32 v4, v3, v4, vcc_lo
	s_delay_alu instid0(VALU_DEP_3) | instskip(NEXT) | instid1(VALU_DEP_3)
	v_cmp_ne_u32_e32 vcc_lo, 0, v5
	v_cndmask_b32_e32 v3, s5, v6, vcc_lo
	s_delay_alu instid0(VALU_DEP_3)
	v_cndmask_b32_e32 v2, v2, v4, vcc_lo
	s_cbranch_execnz .LBB79_128
.LBB79_127:                             ;   in Loop: Header=BB79_37 Depth=1
	v_cvt_f32_u32_e32 v2, s33
	s_sub_i32 s4, 0, s33
	s_delay_alu instid0(VALU_DEP_1) | instskip(SKIP_2) | instid1(VALU_DEP_1)
	v_rcp_iflag_f32_e32 v2, v2
	s_waitcnt_depctr 0xfff
	v_mul_f32_e32 v2, 0x4f7ffffe, v2
	v_cvt_u32_f32_e32 v2, v2
	s_delay_alu instid0(VALU_DEP_1) | instskip(NEXT) | instid1(VALU_DEP_1)
	v_mul_lo_u32 v3, s4, v2
	v_mul_hi_u32 v3, v2, v3
	s_delay_alu instid0(VALU_DEP_1) | instskip(NEXT) | instid1(VALU_DEP_1)
	v_add_nc_u32_e32 v2, v2, v3
	v_mul_hi_u32 v2, s76, v2
	s_delay_alu instid0(VALU_DEP_1) | instskip(NEXT) | instid1(VALU_DEP_1)
	v_mul_lo_u32 v2, v2, s33
	v_sub_nc_u32_e32 v2, s76, v2
	s_delay_alu instid0(VALU_DEP_1) | instskip(SKIP_1) | instid1(VALU_DEP_2)
	v_subrev_nc_u32_e32 v3, s33, v2
	v_cmp_le_u32_e32 vcc_lo, s33, v2
	v_cndmask_b32_e32 v2, v2, v3, vcc_lo
	s_delay_alu instid0(VALU_DEP_1) | instskip(SKIP_1) | instid1(VALU_DEP_2)
	v_subrev_nc_u32_e32 v3, s33, v2
	v_cmp_le_u32_e32 vcc_lo, s33, v2
	v_cndmask_b32_e32 v10, v2, v3, vcc_lo
	s_delay_alu instid0(VALU_DEP_1)
	v_dual_mov_b32 v2, v10 :: v_dual_mov_b32 v3, v11
.LBB79_128:                             ;   in Loop: Header=BB79_37 Depth=1
	s_delay_alu instid0(VALU_DEP_1) | instskip(NEXT) | instid1(VALU_DEP_2)
	v_sub_co_u32 v2, vcc_lo, s76, v2
	v_sub_co_ci_u32_e32 v3, vcc_lo, s53, v3, vcc_lo
	s_mov_b32 s4, 0
	s_mov_b32 s5, exec_lo
                                        ; implicit-def: $vgpr36
	s_delay_alu instid0(VALU_DEP_1)
	v_cmpx_gt_u64_e64 v[2:3], v[0:1]
	s_cbranch_execz .LBB79_136
; %bb.129:                              ;   in Loop: Header=BB79_37 Depth=1
	v_dual_mov_b32 v4, v12 :: v_dual_mov_b32 v5, v13
	v_dual_mov_b32 v7, v1 :: v_dual_mov_b32 v6, v0
	s_mov_b32 s14, 0
                                        ; implicit-def: $sgpr15
	s_set_inst_prefetch_distance 0x1
	s_branch .LBB79_131
	.p2align	6
.LBB79_130:                             ;   in Loop: Header=BB79_131 Depth=2
	s_or_b32 exec_lo, exec_lo, s4
	s_waitcnt lgkmcnt(0)
	s_barrier
	buffer_gl0_inv
	ds_load_u16 v8, v11 offset:3072
	v_add_co_u32 v6, vcc_lo, v6, s33
	v_add_co_ci_u32_e32 v7, vcc_lo, 0, v7, vcc_lo
	s_waitcnt lgkmcnt(0)
	s_barrier
	buffer_gl0_inv
	v_cmp_ge_u64_e32 vcc_lo, v[6:7], v[2:3]
	v_and_b32_e32 v9, 0xff, v8
	s_delay_alu instid0(VALU_DEP_1) | instskip(NEXT) | instid1(VALU_DEP_1)
	v_cmp_ne_u16_e64 s4, 0, v9
	s_or_b32 s21, vcc_lo, s4
	v_add_co_u32 v4, vcc_lo, v4, s71
	s_and_b32 s21, exec_lo, s21
	v_add_co_ci_u32_e32 v5, vcc_lo, s70, v5, vcc_lo
	s_or_b32 s14, s21, s14
	s_and_not1_b32 s15, s15, exec_lo
	s_and_b32 s4, s4, exec_lo
	s_delay_alu instid0(SALU_CYCLE_1)
	s_or_b32 s15, s15, s4
	s_and_not1_b32 exec_lo, exec_lo, s14
	s_cbranch_execz .LBB79_135
.LBB79_131:                             ;   Parent Loop BB79_37 Depth=1
                                        ; =>  This Inner Loop Header: Depth=2
	s_delay_alu instid0(VALU_DEP_1)
	v_cmp_gt_u64_e32 vcc_lo, s[24:25], v[6:7]
	v_mov_b32_e32 v8, 0
	s_and_saveexec_b32 s4, vcc_lo
	s_cbranch_execz .LBB79_133
; %bb.132:                              ;   in Loop: Header=BB79_131 Depth=2
	global_load_u8 v8, v[4:5], off
.LBB79_133:                             ;   in Loop: Header=BB79_131 Depth=2
	s_or_b32 exec_lo, exec_lo, s4
	s_waitcnt vmcnt(0)
	v_and_b32_e32 v9, s92, v8
	s_delay_alu instid0(VALU_DEP_1) | instskip(NEXT) | instid1(VALU_DEP_1)
	v_and_b32_e32 v9, 0xff, v9
	v_cmp_eq_u32_e64 s4, s91, v9
	s_delay_alu instid0(VALU_DEP_1) | instskip(NEXT) | instid1(SALU_CYCLE_1)
	s_and_b32 s21, vcc_lo, s4
	s_and_saveexec_b32 s4, s21
	s_cbranch_execz .LBB79_130
; %bb.134:                              ;   in Loop: Header=BB79_131 Depth=2
	v_lshlrev_b16 v8, 8, v8
	s_delay_alu instid0(VALU_DEP_1)
	v_or_b32_e32 v8, 1, v8
	ds_store_b16 v11, v8 offset:3072
	s_branch .LBB79_130
.LBB79_135:                             ;   in Loop: Header=BB79_37 Depth=1
	s_set_inst_prefetch_distance 0x2
	s_or_b32 exec_lo, exec_lo, s14
	v_lshrrev_b16 v36, 8, v8
	s_and_b32 s4, s15, exec_lo
.LBB79_136:                             ;   in Loop: Header=BB79_37 Depth=1
	s_or_b32 exec_lo, exec_lo, s5
	s_mov_b32 s15, -1
	s_mov_b32 s5, 0
	s_mov_b32 s14, 0
.LBB79_137:                             ;   in Loop: Header=BB79_37 Depth=1
	s_and_not1_b32 s21, s87, exec_lo
	s_and_b32 s5, s5, exec_lo
	s_and_b32 s15, s15, exec_lo
	s_or_b32 s87, s21, s5
	s_and_not1_b32 s5, s90, exec_lo
	s_and_not1_b32 s21, s88, exec_lo
	s_and_b32 s14, s14, exec_lo
	s_or_b32 s90, s5, s15
	s_or_b32 s88, s21, s14
	s_and_saveexec_b32 s14, s4
	s_cbranch_execz .LBB79_36
; %bb.138:                              ;   in Loop: Header=BB79_37 Depth=1
	s_xor_b32 s4, s20, -1
	s_mov_b32 s50, 1
	s_and_not1_b32 vcc_lo, exec_lo, s4
	s_cbranch_vccnz .LBB79_149
; %bb.139:                              ;   in Loop: Header=BB79_37 Depth=1
	v_cmp_gt_u64_e64 s4, s[46:47], s[12:13]
                                        ; implicit-def: $sgpr50
                                        ; implicit-def: $sgpr5
                                        ; implicit-def: $sgpr15
	s_delay_alu instid0(VALU_DEP_1)
	s_and_b32 vcc_lo, exec_lo, s4
	s_mov_b32 s4, -1
	s_cbranch_vccnz .LBB79_145
; %bb.140:                              ;   in Loop: Header=BB79_37 Depth=1
	ds_load_b64 v[2:3], v11 offset:5120
	s_waitcnt lgkmcnt(0)
	v_cmp_ne_u64_e32 vcc_lo, 0, v[2:3]
	s_cbranch_vccnz .LBB79_144
; %bb.141:                              ;   in Loop: Header=BB79_37 Depth=1
	s_and_saveexec_b32 s4, s2
	s_cbranch_execz .LBB79_143
; %bb.142:                              ;   in Loop: Header=BB79_37 Depth=1
	v_dual_mov_b32 v2, s12 :: v_dual_mov_b32 v3, s13
	ds_store_b64 v11, v[2:3] offset:5128
.LBB79_143:                             ;   in Loop: Header=BB79_37 Depth=1
	s_or_b32 exec_lo, exec_lo, s4
	s_waitcnt lgkmcnt(0)
	s_barrier
	buffer_gl0_inv
.LBB79_144:                             ;   in Loop: Header=BB79_37 Depth=1
	s_and_b32 s5, s91, s18
	s_or_b32 s15, s92, s16
	s_mov_b32 s4, 0
	s_mov_b32 s50, 8
.LBB79_145:                             ;   in Loop: Header=BB79_37 Depth=1
	s_and_not1_b32 vcc_lo, exec_lo, s4
	s_cbranch_vccnz .LBB79_147
; %bb.146:                              ;   in Loop: Header=BB79_37 Depth=1
	s_sub_u32 s46, s46, s12
	s_subb_u32 s47, s47, s13
	s_mov_b32 s4, -1
	s_mov_b32 s50, 0
	s_mov_b32 s5, s91
	;; [unrolled: 1-line block ×3, first 2 shown]
.LBB79_147:                             ;   in Loop: Header=BB79_37 Depth=1
	s_delay_alu instid0(SALU_CYCLE_1)
	s_mov_b32 s92, s15
	s_mov_b32 s91, s5
	s_and_b32 vcc_lo, exec_lo, s4
	s_mov_b32 s15, -1
	s_cbranch_vccnz .LBB79_150
.LBB79_148:                             ;   in Loop: Header=BB79_37 Depth=1
	s_mov_b32 s5, -1
                                        ; implicit-def: $sgpr12
                                        ; implicit-def: $sgpr19
                                        ; implicit-def: $sgpr13
	s_delay_alu instid0(SALU_CYCLE_1) | instskip(NEXT) | instid1(SALU_CYCLE_1)
	s_and_saveexec_b32 s4, s5
	s_xor_b32 s4, exec_lo, s4
	s_cbranch_execz .LBB79_35
	s_branch .LBB79_290
.LBB79_149:                             ;   in Loop: Header=BB79_37 Depth=1
	s_mov_b64 s[46:47], 1
	s_mov_b32 s15, -1
	s_branch .LBB79_148
.LBB79_150:                             ;   in Loop: Header=BB79_37 Depth=1
	s_cmp_eq_u64 s[10:11], 1
	s_cselect_b32 s4, -1, 0
	s_cmp_eq_u64 s[46:47], 1
	s_cselect_b32 s5, -1, 0
	s_delay_alu instid0(SALU_CYCLE_1)
	s_and_b32 s21, s4, s5
	s_mov_b32 s4, -1
	s_and_b32 vcc_lo, exec_lo, s21
	s_cbranch_vccz .LBB79_164
; %bb.151:                              ;   in Loop: Header=BB79_37 Depth=1
	ds_load_b64 v[2:3], v11 offset:5120
	s_waitcnt lgkmcnt(0)
	s_barrier
	buffer_gl0_inv
	v_readfirstlane_b32 s12, v2
	v_readfirstlane_b32 s13, v3
	s_and_saveexec_b32 s4, s3
	s_cbranch_execz .LBB79_153
; %bb.152:                              ;   in Loop: Header=BB79_37 Depth=1
	ds_store_b8 v0, v11 offset:3072
.LBB79_153:                             ;   in Loop: Header=BB79_37 Depth=1
	s_or_b32 exec_lo, exec_lo, s4
	s_lshl_b32 s4, 1, s17
	s_and_b32 s5, s91, s18
	s_or_b32 s92, s92, s16
	s_or_b32 s91, s5, s4
	s_cmp_eq_u64 s[12:13], 0
	s_waitcnt lgkmcnt(0)
	s_barrier
	buffer_gl0_inv
	s_cbranch_scc1 .LBB79_167
; %bb.154:                              ;   in Loop: Header=BB79_37 Depth=1
	s_add_u32 s19, s74, s12
	s_addc_u32 s5, s75, s13
	s_mov_b32 s4, s51
	s_delay_alu instid0(SALU_CYCLE_1)
	s_cmp_lg_u64 s[4:5], 0
	s_cbranch_scc0 .LBB79_210
; %bb.155:                              ;   in Loop: Header=BB79_37 Depth=1
	v_cvt_f32_u32_e32 v2, s33
	s_sub_u32 s22, 0, s33
	s_subb_u32 s23, 0, 0
	s_delay_alu instid0(VALU_DEP_1) | instskip(NEXT) | instid1(VALU_DEP_1)
	v_fmac_f32_e64 v2, 0, 0x4f800000
	v_rcp_f32_e32 v2, v2
	s_waitcnt_depctr 0xfff
	v_mul_f32_e32 v2, 0x5f7ffffc, v2
	s_delay_alu instid0(VALU_DEP_1) | instskip(NEXT) | instid1(VALU_DEP_1)
	v_mul_f32_e32 v3, 0x2f800000, v2
	v_trunc_f32_e32 v3, v3
	s_delay_alu instid0(VALU_DEP_1) | instskip(SKIP_1) | instid1(VALU_DEP_2)
	v_fmac_f32_e32 v2, 0xcf800000, v3
	v_cvt_u32_f32_e32 v3, v3
	v_cvt_u32_f32_e32 v2, v2
	s_delay_alu instid0(VALU_DEP_2) | instskip(NEXT) | instid1(VALU_DEP_2)
	v_readfirstlane_b32 s4, v3
	v_readfirstlane_b32 s20, v2
	s_delay_alu instid0(VALU_DEP_2) | instskip(NEXT) | instid1(VALU_DEP_1)
	s_mul_i32 s50, s22, s4
	s_mul_hi_u32 s60, s22, s20
	s_mul_i32 s52, s23, s20
	s_add_i32 s50, s60, s50
	s_mul_i32 s61, s22, s20
	s_add_i32 s50, s50, s52
	s_mul_hi_u32 s60, s20, s61
	s_mul_hi_u32 s62, s4, s61
	s_mul_i32 s52, s4, s61
	s_mul_hi_u32 s61, s20, s50
	s_mul_i32 s20, s20, s50
	s_mul_hi_u32 s63, s4, s50
	s_add_u32 s20, s60, s20
	s_addc_u32 s60, 0, s61
	s_add_u32 s20, s20, s52
	s_mul_i32 s50, s4, s50
	s_addc_u32 s20, s60, s62
	s_addc_u32 s52, s63, 0
	s_add_u32 s20, s20, s50
	s_addc_u32 s50, 0, s52
	v_add_co_u32 v2, s20, v2, s20
	s_delay_alu instid0(VALU_DEP_1) | instskip(SKIP_1) | instid1(VALU_DEP_1)
	s_cmp_lg_u32 s20, 0
	s_addc_u32 s4, s4, s50
	v_readfirstlane_b32 s20, v2
	s_mul_i32 s50, s22, s4
	s_delay_alu instid0(VALU_DEP_1)
	s_mul_hi_u32 s52, s22, s20
	s_mul_i32 s23, s23, s20
	s_add_i32 s50, s52, s50
	s_mul_i32 s22, s22, s20
	s_add_i32 s50, s50, s23
	s_mul_hi_u32 s52, s4, s22
	s_mul_i32 s60, s4, s22
	s_mul_hi_u32 s22, s20, s22
	s_mul_hi_u32 s61, s20, s50
	s_mul_i32 s20, s20, s50
	s_mul_hi_u32 s23, s4, s50
	s_add_u32 s20, s22, s20
	s_addc_u32 s22, 0, s61
	s_add_u32 s20, s20, s60
	s_mul_i32 s50, s4, s50
	s_addc_u32 s20, s22, s52
	s_addc_u32 s22, s23, 0
	s_add_u32 s20, s20, s50
	s_addc_u32 s22, 0, s22
	v_add_co_u32 v2, s20, v2, s20
	s_delay_alu instid0(VALU_DEP_1) | instskip(SKIP_1) | instid1(VALU_DEP_1)
	s_cmp_lg_u32 s20, 0
	s_addc_u32 s4, s4, s22
	v_readfirstlane_b32 s20, v2
	s_mul_i32 s23, s19, s4
	s_mul_hi_u32 s22, s19, s4
	s_mul_hi_u32 s50, s5, s4
	s_mul_i32 s4, s5, s4
	s_mul_hi_u32 s52, s19, s20
	s_mul_hi_u32 s60, s5, s20
	s_mul_i32 s20, s5, s20
	s_add_u32 s23, s52, s23
	s_addc_u32 s22, 0, s22
	s_add_u32 s20, s23, s20
	s_addc_u32 s20, s22, s60
	s_addc_u32 s22, s50, 0
	s_add_u32 s4, s20, s4
	s_addc_u32 s20, 0, s22
	s_mul_hi_u32 s22, s33, s4
	s_mul_i32 s4, s33, s4
	s_mul_i32 s20, s33, s20
	v_sub_co_u32 v2, s4, s19, s4
	s_add_i32 s22, s22, s20
	s_cmp_lg_u32 s4, 0
	s_delay_alu instid0(VALU_DEP_1) | instskip(SKIP_2) | instid1(VALU_DEP_1)
	v_sub_co_u32 v3, s4, v2, s33
	s_subb_u32 s20, s5, s22
	s_cmp_lg_u32 s4, 0
	v_cmp_le_u32_e32 vcc_lo, s33, v3
	v_sub_co_u32 v4, s4, v3, s33
	s_subb_u32 s22, s20, 0
	s_cmp_lg_u32 s4, 0
	v_cndmask_b32_e64 v5, 0, -1, vcc_lo
	s_subb_u32 s4, s22, 0
	s_cmp_eq_u32 s22, 0
	v_mov_b32_e32 v7, s4
	s_cselect_b32 vcc_lo, -1, 0
	s_cmp_eq_u32 s20, 0
	v_cndmask_b32_e32 v5, -1, v5, vcc_lo
	v_cmp_le_u32_e32 vcc_lo, s33, v2
	s_cselect_b32 s4, -1, 0
	v_cndmask_b32_e64 v6, 0, -1, vcc_lo
	s_delay_alu instid0(VALU_DEP_3) | instskip(NEXT) | instid1(VALU_DEP_2)
	v_cmp_ne_u32_e32 vcc_lo, 0, v5
	v_cndmask_b32_e64 v5, -1, v6, s4
	v_cndmask_b32_e32 v6, s22, v7, vcc_lo
	v_cndmask_b32_e32 v4, v3, v4, vcc_lo
	s_delay_alu instid0(VALU_DEP_3) | instskip(NEXT) | instid1(VALU_DEP_3)
	v_cmp_ne_u32_e32 vcc_lo, 0, v5
	v_cndmask_b32_e32 v3, s20, v6, vcc_lo
	s_delay_alu instid0(VALU_DEP_3)
	v_cndmask_b32_e32 v2, v2, v4, vcc_lo
	s_cbranch_execnz .LBB79_157
.LBB79_156:                             ;   in Loop: Header=BB79_37 Depth=1
	v_cvt_f32_u32_e32 v2, s33
	s_sub_i32 s4, 0, s33
	s_delay_alu instid0(VALU_DEP_1) | instskip(SKIP_2) | instid1(VALU_DEP_1)
	v_rcp_iflag_f32_e32 v2, v2
	s_waitcnt_depctr 0xfff
	v_mul_f32_e32 v2, 0x4f7ffffe, v2
	v_cvt_u32_f32_e32 v2, v2
	s_delay_alu instid0(VALU_DEP_1) | instskip(NEXT) | instid1(VALU_DEP_1)
	v_mul_lo_u32 v3, s4, v2
	v_mul_hi_u32 v3, v2, v3
	s_delay_alu instid0(VALU_DEP_1) | instskip(NEXT) | instid1(VALU_DEP_1)
	v_add_nc_u32_e32 v2, v2, v3
	v_mul_hi_u32 v2, s19, v2
	s_delay_alu instid0(VALU_DEP_1) | instskip(NEXT) | instid1(VALU_DEP_1)
	v_mul_lo_u32 v2, v2, s33
	v_sub_nc_u32_e32 v2, s19, v2
	s_delay_alu instid0(VALU_DEP_1) | instskip(SKIP_1) | instid1(VALU_DEP_2)
	v_subrev_nc_u32_e32 v3, s33, v2
	v_cmp_le_u32_e32 vcc_lo, s33, v2
	v_cndmask_b32_e32 v2, v2, v3, vcc_lo
	s_delay_alu instid0(VALU_DEP_1) | instskip(SKIP_1) | instid1(VALU_DEP_2)
	v_subrev_nc_u32_e32 v3, s33, v2
	v_cmp_le_u32_e32 vcc_lo, s33, v2
	v_cndmask_b32_e32 v10, v2, v3, vcc_lo
	s_delay_alu instid0(VALU_DEP_1)
	v_dual_mov_b32 v2, v10 :: v_dual_mov_b32 v3, v11
.LBB79_157:                             ;   in Loop: Header=BB79_37 Depth=1
	s_delay_alu instid0(VALU_DEP_1) | instskip(NEXT) | instid1(VALU_DEP_2)
	v_sub_co_u32 v2, vcc_lo, s19, v2
	v_sub_co_ci_u32_e32 v3, vcc_lo, s5, v3, vcc_lo
	s_mov_b32 s4, 0
	s_mov_b32 s5, exec_lo
                                        ; implicit-def: $vgpr36
	s_delay_alu instid0(VALU_DEP_1)
	v_cmpx_gt_u64_e64 v[2:3], v[0:1]
	s_cbranch_execz .LBB79_169
; %bb.158:                              ;   in Loop: Header=BB79_37 Depth=1
	v_dual_mov_b32 v6, v0 :: v_dual_mov_b32 v5, v1
	v_mov_b32_e32 v4, v0
	s_mov_b32 s19, 0
                                        ; implicit-def: $sgpr20
	s_set_inst_prefetch_distance 0x1
	s_branch .LBB79_160
	.p2align	6
.LBB79_159:                             ;   in Loop: Header=BB79_160 Depth=2
	s_or_b32 exec_lo, exec_lo, s4
	s_waitcnt lgkmcnt(0)
	s_barrier
	buffer_gl0_inv
	ds_load_u16 v7, v11 offset:3072
	v_add_co_u32 v4, vcc_lo, v4, s33
	v_add_co_ci_u32_e32 v5, vcc_lo, 0, v5, vcc_lo
	v_add_nc_u32_e32 v6, s33, v6
	s_waitcnt lgkmcnt(0)
	s_barrier
	s_delay_alu instid0(VALU_DEP_2) | instskip(SKIP_2) | instid1(VALU_DEP_1)
	v_cmp_ge_u64_e32 vcc_lo, v[4:5], v[2:3]
	buffer_gl0_inv
	v_and_b32_e32 v8, 0xff, v7
	v_cmp_ne_u16_e64 s4, 0, v8
	s_delay_alu instid0(VALU_DEP_1) | instskip(NEXT) | instid1(SALU_CYCLE_1)
	s_or_b32 s22, vcc_lo, s4
	s_and_b32 s22, exec_lo, s22
	s_delay_alu instid0(SALU_CYCLE_1) | instskip(SKIP_2) | instid1(SALU_CYCLE_1)
	s_or_b32 s19, s22, s19
	s_and_not1_b32 s20, s20, exec_lo
	s_and_b32 s4, s4, exec_lo
	s_or_b32 s20, s20, s4
	s_and_not1_b32 exec_lo, exec_lo, s19
	s_cbranch_execz .LBB79_168
.LBB79_160:                             ;   Parent Loop BB79_37 Depth=1
                                        ; =>  This Inner Loop Header: Depth=2
	s_delay_alu instid0(VALU_DEP_1)
	v_cmp_gt_u64_e32 vcc_lo, s[12:13], v[4:5]
	v_mov_b32_e32 v7, 0
	s_and_saveexec_b32 s4, vcc_lo
	s_cbranch_execz .LBB79_162
; %bb.161:                              ;   in Loop: Header=BB79_160 Depth=2
	ds_load_u8 v7, v6
.LBB79_162:                             ;   in Loop: Header=BB79_160 Depth=2
	s_or_b32 exec_lo, exec_lo, s4
	s_waitcnt lgkmcnt(0)
	v_and_b32_e32 v8, s92, v7
	s_delay_alu instid0(VALU_DEP_1) | instskip(NEXT) | instid1(VALU_DEP_1)
	v_and_b32_e32 v8, 0xff, v8
	v_cmp_eq_u32_e64 s4, s91, v8
	s_delay_alu instid0(VALU_DEP_1) | instskip(NEXT) | instid1(SALU_CYCLE_1)
	s_and_b32 s22, vcc_lo, s4
	s_and_saveexec_b32 s4, s22
	s_cbranch_execz .LBB79_159
; %bb.163:                              ;   in Loop: Header=BB79_160 Depth=2
	v_lshlrev_b16 v7, 8, v7
	s_delay_alu instid0(VALU_DEP_1)
	v_or_b32_e32 v7, 1, v7
	ds_store_b16 v11, v7 offset:3072
	s_branch .LBB79_159
.LBB79_164:                             ;   in Loop: Header=BB79_37 Depth=1
                                        ; implicit-def: $sgpr13
                                        ; implicit-def: $sgpr19
                                        ; implicit-def: $sgpr12
	s_branch .LBB79_182
.LBB79_165:                             ;   in Loop: Header=BB79_37 Depth=1
                                        ; implicit-def: $vgpr2_vgpr3
	s_branch .LBB79_113
.LBB79_166:                             ;   in Loop: Header=BB79_37 Depth=1
                                        ; implicit-def: $vgpr2_vgpr3
	s_branch .LBB79_127
.LBB79_167:                             ;   in Loop: Header=BB79_37 Depth=1
	s_mov_b32 s13, -1
	s_mov_b32 s4, 0
                                        ; implicit-def: $sgpr12
                                        ; implicit-def: $vgpr36
	s_mov_b32 s19, s13
	s_cbranch_execnz .LBB79_170
	s_branch .LBB79_182
.LBB79_168:                             ;   in Loop: Header=BB79_37 Depth=1
	s_set_inst_prefetch_distance 0x2
	s_or_b32 exec_lo, exec_lo, s19
	v_lshrrev_b16 v36, 8, v7
	s_and_b32 s4, s20, exec_lo
.LBB79_169:                             ;   in Loop: Header=BB79_37 Depth=1
	s_or_b32 exec_lo, exec_lo, s5
	s_mov_b32 s12, -1
	s_mov_b32 s13, 0
	s_delay_alu instid0(SALU_CYCLE_1)
	s_mov_b32 s19, s13
	s_branch .LBB79_182
.LBB79_170:                             ;   in Loop: Header=BB79_37 Depth=1
	s_mov_b32 s52, s51
	s_delay_alu instid0(SALU_CYCLE_1)
	s_cmp_lg_u64 s[52:53], 0
	s_cbranch_scc0 .LBB79_211
; %bb.171:                              ;   in Loop: Header=BB79_37 Depth=1
	v_cvt_f32_u32_e32 v2, s33
	s_sub_u32 s12, 0, s33
	s_subb_u32 s13, 0, 0
	s_delay_alu instid0(VALU_DEP_1) | instskip(NEXT) | instid1(VALU_DEP_1)
	v_fmac_f32_e64 v2, 0, 0x4f800000
	v_rcp_f32_e32 v2, v2
	s_waitcnt_depctr 0xfff
	v_mul_f32_e32 v2, 0x5f7ffffc, v2
	s_delay_alu instid0(VALU_DEP_1) | instskip(NEXT) | instid1(VALU_DEP_1)
	v_mul_f32_e32 v3, 0x2f800000, v2
	v_trunc_f32_e32 v3, v3
	s_delay_alu instid0(VALU_DEP_1) | instskip(SKIP_1) | instid1(VALU_DEP_2)
	v_fmac_f32_e32 v2, 0xcf800000, v3
	v_cvt_u32_f32_e32 v3, v3
	v_cvt_u32_f32_e32 v2, v2
	s_delay_alu instid0(VALU_DEP_2) | instskip(NEXT) | instid1(VALU_DEP_2)
	v_readfirstlane_b32 s4, v3
	v_readfirstlane_b32 s5, v2
	s_delay_alu instid0(VALU_DEP_2) | instskip(NEXT) | instid1(VALU_DEP_1)
	s_mul_i32 s19, s12, s4
	s_mul_hi_u32 s22, s12, s5
	s_mul_i32 s20, s13, s5
	s_add_i32 s19, s22, s19
	s_mul_i32 s23, s12, s5
	s_add_i32 s19, s19, s20
	s_mul_hi_u32 s22, s5, s23
	s_mul_hi_u32 s50, s4, s23
	s_mul_i32 s20, s4, s23
	s_mul_hi_u32 s23, s5, s19
	s_mul_i32 s5, s5, s19
	s_mul_hi_u32 s52, s4, s19
	s_add_u32 s5, s22, s5
	s_addc_u32 s22, 0, s23
	s_add_u32 s5, s5, s20
	s_mul_i32 s19, s4, s19
	s_addc_u32 s5, s22, s50
	s_addc_u32 s20, s52, 0
	s_add_u32 s5, s5, s19
	s_addc_u32 s19, 0, s20
	v_add_co_u32 v2, s5, v2, s5
	s_delay_alu instid0(VALU_DEP_1) | instskip(SKIP_1) | instid1(VALU_DEP_1)
	s_cmp_lg_u32 s5, 0
	s_addc_u32 s4, s4, s19
	v_readfirstlane_b32 s5, v2
	s_mul_i32 s19, s12, s4
	s_delay_alu instid0(VALU_DEP_1)
	s_mul_hi_u32 s20, s12, s5
	s_mul_i32 s13, s13, s5
	s_add_i32 s19, s20, s19
	s_mul_i32 s12, s12, s5
	s_add_i32 s19, s19, s13
	s_mul_hi_u32 s20, s4, s12
	s_mul_i32 s22, s4, s12
	s_mul_hi_u32 s12, s5, s12
	s_mul_hi_u32 s23, s5, s19
	s_mul_i32 s5, s5, s19
	s_mul_hi_u32 s13, s4, s19
	s_add_u32 s5, s12, s5
	s_addc_u32 s12, 0, s23
	s_add_u32 s5, s5, s22
	s_mul_i32 s19, s4, s19
	s_addc_u32 s5, s12, s20
	s_addc_u32 s12, s13, 0
	s_add_u32 s5, s5, s19
	s_addc_u32 s12, 0, s12
	v_add_co_u32 v2, s5, v2, s5
	s_delay_alu instid0(VALU_DEP_1) | instskip(SKIP_1) | instid1(VALU_DEP_1)
	s_cmp_lg_u32 s5, 0
	s_addc_u32 s4, s4, s12
	v_readfirstlane_b32 s5, v2
	s_mul_i32 s13, s76, s4
	s_mul_hi_u32 s12, s76, s4
	s_mul_hi_u32 s19, s53, s4
	s_mul_i32 s4, s53, s4
	s_mul_hi_u32 s20, s76, s5
	s_mul_hi_u32 s22, s53, s5
	s_mul_i32 s5, s53, s5
	s_add_u32 s13, s20, s13
	s_addc_u32 s12, 0, s12
	s_add_u32 s5, s13, s5
	s_addc_u32 s5, s12, s22
	s_addc_u32 s12, s19, 0
	s_add_u32 s4, s5, s4
	s_addc_u32 s5, 0, s12
	s_mul_hi_u32 s12, s33, s4
	s_mul_i32 s4, s33, s4
	s_mul_i32 s5, s33, s5
	v_sub_co_u32 v2, s4, s76, s4
	s_add_i32 s12, s12, s5
	s_cmp_lg_u32 s4, 0
	s_delay_alu instid0(VALU_DEP_1) | instskip(SKIP_2) | instid1(VALU_DEP_1)
	v_sub_co_u32 v3, s4, v2, s33
	s_subb_u32 s5, s53, s12
	s_cmp_lg_u32 s4, 0
	v_cmp_le_u32_e32 vcc_lo, s33, v3
	v_sub_co_u32 v4, s4, v3, s33
	s_subb_u32 s12, s5, 0
	s_cmp_lg_u32 s4, 0
	v_cndmask_b32_e64 v5, 0, -1, vcc_lo
	s_subb_u32 s4, s12, 0
	s_cmp_eq_u32 s12, 0
	v_mov_b32_e32 v7, s4
	s_cselect_b32 vcc_lo, -1, 0
	s_cmp_eq_u32 s5, 0
	v_cndmask_b32_e32 v5, -1, v5, vcc_lo
	v_cmp_le_u32_e32 vcc_lo, s33, v2
	s_cselect_b32 s4, -1, 0
	v_cndmask_b32_e64 v6, 0, -1, vcc_lo
	s_delay_alu instid0(VALU_DEP_3) | instskip(NEXT) | instid1(VALU_DEP_2)
	v_cmp_ne_u32_e32 vcc_lo, 0, v5
	v_cndmask_b32_e64 v5, -1, v6, s4
	v_cndmask_b32_e32 v6, s12, v7, vcc_lo
	v_cndmask_b32_e32 v4, v3, v4, vcc_lo
	s_delay_alu instid0(VALU_DEP_3) | instskip(NEXT) | instid1(VALU_DEP_3)
	v_cmp_ne_u32_e32 vcc_lo, 0, v5
	v_cndmask_b32_e32 v3, s5, v6, vcc_lo
	s_delay_alu instid0(VALU_DEP_3)
	v_cndmask_b32_e32 v2, v2, v4, vcc_lo
	s_cbranch_execnz .LBB79_173
.LBB79_172:                             ;   in Loop: Header=BB79_37 Depth=1
	v_cvt_f32_u32_e32 v2, s33
	s_sub_i32 s4, 0, s33
	s_delay_alu instid0(VALU_DEP_1) | instskip(SKIP_2) | instid1(VALU_DEP_1)
	v_rcp_iflag_f32_e32 v2, v2
	s_waitcnt_depctr 0xfff
	v_mul_f32_e32 v2, 0x4f7ffffe, v2
	v_cvt_u32_f32_e32 v2, v2
	s_delay_alu instid0(VALU_DEP_1) | instskip(NEXT) | instid1(VALU_DEP_1)
	v_mul_lo_u32 v3, s4, v2
	v_mul_hi_u32 v3, v2, v3
	s_delay_alu instid0(VALU_DEP_1) | instskip(NEXT) | instid1(VALU_DEP_1)
	v_add_nc_u32_e32 v2, v2, v3
	v_mul_hi_u32 v2, s76, v2
	s_delay_alu instid0(VALU_DEP_1) | instskip(NEXT) | instid1(VALU_DEP_1)
	v_mul_lo_u32 v2, v2, s33
	v_sub_nc_u32_e32 v2, s76, v2
	s_delay_alu instid0(VALU_DEP_1) | instskip(SKIP_1) | instid1(VALU_DEP_2)
	v_subrev_nc_u32_e32 v3, s33, v2
	v_cmp_le_u32_e32 vcc_lo, s33, v2
	v_cndmask_b32_e32 v2, v2, v3, vcc_lo
	s_delay_alu instid0(VALU_DEP_1) | instskip(SKIP_1) | instid1(VALU_DEP_2)
	v_subrev_nc_u32_e32 v3, s33, v2
	v_cmp_le_u32_e32 vcc_lo, s33, v2
	v_cndmask_b32_e32 v10, v2, v3, vcc_lo
	s_delay_alu instid0(VALU_DEP_1)
	v_dual_mov_b32 v2, v10 :: v_dual_mov_b32 v3, v11
.LBB79_173:                             ;   in Loop: Header=BB79_37 Depth=1
	s_delay_alu instid0(VALU_DEP_1) | instskip(NEXT) | instid1(VALU_DEP_2)
	v_sub_co_u32 v2, vcc_lo, s76, v2
	v_sub_co_ci_u32_e32 v3, vcc_lo, s53, v3, vcc_lo
	s_mov_b32 s4, 0
	s_mov_b32 s5, exec_lo
                                        ; implicit-def: $vgpr36
	s_delay_alu instid0(VALU_DEP_1)
	v_cmpx_gt_u64_e64 v[2:3], v[0:1]
	s_cbranch_execz .LBB79_181
; %bb.174:                              ;   in Loop: Header=BB79_37 Depth=1
	v_dual_mov_b32 v4, v12 :: v_dual_mov_b32 v5, v13
	v_dual_mov_b32 v7, v1 :: v_dual_mov_b32 v6, v0
	s_mov_b32 s12, 0
                                        ; implicit-def: $sgpr13
	s_set_inst_prefetch_distance 0x1
	s_branch .LBB79_176
	.p2align	6
.LBB79_175:                             ;   in Loop: Header=BB79_176 Depth=2
	s_or_b32 exec_lo, exec_lo, s4
	s_waitcnt lgkmcnt(0)
	s_barrier
	buffer_gl0_inv
	ds_load_u16 v8, v11 offset:3072
	v_add_co_u32 v6, vcc_lo, v6, s33
	v_add_co_ci_u32_e32 v7, vcc_lo, 0, v7, vcc_lo
	s_waitcnt lgkmcnt(0)
	s_barrier
	buffer_gl0_inv
	v_cmp_ge_u64_e32 vcc_lo, v[6:7], v[2:3]
	v_and_b32_e32 v9, 0xff, v8
	s_delay_alu instid0(VALU_DEP_1) | instskip(NEXT) | instid1(VALU_DEP_1)
	v_cmp_ne_u16_e64 s4, 0, v9
	s_or_b32 s19, vcc_lo, s4
	v_add_co_u32 v4, vcc_lo, v4, s71
	s_and_b32 s19, exec_lo, s19
	v_add_co_ci_u32_e32 v5, vcc_lo, s70, v5, vcc_lo
	s_or_b32 s12, s19, s12
	s_and_not1_b32 s13, s13, exec_lo
	s_and_b32 s4, s4, exec_lo
	s_delay_alu instid0(SALU_CYCLE_1)
	s_or_b32 s13, s13, s4
	s_and_not1_b32 exec_lo, exec_lo, s12
	s_cbranch_execz .LBB79_180
.LBB79_176:                             ;   Parent Loop BB79_37 Depth=1
                                        ; =>  This Inner Loop Header: Depth=2
	s_delay_alu instid0(VALU_DEP_1)
	v_cmp_gt_u64_e32 vcc_lo, s[24:25], v[6:7]
	v_mov_b32_e32 v8, 0
	s_and_saveexec_b32 s4, vcc_lo
	s_cbranch_execz .LBB79_178
; %bb.177:                              ;   in Loop: Header=BB79_176 Depth=2
	global_load_u8 v8, v[4:5], off
.LBB79_178:                             ;   in Loop: Header=BB79_176 Depth=2
	s_or_b32 exec_lo, exec_lo, s4
	s_waitcnt vmcnt(0)
	v_and_b32_e32 v9, s92, v8
	s_delay_alu instid0(VALU_DEP_1) | instskip(NEXT) | instid1(VALU_DEP_1)
	v_and_b32_e32 v9, 0xff, v9
	v_cmp_eq_u32_e64 s4, s91, v9
	s_delay_alu instid0(VALU_DEP_1) | instskip(NEXT) | instid1(SALU_CYCLE_1)
	s_and_b32 s19, vcc_lo, s4
	s_and_saveexec_b32 s4, s19
	s_cbranch_execz .LBB79_175
; %bb.179:                              ;   in Loop: Header=BB79_176 Depth=2
	v_lshlrev_b16 v8, 8, v8
	s_delay_alu instid0(VALU_DEP_1)
	v_or_b32_e32 v8, 1, v8
	ds_store_b16 v11, v8 offset:3072
	s_branch .LBB79_175
.LBB79_180:                             ;   in Loop: Header=BB79_37 Depth=1
	s_set_inst_prefetch_distance 0x2
	s_or_b32 exec_lo, exec_lo, s12
	v_lshrrev_b16 v36, 8, v8
	s_and_b32 s4, s13, exec_lo
.LBB79_181:                             ;   in Loop: Header=BB79_37 Depth=1
	s_or_b32 exec_lo, exec_lo, s5
	s_mov_b32 s19, -1
	s_mov_b32 s13, 0
	s_mov_b32 s12, 0
.LBB79_182:                             ;   in Loop: Header=BB79_37 Depth=1
	s_mov_b32 s5, 0
                                        ; implicit-def: $sgpr50
	s_and_saveexec_b32 s20, s4
	s_cbranch_execz .LBB79_289
; %bb.183:                              ;   in Loop: Header=BB79_37 Depth=1
	s_xor_b32 s4, s21, -1
	s_mov_b32 s50, 1
	s_and_not1_b32 vcc_lo, exec_lo, s4
	s_cbranch_vccnz .LBB79_194
; %bb.184:                              ;   in Loop: Header=BB79_37 Depth=1
	v_cmp_gt_u64_e64 s4, s[46:47], s[10:11]
                                        ; implicit-def: $sgpr50
                                        ; implicit-def: $sgpr5
                                        ; implicit-def: $sgpr21
	s_delay_alu instid0(VALU_DEP_1)
	s_and_b32 vcc_lo, exec_lo, s4
	s_mov_b32 s4, -1
	s_cbranch_vccnz .LBB79_190
; %bb.185:                              ;   in Loop: Header=BB79_37 Depth=1
	ds_load_b64 v[2:3], v11 offset:5120
	s_waitcnt lgkmcnt(0)
	v_cmp_ne_u64_e32 vcc_lo, 0, v[2:3]
	s_cbranch_vccnz .LBB79_189
; %bb.186:                              ;   in Loop: Header=BB79_37 Depth=1
	s_and_saveexec_b32 s4, s2
	s_cbranch_execz .LBB79_188
; %bb.187:                              ;   in Loop: Header=BB79_37 Depth=1
	v_dual_mov_b32 v2, s10 :: v_dual_mov_b32 v3, s11
	ds_store_b64 v11, v[2:3] offset:5128
.LBB79_188:                             ;   in Loop: Header=BB79_37 Depth=1
	s_or_b32 exec_lo, exec_lo, s4
	s_waitcnt lgkmcnt(0)
	s_barrier
	buffer_gl0_inv
.LBB79_189:                             ;   in Loop: Header=BB79_37 Depth=1
	s_lshl_b32 s4, 1, s17
	s_and_b32 s5, s91, s18
	s_or_b32 s21, s92, s16
	s_or_b32 s5, s5, s4
	s_mov_b32 s4, 0
	s_mov_b32 s50, 8
.LBB79_190:                             ;   in Loop: Header=BB79_37 Depth=1
	s_and_not1_b32 vcc_lo, exec_lo, s4
	s_cbranch_vccnz .LBB79_192
; %bb.191:                              ;   in Loop: Header=BB79_37 Depth=1
	s_sub_u32 s46, s46, s10
	s_subb_u32 s47, s47, s11
	s_mov_b32 s4, -1
	s_mov_b32 s50, 0
	s_mov_b32 s5, s91
	s_mov_b32 s21, s92
.LBB79_192:                             ;   in Loop: Header=BB79_37 Depth=1
	s_delay_alu instid0(SALU_CYCLE_1)
	s_mov_b32 s92, s21
	s_mov_b32 s91, s5
	s_and_not1_b32 vcc_lo, exec_lo, s4
	s_mov_b32 s5, -1
	s_cbranch_vccz .LBB79_195
.LBB79_193:                             ;   in Loop: Header=BB79_37 Depth=1
                                        ; implicit-def: $sgpr11
                                        ; implicit-def: $sgpr21
                                        ; implicit-def: $sgpr10
	s_branch .LBB79_288
.LBB79_194:                             ;   in Loop: Header=BB79_37 Depth=1
	s_mov_b64 s[46:47], 1
	s_mov_b32 s5, -1
	s_cbranch_execnz .LBB79_193
.LBB79_195:                             ;   in Loop: Header=BB79_37 Depth=1
	s_cmp_eq_u64 s[8:9], 1
	s_cselect_b32 s4, -1, 0
	s_cmp_eq_u64 s[46:47], 1
	s_cselect_b32 s5, -1, 0
	s_delay_alu instid0(SALU_CYCLE_1)
	s_and_b32 s23, s4, s5
	s_mov_b32 s4, -1
	s_and_b32 vcc_lo, exec_lo, s23
	s_cbranch_vccz .LBB79_209
; %bb.196:                              ;   in Loop: Header=BB79_37 Depth=1
	ds_load_b64 v[2:3], v11 offset:5120
	s_waitcnt lgkmcnt(0)
	s_barrier
	buffer_gl0_inv
	v_readfirstlane_b32 s10, v2
	v_readfirstlane_b32 s11, v3
	s_and_saveexec_b32 s4, s3
	s_cbranch_execz .LBB79_198
; %bb.197:                              ;   in Loop: Header=BB79_37 Depth=1
	ds_store_b8 v0, v11 offset:3072
.LBB79_198:                             ;   in Loop: Header=BB79_37 Depth=1
	s_or_b32 exec_lo, exec_lo, s4
	s_lshl_b32 s4, 2, s17
	s_and_b32 s5, s91, s18
	s_or_b32 s92, s92, s16
	s_or_b32 s91, s5, s4
	s_cmp_eq_u64 s[10:11], 0
	s_waitcnt lgkmcnt(0)
	s_barrier
	buffer_gl0_inv
	s_cbranch_scc1 .LBB79_212
; %bb.199:                              ;   in Loop: Header=BB79_37 Depth=1
	s_add_u32 s21, s74, s10
	s_addc_u32 s5, s75, s11
	s_mov_b32 s4, s51
	s_delay_alu instid0(SALU_CYCLE_1)
	s_cmp_lg_u64 s[4:5], 0
	s_cbranch_scc0 .LBB79_255
; %bb.200:                              ;   in Loop: Header=BB79_37 Depth=1
	v_cvt_f32_u32_e32 v2, s33
	s_sub_u32 s50, 0, s33
	s_subb_u32 s52, 0, 0
	s_delay_alu instid0(VALU_DEP_1) | instskip(NEXT) | instid1(VALU_DEP_1)
	v_fmac_f32_e64 v2, 0, 0x4f800000
	v_rcp_f32_e32 v2, v2
	s_waitcnt_depctr 0xfff
	v_mul_f32_e32 v2, 0x5f7ffffc, v2
	s_delay_alu instid0(VALU_DEP_1) | instskip(NEXT) | instid1(VALU_DEP_1)
	v_mul_f32_e32 v3, 0x2f800000, v2
	v_trunc_f32_e32 v3, v3
	s_delay_alu instid0(VALU_DEP_1) | instskip(SKIP_1) | instid1(VALU_DEP_2)
	v_fmac_f32_e32 v2, 0xcf800000, v3
	v_cvt_u32_f32_e32 v3, v3
	v_cvt_u32_f32_e32 v2, v2
	s_delay_alu instid0(VALU_DEP_2) | instskip(NEXT) | instid1(VALU_DEP_2)
	v_readfirstlane_b32 s4, v3
	v_readfirstlane_b32 s22, v2
	s_delay_alu instid0(VALU_DEP_2) | instskip(NEXT) | instid1(VALU_DEP_1)
	s_mul_i32 s60, s50, s4
	s_mul_hi_u32 s62, s50, s22
	s_mul_i32 s61, s52, s22
	s_add_i32 s60, s62, s60
	s_mul_i32 s63, s50, s22
	s_add_i32 s60, s60, s61
	s_mul_hi_u32 s62, s22, s63
	s_mul_hi_u32 s64, s4, s63
	s_mul_i32 s61, s4, s63
	s_mul_hi_u32 s63, s22, s60
	s_mul_i32 s22, s22, s60
	s_mul_hi_u32 s65, s4, s60
	s_add_u32 s22, s62, s22
	s_addc_u32 s62, 0, s63
	s_add_u32 s22, s22, s61
	s_mul_i32 s60, s4, s60
	s_addc_u32 s22, s62, s64
	s_addc_u32 s61, s65, 0
	s_add_u32 s22, s22, s60
	s_addc_u32 s60, 0, s61
	v_add_co_u32 v2, s22, v2, s22
	s_delay_alu instid0(VALU_DEP_1) | instskip(SKIP_1) | instid1(VALU_DEP_1)
	s_cmp_lg_u32 s22, 0
	s_addc_u32 s4, s4, s60
	v_readfirstlane_b32 s22, v2
	s_mul_i32 s60, s50, s4
	s_delay_alu instid0(VALU_DEP_1)
	s_mul_hi_u32 s61, s50, s22
	s_mul_i32 s52, s52, s22
	s_add_i32 s60, s61, s60
	s_mul_i32 s50, s50, s22
	s_add_i32 s60, s60, s52
	s_mul_hi_u32 s61, s4, s50
	s_mul_i32 s62, s4, s50
	s_mul_hi_u32 s50, s22, s50
	s_mul_hi_u32 s63, s22, s60
	s_mul_i32 s22, s22, s60
	s_mul_hi_u32 s52, s4, s60
	s_add_u32 s22, s50, s22
	s_addc_u32 s50, 0, s63
	s_add_u32 s22, s22, s62
	s_mul_i32 s60, s4, s60
	s_addc_u32 s22, s50, s61
	s_addc_u32 s50, s52, 0
	s_add_u32 s22, s22, s60
	s_addc_u32 s50, 0, s50
	v_add_co_u32 v2, s22, v2, s22
	s_delay_alu instid0(VALU_DEP_1) | instskip(SKIP_1) | instid1(VALU_DEP_1)
	s_cmp_lg_u32 s22, 0
	s_addc_u32 s4, s4, s50
	v_readfirstlane_b32 s22, v2
	s_mul_i32 s52, s21, s4
	s_mul_hi_u32 s50, s21, s4
	s_mul_hi_u32 s60, s5, s4
	s_mul_i32 s4, s5, s4
	s_mul_hi_u32 s61, s21, s22
	s_mul_hi_u32 s62, s5, s22
	s_mul_i32 s22, s5, s22
	s_add_u32 s52, s61, s52
	s_addc_u32 s50, 0, s50
	s_add_u32 s22, s52, s22
	s_addc_u32 s22, s50, s62
	s_addc_u32 s50, s60, 0
	s_add_u32 s4, s22, s4
	s_addc_u32 s22, 0, s50
	s_mul_hi_u32 s50, s33, s4
	s_mul_i32 s4, s33, s4
	s_mul_i32 s22, s33, s22
	v_sub_co_u32 v2, s4, s21, s4
	s_add_i32 s50, s50, s22
	s_cmp_lg_u32 s4, 0
	s_delay_alu instid0(VALU_DEP_1) | instskip(SKIP_2) | instid1(VALU_DEP_1)
	v_sub_co_u32 v3, s4, v2, s33
	s_subb_u32 s22, s5, s50
	s_cmp_lg_u32 s4, 0
	v_cmp_le_u32_e32 vcc_lo, s33, v3
	v_sub_co_u32 v4, s4, v3, s33
	s_subb_u32 s50, s22, 0
	s_cmp_lg_u32 s4, 0
	v_cndmask_b32_e64 v5, 0, -1, vcc_lo
	s_subb_u32 s4, s50, 0
	s_cmp_eq_u32 s50, 0
	v_mov_b32_e32 v7, s4
	s_cselect_b32 vcc_lo, -1, 0
	s_cmp_eq_u32 s22, 0
	v_cndmask_b32_e32 v5, -1, v5, vcc_lo
	v_cmp_le_u32_e32 vcc_lo, s33, v2
	s_cselect_b32 s4, -1, 0
	v_cndmask_b32_e64 v6, 0, -1, vcc_lo
	s_delay_alu instid0(VALU_DEP_3) | instskip(NEXT) | instid1(VALU_DEP_2)
	v_cmp_ne_u32_e32 vcc_lo, 0, v5
	v_cndmask_b32_e64 v5, -1, v6, s4
	v_cndmask_b32_e32 v6, s50, v7, vcc_lo
	v_cndmask_b32_e32 v4, v3, v4, vcc_lo
	s_delay_alu instid0(VALU_DEP_3) | instskip(NEXT) | instid1(VALU_DEP_3)
	v_cmp_ne_u32_e32 vcc_lo, 0, v5
	v_cndmask_b32_e32 v3, s22, v6, vcc_lo
	s_delay_alu instid0(VALU_DEP_3)
	v_cndmask_b32_e32 v2, v2, v4, vcc_lo
	s_cbranch_execnz .LBB79_202
.LBB79_201:                             ;   in Loop: Header=BB79_37 Depth=1
	v_cvt_f32_u32_e32 v2, s33
	s_sub_i32 s4, 0, s33
	s_delay_alu instid0(VALU_DEP_1) | instskip(SKIP_2) | instid1(VALU_DEP_1)
	v_rcp_iflag_f32_e32 v2, v2
	s_waitcnt_depctr 0xfff
	v_mul_f32_e32 v2, 0x4f7ffffe, v2
	v_cvt_u32_f32_e32 v2, v2
	s_delay_alu instid0(VALU_DEP_1) | instskip(NEXT) | instid1(VALU_DEP_1)
	v_mul_lo_u32 v3, s4, v2
	v_mul_hi_u32 v3, v2, v3
	s_delay_alu instid0(VALU_DEP_1) | instskip(NEXT) | instid1(VALU_DEP_1)
	v_add_nc_u32_e32 v2, v2, v3
	v_mul_hi_u32 v2, s21, v2
	s_delay_alu instid0(VALU_DEP_1) | instskip(NEXT) | instid1(VALU_DEP_1)
	v_mul_lo_u32 v2, v2, s33
	v_sub_nc_u32_e32 v2, s21, v2
	s_delay_alu instid0(VALU_DEP_1) | instskip(SKIP_1) | instid1(VALU_DEP_2)
	v_subrev_nc_u32_e32 v3, s33, v2
	v_cmp_le_u32_e32 vcc_lo, s33, v2
	v_cndmask_b32_e32 v2, v2, v3, vcc_lo
	s_delay_alu instid0(VALU_DEP_1) | instskip(SKIP_1) | instid1(VALU_DEP_2)
	v_subrev_nc_u32_e32 v3, s33, v2
	v_cmp_le_u32_e32 vcc_lo, s33, v2
	v_cndmask_b32_e32 v10, v2, v3, vcc_lo
	s_delay_alu instid0(VALU_DEP_1)
	v_dual_mov_b32 v2, v10 :: v_dual_mov_b32 v3, v11
.LBB79_202:                             ;   in Loop: Header=BB79_37 Depth=1
	s_delay_alu instid0(VALU_DEP_1) | instskip(NEXT) | instid1(VALU_DEP_2)
	v_sub_co_u32 v2, vcc_lo, s21, v2
	v_sub_co_ci_u32_e32 v3, vcc_lo, s5, v3, vcc_lo
	s_mov_b32 s4, 0
	s_mov_b32 s5, exec_lo
                                        ; implicit-def: $vgpr36
	s_delay_alu instid0(VALU_DEP_1)
	v_cmpx_gt_u64_e64 v[2:3], v[0:1]
	s_cbranch_execz .LBB79_214
; %bb.203:                              ;   in Loop: Header=BB79_37 Depth=1
	v_dual_mov_b32 v6, v0 :: v_dual_mov_b32 v5, v1
	v_mov_b32_e32 v4, v0
	s_mov_b32 s21, 0
                                        ; implicit-def: $sgpr22
	s_set_inst_prefetch_distance 0x1
	s_branch .LBB79_205
	.p2align	6
.LBB79_204:                             ;   in Loop: Header=BB79_205 Depth=2
	s_or_b32 exec_lo, exec_lo, s4
	s_waitcnt lgkmcnt(0)
	s_barrier
	buffer_gl0_inv
	ds_load_u16 v7, v11 offset:3072
	v_add_co_u32 v4, vcc_lo, v4, s33
	v_add_co_ci_u32_e32 v5, vcc_lo, 0, v5, vcc_lo
	v_add_nc_u32_e32 v6, s33, v6
	s_waitcnt lgkmcnt(0)
	s_barrier
	s_delay_alu instid0(VALU_DEP_2) | instskip(SKIP_2) | instid1(VALU_DEP_1)
	v_cmp_ge_u64_e32 vcc_lo, v[4:5], v[2:3]
	buffer_gl0_inv
	v_and_b32_e32 v8, 0xff, v7
	v_cmp_ne_u16_e64 s4, 0, v8
	s_delay_alu instid0(VALU_DEP_1) | instskip(NEXT) | instid1(SALU_CYCLE_1)
	s_or_b32 s50, vcc_lo, s4
	s_and_b32 s50, exec_lo, s50
	s_delay_alu instid0(SALU_CYCLE_1) | instskip(SKIP_2) | instid1(SALU_CYCLE_1)
	s_or_b32 s21, s50, s21
	s_and_not1_b32 s22, s22, exec_lo
	s_and_b32 s4, s4, exec_lo
	s_or_b32 s22, s22, s4
	s_and_not1_b32 exec_lo, exec_lo, s21
	s_cbranch_execz .LBB79_213
.LBB79_205:                             ;   Parent Loop BB79_37 Depth=1
                                        ; =>  This Inner Loop Header: Depth=2
	s_delay_alu instid0(VALU_DEP_1)
	v_cmp_gt_u64_e32 vcc_lo, s[10:11], v[4:5]
	v_mov_b32_e32 v7, 0
	s_and_saveexec_b32 s4, vcc_lo
	s_cbranch_execz .LBB79_207
; %bb.206:                              ;   in Loop: Header=BB79_205 Depth=2
	ds_load_u8 v7, v6
.LBB79_207:                             ;   in Loop: Header=BB79_205 Depth=2
	s_or_b32 exec_lo, exec_lo, s4
	s_waitcnt lgkmcnt(0)
	v_and_b32_e32 v8, s92, v7
	s_delay_alu instid0(VALU_DEP_1) | instskip(NEXT) | instid1(VALU_DEP_1)
	v_and_b32_e32 v8, 0xff, v8
	v_cmp_eq_u32_e64 s4, s91, v8
	s_delay_alu instid0(VALU_DEP_1) | instskip(NEXT) | instid1(SALU_CYCLE_1)
	s_and_b32 s50, vcc_lo, s4
	s_and_saveexec_b32 s4, s50
	s_cbranch_execz .LBB79_204
; %bb.208:                              ;   in Loop: Header=BB79_205 Depth=2
	v_lshlrev_b16 v7, 8, v7
	s_delay_alu instid0(VALU_DEP_1)
	v_or_b32_e32 v7, 1, v7
	ds_store_b16 v11, v7 offset:3072
	s_branch .LBB79_204
.LBB79_209:                             ;   in Loop: Header=BB79_37 Depth=1
                                        ; implicit-def: $sgpr10
                                        ; implicit-def: $sgpr21
                                        ; implicit-def: $sgpr11
	s_branch .LBB79_227
.LBB79_210:                             ;   in Loop: Header=BB79_37 Depth=1
                                        ; implicit-def: $vgpr2_vgpr3
	s_branch .LBB79_156
.LBB79_211:                             ;   in Loop: Header=BB79_37 Depth=1
                                        ; implicit-def: $vgpr2_vgpr3
	s_branch .LBB79_172
.LBB79_212:                             ;   in Loop: Header=BB79_37 Depth=1
	s_mov_b32 s10, -1
	s_mov_b32 s4, 0
                                        ; implicit-def: $sgpr11
                                        ; implicit-def: $vgpr36
	s_mov_b32 s21, s10
	s_cbranch_execnz .LBB79_215
	s_branch .LBB79_227
.LBB79_213:                             ;   in Loop: Header=BB79_37 Depth=1
	s_set_inst_prefetch_distance 0x2
	s_or_b32 exec_lo, exec_lo, s21
	v_lshrrev_b16 v36, 8, v7
	s_and_b32 s4, s22, exec_lo
.LBB79_214:                             ;   in Loop: Header=BB79_37 Depth=1
	s_or_b32 exec_lo, exec_lo, s5
	s_mov_b32 s11, -1
	s_mov_b32 s10, 0
	s_delay_alu instid0(SALU_CYCLE_1)
	s_mov_b32 s21, s10
	s_branch .LBB79_227
.LBB79_215:                             ;   in Loop: Header=BB79_37 Depth=1
	s_mov_b32 s52, s51
	s_delay_alu instid0(SALU_CYCLE_1)
	s_cmp_lg_u64 s[52:53], 0
	s_cbranch_scc0 .LBB79_256
; %bb.216:                              ;   in Loop: Header=BB79_37 Depth=1
	v_cvt_f32_u32_e32 v2, s33
	s_sub_u32 s10, 0, s33
	s_subb_u32 s11, 0, 0
	s_delay_alu instid0(VALU_DEP_1) | instskip(NEXT) | instid1(VALU_DEP_1)
	v_fmac_f32_e64 v2, 0, 0x4f800000
	v_rcp_f32_e32 v2, v2
	s_waitcnt_depctr 0xfff
	v_mul_f32_e32 v2, 0x5f7ffffc, v2
	s_delay_alu instid0(VALU_DEP_1) | instskip(NEXT) | instid1(VALU_DEP_1)
	v_mul_f32_e32 v3, 0x2f800000, v2
	v_trunc_f32_e32 v3, v3
	s_delay_alu instid0(VALU_DEP_1) | instskip(SKIP_1) | instid1(VALU_DEP_2)
	v_fmac_f32_e32 v2, 0xcf800000, v3
	v_cvt_u32_f32_e32 v3, v3
	v_cvt_u32_f32_e32 v2, v2
	s_delay_alu instid0(VALU_DEP_2) | instskip(NEXT) | instid1(VALU_DEP_2)
	v_readfirstlane_b32 s4, v3
	v_readfirstlane_b32 s5, v2
	s_delay_alu instid0(VALU_DEP_2) | instskip(NEXT) | instid1(VALU_DEP_1)
	s_mul_i32 s21, s10, s4
	s_mul_hi_u32 s50, s10, s5
	s_mul_i32 s22, s11, s5
	s_add_i32 s21, s50, s21
	s_mul_i32 s52, s10, s5
	s_add_i32 s21, s21, s22
	s_mul_hi_u32 s50, s5, s52
	s_mul_hi_u32 s60, s4, s52
	s_mul_i32 s22, s4, s52
	s_mul_hi_u32 s52, s5, s21
	s_mul_i32 s5, s5, s21
	s_mul_hi_u32 s61, s4, s21
	s_add_u32 s5, s50, s5
	s_addc_u32 s50, 0, s52
	s_add_u32 s5, s5, s22
	s_mul_i32 s21, s4, s21
	s_addc_u32 s5, s50, s60
	s_addc_u32 s22, s61, 0
	s_add_u32 s5, s5, s21
	s_addc_u32 s21, 0, s22
	v_add_co_u32 v2, s5, v2, s5
	s_delay_alu instid0(VALU_DEP_1) | instskip(SKIP_1) | instid1(VALU_DEP_1)
	s_cmp_lg_u32 s5, 0
	s_addc_u32 s4, s4, s21
	v_readfirstlane_b32 s5, v2
	s_mul_i32 s21, s10, s4
	s_delay_alu instid0(VALU_DEP_1)
	s_mul_hi_u32 s22, s10, s5
	s_mul_i32 s11, s11, s5
	s_add_i32 s21, s22, s21
	s_mul_i32 s10, s10, s5
	s_add_i32 s21, s21, s11
	s_mul_hi_u32 s22, s4, s10
	s_mul_i32 s50, s4, s10
	s_mul_hi_u32 s10, s5, s10
	s_mul_hi_u32 s52, s5, s21
	s_mul_i32 s5, s5, s21
	s_mul_hi_u32 s11, s4, s21
	s_add_u32 s5, s10, s5
	s_addc_u32 s10, 0, s52
	s_add_u32 s5, s5, s50
	s_mul_i32 s21, s4, s21
	s_addc_u32 s5, s10, s22
	s_addc_u32 s10, s11, 0
	s_add_u32 s5, s5, s21
	s_addc_u32 s10, 0, s10
	v_add_co_u32 v2, s5, v2, s5
	s_delay_alu instid0(VALU_DEP_1) | instskip(SKIP_1) | instid1(VALU_DEP_1)
	s_cmp_lg_u32 s5, 0
	s_addc_u32 s4, s4, s10
	v_readfirstlane_b32 s5, v2
	s_mul_i32 s11, s76, s4
	s_mul_hi_u32 s10, s76, s4
	s_mul_hi_u32 s21, s53, s4
	s_mul_i32 s4, s53, s4
	s_mul_hi_u32 s22, s76, s5
	s_mul_hi_u32 s50, s53, s5
	s_mul_i32 s5, s53, s5
	s_add_u32 s11, s22, s11
	s_addc_u32 s10, 0, s10
	s_add_u32 s5, s11, s5
	s_addc_u32 s5, s10, s50
	s_addc_u32 s10, s21, 0
	s_add_u32 s4, s5, s4
	s_addc_u32 s5, 0, s10
	s_mul_hi_u32 s10, s33, s4
	s_mul_i32 s4, s33, s4
	s_mul_i32 s5, s33, s5
	v_sub_co_u32 v2, s4, s76, s4
	s_add_i32 s10, s10, s5
	s_cmp_lg_u32 s4, 0
	s_delay_alu instid0(VALU_DEP_1) | instskip(SKIP_2) | instid1(VALU_DEP_1)
	v_sub_co_u32 v3, s4, v2, s33
	s_subb_u32 s5, s53, s10
	s_cmp_lg_u32 s4, 0
	v_cmp_le_u32_e32 vcc_lo, s33, v3
	v_sub_co_u32 v4, s4, v3, s33
	s_subb_u32 s10, s5, 0
	s_cmp_lg_u32 s4, 0
	v_cndmask_b32_e64 v5, 0, -1, vcc_lo
	s_subb_u32 s4, s10, 0
	s_cmp_eq_u32 s10, 0
	v_mov_b32_e32 v7, s4
	s_cselect_b32 vcc_lo, -1, 0
	s_cmp_eq_u32 s5, 0
	v_cndmask_b32_e32 v5, -1, v5, vcc_lo
	v_cmp_le_u32_e32 vcc_lo, s33, v2
	s_cselect_b32 s4, -1, 0
	v_cndmask_b32_e64 v6, 0, -1, vcc_lo
	s_delay_alu instid0(VALU_DEP_3) | instskip(NEXT) | instid1(VALU_DEP_2)
	v_cmp_ne_u32_e32 vcc_lo, 0, v5
	v_cndmask_b32_e64 v5, -1, v6, s4
	v_cndmask_b32_e32 v6, s10, v7, vcc_lo
	v_cndmask_b32_e32 v4, v3, v4, vcc_lo
	s_delay_alu instid0(VALU_DEP_3) | instskip(NEXT) | instid1(VALU_DEP_3)
	v_cmp_ne_u32_e32 vcc_lo, 0, v5
	v_cndmask_b32_e32 v3, s5, v6, vcc_lo
	s_delay_alu instid0(VALU_DEP_3)
	v_cndmask_b32_e32 v2, v2, v4, vcc_lo
	s_cbranch_execnz .LBB79_218
.LBB79_217:                             ;   in Loop: Header=BB79_37 Depth=1
	v_cvt_f32_u32_e32 v2, s33
	s_sub_i32 s4, 0, s33
	s_delay_alu instid0(VALU_DEP_1) | instskip(SKIP_2) | instid1(VALU_DEP_1)
	v_rcp_iflag_f32_e32 v2, v2
	s_waitcnt_depctr 0xfff
	v_mul_f32_e32 v2, 0x4f7ffffe, v2
	v_cvt_u32_f32_e32 v2, v2
	s_delay_alu instid0(VALU_DEP_1) | instskip(NEXT) | instid1(VALU_DEP_1)
	v_mul_lo_u32 v3, s4, v2
	v_mul_hi_u32 v3, v2, v3
	s_delay_alu instid0(VALU_DEP_1) | instskip(NEXT) | instid1(VALU_DEP_1)
	v_add_nc_u32_e32 v2, v2, v3
	v_mul_hi_u32 v2, s76, v2
	s_delay_alu instid0(VALU_DEP_1) | instskip(NEXT) | instid1(VALU_DEP_1)
	v_mul_lo_u32 v2, v2, s33
	v_sub_nc_u32_e32 v2, s76, v2
	s_delay_alu instid0(VALU_DEP_1) | instskip(SKIP_1) | instid1(VALU_DEP_2)
	v_subrev_nc_u32_e32 v3, s33, v2
	v_cmp_le_u32_e32 vcc_lo, s33, v2
	v_cndmask_b32_e32 v2, v2, v3, vcc_lo
	s_delay_alu instid0(VALU_DEP_1) | instskip(SKIP_1) | instid1(VALU_DEP_2)
	v_subrev_nc_u32_e32 v3, s33, v2
	v_cmp_le_u32_e32 vcc_lo, s33, v2
	v_cndmask_b32_e32 v10, v2, v3, vcc_lo
	s_delay_alu instid0(VALU_DEP_1)
	v_dual_mov_b32 v2, v10 :: v_dual_mov_b32 v3, v11
.LBB79_218:                             ;   in Loop: Header=BB79_37 Depth=1
	s_delay_alu instid0(VALU_DEP_1) | instskip(NEXT) | instid1(VALU_DEP_2)
	v_sub_co_u32 v2, vcc_lo, s76, v2
	v_sub_co_ci_u32_e32 v3, vcc_lo, s53, v3, vcc_lo
	s_mov_b32 s4, 0
	s_mov_b32 s5, exec_lo
                                        ; implicit-def: $vgpr36
	s_delay_alu instid0(VALU_DEP_1)
	v_cmpx_gt_u64_e64 v[2:3], v[0:1]
	s_cbranch_execz .LBB79_226
; %bb.219:                              ;   in Loop: Header=BB79_37 Depth=1
	v_dual_mov_b32 v4, v12 :: v_dual_mov_b32 v5, v13
	v_dual_mov_b32 v7, v1 :: v_dual_mov_b32 v6, v0
	s_mov_b32 s10, 0
                                        ; implicit-def: $sgpr11
	s_set_inst_prefetch_distance 0x1
	s_branch .LBB79_221
	.p2align	6
.LBB79_220:                             ;   in Loop: Header=BB79_221 Depth=2
	s_or_b32 exec_lo, exec_lo, s4
	s_waitcnt lgkmcnt(0)
	s_barrier
	buffer_gl0_inv
	ds_load_u16 v8, v11 offset:3072
	v_add_co_u32 v6, vcc_lo, v6, s33
	v_add_co_ci_u32_e32 v7, vcc_lo, 0, v7, vcc_lo
	s_waitcnt lgkmcnt(0)
	s_barrier
	buffer_gl0_inv
	v_cmp_ge_u64_e32 vcc_lo, v[6:7], v[2:3]
	v_and_b32_e32 v9, 0xff, v8
	s_delay_alu instid0(VALU_DEP_1) | instskip(NEXT) | instid1(VALU_DEP_1)
	v_cmp_ne_u16_e64 s4, 0, v9
	s_or_b32 s21, vcc_lo, s4
	v_add_co_u32 v4, vcc_lo, v4, s71
	s_and_b32 s21, exec_lo, s21
	v_add_co_ci_u32_e32 v5, vcc_lo, s70, v5, vcc_lo
	s_or_b32 s10, s21, s10
	s_and_not1_b32 s11, s11, exec_lo
	s_and_b32 s4, s4, exec_lo
	s_delay_alu instid0(SALU_CYCLE_1)
	s_or_b32 s11, s11, s4
	s_and_not1_b32 exec_lo, exec_lo, s10
	s_cbranch_execz .LBB79_225
.LBB79_221:                             ;   Parent Loop BB79_37 Depth=1
                                        ; =>  This Inner Loop Header: Depth=2
	s_delay_alu instid0(VALU_DEP_1)
	v_cmp_gt_u64_e32 vcc_lo, s[24:25], v[6:7]
	v_mov_b32_e32 v8, 0
	s_and_saveexec_b32 s4, vcc_lo
	s_cbranch_execz .LBB79_223
; %bb.222:                              ;   in Loop: Header=BB79_221 Depth=2
	global_load_u8 v8, v[4:5], off
.LBB79_223:                             ;   in Loop: Header=BB79_221 Depth=2
	s_or_b32 exec_lo, exec_lo, s4
	s_waitcnt vmcnt(0)
	v_and_b32_e32 v9, s92, v8
	s_delay_alu instid0(VALU_DEP_1) | instskip(NEXT) | instid1(VALU_DEP_1)
	v_and_b32_e32 v9, 0xff, v9
	v_cmp_eq_u32_e64 s4, s91, v9
	s_delay_alu instid0(VALU_DEP_1) | instskip(NEXT) | instid1(SALU_CYCLE_1)
	s_and_b32 s21, vcc_lo, s4
	s_and_saveexec_b32 s4, s21
	s_cbranch_execz .LBB79_220
; %bb.224:                              ;   in Loop: Header=BB79_221 Depth=2
	v_lshlrev_b16 v8, 8, v8
	s_delay_alu instid0(VALU_DEP_1)
	v_or_b32_e32 v8, 1, v8
	ds_store_b16 v11, v8 offset:3072
	s_branch .LBB79_220
.LBB79_225:                             ;   in Loop: Header=BB79_37 Depth=1
	s_set_inst_prefetch_distance 0x2
	s_or_b32 exec_lo, exec_lo, s10
	v_lshrrev_b16 v36, 8, v8
	s_and_b32 s4, s11, exec_lo
.LBB79_226:                             ;   in Loop: Header=BB79_37 Depth=1
	s_or_b32 exec_lo, exec_lo, s5
	s_mov_b32 s21, -1
	s_mov_b32 s10, 0
	s_mov_b32 s11, 0
.LBB79_227:                             ;   in Loop: Header=BB79_37 Depth=1
	s_mov_b32 s5, 0
                                        ; implicit-def: $sgpr50
	s_and_saveexec_b32 s22, s4
	s_cbranch_execz .LBB79_287
; %bb.228:                              ;   in Loop: Header=BB79_37 Depth=1
	s_xor_b32 s4, s23, -1
	s_mov_b32 s50, 1
	s_and_not1_b32 vcc_lo, exec_lo, s4
	s_cbranch_vccnz .LBB79_239
; %bb.229:                              ;   in Loop: Header=BB79_37 Depth=1
	v_cmp_gt_u64_e64 s4, s[46:47], s[8:9]
                                        ; implicit-def: $sgpr50
                                        ; implicit-def: $sgpr5
                                        ; implicit-def: $sgpr23
	s_delay_alu instid0(VALU_DEP_1)
	s_and_b32 vcc_lo, exec_lo, s4
	s_mov_b32 s4, -1
	s_cbranch_vccnz .LBB79_235
; %bb.230:                              ;   in Loop: Header=BB79_37 Depth=1
	ds_load_b64 v[2:3], v11 offset:5120
	s_waitcnt lgkmcnt(0)
	v_cmp_ne_u64_e32 vcc_lo, 0, v[2:3]
	s_cbranch_vccnz .LBB79_234
; %bb.231:                              ;   in Loop: Header=BB79_37 Depth=1
	s_and_saveexec_b32 s4, s2
	s_cbranch_execz .LBB79_233
; %bb.232:                              ;   in Loop: Header=BB79_37 Depth=1
	v_dual_mov_b32 v2, s8 :: v_dual_mov_b32 v3, s9
	ds_store_b64 v11, v[2:3] offset:5128
.LBB79_233:                             ;   in Loop: Header=BB79_37 Depth=1
	s_or_b32 exec_lo, exec_lo, s4
	s_waitcnt lgkmcnt(0)
	s_barrier
	buffer_gl0_inv
.LBB79_234:                             ;   in Loop: Header=BB79_37 Depth=1
	s_lshl_b32 s4, 2, s17
	s_and_b32 s5, s91, s18
	s_or_b32 s23, s92, s16
	s_or_b32 s5, s5, s4
	s_mov_b32 s4, 0
	s_mov_b32 s50, 8
.LBB79_235:                             ;   in Loop: Header=BB79_37 Depth=1
	s_and_not1_b32 vcc_lo, exec_lo, s4
	s_cbranch_vccnz .LBB79_237
; %bb.236:                              ;   in Loop: Header=BB79_37 Depth=1
	s_sub_u32 s46, s46, s8
	s_subb_u32 s47, s47, s9
	s_mov_b32 s4, -1
	s_mov_b32 s50, 0
	s_mov_b32 s5, s91
	;; [unrolled: 1-line block ×3, first 2 shown]
.LBB79_237:                             ;   in Loop: Header=BB79_37 Depth=1
	s_delay_alu instid0(SALU_CYCLE_1)
	s_mov_b32 s92, s23
	s_mov_b32 s91, s5
	s_and_not1_b32 vcc_lo, exec_lo, s4
	s_mov_b32 s60, -1
	s_cbranch_vccz .LBB79_240
.LBB79_238:                             ;   in Loop: Header=BB79_37 Depth=1
                                        ; implicit-def: $sgpr8
                                        ; implicit-def: $sgpr18
                                        ; implicit-def: $sgpr9
	s_branch .LBB79_286
.LBB79_239:                             ;   in Loop: Header=BB79_37 Depth=1
	s_mov_b64 s[46:47], 1
	s_mov_b32 s60, -1
	s_cbranch_execnz .LBB79_238
.LBB79_240:                             ;   in Loop: Header=BB79_37 Depth=1
	s_cmp_eq_u64 s[6:7], 1
	s_mov_b32 s23, -1
	s_cselect_b32 s4, -1, 0
	s_cmp_eq_u64 s[46:47], 1
	s_cselect_b32 s5, -1, 0
	s_delay_alu instid0(SALU_CYCLE_1) | instskip(NEXT) | instid1(SALU_CYCLE_1)
	s_and_b32 s17, s4, s5
	s_and_b32 vcc_lo, exec_lo, s17
	s_cbranch_vccz .LBB79_254
; %bb.241:                              ;   in Loop: Header=BB79_37 Depth=1
	ds_load_b64 v[2:3], v11 offset:5120
	s_waitcnt lgkmcnt(0)
	s_barrier
	buffer_gl0_inv
	v_readfirstlane_b32 s8, v2
	v_readfirstlane_b32 s9, v3
	s_and_saveexec_b32 s4, s3
	s_cbranch_execz .LBB79_243
; %bb.242:                              ;   in Loop: Header=BB79_37 Depth=1
	ds_store_b8 v0, v11 offset:3072
.LBB79_243:                             ;   in Loop: Header=BB79_37 Depth=1
	s_or_b32 exec_lo, exec_lo, s4
	s_or_b32 s91, s91, s16
	s_or_b32 s92, s92, s16
	s_cmp_eq_u64 s[8:9], 0
	s_waitcnt lgkmcnt(0)
	s_barrier
	buffer_gl0_inv
	s_cbranch_scc1 .LBB79_257
; %bb.244:                              ;   in Loop: Header=BB79_37 Depth=1
	s_add_u32 s18, s74, s8
	s_addc_u32 s5, s75, s9
	s_mov_b32 s4, s51
	s_delay_alu instid0(SALU_CYCLE_1)
	s_cmp_lg_u64 s[4:5], 0
	s_cbranch_scc0 .LBB79_292
; %bb.245:                              ;   in Loop: Header=BB79_37 Depth=1
	v_cvt_f32_u32_e32 v2, s33
	s_sub_u32 s50, 0, s33
	s_subb_u32 s52, 0, 0
	s_delay_alu instid0(VALU_DEP_1) | instskip(NEXT) | instid1(VALU_DEP_1)
	v_fmac_f32_e64 v2, 0, 0x4f800000
	v_rcp_f32_e32 v2, v2
	s_waitcnt_depctr 0xfff
	v_mul_f32_e32 v2, 0x5f7ffffc, v2
	s_delay_alu instid0(VALU_DEP_1) | instskip(NEXT) | instid1(VALU_DEP_1)
	v_mul_f32_e32 v3, 0x2f800000, v2
	v_trunc_f32_e32 v3, v3
	s_delay_alu instid0(VALU_DEP_1) | instskip(SKIP_1) | instid1(VALU_DEP_2)
	v_fmac_f32_e32 v2, 0xcf800000, v3
	v_cvt_u32_f32_e32 v3, v3
	v_cvt_u32_f32_e32 v2, v2
	s_delay_alu instid0(VALU_DEP_2) | instskip(NEXT) | instid1(VALU_DEP_2)
	v_readfirstlane_b32 s4, v3
	v_readfirstlane_b32 s23, v2
	s_delay_alu instid0(VALU_DEP_2) | instskip(NEXT) | instid1(VALU_DEP_1)
	s_mul_i32 s60, s50, s4
	s_mul_hi_u32 s62, s50, s23
	s_mul_i32 s61, s52, s23
	s_add_i32 s60, s62, s60
	s_mul_i32 s63, s50, s23
	s_add_i32 s60, s60, s61
	s_mul_hi_u32 s62, s23, s63
	s_mul_hi_u32 s64, s4, s63
	s_mul_i32 s61, s4, s63
	s_mul_hi_u32 s63, s23, s60
	s_mul_i32 s23, s23, s60
	s_mul_hi_u32 s65, s4, s60
	s_add_u32 s23, s62, s23
	s_addc_u32 s62, 0, s63
	s_add_u32 s23, s23, s61
	s_mul_i32 s60, s4, s60
	s_addc_u32 s23, s62, s64
	s_addc_u32 s61, s65, 0
	s_add_u32 s23, s23, s60
	s_addc_u32 s60, 0, s61
	v_add_co_u32 v2, s23, v2, s23
	s_delay_alu instid0(VALU_DEP_1) | instskip(SKIP_1) | instid1(VALU_DEP_1)
	s_cmp_lg_u32 s23, 0
	s_addc_u32 s4, s4, s60
	v_readfirstlane_b32 s23, v2
	s_mul_i32 s60, s50, s4
	s_delay_alu instid0(VALU_DEP_1)
	s_mul_hi_u32 s61, s50, s23
	s_mul_i32 s52, s52, s23
	s_add_i32 s60, s61, s60
	s_mul_i32 s50, s50, s23
	s_add_i32 s60, s60, s52
	s_mul_hi_u32 s61, s4, s50
	s_mul_i32 s62, s4, s50
	s_mul_hi_u32 s50, s23, s50
	s_mul_hi_u32 s63, s23, s60
	s_mul_i32 s23, s23, s60
	s_mul_hi_u32 s52, s4, s60
	s_add_u32 s23, s50, s23
	s_addc_u32 s50, 0, s63
	s_add_u32 s23, s23, s62
	s_mul_i32 s60, s4, s60
	s_addc_u32 s23, s50, s61
	s_addc_u32 s50, s52, 0
	s_add_u32 s23, s23, s60
	s_addc_u32 s50, 0, s50
	v_add_co_u32 v2, s23, v2, s23
	s_delay_alu instid0(VALU_DEP_1) | instskip(SKIP_1) | instid1(VALU_DEP_1)
	s_cmp_lg_u32 s23, 0
	s_addc_u32 s4, s4, s50
	v_readfirstlane_b32 s23, v2
	s_mul_i32 s52, s18, s4
	s_mul_hi_u32 s50, s18, s4
	s_mul_hi_u32 s60, s5, s4
	s_mul_i32 s4, s5, s4
	s_mul_hi_u32 s61, s18, s23
	s_mul_hi_u32 s62, s5, s23
	s_mul_i32 s23, s5, s23
	s_add_u32 s52, s61, s52
	s_addc_u32 s50, 0, s50
	s_add_u32 s23, s52, s23
	s_addc_u32 s23, s50, s62
	s_addc_u32 s50, s60, 0
	s_add_u32 s4, s23, s4
	s_addc_u32 s23, 0, s50
	s_mul_hi_u32 s50, s33, s4
	s_mul_i32 s4, s33, s4
	s_mul_i32 s23, s33, s23
	v_sub_co_u32 v2, s4, s18, s4
	s_add_i32 s50, s50, s23
	s_cmp_lg_u32 s4, 0
	s_delay_alu instid0(VALU_DEP_1) | instskip(SKIP_2) | instid1(VALU_DEP_1)
	v_sub_co_u32 v3, s4, v2, s33
	s_subb_u32 s23, s5, s50
	s_cmp_lg_u32 s4, 0
	v_cmp_le_u32_e32 vcc_lo, s33, v3
	v_sub_co_u32 v4, s4, v3, s33
	s_subb_u32 s50, s23, 0
	s_cmp_lg_u32 s4, 0
	v_cndmask_b32_e64 v5, 0, -1, vcc_lo
	s_subb_u32 s4, s50, 0
	s_cmp_eq_u32 s50, 0
	v_mov_b32_e32 v7, s4
	s_cselect_b32 vcc_lo, -1, 0
	s_cmp_eq_u32 s23, 0
	v_cndmask_b32_e32 v5, -1, v5, vcc_lo
	v_cmp_le_u32_e32 vcc_lo, s33, v2
	s_cselect_b32 s4, -1, 0
	v_cndmask_b32_e64 v6, 0, -1, vcc_lo
	s_delay_alu instid0(VALU_DEP_3) | instskip(NEXT) | instid1(VALU_DEP_2)
	v_cmp_ne_u32_e32 vcc_lo, 0, v5
	v_cndmask_b32_e64 v5, -1, v6, s4
	v_cndmask_b32_e32 v6, s50, v7, vcc_lo
	v_cndmask_b32_e32 v4, v3, v4, vcc_lo
	s_delay_alu instid0(VALU_DEP_3) | instskip(NEXT) | instid1(VALU_DEP_3)
	v_cmp_ne_u32_e32 vcc_lo, 0, v5
	v_cndmask_b32_e32 v3, s23, v6, vcc_lo
	s_delay_alu instid0(VALU_DEP_3)
	v_cndmask_b32_e32 v2, v2, v4, vcc_lo
	s_cbranch_execnz .LBB79_247
.LBB79_246:                             ;   in Loop: Header=BB79_37 Depth=1
	v_cvt_f32_u32_e32 v2, s33
	s_sub_i32 s4, 0, s33
	s_delay_alu instid0(VALU_DEP_1) | instskip(SKIP_2) | instid1(VALU_DEP_1)
	v_rcp_iflag_f32_e32 v2, v2
	s_waitcnt_depctr 0xfff
	v_mul_f32_e32 v2, 0x4f7ffffe, v2
	v_cvt_u32_f32_e32 v2, v2
	s_delay_alu instid0(VALU_DEP_1) | instskip(NEXT) | instid1(VALU_DEP_1)
	v_mul_lo_u32 v3, s4, v2
	v_mul_hi_u32 v3, v2, v3
	s_delay_alu instid0(VALU_DEP_1) | instskip(NEXT) | instid1(VALU_DEP_1)
	v_add_nc_u32_e32 v2, v2, v3
	v_mul_hi_u32 v2, s18, v2
	s_delay_alu instid0(VALU_DEP_1) | instskip(NEXT) | instid1(VALU_DEP_1)
	v_mul_lo_u32 v2, v2, s33
	v_sub_nc_u32_e32 v2, s18, v2
	s_delay_alu instid0(VALU_DEP_1) | instskip(SKIP_1) | instid1(VALU_DEP_2)
	v_subrev_nc_u32_e32 v3, s33, v2
	v_cmp_le_u32_e32 vcc_lo, s33, v2
	v_cndmask_b32_e32 v2, v2, v3, vcc_lo
	s_delay_alu instid0(VALU_DEP_1) | instskip(SKIP_1) | instid1(VALU_DEP_2)
	v_subrev_nc_u32_e32 v3, s33, v2
	v_cmp_le_u32_e32 vcc_lo, s33, v2
	v_cndmask_b32_e32 v10, v2, v3, vcc_lo
	s_delay_alu instid0(VALU_DEP_1)
	v_dual_mov_b32 v2, v10 :: v_dual_mov_b32 v3, v11
.LBB79_247:                             ;   in Loop: Header=BB79_37 Depth=1
	s_delay_alu instid0(VALU_DEP_1) | instskip(NEXT) | instid1(VALU_DEP_2)
	v_sub_co_u32 v2, vcc_lo, s18, v2
	v_sub_co_ci_u32_e32 v3, vcc_lo, s5, v3, vcc_lo
	s_mov_b32 s23, 0
	s_mov_b32 s5, exec_lo
                                        ; implicit-def: $vgpr36
	s_delay_alu instid0(VALU_DEP_1)
	v_cmpx_gt_u64_e64 v[2:3], v[0:1]
	s_cbranch_execz .LBB79_259
; %bb.248:                              ;   in Loop: Header=BB79_37 Depth=1
	v_dual_mov_b32 v6, v0 :: v_dual_mov_b32 v5, v1
	v_mov_b32_e32 v4, v0
	s_mov_b32 s18, 0
                                        ; implicit-def: $sgpr23
	s_set_inst_prefetch_distance 0x1
	s_branch .LBB79_250
	.p2align	6
.LBB79_249:                             ;   in Loop: Header=BB79_250 Depth=2
	s_or_b32 exec_lo, exec_lo, s4
	s_waitcnt lgkmcnt(0)
	s_barrier
	buffer_gl0_inv
	ds_load_u16 v7, v11 offset:3072
	v_add_co_u32 v4, vcc_lo, v4, s33
	v_add_co_ci_u32_e32 v5, vcc_lo, 0, v5, vcc_lo
	v_add_nc_u32_e32 v6, s33, v6
	s_waitcnt lgkmcnt(0)
	s_barrier
	s_delay_alu instid0(VALU_DEP_2) | instskip(SKIP_2) | instid1(VALU_DEP_1)
	v_cmp_ge_u64_e32 vcc_lo, v[4:5], v[2:3]
	buffer_gl0_inv
	v_and_b32_e32 v8, 0xff, v7
	v_cmp_ne_u16_e64 s4, 0, v8
	s_delay_alu instid0(VALU_DEP_1) | instskip(NEXT) | instid1(SALU_CYCLE_1)
	s_or_b32 s50, vcc_lo, s4
	s_and_b32 s50, exec_lo, s50
	s_delay_alu instid0(SALU_CYCLE_1) | instskip(SKIP_2) | instid1(SALU_CYCLE_1)
	s_or_b32 s18, s50, s18
	s_and_not1_b32 s23, s23, exec_lo
	s_and_b32 s4, s4, exec_lo
	s_or_b32 s23, s23, s4
	s_and_not1_b32 exec_lo, exec_lo, s18
	s_cbranch_execz .LBB79_258
.LBB79_250:                             ;   Parent Loop BB79_37 Depth=1
                                        ; =>  This Inner Loop Header: Depth=2
	s_delay_alu instid0(VALU_DEP_1)
	v_cmp_gt_u64_e32 vcc_lo, s[8:9], v[4:5]
	v_mov_b32_e32 v7, 0
	s_and_saveexec_b32 s4, vcc_lo
	s_cbranch_execz .LBB79_252
; %bb.251:                              ;   in Loop: Header=BB79_250 Depth=2
	ds_load_u8 v7, v6
.LBB79_252:                             ;   in Loop: Header=BB79_250 Depth=2
	s_or_b32 exec_lo, exec_lo, s4
	s_waitcnt lgkmcnt(0)
	v_and_b32_e32 v8, s92, v7
	s_delay_alu instid0(VALU_DEP_1) | instskip(NEXT) | instid1(VALU_DEP_1)
	v_and_b32_e32 v8, 0xff, v8
	v_cmp_eq_u32_e64 s4, s91, v8
	s_delay_alu instid0(VALU_DEP_1) | instskip(NEXT) | instid1(SALU_CYCLE_1)
	s_and_b32 s50, vcc_lo, s4
	s_and_saveexec_b32 s4, s50
	s_cbranch_execz .LBB79_249
; %bb.253:                              ;   in Loop: Header=BB79_250 Depth=2
	v_lshlrev_b16 v7, 8, v7
	s_delay_alu instid0(VALU_DEP_1)
	v_or_b32_e32 v7, 1, v7
	ds_store_b16 v11, v7 offset:3072
	s_branch .LBB79_249
.LBB79_254:                             ;   in Loop: Header=BB79_37 Depth=1
                                        ; implicit-def: $sgpr8
                                        ; implicit-def: $sgpr18
                                        ; implicit-def: $sgpr9
	s_branch .LBB79_272
.LBB79_255:                             ;   in Loop: Header=BB79_37 Depth=1
                                        ; implicit-def: $vgpr2_vgpr3
	s_branch .LBB79_201
.LBB79_256:                             ;   in Loop: Header=BB79_37 Depth=1
                                        ; implicit-def: $vgpr2_vgpr3
	s_branch .LBB79_217
.LBB79_257:                             ;   in Loop: Header=BB79_37 Depth=1
	s_mov_b32 s8, -1
	s_mov_b32 s23, 0
                                        ; implicit-def: $sgpr9
                                        ; implicit-def: $vgpr36
	s_mov_b32 s18, s8
	s_cbranch_execnz .LBB79_260
	s_branch .LBB79_272
.LBB79_258:                             ;   in Loop: Header=BB79_37 Depth=1
	s_set_inst_prefetch_distance 0x2
	s_or_b32 exec_lo, exec_lo, s18
	v_lshrrev_b16 v36, 8, v7
	s_and_b32 s23, s23, exec_lo
.LBB79_259:                             ;   in Loop: Header=BB79_37 Depth=1
	s_or_b32 exec_lo, exec_lo, s5
	s_mov_b32 s9, -1
	s_mov_b32 s8, 0
	s_delay_alu instid0(SALU_CYCLE_1)
	s_mov_b32 s18, s8
	s_branch .LBB79_272
.LBB79_260:                             ;   in Loop: Header=BB79_37 Depth=1
	s_mov_b32 s52, s51
	s_delay_alu instid0(SALU_CYCLE_1)
	s_cmp_lg_u64 s[52:53], 0
	s_cbranch_scc0 .LBB79_293
; %bb.261:                              ;   in Loop: Header=BB79_37 Depth=1
	v_cvt_f32_u32_e32 v2, s33
	s_sub_u32 s8, 0, s33
	s_subb_u32 s9, 0, 0
	s_delay_alu instid0(VALU_DEP_1) | instskip(NEXT) | instid1(VALU_DEP_1)
	v_fmac_f32_e64 v2, 0, 0x4f800000
	v_rcp_f32_e32 v2, v2
	s_waitcnt_depctr 0xfff
	v_mul_f32_e32 v2, 0x5f7ffffc, v2
	s_delay_alu instid0(VALU_DEP_1) | instskip(NEXT) | instid1(VALU_DEP_1)
	v_mul_f32_e32 v3, 0x2f800000, v2
	v_trunc_f32_e32 v3, v3
	s_delay_alu instid0(VALU_DEP_1) | instskip(SKIP_1) | instid1(VALU_DEP_2)
	v_fmac_f32_e32 v2, 0xcf800000, v3
	v_cvt_u32_f32_e32 v3, v3
	v_cvt_u32_f32_e32 v2, v2
	s_delay_alu instid0(VALU_DEP_2) | instskip(NEXT) | instid1(VALU_DEP_2)
	v_readfirstlane_b32 s4, v3
	v_readfirstlane_b32 s5, v2
	s_delay_alu instid0(VALU_DEP_2) | instskip(NEXT) | instid1(VALU_DEP_1)
	s_mul_i32 s18, s8, s4
	s_mul_hi_u32 s50, s8, s5
	s_mul_i32 s23, s9, s5
	s_add_i32 s18, s50, s18
	s_mul_i32 s52, s8, s5
	s_add_i32 s18, s18, s23
	s_mul_hi_u32 s50, s5, s52
	s_mul_hi_u32 s60, s4, s52
	s_mul_i32 s23, s4, s52
	s_mul_hi_u32 s52, s5, s18
	s_mul_i32 s5, s5, s18
	s_mul_hi_u32 s61, s4, s18
	s_add_u32 s5, s50, s5
	s_addc_u32 s50, 0, s52
	s_add_u32 s5, s5, s23
	s_mul_i32 s18, s4, s18
	s_addc_u32 s5, s50, s60
	s_addc_u32 s23, s61, 0
	s_add_u32 s5, s5, s18
	s_addc_u32 s18, 0, s23
	v_add_co_u32 v2, s5, v2, s5
	s_delay_alu instid0(VALU_DEP_1) | instskip(SKIP_1) | instid1(VALU_DEP_1)
	s_cmp_lg_u32 s5, 0
	s_addc_u32 s4, s4, s18
	v_readfirstlane_b32 s5, v2
	s_mul_i32 s18, s8, s4
	s_delay_alu instid0(VALU_DEP_1)
	s_mul_hi_u32 s23, s8, s5
	s_mul_i32 s9, s9, s5
	s_add_i32 s18, s23, s18
	s_mul_i32 s8, s8, s5
	s_add_i32 s18, s18, s9
	s_mul_hi_u32 s23, s4, s8
	s_mul_i32 s50, s4, s8
	s_mul_hi_u32 s8, s5, s8
	s_mul_hi_u32 s52, s5, s18
	s_mul_i32 s5, s5, s18
	s_mul_hi_u32 s9, s4, s18
	s_add_u32 s5, s8, s5
	s_addc_u32 s8, 0, s52
	s_add_u32 s5, s5, s50
	s_mul_i32 s18, s4, s18
	s_addc_u32 s5, s8, s23
	s_addc_u32 s8, s9, 0
	s_add_u32 s5, s5, s18
	s_addc_u32 s8, 0, s8
	v_add_co_u32 v2, s5, v2, s5
	s_delay_alu instid0(VALU_DEP_1) | instskip(SKIP_1) | instid1(VALU_DEP_1)
	s_cmp_lg_u32 s5, 0
	s_addc_u32 s4, s4, s8
	v_readfirstlane_b32 s5, v2
	s_mul_i32 s9, s76, s4
	s_mul_hi_u32 s8, s76, s4
	s_mul_hi_u32 s18, s53, s4
	s_mul_i32 s4, s53, s4
	s_mul_hi_u32 s23, s76, s5
	s_mul_hi_u32 s50, s53, s5
	s_mul_i32 s5, s53, s5
	s_add_u32 s9, s23, s9
	s_addc_u32 s8, 0, s8
	s_add_u32 s5, s9, s5
	s_addc_u32 s5, s8, s50
	s_addc_u32 s8, s18, 0
	s_add_u32 s4, s5, s4
	s_addc_u32 s5, 0, s8
	s_mul_hi_u32 s8, s33, s4
	s_mul_i32 s4, s33, s4
	s_mul_i32 s5, s33, s5
	v_sub_co_u32 v2, s4, s76, s4
	s_add_i32 s8, s8, s5
	s_cmp_lg_u32 s4, 0
	s_delay_alu instid0(VALU_DEP_1) | instskip(SKIP_2) | instid1(VALU_DEP_1)
	v_sub_co_u32 v3, s4, v2, s33
	s_subb_u32 s5, s53, s8
	s_cmp_lg_u32 s4, 0
	v_cmp_le_u32_e32 vcc_lo, s33, v3
	v_sub_co_u32 v4, s4, v3, s33
	s_subb_u32 s8, s5, 0
	s_cmp_lg_u32 s4, 0
	v_cndmask_b32_e64 v5, 0, -1, vcc_lo
	s_subb_u32 s4, s8, 0
	s_cmp_eq_u32 s8, 0
	v_mov_b32_e32 v7, s4
	s_cselect_b32 vcc_lo, -1, 0
	s_cmp_eq_u32 s5, 0
	v_cndmask_b32_e32 v5, -1, v5, vcc_lo
	v_cmp_le_u32_e32 vcc_lo, s33, v2
	s_cselect_b32 s4, -1, 0
	v_cndmask_b32_e64 v6, 0, -1, vcc_lo
	s_delay_alu instid0(VALU_DEP_3) | instskip(NEXT) | instid1(VALU_DEP_2)
	v_cmp_ne_u32_e32 vcc_lo, 0, v5
	v_cndmask_b32_e64 v5, -1, v6, s4
	v_cndmask_b32_e32 v6, s8, v7, vcc_lo
	v_cndmask_b32_e32 v4, v3, v4, vcc_lo
	s_delay_alu instid0(VALU_DEP_3) | instskip(NEXT) | instid1(VALU_DEP_3)
	v_cmp_ne_u32_e32 vcc_lo, 0, v5
	v_cndmask_b32_e32 v3, s5, v6, vcc_lo
	s_delay_alu instid0(VALU_DEP_3)
	v_cndmask_b32_e32 v2, v2, v4, vcc_lo
	s_cbranch_execnz .LBB79_263
.LBB79_262:                             ;   in Loop: Header=BB79_37 Depth=1
	v_cvt_f32_u32_e32 v2, s33
	s_sub_i32 s4, 0, s33
	s_delay_alu instid0(VALU_DEP_1) | instskip(SKIP_2) | instid1(VALU_DEP_1)
	v_rcp_iflag_f32_e32 v2, v2
	s_waitcnt_depctr 0xfff
	v_mul_f32_e32 v2, 0x4f7ffffe, v2
	v_cvt_u32_f32_e32 v2, v2
	s_delay_alu instid0(VALU_DEP_1) | instskip(NEXT) | instid1(VALU_DEP_1)
	v_mul_lo_u32 v3, s4, v2
	v_mul_hi_u32 v3, v2, v3
	s_delay_alu instid0(VALU_DEP_1) | instskip(NEXT) | instid1(VALU_DEP_1)
	v_add_nc_u32_e32 v2, v2, v3
	v_mul_hi_u32 v2, s76, v2
	s_delay_alu instid0(VALU_DEP_1) | instskip(NEXT) | instid1(VALU_DEP_1)
	v_mul_lo_u32 v2, v2, s33
	v_sub_nc_u32_e32 v2, s76, v2
	s_delay_alu instid0(VALU_DEP_1) | instskip(SKIP_1) | instid1(VALU_DEP_2)
	v_subrev_nc_u32_e32 v3, s33, v2
	v_cmp_le_u32_e32 vcc_lo, s33, v2
	v_cndmask_b32_e32 v2, v2, v3, vcc_lo
	s_delay_alu instid0(VALU_DEP_1) | instskip(SKIP_1) | instid1(VALU_DEP_2)
	v_subrev_nc_u32_e32 v3, s33, v2
	v_cmp_le_u32_e32 vcc_lo, s33, v2
	v_cndmask_b32_e32 v10, v2, v3, vcc_lo
	s_delay_alu instid0(VALU_DEP_1)
	v_dual_mov_b32 v2, v10 :: v_dual_mov_b32 v3, v11
.LBB79_263:                             ;   in Loop: Header=BB79_37 Depth=1
	s_delay_alu instid0(VALU_DEP_1) | instskip(NEXT) | instid1(VALU_DEP_2)
	v_sub_co_u32 v2, vcc_lo, s76, v2
	v_sub_co_ci_u32_e32 v3, vcc_lo, s53, v3, vcc_lo
	s_mov_b32 s23, 0
	s_mov_b32 s5, exec_lo
                                        ; implicit-def: $vgpr36
	s_delay_alu instid0(VALU_DEP_1)
	v_cmpx_gt_u64_e64 v[2:3], v[0:1]
	s_cbranch_execz .LBB79_271
; %bb.264:                              ;   in Loop: Header=BB79_37 Depth=1
	v_dual_mov_b32 v4, v12 :: v_dual_mov_b32 v5, v13
	v_dual_mov_b32 v7, v1 :: v_dual_mov_b32 v6, v0
	s_mov_b32 s8, 0
                                        ; implicit-def: $sgpr9
	s_set_inst_prefetch_distance 0x1
	s_branch .LBB79_266
	.p2align	6
.LBB79_265:                             ;   in Loop: Header=BB79_266 Depth=2
	s_or_b32 exec_lo, exec_lo, s4
	s_waitcnt lgkmcnt(0)
	s_barrier
	buffer_gl0_inv
	ds_load_u16 v8, v11 offset:3072
	v_add_co_u32 v6, vcc_lo, v6, s33
	v_add_co_ci_u32_e32 v7, vcc_lo, 0, v7, vcc_lo
	s_waitcnt lgkmcnt(0)
	s_barrier
	buffer_gl0_inv
	v_cmp_ge_u64_e32 vcc_lo, v[6:7], v[2:3]
	v_and_b32_e32 v9, 0xff, v8
	s_delay_alu instid0(VALU_DEP_1) | instskip(NEXT) | instid1(VALU_DEP_1)
	v_cmp_ne_u16_e64 s4, 0, v9
	s_or_b32 s18, vcc_lo, s4
	v_add_co_u32 v4, vcc_lo, v4, s71
	s_and_b32 s18, exec_lo, s18
	v_add_co_ci_u32_e32 v5, vcc_lo, s70, v5, vcc_lo
	s_or_b32 s8, s18, s8
	s_and_not1_b32 s9, s9, exec_lo
	s_and_b32 s4, s4, exec_lo
	s_delay_alu instid0(SALU_CYCLE_1)
	s_or_b32 s9, s9, s4
	s_and_not1_b32 exec_lo, exec_lo, s8
	s_cbranch_execz .LBB79_270
.LBB79_266:                             ;   Parent Loop BB79_37 Depth=1
                                        ; =>  This Inner Loop Header: Depth=2
	s_delay_alu instid0(VALU_DEP_1)
	v_cmp_gt_u64_e32 vcc_lo, s[24:25], v[6:7]
	v_mov_b32_e32 v8, 0
	s_and_saveexec_b32 s4, vcc_lo
	s_cbranch_execz .LBB79_268
; %bb.267:                              ;   in Loop: Header=BB79_266 Depth=2
	global_load_u8 v8, v[4:5], off
.LBB79_268:                             ;   in Loop: Header=BB79_266 Depth=2
	s_or_b32 exec_lo, exec_lo, s4
	s_waitcnt vmcnt(0)
	v_and_b32_e32 v9, s92, v8
	s_delay_alu instid0(VALU_DEP_1) | instskip(NEXT) | instid1(VALU_DEP_1)
	v_and_b32_e32 v9, 0xff, v9
	v_cmp_eq_u32_e64 s4, s91, v9
	s_delay_alu instid0(VALU_DEP_1) | instskip(NEXT) | instid1(SALU_CYCLE_1)
	s_and_b32 s18, vcc_lo, s4
	s_and_saveexec_b32 s4, s18
	s_cbranch_execz .LBB79_265
; %bb.269:                              ;   in Loop: Header=BB79_266 Depth=2
	v_lshlrev_b16 v8, 8, v8
	s_delay_alu instid0(VALU_DEP_1)
	v_or_b32_e32 v8, 1, v8
	ds_store_b16 v11, v8 offset:3072
	s_branch .LBB79_265
.LBB79_270:                             ;   in Loop: Header=BB79_37 Depth=1
	s_set_inst_prefetch_distance 0x2
	s_or_b32 exec_lo, exec_lo, s8
	v_lshrrev_b16 v36, 8, v8
	s_and_b32 s23, s9, exec_lo
.LBB79_271:                             ;   in Loop: Header=BB79_37 Depth=1
	s_or_b32 exec_lo, exec_lo, s5
	s_mov_b32 s18, -1
	s_mov_b32 s8, 0
	s_mov_b32 s9, 0
.LBB79_272:                             ;   in Loop: Header=BB79_37 Depth=1
	s_mov_b32 s60, 0
                                        ; implicit-def: $sgpr50
                                        ; implicit-def: $sgpr4_sgpr5
	s_and_saveexec_b32 s52, s23
	s_cbranch_execz .LBB79_285
; %bb.273:                              ;   in Loop: Header=BB79_37 Depth=1
	s_xor_b32 s17, s17, -1
	s_mov_b64 s[4:5], 1
	s_and_not1_b32 vcc_lo, exec_lo, s17
	s_mov_b32 s50, 1
	s_cbranch_vccnz .LBB79_284
; %bb.274:                              ;   in Loop: Header=BB79_37 Depth=1
	v_cmp_gt_u64_e64 s4, s[46:47], s[6:7]
	s_delay_alu instid0(VALU_DEP_1)
	s_and_b32 vcc_lo, exec_lo, s4
	s_cbranch_vccnz .LBB79_280
; %bb.275:                              ;   in Loop: Header=BB79_37 Depth=1
	ds_load_b64 v[2:3], v11 offset:5120
	s_waitcnt lgkmcnt(0)
	v_cmp_ne_u64_e32 vcc_lo, 0, v[2:3]
	s_cbranch_vccnz .LBB79_279
; %bb.276:                              ;   in Loop: Header=BB79_37 Depth=1
	s_and_saveexec_b32 s4, s2
	s_cbranch_execz .LBB79_278
; %bb.277:                              ;   in Loop: Header=BB79_37 Depth=1
	v_dual_mov_b32 v2, s6 :: v_dual_mov_b32 v3, s7
	ds_store_b64 v11, v[2:3] offset:5128
.LBB79_278:                             ;   in Loop: Header=BB79_37 Depth=1
	s_or_b32 exec_lo, exec_lo, s4
	s_waitcnt lgkmcnt(0)
	s_barrier
	buffer_gl0_inv
.LBB79_279:                             ;   in Loop: Header=BB79_37 Depth=1
	s_or_b32 s17, s91, s16
	s_or_b32 s16, s92, s16
	s_mov_b32 s4, 0
	s_mov_b32 s50, 8
	s_branch .LBB79_281
.LBB79_280:                             ;   in Loop: Header=BB79_37 Depth=1
	s_mov_b32 s4, -1
                                        ; implicit-def: $sgpr50
                                        ; implicit-def: $sgpr17
                                        ; implicit-def: $sgpr16
.LBB79_281:                             ;   in Loop: Header=BB79_37 Depth=1
	s_delay_alu instid0(SALU_CYCLE_1)
	s_and_not1_b32 vcc_lo, exec_lo, s4
	s_cbranch_vccnz .LBB79_283
; %bb.282:                              ;   in Loop: Header=BB79_37 Depth=1
	s_sub_u32 s46, s46, s6
	s_subb_u32 s47, s47, s7
	s_mov_b32 s50, 8
	s_mov_b32 s17, s91
	;; [unrolled: 1-line block ×3, first 2 shown]
.LBB79_283:                             ;   in Loop: Header=BB79_37 Depth=1
	s_mov_b64 s[4:5], s[46:47]
	s_mov_b32 s91, s17
	s_mov_b32 s92, s16
.LBB79_284:                             ;   in Loop: Header=BB79_37 Depth=1
	s_mov_b32 s60, exec_lo
.LBB79_285:                             ;   in Loop: Header=BB79_37 Depth=1
	s_or_b32 exec_lo, exec_lo, s52
	s_mov_b64 s[46:47], s[4:5]
.LBB79_286:                             ;   in Loop: Header=BB79_37 Depth=1
	s_and_not1_b32 s4, s10, exec_lo
	s_and_b32 s5, s8, exec_lo
	s_and_not1_b32 s6, s11, exec_lo
	s_or_b32 s10, s4, s5
	s_and_not1_b32 s4, s21, exec_lo
	s_and_b32 s5, s18, exec_lo
	s_and_b32 s7, s9, exec_lo
	s_or_b32 s21, s4, s5
	s_or_b32 s11, s6, s7
	s_and_b32 s5, s60, exec_lo
.LBB79_287:                             ;   in Loop: Header=BB79_37 Depth=1
	s_or_b32 exec_lo, exec_lo, s22
.LBB79_288:                             ;   in Loop: Header=BB79_37 Depth=1
	s_delay_alu instid0(SALU_CYCLE_1)
	s_and_not1_b32 s4, s13, exec_lo
	s_and_b32 s6, s10, exec_lo
	s_and_not1_b32 s7, s12, exec_lo
	s_or_b32 s13, s4, s6
	s_and_not1_b32 s4, s19, exec_lo
	s_and_b32 s6, s21, exec_lo
	s_and_b32 s8, s11, exec_lo
	s_or_b32 s19, s4, s6
	s_or_b32 s12, s7, s8
	s_and_b32 s5, s5, exec_lo
.LBB79_289:                             ;   in Loop: Header=BB79_37 Depth=1
	s_or_b32 exec_lo, exec_lo, s20
	s_and_saveexec_b32 s4, s5
	s_delay_alu instid0(SALU_CYCLE_1)
	s_xor_b32 s4, exec_lo, s4
	s_cbranch_execz .LBB79_35
.LBB79_290:                             ;   in Loop: Header=BB79_37 Depth=1
	s_and_b32 s5, s50, -9
	s_delay_alu instid0(SALU_CYCLE_1)
	s_cmp_eq_u32 s5, 0
	s_cbranch_scc1 .LBB79_33
; %bb.291:                              ;   in Loop: Header=BB79_37 Depth=1
	s_mov_b32 s5, -1
	s_mov_b32 s6, -1
                                        ; implicit-def: $sgpr92
                                        ; implicit-def: $sgpr46_sgpr47
                                        ; implicit-def: $sgpr82
                                        ; implicit-def: $sgpr89
	s_branch .LBB79_34
.LBB79_292:                             ;   in Loop: Header=BB79_37 Depth=1
                                        ; implicit-def: $vgpr2_vgpr3
	s_branch .LBB79_246
.LBB79_293:                             ;   in Loop: Header=BB79_37 Depth=1
                                        ; implicit-def: $vgpr2_vgpr3
	s_branch .LBB79_262
.LBB79_294:
	s_or_b32 exec_lo, exec_lo, s83
	s_xor_b32 s4, s86, -1
	s_xor_b32 s1, s84, -1
	;; [unrolled: 1-line block ×3, first 2 shown]
	s_mov_b32 s2, 0
	s_and_saveexec_b32 s5, s1
	s_delay_alu instid0(SALU_CYCLE_1)
	s_xor_b32 s1, exec_lo, s5
	s_cbranch_execz .LBB79_308
; %bb.295:
	s_and_saveexec_b32 s2, s4
	s_delay_alu instid0(SALU_CYCLE_1)
	s_xor_b32 s2, exec_lo, s2
	s_cbranch_execz .LBB79_306
; %bb.296:
	s_and_saveexec_b32 s4, s3
	s_delay_alu instid0(SALU_CYCLE_1)
	s_xor_b32 s3, exec_lo, s4
; %bb.297:
	v_mov_b32_e32 v36, v2
; %bb.298:
	s_or_b32 exec_lo, exec_lo, s3
	s_mul_i32 s3, s36, s35
	s_mul_hi_u32 s4, s36, s34
	s_mul_i32 s5, s36, s34
	s_add_i32 s3, s4, s3
	s_mul_i32 s4, s37, s34
	v_mov_b32_e32 v2, 0
	s_add_i32 s3, s3, s4
	s_add_u32 s4, s44, s5
	s_addc_u32 s3, s45, s3
	s_add_u32 s4, s4, s26
	s_addc_u32 s5, s3, s27
	global_store_b8 v2, v36, s[4:5]
	s_and_saveexec_b32 s3, s0
	s_cbranch_execz .LBB79_305
; %bb.299:
	v_and_b32_e32 v4, 0xff, v36
	s_mov_b32 s4, 0
                                        ; implicit-def: $sgpr5
                                        ; implicit-def: $sgpr7
                                        ; implicit-def: $sgpr6
	s_set_inst_prefetch_distance 0x1
	s_branch .LBB79_301
	.p2align	6
.LBB79_300:                             ;   in Loop: Header=BB79_301 Depth=1
	s_or_b32 exec_lo, exec_lo, s8
	s_delay_alu instid0(SALU_CYCLE_1) | instskip(NEXT) | instid1(SALU_CYCLE_1)
	s_and_b32 s0, exec_lo, s7
	s_or_b32 s4, s0, s4
	s_and_not1_b32 s0, s5, exec_lo
	s_and_b32 s5, s6, exec_lo
	s_delay_alu instid0(SALU_CYCLE_1)
	s_or_b32 s5, s0, s5
	s_and_not1_b32 exec_lo, exec_lo, s4
	s_cbranch_execz .LBB79_303
.LBB79_301:                             ; =>This Inner Loop Header: Depth=1
	global_load_u8 v5, v[12:13], off
	v_dual_mov_b32 v3, v1 :: v_dual_mov_b32 v2, v0
	s_or_b32 s6, s6, exec_lo
	s_or_b32 s7, s7, exec_lo
	s_mov_b32 s8, exec_lo
                                        ; implicit-def: $vgpr0_vgpr1
	s_waitcnt vmcnt(0)
	v_cmpx_ne_u16_e64 v5, v4
	s_cbranch_execz .LBB79_300
; %bb.302:                              ;   in Loop: Header=BB79_301 Depth=1
	v_add_co_u32 v0, vcc_lo, v2, s33
	v_add_co_ci_u32_e32 v1, vcc_lo, 0, v3, vcc_lo
	v_add_co_u32 v12, s0, v12, s71
	s_delay_alu instid0(VALU_DEP_1) | instskip(NEXT) | instid1(VALU_DEP_3)
	v_add_co_ci_u32_e64 v13, s0, s70, v13, s0
	v_cmp_le_u64_e32 vcc_lo, s[24:25], v[0:1]
	s_and_not1_b32 s0, s7, exec_lo
	s_and_not1_b32 s6, s6, exec_lo
	s_and_b32 s7, vcc_lo, exec_lo
	s_delay_alu instid0(SALU_CYCLE_1)
	s_or_b32 s7, s0, s7
	s_branch .LBB79_300
.LBB79_303:
	s_set_inst_prefetch_distance 0x2
	s_or_b32 exec_lo, exec_lo, s4
	s_and_saveexec_b32 s0, s5
	s_delay_alu instid0(SALU_CYCLE_1)
	s_xor_b32 s0, exec_lo, s0
	s_cbranch_execz .LBB79_305
; %bb.304:
	s_mul_i32 s0, s40, s39
	s_mul_hi_u32 s4, s40, s38
	s_mul_i32 s5, s41, s38
	s_add_i32 s0, s4, s0
	s_mul_i32 s4, s40, s38
	s_add_i32 s5, s0, s5
	v_mov_b32_e32 v0, 0
	s_lshl_b64 s[4:5], s[4:5], 3
	s_delay_alu instid0(SALU_CYCLE_1) | instskip(SKIP_2) | instid1(SALU_CYCLE_1)
	s_add_u32 s0, s42, s4
	s_addc_u32 s6, s43, s5
	s_lshl_b64 s[4:5], s[30:31], 3
	s_add_u32 s4, s0, s4
	s_addc_u32 s5, s6, s5
	global_store_b64 v0, v[2:3], s[4:5]
.LBB79_305:
	s_or_b32 exec_lo, exec_lo, s3
.LBB79_306:
	s_or_saveexec_b32 s0, s2
	s_mov_b32 s2, 0
	s_xor_b32 exec_lo, exec_lo, s0
	s_cbranch_execnz .LBB79_314
.LBB79_307:
	s_or_b32 exec_lo, exec_lo, s0
	s_delay_alu instid0(SALU_CYCLE_1)
	s_and_b32 s2, s2, exec_lo
.LBB79_308:
	s_and_not1_saveexec_b32 s0, s1
	s_cbranch_execnz .LBB79_312
; %bb.309:
	s_or_b32 exec_lo, exec_lo, s0
	s_and_saveexec_b32 s0, s2
.LBB79_310:
	; divergent unreachable
.LBB79_311:
	s_nop 0
	s_sendmsg sendmsg(MSG_DEALLOC_VGPRS)
	s_endpgm
.LBB79_312:
	s_cbranch_execnz .LBB79_316
; %bb.313:
	s_or_b32 s2, s2, exec_lo
	s_or_b32 exec_lo, exec_lo, s0
	s_and_saveexec_b32 s0, s2
	s_cbranch_execnz .LBB79_310
	s_branch .LBB79_311
.LBB79_314:
	s_cbranch_execnz .LBB79_318
; %bb.315:
	s_mov_b32 s2, exec_lo
	s_branch .LBB79_307
.LBB79_316:
	s_trap 2
	s_sendmsg_rtn_b32 s0, sendmsg(MSG_RTN_GET_DOORBELL)
	s_mov_b32 ttmp2, m0
	s_waitcnt lgkmcnt(0)
	s_and_b32 s0, s0, 0x3ff
	s_delay_alu instid0(SALU_CYCLE_1) | instskip(NEXT) | instid1(SALU_CYCLE_1)
	s_bitset1_b32 s0, 10
	s_mov_b32 m0, s0
	s_sendmsg sendmsg(MSG_INTERRUPT)
	s_mov_b32 m0, ttmp2
.LBB79_317:                             ; =>This Inner Loop Header: Depth=1
	s_sethalt 5
	s_branch .LBB79_317
.LBB79_318:
	s_trap 2
	s_sendmsg_rtn_b32 s0, sendmsg(MSG_RTN_GET_DOORBELL)
	s_mov_b32 ttmp2, m0
	s_waitcnt lgkmcnt(0)
	s_and_b32 s0, s0, 0x3ff
	s_delay_alu instid0(SALU_CYCLE_1) | instskip(NEXT) | instid1(SALU_CYCLE_1)
	s_bitset1_b32 s0, 10
	s_mov_b32 m0, s0
	s_sendmsg sendmsg(MSG_INTERRUPT)
	s_mov_b32 m0, ttmp2
.LBB79_319:                             ; =>This Inner Loop Header: Depth=1
	s_sethalt 5
	s_branch .LBB79_319
	.section	.rodata,"a",@progbits
	.p2align	6, 0x0
	.amdhsa_kernel _ZN2at6native12_GLOBAL__N_112gatherMedianIhmLin1EEEvNS_4cuda6detail10TensorInfoIT_T0_EENS5_IlS7_EENS5_IKS6_S7_EES7_S7_S7_b
		.amdhsa_group_segment_fixed_size 5152
		.amdhsa_private_segment_fixed_size 0
		.amdhsa_kernarg_size 1536
		.amdhsa_user_sgpr_count 13
		.amdhsa_user_sgpr_dispatch_ptr 0
		.amdhsa_user_sgpr_queue_ptr 0
		.amdhsa_user_sgpr_kernarg_segment_ptr 1
		.amdhsa_user_sgpr_dispatch_id 0
		.amdhsa_user_sgpr_private_segment_size 0
		.amdhsa_wavefront_size32 1
		.amdhsa_uses_dynamic_stack 0
		.amdhsa_enable_private_segment 0
		.amdhsa_system_sgpr_workgroup_id_x 1
		.amdhsa_system_sgpr_workgroup_id_y 1
		.amdhsa_system_sgpr_workgroup_id_z 1
		.amdhsa_system_sgpr_workgroup_info 0
		.amdhsa_system_vgpr_workitem_id 0
		.amdhsa_next_free_vgpr 41
		.amdhsa_next_free_sgpr 95
		.amdhsa_reserve_vcc 1
		.amdhsa_float_round_mode_32 0
		.amdhsa_float_round_mode_16_64 0
		.amdhsa_float_denorm_mode_32 3
		.amdhsa_float_denorm_mode_16_64 3
		.amdhsa_dx10_clamp 1
		.amdhsa_ieee_mode 1
		.amdhsa_fp16_overflow 0
		.amdhsa_workgroup_processor_mode 1
		.amdhsa_memory_ordered 1
		.amdhsa_forward_progress 0
		.amdhsa_shared_vgpr_count 0
		.amdhsa_exception_fp_ieee_invalid_op 0
		.amdhsa_exception_fp_denorm_src 0
		.amdhsa_exception_fp_ieee_div_zero 0
		.amdhsa_exception_fp_ieee_overflow 0
		.amdhsa_exception_fp_ieee_underflow 0
		.amdhsa_exception_fp_ieee_inexact 0
		.amdhsa_exception_int_div_zero 0
	.end_amdhsa_kernel
	.section	.text._ZN2at6native12_GLOBAL__N_112gatherMedianIhmLin1EEEvNS_4cuda6detail10TensorInfoIT_T0_EENS5_IlS7_EENS5_IKS6_S7_EES7_S7_S7_b,"axG",@progbits,_ZN2at6native12_GLOBAL__N_112gatherMedianIhmLin1EEEvNS_4cuda6detail10TensorInfoIT_T0_EENS5_IlS7_EENS5_IKS6_S7_EES7_S7_S7_b,comdat
.Lfunc_end79:
	.size	_ZN2at6native12_GLOBAL__N_112gatherMedianIhmLin1EEEvNS_4cuda6detail10TensorInfoIT_T0_EENS5_IlS7_EENS5_IKS6_S7_EES7_S7_S7_b, .Lfunc_end79-_ZN2at6native12_GLOBAL__N_112gatherMedianIhmLin1EEEvNS_4cuda6detail10TensorInfoIT_T0_EENS5_IlS7_EENS5_IKS6_S7_EES7_S7_S7_b
                                        ; -- End function
	.section	.AMDGPU.csdata,"",@progbits
; Kernel info:
; codeLenInByte = 19164
; NumSgprs: 97
; NumVgprs: 41
; ScratchSize: 0
; MemoryBound: 0
; FloatMode: 240
; IeeeMode: 1
; LDSByteSize: 5152 bytes/workgroup (compile time only)
; SGPRBlocks: 12
; VGPRBlocks: 5
; NumSGPRsForWavesPerEU: 97
; NumVGPRsForWavesPerEU: 41
; Occupancy: 16
; WaveLimiterHint : 1
; COMPUTE_PGM_RSRC2:SCRATCH_EN: 0
; COMPUTE_PGM_RSRC2:USER_SGPR: 13
; COMPUTE_PGM_RSRC2:TRAP_HANDLER: 0
; COMPUTE_PGM_RSRC2:TGID_X_EN: 1
; COMPUTE_PGM_RSRC2:TGID_Y_EN: 1
; COMPUTE_PGM_RSRC2:TGID_Z_EN: 1
; COMPUTE_PGM_RSRC2:TIDIG_COMP_CNT: 0
	.section	.text._ZN2at6native12_GLOBAL__N_112gatherMedianIajLi1EEEvNS_4cuda6detail10TensorInfoIT_T0_EENS5_IlS7_EENS5_IKS6_S7_EES7_S7_S7_b,"axG",@progbits,_ZN2at6native12_GLOBAL__N_112gatherMedianIajLi1EEEvNS_4cuda6detail10TensorInfoIT_T0_EENS5_IlS7_EENS5_IKS6_S7_EES7_S7_S7_b,comdat
	.globl	_ZN2at6native12_GLOBAL__N_112gatherMedianIajLi1EEEvNS_4cuda6detail10TensorInfoIT_T0_EENS5_IlS7_EENS5_IKS6_S7_EES7_S7_S7_b ; -- Begin function _ZN2at6native12_GLOBAL__N_112gatherMedianIajLi1EEEvNS_4cuda6detail10TensorInfoIT_T0_EENS5_IlS7_EENS5_IKS6_S7_EES7_S7_S7_b
	.p2align	8
	.type	_ZN2at6native12_GLOBAL__N_112gatherMedianIajLi1EEEvNS_4cuda6detail10TensorInfoIT_T0_EENS5_IlS7_EENS5_IKS6_S7_EES7_S7_S7_b,@function
_ZN2at6native12_GLOBAL__N_112gatherMedianIajLi1EEEvNS_4cuda6detail10TensorInfoIT_T0_EENS5_IlS7_EENS5_IKS6_S7_EES7_S7_S7_b: ; @_ZN2at6native12_GLOBAL__N_112gatherMedianIajLi1EEEvNS_4cuda6detail10TensorInfoIT_T0_EENS5_IlS7_EENS5_IKS6_S7_EES7_S7_S7_b
; %bb.0:
	s_clause 0x1
	s_load_b64 s[6:7], s[0:1], 0x298
	s_load_b128 s[28:31], s[0:1], 0x288
	s_add_u32 s4, s0, 0x298
	s_addc_u32 s5, s1, 0
	s_waitcnt lgkmcnt(0)
	s_mul_i32 s2, s7, s15
	s_delay_alu instid0(SALU_CYCLE_1) | instskip(NEXT) | instid1(SALU_CYCLE_1)
	s_add_i32 s2, s2, s14
	s_mul_i32 s27, s2, s6
	s_delay_alu instid0(SALU_CYCLE_1) | instskip(NEXT) | instid1(SALU_CYCLE_1)
	s_add_i32 s27, s27, s13
	s_cmp_ge_u32 s27, s29
	s_cbranch_scc1 .LBB80_259
; %bb.1:
	v_cmp_eq_u32_e64 s2, 0, v0
	s_delay_alu instid0(VALU_DEP_1)
	s_and_saveexec_b32 s3, s2
	s_cbranch_execz .LBB80_3
; %bb.2:
	v_mov_b32_e32 v1, 0
	s_delay_alu instid0(VALU_DEP_1)
	v_mov_b32_e32 v2, v1
	ds_store_b64 v1, v[1:2] offset:4096
.LBB80_3:
	s_or_b32 exec_lo, exec_lo, s3
	v_mov_b32_e32 v1, 0
	s_waitcnt lgkmcnt(0)
	s_barrier
	buffer_gl0_inv
	s_barrier
	buffer_gl0_inv
	ds_load_b64 v[1:2], v1 offset:4096
	s_load_b64 s[8:9], s[0:1], 0x1b0
	s_bitcmp1_b32 s31, 0
	s_mov_b32 s68, s28
	s_cselect_b32 s3, -1, 0
	s_waitcnt lgkmcnt(0)
	v_cmp_gt_i64_e32 vcc_lo, 1, v[1:2]
	s_or_b32 s3, s3, vcc_lo
	s_delay_alu instid0(SALU_CYCLE_1)
	s_and_not1_b32 vcc_lo, exec_lo, s3
	s_cbranch_vccnz .LBB80_5
; %bb.4:
	v_not_b32_e32 v1, v1
	v_not_b32_e32 v2, v2
	s_delay_alu instid0(VALU_DEP_2) | instskip(NEXT) | instid1(VALU_DEP_2)
	v_add_co_u32 v1, vcc_lo, v1, s28
	v_add_co_ci_u32_e32 v2, vcc_lo, 0, v2, vcc_lo
	s_delay_alu instid0(VALU_DEP_1) | instskip(NEXT) | instid1(VALU_DEP_1)
	v_lshrrev_b32_e32 v3, 31, v2
	v_add_co_u32 v1, vcc_lo, v1, v3
	v_add_co_ci_u32_e32 v2, vcc_lo, 0, v2, vcc_lo
	s_delay_alu instid0(VALU_DEP_1) | instskip(NEXT) | instid1(VALU_DEP_1)
	v_alignbit_b32 v1, v2, v1, 1
	v_readfirstlane_b32 s3, v1
	s_delay_alu instid0(VALU_DEP_1)
	s_add_i32 s68, s3, 1
.LBB80_5:
	s_clause 0x2
	s_load_b32 s3, s[0:1], 0x21c
	s_load_b64 s[34:35], s[0:1], 0xd8
	s_load_b64 s[38:39], s[0:1], 0x0
	s_and_saveexec_b32 s7, s2
	s_cbranch_execz .LBB80_7
; %bb.6:
	v_dual_mov_b32 v1, 0 :: v_dual_mov_b32 v2, s28
	ds_store_b32 v1, v1 offset:4112
	ds_store_b64 v1, v[1:2] offset:4104
.LBB80_7:
	s_or_b32 exec_lo, exec_lo, s7
	s_waitcnt lgkmcnt(0)
	s_barrier
	buffer_gl0_inv
	s_load_b32 s7, s[4:5], 0xc
	s_mul_i32 s3, s3, s27
	v_mbcnt_lo_u32_b32 v11, -1, 0
	s_add_u32 s36, s8, s3
	s_addc_u32 s37, s9, 0
	s_clause 0x1
	s_load_b32 s29, s[0:1], 0x144
	s_load_b32 s33, s[0:1], 0x6c
	v_cmp_gt_u32_e32 vcc_lo, 32, v0
	v_cmp_gt_i32_e64 s0, 4, v11
	v_mul_lo_u32 v10, v0, s30
	v_lshl_or_b32 v20, v11, 2, 0xc00
	v_mov_b32_e32 v21, 0
	s_mov_b32 s42, 0
	s_and_b32 s44, vcc_lo, s0
	v_cmp_gt_u32_e64 s0, s28, v0
	s_mov_b32 s54, 6
	s_mov_b32 s64, 0
	v_lshlrev_b32_e32 v18, 2, v10
	s_mov_b32 s66, 0
	s_mov_b32 s67, 0
                                        ; implicit-def: $sgpr59
                                        ; implicit-def: $sgpr61
                                        ; implicit-def: $sgpr60
                                        ; implicit-def: $sgpr63
                                        ; implicit-def: $sgpr65
                                        ; implicit-def: $sgpr62
	v_mov_b32_e32 v22, 0
	s_waitcnt lgkmcnt(0)
	s_and_b32 s31, s7, 0xffff
	s_bfe_u32 s1, s7, 0xb0005
	s_lshl_b32 s43, s31, 2
	s_add_i32 s46, s31, -1
	v_cvt_f32_u32_e32 v1, s43
	s_add_i32 s7, s46, s28
	s_cmpk_gt_u32 s28, 0xc00
	v_cvt_f32_u32_e32 v2, s31
	s_cselect_b32 s47, -1, 0
	v_rcp_iflag_f32_e32 v1, v1
	s_cmp_gt_u32 s31, 31
	v_lshlrev_b32_e32 v12, 2, v0
	s_cselect_b32 s48, -1, 0
	s_cmp_lt_u32 s13, s6
	v_rcp_iflag_f32_e32 v2, v2
	s_cselect_b32 s3, 12, 18
	s_mul_i32 s45, s30, s31
	s_add_u32 s40, s4, s3
	s_addc_u32 s41, s5, 0
	s_waitcnt_depctr 0xfff
	v_mul_f32_e32 v1, 0x4f7ffffe, v1
	s_add_i32 s3, s1, -1
	s_bfe_u32 s49, s31, 0x30005
	s_cmp_gt_u32 s3, 6
	v_mad_u64_u32 v[5:6], null, s30, v12, s[30:31]
	v_cvt_u32_f32_e32 v1, v1
	s_cselect_b32 s50, -1, 0
	s_and_b32 s51, s1, 0x7f8
	s_cmp_lg_u32 s49, 0
	v_cmp_gt_u32_e64 s1, 2, v0
	v_readfirstlane_b32 s3, v1
	s_cselect_b32 s52, -1, 0
	s_sub_i32 s4, 0, s43
	v_lshrrev_b32_e32 v1, 3, v0
	s_delay_alu instid0(VALU_DEP_2) | instskip(NEXT) | instid1(SALU_CYCLE_1)
	s_mul_i32 s4, s4, s3
	s_mul_hi_u32 s4, s3, s4
	s_delay_alu instid0(VALU_DEP_1) | instskip(SKIP_3) | instid1(SALU_CYCLE_1)
	v_and_b32_e32 v13, 0x7c, v1
	s_add_i32 s53, s3, s4
	v_cmp_eq_u32_e64 s3, 0, v11
	s_mul_hi_u32 s4, s28, s53
	s_mul_i32 s4, s4, s43
	s_delay_alu instid0(SALU_CYCLE_1) | instskip(NEXT) | instid1(SALU_CYCLE_1)
	s_sub_i32 s4, s28, s4
	s_sub_i32 s5, s4, s43
	s_cmp_ge_u32 s4, s43
	s_cselect_b32 s4, s5, s4
	s_delay_alu instid0(SALU_CYCLE_1) | instskip(SKIP_4) | instid1(SALU_CYCLE_1)
	s_sub_i32 s6, s4, s43
	s_cmp_ge_u32 s4, s43
	s_cselect_b32 s8, s6, s4
	s_sub_i32 s4, 0, s31
	s_sub_i32 s56, s28, s8
	v_dual_mul_f32 v2, 0x4f7ffffe, v2 :: v_dual_add_nc_u32 v15, s56, v0
	v_add_co_u32 v6, s6, s36, v10
	s_delay_alu instid0(VALU_DEP_1) | instskip(NEXT) | instid1(VALU_DEP_3)
	v_add_co_ci_u32_e64 v7, null, s37, 0, s6
	v_cvt_u32_f32_e32 v3, v2
	v_lshlrev_b64 v[1:2], v11, -1
	v_mul_lo_u32 v4, v15, s30
	v_or_b32_e32 v2, 2, v12
	s_delay_alu instid0(VALU_DEP_4)
	v_readfirstlane_b32 s5, v3
	v_or_b32_e32 v3, 3, v12
	v_not_b32_e32 v14, v1
	v_add3_u32 v1, s31, s28, v0
	v_mul_lo_u32 v16, s30, v2
	s_mul_i32 s4, s4, s5
	v_mul_lo_u32 v17, s30, v3
	s_mul_hi_u32 s4, s5, s4
	v_subrev_nc_u32_e32 v1, s8, v1
	s_add_i32 s55, s5, s4
	s_delay_alu instid0(SALU_CYCLE_1) | instskip(NEXT) | instid1(SALU_CYCLE_1)
	s_mul_hi_u32 s4, s7, s55
	s_mul_i32 s4, s4, s31
	s_delay_alu instid0(VALU_DEP_1) | instskip(SKIP_1) | instid1(SALU_CYCLE_1)
	v_mul_lo_u32 v19, s30, v1
	s_sub_i32 s4, s7, s4
	s_sub_i32 s5, s4, s31
	s_cmp_ge_u32 s4, s31
	s_cselect_b32 s5, s5, s4
	v_cmp_gt_u32_e64 s4, s56, v12
	s_sub_i32 s6, s5, s31
	s_cmp_ge_u32 s5, s31
	s_cselect_b32 s6, s6, s5
	v_cmp_gt_u32_e64 s5, s28, v15
	s_sub_i32 s57, s7, s6
	v_add_co_u32 v8, s6, s36, v4
	s_delay_alu instid0(VALU_DEP_1)
	v_add_co_ci_u32_e64 v9, null, s37, 0, s6
	v_cmp_gt_u32_e64 s6, s57, v0
	s_lshl_b32 s58, s45, 2
	s_branch .LBB80_12
.LBB80_8:                               ;   in Loop: Header=BB80_12 Depth=1
	s_xor_b32 s64, s64, 1
	s_add_i32 s11, s54, -2
	s_cmp_eq_u32 s54, 0
	s_mov_b32 s7, 0
	s_cselect_b32 s10, -1, 0
	s_mov_b32 s54, s11
.LBB80_9:                               ;   in Loop: Header=BB80_12 Depth=1
	s_and_not1_b32 s11, s13, exec_lo
	s_and_b32 s7, s7, exec_lo
	s_and_not1_b32 s14, s14, exec_lo
	s_or_b32 s13, s11, s7
	s_and_not1_b32 s12, s12, exec_lo
	s_or_not1_b32 s11, s10, exec_lo
	s_mov_b32 s68, s20
.LBB80_10:                              ;   in Loop: Header=BB80_12 Depth=1
	s_or_b32 exec_lo, exec_lo, s8
	s_delay_alu instid0(SALU_CYCLE_1)
	s_and_not1_b32 s7, s62, exec_lo
	s_and_b32 s8, s13, exec_lo
	s_and_not1_b32 s10, s63, exec_lo
	s_or_b32 s62, s7, s8
	s_and_not1_b32 s7, s65, exec_lo
	s_and_b32 s8, s14, exec_lo
	s_and_b32 s12, s12, exec_lo
	s_or_b32 s65, s7, s8
	s_or_b32 s63, s10, s12
	s_or_not1_b32 s12, s11, exec_lo
.LBB80_11:                              ;   in Loop: Header=BB80_12 Depth=1
	s_or_b32 exec_lo, exec_lo, s9
	s_delay_alu instid0(SALU_CYCLE_1)
	s_and_b32 s7, exec_lo, s12
	v_mov_b32_e32 v1, s66
	s_or_b32 s42, s7, s42
	s_and_not1_b32 s7, s60, exec_lo
	s_and_b32 s8, s62, exec_lo
	s_and_not1_b32 s9, s59, exec_lo
	s_or_b32 s60, s7, s8
	s_and_not1_b32 s7, s61, exec_lo
	s_and_b32 s8, s65, exec_lo
	s_and_b32 s10, s63, exec_lo
	s_or_b32 s61, s7, s8
	s_or_b32 s59, s9, s10
	s_and_not1_b32 exec_lo, exec_lo, s42
	s_cbranch_execz .LBB80_242
.LBB80_12:                              ; =>This Loop Header: Depth=1
                                        ;     Child Loop BB80_17 Depth 2
                                        ;     Child Loop BB80_32 Depth 2
	;; [unrolled: 1-line block ×16, first 2 shown]
	ds_load_b64 v[1:2], v21 offset:4104
	s_waitcnt lgkmcnt(0)
	v_readfirstlane_b32 s69, v1
	s_delay_alu instid0(VALU_DEP_1)
	s_cmp_lg_u32 s69, 0
	s_cbranch_scc1 .LBB80_39
; %bb.13:                               ;   in Loop: Header=BB80_12 Depth=1
	s_and_b32 vcc_lo, exec_lo, s47
	s_cbranch_vccz .LBB80_25
; %bb.14:                               ;   in Loop: Header=BB80_12 Depth=1
	v_cmp_gt_u32_e32 vcc_lo, 0xc01, v2
	s_mov_b32 s69, 0
	s_mov_b32 s7, 0
	s_cbranch_vccz .LBB80_26
; %bb.15:                               ;   in Loop: Header=BB80_12 Depth=1
	global_load_u16 v1, v21, s[40:41]
	global_load_u8 v4, v[6:7], off
	v_mov_b32_e32 v23, v0
	s_mov_b32 s9, 0
	s_waitcnt vmcnt(1)
	v_add_nc_u32_e32 v2, v0, v1
	v_mul_lo_u32 v3, s30, v1
	s_delay_alu instid0(VALU_DEP_2)
	v_mul_lo_u32 v2, s30, v2
	s_branch .LBB80_17
.LBB80_16:                              ;   in Loop: Header=BB80_17 Depth=2
	s_or_b32 exec_lo, exec_lo, s8
	v_add_nc_u32_e32 v2, v2, v3
	v_mov_b32_e32 v4, v24
	s_and_not1_b32 exec_lo, exec_lo, s9
	s_cbranch_execz .LBB80_127
.LBB80_17:                              ;   Parent Loop BB80_12 Depth=1
                                        ; =>  This Inner Loop Header: Depth=2
	v_dual_mov_b32 v24, 0 :: v_dual_add_nc_u32 v23, v23, v1
	s_waitcnt lgkmcnt(0)
	v_mov_b32_e32 v25, 0
	s_mov_b32 s8, exec_lo
	s_delay_alu instid0(VALU_DEP_2)
	v_cmp_le_u32_e32 vcc_lo, s28, v23
	v_cmpx_gt_u32_e64 s28, v23
	s_cbranch_execz .LBB80_19
; %bb.18:                               ;   in Loop: Header=BB80_17 Depth=2
	global_load_u8 v24, v2, s[36:37]
.LBB80_19:                              ;   in Loop: Header=BB80_17 Depth=2
	s_or_b32 exec_lo, exec_lo, s8
	s_waitcnt vmcnt(0)
	v_bfe_i32 v26, v4, 0, 8
	s_delay_alu instid0(VALU_DEP_1) | instskip(NEXT) | instid1(VALU_DEP_1)
	v_add_nc_u32_e32 v26, 0x80, v26
	v_and_b32_e32 v26, s67, v26
	s_delay_alu instid0(VALU_DEP_1) | instskip(NEXT) | instid1(VALU_DEP_1)
	v_cmp_eq_u32_e64 s7, s66, v26
	s_cmp_lg_u32 s7, 0
	s_cselect_b32 s8, -1, 0
	s_delay_alu instid0(SALU_CYCLE_1) | instskip(NEXT) | instid1(SALU_CYCLE_1)
	s_and_b32 s8, s3, s8
	s_and_saveexec_b32 s10, s8
	s_cbranch_execz .LBB80_23
; %bb.20:                               ;   in Loop: Header=BB80_17 Depth=2
	s_mov_b32 s13, exec_lo
	s_bcnt1_i32_b32 s11, s7
	v_mbcnt_lo_u32_b32 v25, s13, 0
	s_mov_b32 s12, exec_lo
                                        ; implicit-def: $vgpr26
	s_delay_alu instid0(VALU_DEP_1)
	v_cmpx_eq_u32_e32 0, v25
	s_cbranch_execz .LBB80_22
; %bb.21:                               ;   in Loop: Header=BB80_17 Depth=2
	s_bcnt1_i32_b32 s8, s13
	s_delay_alu instid0(SALU_CYCLE_1) | instskip(NEXT) | instid1(SALU_CYCLE_1)
	s_mul_i32 s8, s11, s8
	v_mov_b32_e32 v26, s8
	ds_add_rtn_u32 v26, v21, v26 offset:4112
.LBB80_22:                              ;   in Loop: Header=BB80_17 Depth=2
	s_or_b32 exec_lo, exec_lo, s12
	s_waitcnt lgkmcnt(0)
	v_readfirstlane_b32 s8, v26
	s_delay_alu instid0(VALU_DEP_1)
	v_mad_u32_u24 v25, s11, v25, s8
.LBB80_23:                              ;   in Loop: Header=BB80_17 Depth=2
	s_or_b32 exec_lo, exec_lo, s10
	ds_bpermute_b32 v25, v21, v25
	s_and_b32 s8, exec_lo, vcc_lo
	s_delay_alu instid0(SALU_CYCLE_1)
	s_or_b32 s9, s8, s9
	s_and_saveexec_b32 s8, s7
	s_cbranch_execz .LBB80_16
; %bb.24:                               ;   in Loop: Header=BB80_17 Depth=2
	v_and_b32_e32 v26, s7, v14
	s_waitcnt lgkmcnt(0)
	s_delay_alu instid0(VALU_DEP_1)
	v_bcnt_u32_b32 v25, v26, v25
	ds_store_b8 v25, v4
	s_branch .LBB80_16
.LBB80_25:                              ;   in Loop: Header=BB80_12 Depth=1
	s_mov_b32 s69, -1
	s_mov_b32 s7, 0
.LBB80_26:                              ;   in Loop: Header=BB80_12 Depth=1
	s_and_b32 vcc_lo, exec_lo, s69
	s_cbranch_vccz .LBB80_37
.LBB80_27:                              ;   in Loop: Header=BB80_12 Depth=1
	v_mov_b32_e32 v1, 0
	s_and_saveexec_b32 s7, s0
	s_cbranch_execz .LBB80_29
; %bb.28:                               ;   in Loop: Header=BB80_12 Depth=1
	global_load_u8 v1, v[6:7], off
.LBB80_29:                              ;   in Loop: Header=BB80_12 Depth=1
	s_or_b32 exec_lo, exec_lo, s7
	s_and_saveexec_b32 s8, s0
	s_cbranch_execz .LBB80_34
; %bb.30:                               ;   in Loop: Header=BB80_12 Depth=1
	global_load_u16 v2, v21, s[40:41]
	v_mov_b32_e32 v23, v0
	s_mov_b32 s9, 0
	s_waitcnt vmcnt(0)
	v_add_nc_u32_e32 v3, v0, v2
	v_mul_lo_u32 v4, s30, v2
	s_delay_alu instid0(VALU_DEP_2)
	v_mul_lo_u32 v3, s30, v3
	s_branch .LBB80_32
	.p2align	6
.LBB80_31:                              ;   in Loop: Header=BB80_32 Depth=2
	s_or_b32 exec_lo, exec_lo, s10
	ds_store_b8 v23, v1
	v_add_nc_u32_e32 v3, v3, v4
	s_waitcnt vmcnt(0)
	v_mov_b32_e32 v1, v25
	v_mov_b32_e32 v23, v24
	s_and_b32 s7, exec_lo, vcc_lo
	s_delay_alu instid0(SALU_CYCLE_1) | instskip(NEXT) | instid1(SALU_CYCLE_1)
	s_or_b32 s9, s7, s9
	s_and_not1_b32 exec_lo, exec_lo, s9
	s_cbranch_execz .LBB80_34
.LBB80_32:                              ;   Parent Loop BB80_12 Depth=1
                                        ; =>  This Inner Loop Header: Depth=2
	v_dual_mov_b32 v25, 0 :: v_dual_add_nc_u32 v24, v23, v2
	s_mov_b32 s10, exec_lo
	s_delay_alu instid0(VALU_DEP_1)
	v_cmp_le_u32_e32 vcc_lo, s28, v24
	v_cmpx_gt_u32_e64 s28, v24
	s_cbranch_execz .LBB80_31
; %bb.33:                               ;   in Loop: Header=BB80_32 Depth=2
	global_load_u8 v25, v3, s[36:37]
	s_branch .LBB80_31
.LBB80_34:                              ;   in Loop: Header=BB80_12 Depth=1
	s_or_b32 exec_lo, exec_lo, s8
	s_waitcnt vmcnt(0) lgkmcnt(0)
	s_barrier
	buffer_gl0_inv
	s_and_saveexec_b32 s7, s2
	s_cbranch_execz .LBB80_36
; %bb.35:                               ;   in Loop: Header=BB80_12 Depth=1
	v_mov_b32_e32 v1, s28
	ds_store_b32 v21, v1 offset:4104
.LBB80_36:                              ;   in Loop: Header=BB80_12 Depth=1
	s_or_b32 exec_lo, exec_lo, s7
	s_mov_b32 s7, -1
	s_waitcnt lgkmcnt(0)
	s_barrier
                                        ; implicit-def: $sgpr69
.LBB80_37:                              ;   in Loop: Header=BB80_12 Depth=1
	s_and_b32 vcc_lo, exec_lo, s7
	s_cbranch_vccz .LBB80_39
; %bb.38:                               ;   in Loop: Header=BB80_12 Depth=1
	buffer_gl0_inv
	ds_load_b32 v1, v21 offset:4104
	s_waitcnt lgkmcnt(0)
	v_readfirstlane_b32 s69, v1
.LBB80_39:                              ;   in Loop: Header=BB80_12 Depth=1
	s_delay_alu instid0(VALU_DEP_1)
	s_cmp_lt_i32 s69, 1
	s_cbranch_scc0 .LBB80_43
; %bb.40:                               ;   in Loop: Header=BB80_12 Depth=1
	v_dual_mov_b32 v1, 0 :: v_dual_mov_b32 v2, 0
	v_dual_mov_b32 v3, 0 :: v_dual_mov_b32 v4, 0
	s_mov_b32 s71, 0
	s_and_saveexec_b32 s70, s4
	s_cbranch_execnz .LBB80_44
; %bb.41:                               ;   in Loop: Header=BB80_12 Depth=1
	s_or_b32 exec_lo, exec_lo, s70
	v_mov_b32_e32 v26, 0
	s_and_saveexec_b32 s7, s5
	s_cbranch_execnz .LBB80_47
.LBB80_42:                              ;   in Loop: Header=BB80_12 Depth=1
	s_or_b32 exec_lo, exec_lo, s7
	s_and_saveexec_b32 s11, s5
	s_cbranch_execnz .LBB80_48
	s_branch .LBB80_53
.LBB80_43:                              ;   in Loop: Header=BB80_12 Depth=1
                                        ; implicit-def: $vgpr4
	s_cbranch_execnz .LBB80_54
	s_branch .LBB80_63
.LBB80_44:                              ;   in Loop: Header=BB80_12 Depth=1
	v_mov_b32_e32 v23, v12
	s_and_b32 s72, s54, 0xfe
	s_mov_b32 s73, 0
	s_mov_b32 s74, 0
	;; [unrolled: 1-line block ×5, first 2 shown]
.LBB80_45:                              ;   Parent Loop BB80_12 Depth=1
                                        ; =>  This Inner Loop Header: Depth=2
	v_add_nc_u32_e32 v1, s73, v18
	v_add_nc_u32_e32 v2, s73, v5
	;; [unrolled: 1-line block ×5, first 2 shown]
	s_clause 0x3
	global_load_i8 v1, v1, s[36:37]
	global_load_i8 v2, v2, s[36:37]
	;; [unrolled: 1-line block ×4, first 2 shown]
	s_add_i32 s73, s73, s58
	v_cmp_le_u32_e32 vcc_lo, s56, v23
	s_waitcnt vmcnt(3)
	v_add_nc_u32_e32 v1, 0x80, v1
	s_waitcnt vmcnt(2)
	v_add_nc_u32_e32 v2, 0x80, v2
	s_waitcnt vmcnt(1)
	v_add_nc_u32_e32 v3, 0x80, v3
	s_waitcnt vmcnt(0)
	v_add_nc_u32_e32 v4, 0x80, v4
	v_and_b32_e32 v24, s67, v1
	v_bfe_u32 v1, v1, s72, 2
	v_and_b32_e32 v25, s67, v2
	v_bfe_u32 v2, v2, s72, 2
	;; [unrolled: 2-line block ×3, first 2 shown]
	v_cmp_eq_u32_e64 s7, s66, v24
	v_cmp_eq_u32_e64 s11, 0, v1
	v_and_b32_e32 v27, s67, v4
	v_bfe_u32 v4, v4, s72, 2
	v_cmp_eq_u32_e64 s8, s66, v25
	v_cmp_eq_u32_e64 s12, 0, v2
	;; [unrolled: 1-line block ×4, first 2 shown]
	s_and_b32 s11, s7, s11
	v_cmp_eq_u32_e64 s10, s66, v27
	v_cmp_eq_u32_e64 s14, 0, v4
	;; [unrolled: 1-line block ×5, first 2 shown]
	v_cndmask_b32_e64 v1, 0, 1, s11
	s_and_b32 s11, s8, s12
	v_cmp_eq_u32_e64 s16, 1, v2
	v_cmp_eq_u32_e64 s20, 2, v2
	v_cmp_eq_u32_e64 s24, 3, v2
	v_cndmask_b32_e64 v2, 0, 1, s11
	s_and_b32 s11, s9, s13
	v_cmp_eq_u32_e64 s17, 1, v3
	v_cmp_eq_u32_e64 s21, 2, v3
	v_cmp_eq_u32_e64 s25, 3, v3
	;; [unrolled: 5-line block ×3, first 2 shown]
	v_cndmask_b32_e64 v4, 0, 1, s11
	s_and_b32 s11, s7, s15
	s_delay_alu instid0(SALU_CYCLE_1) | instskip(SKIP_1) | instid1(SALU_CYCLE_1)
	v_cndmask_b32_e64 v24, 0, 1, s11
	s_and_b32 s11, s8, s16
	v_cndmask_b32_e64 v25, 0, 1, s11
	s_and_b32 s11, s9, s17
	s_delay_alu instid0(SALU_CYCLE_1) | instskip(SKIP_1) | instid1(VALU_DEP_2)
	v_cndmask_b32_e64 v26, 0, 1, s11
	s_and_b32 s11, s10, s18
	v_cmp_ne_u32_e64 s12, 0, v25
	v_cndmask_b32_e64 v27, 0, 1, s11
	s_and_b32 s11, s7, s19
	s_and_b32 s7, s7, s23
	v_cndmask_b32_e64 v28, 0, 1, s11
	s_and_b32 s11, s8, s20
	v_cndmask_b32_e64 v32, 0, 1, s7
	;; [unrolled: 2-line block ×7, first 2 shown]
	v_cndmask_b32_e64 v35, 0, 1, s7
	v_cmp_ne_u32_e64 s7, 0, v1
	v_cmp_ne_u32_e64 s11, 0, v24
	;; [unrolled: 1-line block ×11, first 2 shown]
	s_bcnt1_i32_b32 s7, s7
	s_bcnt1_i32_b32 s11, s11
	;; [unrolled: 1-line block ×4, first 2 shown]
	v_cmp_ne_u32_e64 s10, 0, v4
	v_cmp_ne_u32_e64 s14, 0, v27
	;; [unrolled: 1-line block ×4, first 2 shown]
	s_bcnt1_i32_b32 s8, s8
	s_bcnt1_i32_b32 s12, s12
	s_bcnt1_i32_b32 s16, s16
	s_bcnt1_i32_b32 s20, s20
	s_add_i32 s7, s7, s77
	s_add_i32 s11, s11, s76
	s_add_i32 s15, s15, s75
	s_add_i32 s19, s19, s74
	s_bcnt1_i32_b32 s9, s9
	s_bcnt1_i32_b32 s13, s13
	s_bcnt1_i32_b32 s17, s17
	s_bcnt1_i32_b32 s21, s21
	s_add_i32 s7, s7, s8
	s_add_i32 s8, s11, s12
	s_add_i32 s11, s15, s16
	s_add_i32 s12, s19, s20
	;; [unrolled: 8-line block ×3, first 2 shown]
	s_add_i32 s77, s7, s10
	s_add_i32 s76, s8, s14
	;; [unrolled: 1-line block ×4, first 2 shown]
	v_mov_b32_e32 v3, s75
	v_dual_mov_b32 v1, s77 :: v_dual_mov_b32 v2, s76
	v_mov_b32_e32 v4, s74
	s_or_b32 s71, vcc_lo, s71
	s_delay_alu instid0(SALU_CYCLE_1)
	s_and_not1_b32 exec_lo, exec_lo, s71
	s_cbranch_execnz .LBB80_45
; %bb.46:                               ;   in Loop: Header=BB80_12 Depth=1
	s_or_b32 exec_lo, exec_lo, s71
	s_delay_alu instid0(SALU_CYCLE_1)
	s_or_b32 exec_lo, exec_lo, s70
	v_mov_b32_e32 v26, 0
	s_and_saveexec_b32 s7, s5
	s_cbranch_execz .LBB80_42
.LBB80_47:                              ;   in Loop: Header=BB80_12 Depth=1
	global_load_u8 v26, v[8:9], off
	s_or_b32 exec_lo, exec_lo, s7
	s_and_saveexec_b32 s11, s5
	s_cbranch_execz .LBB80_53
.LBB80_48:                              ;   in Loop: Header=BB80_12 Depth=1
	v_mov_b32_e32 v23, v19
	v_mov_b32_e32 v24, v15
	s_and_b32 s13, s54, 0xfe
	s_mov_b32 s12, 0
	s_branch .LBB80_50
.LBB80_49:                              ;   in Loop: Header=BB80_50 Depth=2
	s_or_b32 exec_lo, exec_lo, s8
	s_waitcnt vmcnt(0)
	v_bfe_i32 v26, v26, 0, 8
	s_and_b32 s8, exec_lo, vcc_lo
	v_add_nc_u32_e32 v23, s45, v23
	s_or_b32 s12, s8, s12
	s_delay_alu instid0(VALU_DEP_2) | instskip(NEXT) | instid1(VALU_DEP_1)
	v_add_nc_u32_e32 v26, 0x80, v26
	v_and_b32_e32 v27, s67, v26
	v_bfe_u32 v26, v26, s13, 2
	s_delay_alu instid0(VALU_DEP_2) | instskip(NEXT) | instid1(VALU_DEP_2)
	v_cmp_eq_u32_e32 vcc_lo, s66, v27
	v_cmp_eq_u32_e64 s7, 0, v26
	v_cmp_eq_u32_e64 s8, 1, v26
	;; [unrolled: 1-line block ×4, first 2 shown]
	s_delay_alu instid0(VALU_DEP_4) | instskip(NEXT) | instid1(SALU_CYCLE_1)
	s_and_b32 s7, vcc_lo, s7
	v_cndmask_b32_e64 v26, 0, 1, s7
	s_and_b32 s7, vcc_lo, s8
	s_delay_alu instid0(SALU_CYCLE_1) | instskip(SKIP_1) | instid1(SALU_CYCLE_1)
	v_cndmask_b32_e64 v27, 0, 1, s7
	s_and_b32 s7, vcc_lo, s9
	v_cndmask_b32_e64 v28, 0, 1, s7
	s_and_b32 s7, vcc_lo, s10
	v_cmp_ne_u32_e32 vcc_lo, 0, v26
	v_mov_b32_e32 v26, v25
	v_cndmask_b32_e64 v29, 0, 1, s7
	v_cmp_ne_u32_e64 s7, 0, v27
	v_cmp_ne_u32_e64 s8, 0, v28
	s_bcnt1_i32_b32 s10, vcc_lo
	s_delay_alu instid0(VALU_DEP_3) | instskip(NEXT) | instid1(VALU_DEP_3)
	v_cmp_ne_u32_e64 s9, 0, v29
	s_bcnt1_i32_b32 s7, s7
	s_delay_alu instid0(VALU_DEP_2)
	s_bcnt1_i32_b32 s8, s8
	v_add_nc_u32_e32 v1, s10, v1
	v_add_nc_u32_e32 v2, s7, v2
	s_bcnt1_i32_b32 s9, s9
	v_add_nc_u32_e32 v3, s8, v3
	v_add_nc_u32_e32 v4, s9, v4
	s_and_not1_b32 exec_lo, exec_lo, s12
	s_cbranch_execz .LBB80_52
.LBB80_50:                              ;   Parent Loop BB80_12 Depth=1
                                        ; =>  This Inner Loop Header: Depth=2
	s_delay_alu instid0(VALU_DEP_1) | instskip(SKIP_1) | instid1(VALU_DEP_1)
	v_dual_mov_b32 v25, 0 :: v_dual_add_nc_u32 v24, s31, v24
	s_mov_b32 s8, exec_lo
	v_cmp_le_u32_e32 vcc_lo, s28, v24
	v_cmpx_gt_u32_e64 s28, v24
	s_cbranch_execz .LBB80_49
; %bb.51:                               ;   in Loop: Header=BB80_50 Depth=2
	global_load_u8 v25, v23, s[36:37]
	s_branch .LBB80_49
.LBB80_52:                              ;   in Loop: Header=BB80_12 Depth=1
	s_or_b32 exec_lo, exec_lo, s12
.LBB80_53:                              ;   in Loop: Header=BB80_12 Depth=1
	s_delay_alu instid0(SALU_CYCLE_1)
	s_or_b32 exec_lo, exec_lo, s11
	s_branch .LBB80_63
.LBB80_54:                              ;   in Loop: Header=BB80_12 Depth=1
	s_mul_hi_u32 s7, s69, s53
	v_dual_mov_b32 v1, 0 :: v_dual_mov_b32 v2, 0
	s_mul_i32 s7, s7, s43
	v_dual_mov_b32 v3, 0 :: v_dual_mov_b32 v4, 0
	s_sub_i32 s7, s69, s7
	s_mov_b32 s72, 0
	s_sub_i32 s8, s7, s43
	s_cmp_ge_u32 s7, s43
	s_mov_b32 s71, exec_lo
	s_cselect_b32 s7, s8, s7
	s_delay_alu instid0(SALU_CYCLE_1) | instskip(SKIP_2) | instid1(SALU_CYCLE_1)
	s_sub_i32 s8, s7, s43
	s_cmp_ge_u32 s7, s43
	s_cselect_b32 s7, s8, s7
	s_sub_i32 s70, s69, s7
	s_delay_alu instid0(SALU_CYCLE_1)
	v_cmpx_gt_u32_e64 s70, v12
	s_cbranch_execz .LBB80_58
; %bb.55:                               ;   in Loop: Header=BB80_12 Depth=1
	v_mov_b32_e32 v23, v12
	s_and_b32 s73, s54, 0xfe
	s_mov_b32 s74, 0
	s_mov_b32 s75, 0
	;; [unrolled: 1-line block ×4, first 2 shown]
.LBB80_56:                              ;   Parent Loop BB80_12 Depth=1
                                        ; =>  This Inner Loop Header: Depth=2
	ds_load_b32 v1, v23
	s_waitcnt lgkmcnt(0)
	v_bfe_i32 v2, v1, 0, 8
	v_bfe_i32 v3, v1, 8, 8
	;; [unrolled: 1-line block ×3, first 2 shown]
	v_ashrrev_i32_e32 v1, 24, v1
	s_delay_alu instid0(VALU_DEP_4) | instskip(NEXT) | instid1(VALU_DEP_4)
	v_add_nc_u32_e32 v2, 0x80, v2
	v_add_nc_u32_e32 v3, 0x80, v3
	s_delay_alu instid0(VALU_DEP_4) | instskip(NEXT) | instid1(VALU_DEP_4)
	v_add_nc_u32_e32 v4, 0x80, v4
	v_add_nc_u32_e32 v1, 0x80, v1
	s_delay_alu instid0(VALU_DEP_4)
	v_and_b32_e32 v24, s67, v2
	v_bfe_u32 v2, v2, s73, 2
	v_and_b32_e32 v25, s67, v3
	v_bfe_u32 v3, v3, s73, 2
	s_waitcnt vmcnt(0)
	v_and_b32_e32 v26, s67, v4
	v_bfe_u32 v4, v4, s73, 2
	v_cmp_eq_u32_e64 s7, s66, v24
	v_cmp_eq_u32_e64 s11, 0, v2
	v_and_b32_e32 v27, s67, v1
	v_bfe_u32 v1, v1, s73, 2
	v_cmp_eq_u32_e64 s8, s66, v25
	v_cmp_eq_u32_e64 s12, 0, v3
	;; [unrolled: 1-line block ×4, first 2 shown]
	s_and_b32 s11, s7, s11
	v_cmp_eq_u32_e64 s10, s66, v27
	v_cmp_eq_u32_e64 s14, 0, v1
	v_cmp_eq_u32_e64 s18, 1, v1
	v_cmp_eq_u32_e64 s22, 2, v1
	v_cmp_eq_u32_e64 s26, 3, v1
	v_cndmask_b32_e64 v1, 0, 1, s11
	s_and_b32 s11, s8, s12
	v_cmp_eq_u32_e64 s15, 1, v2
	v_cmp_eq_u32_e64 s19, 2, v2
	v_cmp_eq_u32_e64 s23, 3, v2
	v_cndmask_b32_e64 v2, 0, 1, s11
	s_and_b32 s11, s9, s13
	v_cmp_eq_u32_e64 s16, 1, v3
	v_cmp_eq_u32_e64 s20, 2, v3
	v_cmp_eq_u32_e64 s24, 3, v3
	;; [unrolled: 5-line block ×3, first 2 shown]
	v_cndmask_b32_e64 v4, 0, 1, s11
	s_and_b32 s11, s7, s15
	s_delay_alu instid0(SALU_CYCLE_1) | instskip(SKIP_1) | instid1(SALU_CYCLE_1)
	v_cndmask_b32_e64 v24, 0, 1, s11
	s_and_b32 s11, s8, s16
	v_cndmask_b32_e64 v25, 0, 1, s11
	s_and_b32 s11, s9, s17
	s_delay_alu instid0(SALU_CYCLE_1) | instskip(SKIP_1) | instid1(VALU_DEP_2)
	v_cndmask_b32_e64 v26, 0, 1, s11
	s_and_b32 s11, s10, s18
	v_cmp_ne_u32_e64 s12, 0, v25
	v_cndmask_b32_e64 v27, 0, 1, s11
	s_and_b32 s11, s7, s19
	s_and_b32 s7, s7, s23
	v_cndmask_b32_e64 v28, 0, 1, s11
	s_and_b32 s11, s8, s20
	v_cndmask_b32_e64 v32, 0, 1, s7
	;; [unrolled: 2-line block ×7, first 2 shown]
	v_cndmask_b32_e64 v35, 0, 1, s7
	v_cmp_ne_u32_e64 s7, 0, v1
	v_cmp_ne_u32_e64 s11, 0, v24
	;; [unrolled: 1-line block ×6, first 2 shown]
	s_bcnt1_i32_b32 s7, s7
	s_bcnt1_i32_b32 s11, s11
	v_cmp_ne_u32_e64 s14, 0, v27
	v_cmp_ne_u32_e64 s16, 0, v29
	;; [unrolled: 1-line block ×3, first 2 shown]
	s_bcnt1_i32_b32 s8, s8
	s_bcnt1_i32_b32 s12, s12
	s_add_i32 s7, s7, s77
	s_add_i32 s11, s11, s76
	v_cmp_ne_u32_e64 s9, 0, v3
	v_cmp_ne_u32_e64 s17, 0, v30
	;; [unrolled: 1-line block ×3, first 2 shown]
	s_bcnt1_i32_b32 s13, s13
	s_add_i32 s7, s7, s8
	s_add_i32 s8, s11, s12
	s_bcnt1_i32_b32 s15, s15
	s_bcnt1_i32_b32 s19, s19
	v_cmp_ne_u32_e64 s10, 0, v4
	v_cmp_ne_u32_e64 s18, 0, v31
	;; [unrolled: 1-line block ×3, first 2 shown]
	s_bcnt1_i32_b32 s14, s14
	s_add_i32 s8, s8, s13
	s_bcnt1_i32_b32 s16, s16
	s_bcnt1_i32_b32 s20, s20
	s_add_i32 s15, s15, s75
	s_add_i32 s19, s19, s74
	;; [unrolled: 1-line block ×3, first 2 shown]
	s_delay_alu instid0(SALU_CYCLE_1)
	v_dual_mov_b32 v2, s76 :: v_dual_add_nc_u32 v23, s43, v23
	s_bcnt1_i32_b32 s9, s9
	s_bcnt1_i32_b32 s17, s17
	;; [unrolled: 1-line block ×3, first 2 shown]
	s_add_i32 s11, s15, s16
	s_add_i32 s12, s19, s20
	s_bcnt1_i32_b32 s10, s10
	s_bcnt1_i32_b32 s18, s18
	;; [unrolled: 1-line block ×3, first 2 shown]
	s_add_i32 s7, s7, s9
	s_add_i32 s9, s11, s17
	;; [unrolled: 1-line block ×3, first 2 shown]
	v_cmp_le_u32_e32 vcc_lo, s70, v23
	s_add_i32 s77, s7, s10
	s_add_i32 s75, s9, s18
	;; [unrolled: 1-line block ×3, first 2 shown]
	v_mov_b32_e32 v1, s77
	v_dual_mov_b32 v3, s75 :: v_dual_mov_b32 v4, s74
	s_or_b32 s72, vcc_lo, s72
	s_delay_alu instid0(SALU_CYCLE_1)
	s_and_not1_b32 exec_lo, exec_lo, s72
	s_cbranch_execnz .LBB80_56
; %bb.57:                               ;   in Loop: Header=BB80_12 Depth=1
	s_or_b32 exec_lo, exec_lo, s72
.LBB80_58:                              ;   in Loop: Header=BB80_12 Depth=1
	s_delay_alu instid0(SALU_CYCLE_1) | instskip(SKIP_2) | instid1(VALU_DEP_1)
	s_or_b32 exec_lo, exec_lo, s71
	v_add_nc_u32_e32 v23, s70, v0
	s_mov_b32 s12, exec_lo
	v_cmpx_gt_u32_e64 s69, v23
	s_cbranch_execz .LBB80_62
; %bb.59:                               ;   in Loop: Header=BB80_12 Depth=1
	s_and_b32 s14, s54, 0xfe
	s_mov_b32 s13, 0
.LBB80_60:                              ;   Parent Loop BB80_12 Depth=1
                                        ; =>  This Inner Loop Header: Depth=2
	ds_load_i8 v24, v23
	v_add_nc_u32_e32 v23, s31, v23
	s_delay_alu instid0(VALU_DEP_1) | instskip(SKIP_2) | instid1(VALU_DEP_1)
	v_cmp_le_u32_e32 vcc_lo, s69, v23
	s_waitcnt lgkmcnt(0)
	v_add_nc_u32_e32 v24, 0x80, v24
	v_and_b32_e32 v25, s67, v24
	v_bfe_u32 v24, v24, s14, 2
	s_delay_alu instid0(VALU_DEP_2) | instskip(NEXT) | instid1(VALU_DEP_2)
	v_cmp_eq_u32_e64 s7, s66, v25
	v_cmp_eq_u32_e64 s8, 0, v24
	;; [unrolled: 1-line block ×5, first 2 shown]
	s_delay_alu instid0(VALU_DEP_4) | instskip(NEXT) | instid1(SALU_CYCLE_1)
	s_and_b32 s8, s7, s8
	v_cndmask_b32_e64 v24, 0, 1, s8
	s_and_b32 s8, s7, s9
	s_delay_alu instid0(SALU_CYCLE_1)
	v_cndmask_b32_e64 v25, 0, 1, s8
	s_and_b32 s8, s7, s10
	s_and_b32 s7, s7, s11
	s_waitcnt vmcnt(0)
	v_cndmask_b32_e64 v26, 0, 1, s8
	v_cndmask_b32_e64 v27, 0, 1, s7
	v_cmp_ne_u32_e64 s7, 0, v24
	v_cmp_ne_u32_e64 s8, 0, v25
	s_delay_alu instid0(VALU_DEP_4) | instskip(NEXT) | instid1(VALU_DEP_4)
	v_cmp_ne_u32_e64 s9, 0, v26
	v_cmp_ne_u32_e64 s10, 0, v27
	s_delay_alu instid0(VALU_DEP_4) | instskip(NEXT) | instid1(VALU_DEP_3)
	s_bcnt1_i32_b32 s7, s7
	s_bcnt1_i32_b32 s8, s8
	v_add_nc_u32_e32 v1, s7, v1
	s_bcnt1_i32_b32 s9, s9
	s_bcnt1_i32_b32 s10, s10
	v_add_nc_u32_e32 v2, s8, v2
	v_add_nc_u32_e32 v3, s9, v3
	;; [unrolled: 1-line block ×3, first 2 shown]
	s_or_b32 s13, vcc_lo, s13
	s_delay_alu instid0(SALU_CYCLE_1)
	s_and_not1_b32 exec_lo, exec_lo, s13
	s_cbranch_execnz .LBB80_60
; %bb.61:                               ;   in Loop: Header=BB80_12 Depth=1
	s_or_b32 exec_lo, exec_lo, s13
.LBB80_62:                              ;   in Loop: Header=BB80_12 Depth=1
	s_delay_alu instid0(SALU_CYCLE_1)
	s_or_b32 exec_lo, exec_lo, s12
.LBB80_63:                              ;   in Loop: Header=BB80_12 Depth=1
	s_lshl_b32 s7, s64, 7
	s_and_saveexec_b32 s8, s3
	s_cbranch_execz .LBB80_65
; %bb.64:                               ;   in Loop: Header=BB80_12 Depth=1
	v_or_b32_e32 v23, s7, v13
	s_delay_alu instid0(VALU_DEP_1)
	v_lshlrev_b32_e32 v23, 2, v23
	ds_store_b128 v23, v[1:4] offset:3072
.LBB80_65:                              ;   in Loop: Header=BB80_12 Depth=1
	s_or_b32 exec_lo, exec_lo, s8
	s_waitcnt vmcnt(0) lgkmcnt(0)
	s_barrier
	buffer_gl0_inv
	s_and_saveexec_b32 s8, s44
	s_cbranch_execz .LBB80_75
; %bb.66:                               ;   in Loop: Header=BB80_12 Depth=1
	v_mov_b32_e32 v1, 0
	s_and_not1_b32 vcc_lo, exec_lo, s48
	s_cbranch_vccnz .LBB80_74
; %bb.67:                               ;   in Loop: Header=BB80_12 Depth=1
	v_mov_b32_e32 v1, 0
	s_and_not1_b32 vcc_lo, exec_lo, s50
	s_mov_b32 s9, 0
	s_cbranch_vccnz .LBB80_71
; %bb.68:                               ;   in Loop: Header=BB80_12 Depth=1
	v_lshl_add_u32 v2, s64, 9, v20
	v_mov_b32_e32 v1, 0
	.p2align	6
.LBB80_69:                              ;   Parent Loop BB80_12 Depth=1
                                        ; =>  This Inner Loop Header: Depth=2
	ds_load_2addr_b32 v[3:4], v2 offset1:4
	ds_load_2addr_b32 v[23:24], v2 offset0:8 offset1:12
	ds_load_2addr_b32 v[25:26], v2 offset0:16 offset1:20
	;; [unrolled: 1-line block ×3, first 2 shown]
	v_add_nc_u32_e32 v2, 0x80, v2
	s_add_i32 s9, s9, 8
	s_delay_alu instid0(SALU_CYCLE_1) | instskip(SKIP_3) | instid1(VALU_DEP_1)
	s_cmp_eq_u32 s51, s9
	s_waitcnt lgkmcnt(3)
	v_add3_u32 v1, v3, v1, v4
	s_waitcnt lgkmcnt(2)
	v_add3_u32 v1, v23, v1, v24
	s_waitcnt lgkmcnt(1)
	s_delay_alu instid0(VALU_DEP_1) | instskip(SKIP_1) | instid1(VALU_DEP_1)
	v_add3_u32 v1, v25, v1, v26
	s_waitcnt lgkmcnt(0)
	v_add3_u32 v1, v27, v1, v28
	s_cbranch_scc0 .LBB80_69
; %bb.70:                               ;   in Loop: Header=BB80_12 Depth=1
	s_mov_b32 s9, s51
.LBB80_71:                              ;   in Loop: Header=BB80_12 Depth=1
	s_and_not1_b32 vcc_lo, exec_lo, s52
	s_cbranch_vccnz .LBB80_74
; %bb.72:                               ;   in Loop: Header=BB80_12 Depth=1
	s_lshl_b32 s10, s64, 9
	s_lshl_b32 s9, s9, 4
	s_delay_alu instid0(SALU_CYCLE_1)
	v_add3_u32 v2, s10, s9, v20
	s_mov_b32 s9, s49
.LBB80_73:                              ;   Parent Loop BB80_12 Depth=1
                                        ; =>  This Inner Loop Header: Depth=2
	ds_load_b32 v3, v2
	v_add_nc_u32_e32 v2, 16, v2
	s_add_i32 s9, s9, -1
	s_delay_alu instid0(SALU_CYCLE_1)
	s_cmp_lg_u32 s9, 0
	s_waitcnt lgkmcnt(0)
	v_add_nc_u32_e32 v1, v3, v1
	s_cbranch_scc1 .LBB80_73
.LBB80_74:                              ;   in Loop: Header=BB80_12 Depth=1
	v_add_lshl_u32 v2, s7, v11, 2
	ds_store_b32 v2, v1 offset:3072
.LBB80_75:                              ;   in Loop: Header=BB80_12 Depth=1
	s_or_b32 exec_lo, exec_lo, s8
	s_lshl_b32 s7, s7, 2
	s_waitcnt lgkmcnt(0)
	v_mov_b32_e32 v1, s7
	s_barrier
	buffer_gl0_inv
	s_and_b32 s16, s54, 0xfe
	s_mov_b32 s12, -1
	ds_load_b128 v[1:4], v1 offset:3072
	s_lshl_b32 s10, 3, s16
	s_delay_alu instid0(SALU_CYCLE_1) | instskip(SKIP_4) | instid1(VALU_DEP_3)
	s_not_b32 s17, s10
	s_waitcnt lgkmcnt(0)
	v_readfirstlane_b32 s11, v1
	v_readfirstlane_b32 s19, v2
	;; [unrolled: 1-line block ×3, first 2 shown]
	s_cmp_eq_u32 s11, 1
	s_cselect_b32 s7, -1, 0
	s_cmp_eq_u32 s68, 1
	s_cselect_b32 s8, -1, 0
	s_delay_alu instid0(SALU_CYCLE_1)
	s_and_b32 s13, s7, s8
	v_readfirstlane_b32 s8, v4
	s_and_b32 vcc_lo, exec_lo, s13
	s_cbranch_vccz .LBB80_87
; %bb.76:                               ;   in Loop: Header=BB80_12 Depth=1
	ds_load_b32 v1, v21 offset:4104
	s_waitcnt lgkmcnt(0)
	s_barrier
	buffer_gl0_inv
	v_readfirstlane_b32 s9, v1
	s_and_saveexec_b32 s7, s1
	s_cbranch_execz .LBB80_78
; %bb.77:                               ;   in Loop: Header=BB80_12 Depth=1
	ds_store_b8 v0, v21 offset:3072
.LBB80_78:                              ;   in Loop: Header=BB80_12 Depth=1
	s_or_b32 exec_lo, exec_lo, s7
	s_and_b32 s66, s66, s17
	s_or_b32 s67, s67, s10
	s_cmp_eq_u32 s9, 0
	s_waitcnt lgkmcnt(0)
	s_barrier
	buffer_gl0_inv
	s_cbranch_scc1 .LBB80_88
; %bb.79:                               ;   in Loop: Header=BB80_12 Depth=1
	s_add_i32 s7, s9, s46
                                        ; implicit-def: $vgpr22
	s_delay_alu instid0(SALU_CYCLE_1) | instskip(NEXT) | instid1(SALU_CYCLE_1)
	s_mul_hi_u32 s14, s7, s55
	s_mul_i32 s14, s14, s31
	s_delay_alu instid0(SALU_CYCLE_1) | instskip(NEXT) | instid1(SALU_CYCLE_1)
	s_sub_i32 s14, s7, s14
	s_sub_i32 s18, s14, s31
	s_cmp_ge_u32 s14, s31
	s_cselect_b32 s14, s18, s14
	s_delay_alu instid0(SALU_CYCLE_1) | instskip(SKIP_2) | instid1(SALU_CYCLE_1)
	s_sub_i32 s18, s14, s31
	s_cmp_ge_u32 s14, s31
	s_cselect_b32 s14, s18, s14
	s_sub_i32 s18, s7, s14
	s_mov_b32 s7, 0
	s_mov_b32 s14, exec_lo
	v_cmpx_gt_u32_e64 s18, v0
	s_cbranch_execz .LBB80_90
; %bb.80:                               ;   in Loop: Header=BB80_12 Depth=1
	v_mov_b32_e32 v1, v0
	s_mov_b32 s20, 0
                                        ; implicit-def: $sgpr21
	s_set_inst_prefetch_distance 0x1
	s_branch .LBB80_82
	.p2align	6
.LBB80_81:                              ;   in Loop: Header=BB80_82 Depth=2
	s_or_b32 exec_lo, exec_lo, s7
	s_waitcnt lgkmcnt(0)
	s_barrier
	buffer_gl0_inv
	ds_load_u16 v2, v21 offset:3072
	v_add_nc_u32_e32 v1, s31, v1
	s_waitcnt lgkmcnt(0)
	s_barrier
	buffer_gl0_inv
	v_cmp_le_u32_e32 vcc_lo, s18, v1
	v_and_b32_e32 v3, 0xff, v2
	s_delay_alu instid0(VALU_DEP_1) | instskip(NEXT) | instid1(VALU_DEP_1)
	v_cmp_ne_u16_e64 s7, 0, v3
	s_or_b32 s22, vcc_lo, s7
	s_delay_alu instid0(SALU_CYCLE_1) | instskip(NEXT) | instid1(SALU_CYCLE_1)
	s_and_b32 s22, exec_lo, s22
	s_or_b32 s20, s22, s20
	s_and_not1_b32 s21, s21, exec_lo
	s_and_b32 s7, s7, exec_lo
	s_delay_alu instid0(SALU_CYCLE_1)
	s_or_b32 s21, s21, s7
	s_and_not1_b32 exec_lo, exec_lo, s20
	s_cbranch_execz .LBB80_89
.LBB80_82:                              ;   Parent Loop BB80_12 Depth=1
                                        ; =>  This Inner Loop Header: Depth=2
	s_delay_alu instid0(VALU_DEP_1)
	v_cmp_gt_u32_e32 vcc_lo, s9, v1
	v_mov_b32_e32 v2, 0
	s_and_saveexec_b32 s7, vcc_lo
	s_cbranch_execz .LBB80_84
; %bb.83:                               ;   in Loop: Header=BB80_82 Depth=2
	ds_load_u8 v2, v1
.LBB80_84:                              ;   in Loop: Header=BB80_82 Depth=2
	s_or_b32 exec_lo, exec_lo, s7
	s_and_saveexec_b32 s7, vcc_lo
	s_cbranch_execz .LBB80_81
; %bb.85:                               ;   in Loop: Header=BB80_82 Depth=2
	s_waitcnt lgkmcnt(0)
	v_bfe_i32 v3, v2, 0, 8
	s_delay_alu instid0(VALU_DEP_1) | instskip(NEXT) | instid1(VALU_DEP_1)
	v_add_nc_u32_e32 v3, 0x80, v3
	v_and_b32_e32 v3, s67, v3
	s_delay_alu instid0(VALU_DEP_1)
	v_cmp_eq_u32_e32 vcc_lo, s66, v3
	s_and_b32 exec_lo, exec_lo, vcc_lo
	s_cbranch_execz .LBB80_81
; %bb.86:                               ;   in Loop: Header=BB80_82 Depth=2
	v_lshlrev_b16 v2, 8, v2
	s_delay_alu instid0(VALU_DEP_1)
	v_or_b32_e32 v2, 1, v2
	ds_store_b16 v21, v2 offset:3072
	s_branch .LBB80_81
.LBB80_87:                              ;   in Loop: Header=BB80_12 Depth=1
	s_mov_b32 s7, -1
                                        ; implicit-def: $sgpr9
                                        ; implicit-def: $sgpr18
                                        ; implicit-def: $sgpr14
	s_branch .LBB80_101
.LBB80_88:                              ;   in Loop: Header=BB80_12 Depth=1
	s_mov_b32 s9, -1
	s_mov_b32 s7, 0
                                        ; implicit-def: $sgpr14
                                        ; implicit-def: $vgpr22
	s_mov_b32 s18, s9
	s_cbranch_execnz .LBB80_91
	s_branch .LBB80_101
.LBB80_89:                              ;   in Loop: Header=BB80_12 Depth=1
	s_set_inst_prefetch_distance 0x2
	s_or_b32 exec_lo, exec_lo, s20
	v_lshrrev_b16 v22, 8, v2
	s_and_b32 s7, s21, exec_lo
.LBB80_90:                              ;   in Loop: Header=BB80_12 Depth=1
	s_or_b32 exec_lo, exec_lo, s14
	s_mov_b32 s14, -1
	s_mov_b32 s9, 0
	s_delay_alu instid0(SALU_CYCLE_1)
	s_mov_b32 s18, s9
	s_branch .LBB80_101
.LBB80_91:                              ;   in Loop: Header=BB80_12 Depth=1
	s_mov_b32 s7, 0
                                        ; implicit-def: $vgpr22
	s_and_saveexec_b32 s9, s6
	s_cbranch_execz .LBB80_100
; %bb.92:                               ;   in Loop: Header=BB80_12 Depth=1
	v_dual_mov_b32 v1, v10 :: v_dual_mov_b32 v2, v0
	s_mov_b32 s14, 0
                                        ; implicit-def: $sgpr18
	s_set_inst_prefetch_distance 0x1
	s_branch .LBB80_94
	.p2align	6
.LBB80_93:                              ;   in Loop: Header=BB80_94 Depth=2
	s_or_b32 exec_lo, exec_lo, s7
	s_waitcnt vmcnt(0) lgkmcnt(0)
	s_barrier
	buffer_gl0_inv
	ds_load_u16 v3, v21 offset:3072
	v_add_nc_u32_e32 v2, s31, v2
	v_add_nc_u32_e32 v1, s45, v1
	s_waitcnt lgkmcnt(0)
	s_barrier
	buffer_gl0_inv
	v_cmp_le_u32_e32 vcc_lo, s57, v2
	v_and_b32_e32 v4, 0xff, v3
	s_delay_alu instid0(VALU_DEP_1) | instskip(NEXT) | instid1(VALU_DEP_1)
	v_cmp_ne_u16_e64 s7, 0, v4
	s_or_b32 s20, vcc_lo, s7
	s_delay_alu instid0(SALU_CYCLE_1) | instskip(NEXT) | instid1(SALU_CYCLE_1)
	s_and_b32 s20, exec_lo, s20
	s_or_b32 s14, s20, s14
	s_and_not1_b32 s18, s18, exec_lo
	s_and_b32 s7, s7, exec_lo
	s_delay_alu instid0(SALU_CYCLE_1)
	s_or_b32 s18, s18, s7
	s_and_not1_b32 exec_lo, exec_lo, s14
	s_cbranch_execz .LBB80_99
.LBB80_94:                              ;   Parent Loop BB80_12 Depth=1
                                        ; =>  This Inner Loop Header: Depth=2
	s_delay_alu instid0(VALU_DEP_1)
	v_cmp_gt_u32_e32 vcc_lo, s28, v2
	v_mov_b32_e32 v3, 0
	s_and_saveexec_b32 s7, vcc_lo
	s_cbranch_execz .LBB80_96
; %bb.95:                               ;   in Loop: Header=BB80_94 Depth=2
	global_load_u8 v3, v1, s[36:37]
.LBB80_96:                              ;   in Loop: Header=BB80_94 Depth=2
	s_or_b32 exec_lo, exec_lo, s7
	s_and_saveexec_b32 s7, vcc_lo
	s_cbranch_execz .LBB80_93
; %bb.97:                               ;   in Loop: Header=BB80_94 Depth=2
	s_waitcnt vmcnt(0)
	v_bfe_i32 v4, v3, 0, 8
	s_delay_alu instid0(VALU_DEP_1) | instskip(NEXT) | instid1(VALU_DEP_1)
	v_add_nc_u32_e32 v4, 0x80, v4
	v_and_b32_e32 v4, s67, v4
	s_delay_alu instid0(VALU_DEP_1)
	v_cmp_eq_u32_e32 vcc_lo, s66, v4
	s_and_b32 exec_lo, exec_lo, vcc_lo
	s_cbranch_execz .LBB80_93
; %bb.98:                               ;   in Loop: Header=BB80_94 Depth=2
	v_lshlrev_b16 v3, 8, v3
	s_delay_alu instid0(VALU_DEP_1)
	v_or_b32_e32 v3, 1, v3
	ds_store_b16 v21, v3 offset:3072
	s_branch .LBB80_93
.LBB80_99:                              ;   in Loop: Header=BB80_12 Depth=1
	s_set_inst_prefetch_distance 0x2
	s_or_b32 exec_lo, exec_lo, s14
	v_lshrrev_b16 v22, 8, v3
	s_and_b32 s7, s18, exec_lo
.LBB80_100:                             ;   in Loop: Header=BB80_12 Depth=1
	s_or_b32 exec_lo, exec_lo, s9
	s_mov_b32 s18, -1
	s_mov_b32 s9, 0
	s_mov_b32 s14, 0
.LBB80_101:                             ;   in Loop: Header=BB80_12 Depth=1
	s_and_not1_b32 s20, s62, exec_lo
	s_and_b32 s9, s9, exec_lo
	s_and_b32 s18, s18, exec_lo
	s_or_b32 s62, s20, s9
	s_and_not1_b32 s9, s65, exec_lo
	s_and_not1_b32 s20, s63, exec_lo
	s_and_b32 s14, s14, exec_lo
	s_or_b32 s65, s9, s18
	s_or_b32 s63, s20, s14
	s_and_saveexec_b32 s9, s7
	s_cbranch_execz .LBB80_11
; %bb.102:                              ;   in Loop: Header=BB80_12 Depth=1
	s_xor_b32 s7, s13, -1
	s_mov_b32 s12, 0
	s_and_not1_b32 vcc_lo, exec_lo, s7
	s_mov_b32 s20, 1
	s_cbranch_vccnz .LBB80_113
; %bb.103:                              ;   in Loop: Header=BB80_12 Depth=1
	s_cmp_gt_u32 s68, s11
	s_mov_b32 s12, -1
                                        ; implicit-def: $sgpr7
                                        ; implicit-def: $sgpr13
                                        ; implicit-def: $sgpr14
	s_cbranch_scc1 .LBB80_109
; %bb.104:                              ;   in Loop: Header=BB80_12 Depth=1
	ds_load_b32 v1, v21 offset:4104
	s_waitcnt lgkmcnt(0)
	v_cmp_ne_u32_e32 vcc_lo, 0, v1
	s_cbranch_vccnz .LBB80_108
; %bb.105:                              ;   in Loop: Header=BB80_12 Depth=1
	s_and_saveexec_b32 s7, s2
	s_cbranch_execz .LBB80_107
; %bb.106:                              ;   in Loop: Header=BB80_12 Depth=1
	v_mov_b32_e32 v1, s11
	ds_store_b32 v21, v1 offset:4108
.LBB80_107:                             ;   in Loop: Header=BB80_12 Depth=1
	s_or_b32 exec_lo, exec_lo, s7
	s_waitcnt lgkmcnt(0)
	s_barrier
	buffer_gl0_inv
.LBB80_108:                             ;   in Loop: Header=BB80_12 Depth=1
	s_and_b32 s13, s66, s17
	s_or_b32 s14, s67, s10
	s_mov_b32 s12, 0
	s_mov_b32 s7, 8
.LBB80_109:                             ;   in Loop: Header=BB80_12 Depth=1
	s_and_not1_b32 vcc_lo, exec_lo, s12
	s_cbranch_vccnz .LBB80_111
; %bb.110:                              ;   in Loop: Header=BB80_12 Depth=1
	s_sub_i32 s68, s68, s11
	s_mov_b32 s12, -1
	s_mov_b32 s7, 0
	s_mov_b32 s13, s66
	;; [unrolled: 1-line block ×3, first 2 shown]
.LBB80_111:                             ;   in Loop: Header=BB80_12 Depth=1
	s_delay_alu instid0(SALU_CYCLE_1)
	s_mov_b32 s67, s14
	s_mov_b32 s66, s13
	;; [unrolled: 1-line block ×3, first 2 shown]
	s_and_b32 vcc_lo, exec_lo, s12
	s_mov_b32 s11, -1
	s_cbranch_vccnz .LBB80_114
.LBB80_112:                             ;   in Loop: Header=BB80_12 Depth=1
	s_mov_b32 s23, -1
                                        ; implicit-def: $sgpr12
                                        ; implicit-def: $sgpr14
                                        ; implicit-def: $sgpr13
                                        ; implicit-def: $sgpr68
	s_delay_alu instid0(SALU_CYCLE_1) | instskip(NEXT) | instid1(SALU_CYCLE_1)
	s_and_saveexec_b32 s8, s23
	s_xor_b32 s8, exec_lo, s8
	s_cbranch_execz .LBB80_10
	s_branch .LBB80_240
.LBB80_113:                             ;   in Loop: Header=BB80_12 Depth=1
	s_mov_b32 s7, 1
	s_and_b32 vcc_lo, exec_lo, s12
	s_mov_b32 s11, -1
	s_cbranch_vccz .LBB80_112
.LBB80_114:                             ;   in Loop: Header=BB80_12 Depth=1
	s_cmp_eq_u32 s19, 1
	s_mov_b32 s22, -1
	s_cselect_b32 s7, -1, 0
	s_cmp_eq_u32 s20, 1
	s_cselect_b32 s12, -1, 0
	s_delay_alu instid0(SALU_CYCLE_1) | instskip(NEXT) | instid1(SALU_CYCLE_1)
	s_and_b32 s21, s7, s12
	s_and_b32 vcc_lo, exec_lo, s21
	s_cbranch_vccz .LBB80_126
; %bb.115:                              ;   in Loop: Header=BB80_12 Depth=1
	ds_load_b32 v1, v21 offset:4104
	s_waitcnt lgkmcnt(0)
	s_barrier
	buffer_gl0_inv
	v_readfirstlane_b32 s12, v1
	s_and_saveexec_b32 s7, s1
	s_cbranch_execz .LBB80_117
; %bb.116:                              ;   in Loop: Header=BB80_12 Depth=1
	ds_store_b8 v0, v21 offset:3072
.LBB80_117:                             ;   in Loop: Header=BB80_12 Depth=1
	s_or_b32 exec_lo, exec_lo, s7
	s_lshl_b32 s7, 1, s16
	s_and_b32 s13, s66, s17
	s_or_b32 s67, s67, s10
	s_or_b32 s66, s13, s7
	s_cmp_eq_u32 s12, 0
	s_waitcnt lgkmcnt(0)
	s_barrier
	buffer_gl0_inv
	s_cbranch_scc1 .LBB80_130
; %bb.118:                              ;   in Loop: Header=BB80_12 Depth=1
	s_add_i32 s7, s12, s46
	s_mov_b32 s22, 0
	s_mul_hi_u32 s13, s7, s55
                                        ; implicit-def: $vgpr22
	s_delay_alu instid0(SALU_CYCLE_1) | instskip(NEXT) | instid1(SALU_CYCLE_1)
	s_mul_i32 s13, s13, s31
	s_sub_i32 s13, s7, s13
	s_delay_alu instid0(SALU_CYCLE_1) | instskip(SKIP_2) | instid1(SALU_CYCLE_1)
	s_sub_i32 s14, s13, s31
	s_cmp_ge_u32 s13, s31
	s_cselect_b32 s13, s14, s13
	s_sub_i32 s14, s13, s31
	s_cmp_ge_u32 s13, s31
	s_cselect_b32 s13, s14, s13
	s_delay_alu instid0(SALU_CYCLE_1)
	s_sub_i32 s14, s7, s13
	s_mov_b32 s13, exec_lo
	v_cmpx_gt_u32_e64 s14, v0
	s_cbranch_execz .LBB80_132
; %bb.119:                              ;   in Loop: Header=BB80_12 Depth=1
	v_mov_b32_e32 v1, v0
	s_mov_b32 s18, 0
                                        ; implicit-def: $sgpr22
	s_set_inst_prefetch_distance 0x1
	s_branch .LBB80_121
	.p2align	6
.LBB80_120:                             ;   in Loop: Header=BB80_121 Depth=2
	s_or_b32 exec_lo, exec_lo, s7
	s_waitcnt lgkmcnt(0)
	s_barrier
	buffer_gl0_inv
	ds_load_u16 v2, v21 offset:3072
	v_add_nc_u32_e32 v1, s31, v1
	s_waitcnt lgkmcnt(0)
	s_barrier
	buffer_gl0_inv
	v_cmp_le_u32_e32 vcc_lo, s14, v1
	v_and_b32_e32 v3, 0xff, v2
	s_delay_alu instid0(VALU_DEP_1) | instskip(NEXT) | instid1(VALU_DEP_1)
	v_cmp_ne_u16_e64 s7, 0, v3
	s_or_b32 s23, vcc_lo, s7
	s_delay_alu instid0(SALU_CYCLE_1) | instskip(NEXT) | instid1(SALU_CYCLE_1)
	s_and_b32 s23, exec_lo, s23
	s_or_b32 s18, s23, s18
	s_and_not1_b32 s22, s22, exec_lo
	s_and_b32 s7, s7, exec_lo
	s_delay_alu instid0(SALU_CYCLE_1)
	s_or_b32 s22, s22, s7
	s_and_not1_b32 exec_lo, exec_lo, s18
	s_cbranch_execz .LBB80_131
.LBB80_121:                             ;   Parent Loop BB80_12 Depth=1
                                        ; =>  This Inner Loop Header: Depth=2
	s_delay_alu instid0(VALU_DEP_1)
	v_cmp_gt_u32_e32 vcc_lo, s12, v1
	v_mov_b32_e32 v2, 0
	s_and_saveexec_b32 s7, vcc_lo
	s_cbranch_execz .LBB80_123
; %bb.122:                              ;   in Loop: Header=BB80_121 Depth=2
	ds_load_u8 v2, v1
.LBB80_123:                             ;   in Loop: Header=BB80_121 Depth=2
	s_or_b32 exec_lo, exec_lo, s7
	s_and_saveexec_b32 s7, vcc_lo
	s_cbranch_execz .LBB80_120
; %bb.124:                              ;   in Loop: Header=BB80_121 Depth=2
	s_waitcnt lgkmcnt(0)
	v_bfe_i32 v3, v2, 0, 8
	s_delay_alu instid0(VALU_DEP_1) | instskip(NEXT) | instid1(VALU_DEP_1)
	v_add_nc_u32_e32 v3, 0x80, v3
	v_and_b32_e32 v3, s67, v3
	s_delay_alu instid0(VALU_DEP_1)
	v_cmp_eq_u32_e32 vcc_lo, s66, v3
	s_and_b32 exec_lo, exec_lo, vcc_lo
	s_cbranch_execz .LBB80_120
; %bb.125:                              ;   in Loop: Header=BB80_121 Depth=2
	v_lshlrev_b16 v2, 8, v2
	s_delay_alu instid0(VALU_DEP_1)
	v_or_b32_e32 v2, 1, v2
	ds_store_b16 v21, v2 offset:3072
	s_branch .LBB80_120
.LBB80_126:                             ;   in Loop: Header=BB80_12 Depth=1
                                        ; implicit-def: $sgpr13
                                        ; implicit-def: $sgpr14
                                        ; implicit-def: $sgpr12
	s_branch .LBB80_143
.LBB80_127:                             ;   in Loop: Header=BB80_12 Depth=1
	s_or_b32 exec_lo, exec_lo, s9
	s_waitcnt lgkmcnt(0)
	s_barrier
	buffer_gl0_inv
	s_and_saveexec_b32 s7, s2
	s_cbranch_execz .LBB80_129
; %bb.128:                              ;   in Loop: Header=BB80_12 Depth=1
	ds_load_b32 v1, v21 offset:4112
	s_waitcnt lgkmcnt(0)
	ds_store_b32 v21, v1 offset:4104
.LBB80_129:                             ;   in Loop: Header=BB80_12 Depth=1
	s_or_b32 exec_lo, exec_lo, s7
	s_waitcnt lgkmcnt(0)
	s_mov_b32 s7, -1
	s_barrier
	s_and_b32 vcc_lo, exec_lo, s69
	s_cbranch_vccnz .LBB80_27
	s_branch .LBB80_37
.LBB80_130:                             ;   in Loop: Header=BB80_12 Depth=1
	s_mov_b32 s13, -1
	s_mov_b32 s22, 0
                                        ; implicit-def: $sgpr12
                                        ; implicit-def: $vgpr22
	s_mov_b32 s14, s13
	s_cbranch_execnz .LBB80_133
	s_branch .LBB80_143
.LBB80_131:                             ;   in Loop: Header=BB80_12 Depth=1
	s_set_inst_prefetch_distance 0x2
	s_or_b32 exec_lo, exec_lo, s18
	v_lshrrev_b16 v22, 8, v2
	s_and_b32 s22, s22, exec_lo
.LBB80_132:                             ;   in Loop: Header=BB80_12 Depth=1
	s_or_b32 exec_lo, exec_lo, s13
	s_mov_b32 s12, -1
	s_mov_b32 s13, 0
	s_delay_alu instid0(SALU_CYCLE_1)
	s_mov_b32 s14, s13
	s_branch .LBB80_143
.LBB80_133:                             ;   in Loop: Header=BB80_12 Depth=1
	s_mov_b32 s22, 0
                                        ; implicit-def: $vgpr22
	s_and_saveexec_b32 s12, s6
	s_cbranch_execz .LBB80_142
; %bb.134:                              ;   in Loop: Header=BB80_12 Depth=1
	v_dual_mov_b32 v1, v10 :: v_dual_mov_b32 v2, v0
	s_mov_b32 s13, 0
                                        ; implicit-def: $sgpr14
	s_set_inst_prefetch_distance 0x1
	s_branch .LBB80_136
	.p2align	6
.LBB80_135:                             ;   in Loop: Header=BB80_136 Depth=2
	s_or_b32 exec_lo, exec_lo, s7
	s_waitcnt vmcnt(0) lgkmcnt(0)
	s_barrier
	buffer_gl0_inv
	ds_load_u16 v3, v21 offset:3072
	v_add_nc_u32_e32 v2, s31, v2
	v_add_nc_u32_e32 v1, s45, v1
	s_waitcnt lgkmcnt(0)
	s_barrier
	buffer_gl0_inv
	v_cmp_le_u32_e32 vcc_lo, s57, v2
	v_and_b32_e32 v4, 0xff, v3
	s_delay_alu instid0(VALU_DEP_1) | instskip(NEXT) | instid1(VALU_DEP_1)
	v_cmp_ne_u16_e64 s7, 0, v4
	s_or_b32 s18, vcc_lo, s7
	s_delay_alu instid0(SALU_CYCLE_1) | instskip(NEXT) | instid1(SALU_CYCLE_1)
	s_and_b32 s18, exec_lo, s18
	s_or_b32 s13, s18, s13
	s_and_not1_b32 s14, s14, exec_lo
	s_and_b32 s7, s7, exec_lo
	s_delay_alu instid0(SALU_CYCLE_1)
	s_or_b32 s14, s14, s7
	s_and_not1_b32 exec_lo, exec_lo, s13
	s_cbranch_execz .LBB80_141
.LBB80_136:                             ;   Parent Loop BB80_12 Depth=1
                                        ; =>  This Inner Loop Header: Depth=2
	s_delay_alu instid0(VALU_DEP_1)
	v_cmp_gt_u32_e32 vcc_lo, s28, v2
	v_mov_b32_e32 v3, 0
	s_and_saveexec_b32 s7, vcc_lo
	s_cbranch_execz .LBB80_138
; %bb.137:                              ;   in Loop: Header=BB80_136 Depth=2
	global_load_u8 v3, v1, s[36:37]
.LBB80_138:                             ;   in Loop: Header=BB80_136 Depth=2
	s_or_b32 exec_lo, exec_lo, s7
	s_and_saveexec_b32 s7, vcc_lo
	s_cbranch_execz .LBB80_135
; %bb.139:                              ;   in Loop: Header=BB80_136 Depth=2
	s_waitcnt vmcnt(0)
	v_bfe_i32 v4, v3, 0, 8
	s_delay_alu instid0(VALU_DEP_1) | instskip(NEXT) | instid1(VALU_DEP_1)
	v_add_nc_u32_e32 v4, 0x80, v4
	v_and_b32_e32 v4, s67, v4
	s_delay_alu instid0(VALU_DEP_1)
	v_cmp_eq_u32_e32 vcc_lo, s66, v4
	s_and_b32 exec_lo, exec_lo, vcc_lo
	s_cbranch_execz .LBB80_135
; %bb.140:                              ;   in Loop: Header=BB80_136 Depth=2
	v_lshlrev_b16 v3, 8, v3
	s_delay_alu instid0(VALU_DEP_1)
	v_or_b32_e32 v3, 1, v3
	ds_store_b16 v21, v3 offset:3072
	s_branch .LBB80_135
.LBB80_141:                             ;   in Loop: Header=BB80_12 Depth=1
	s_set_inst_prefetch_distance 0x2
	s_or_b32 exec_lo, exec_lo, s13
	v_lshrrev_b16 v22, 8, v3
	s_and_b32 s22, s14, exec_lo
.LBB80_142:                             ;   in Loop: Header=BB80_12 Depth=1
	s_or_b32 exec_lo, exec_lo, s12
	s_mov_b32 s14, -1
	s_mov_b32 s13, 0
	s_mov_b32 s12, 0
.LBB80_143:                             ;   in Loop: Header=BB80_12 Depth=1
	s_mov_b32 s23, 0
                                        ; implicit-def: $sgpr7
	s_and_saveexec_b32 s18, s22
	s_cbranch_execz .LBB80_239
; %bb.144:                              ;   in Loop: Header=BB80_12 Depth=1
	s_xor_b32 s7, s21, -1
	s_mov_b32 s21, 0
	s_and_not1_b32 vcc_lo, exec_lo, s7
	s_mov_b32 s24, 1
	s_cbranch_vccnz .LBB80_155
; %bb.145:                              ;   in Loop: Header=BB80_12 Depth=1
	s_cmp_gt_u32 s20, s19
	s_mov_b32 s21, -1
                                        ; implicit-def: $sgpr7
                                        ; implicit-def: $sgpr22
                                        ; implicit-def: $sgpr23
	s_cbranch_scc1 .LBB80_151
; %bb.146:                              ;   in Loop: Header=BB80_12 Depth=1
	ds_load_b32 v1, v21 offset:4104
	s_waitcnt lgkmcnt(0)
	v_cmp_ne_u32_e32 vcc_lo, 0, v1
	s_cbranch_vccnz .LBB80_150
; %bb.147:                              ;   in Loop: Header=BB80_12 Depth=1
	s_and_saveexec_b32 s7, s2
	s_cbranch_execz .LBB80_149
; %bb.148:                              ;   in Loop: Header=BB80_12 Depth=1
	v_mov_b32_e32 v1, s19
	ds_store_b32 v21, v1 offset:4108
.LBB80_149:                             ;   in Loop: Header=BB80_12 Depth=1
	s_or_b32 exec_lo, exec_lo, s7
	s_waitcnt lgkmcnt(0)
	s_barrier
	buffer_gl0_inv
.LBB80_150:                             ;   in Loop: Header=BB80_12 Depth=1
	s_lshl_b32 s7, 1, s16
	s_and_b32 s21, s66, s17
	s_or_b32 s23, s67, s10
	s_or_b32 s22, s21, s7
	s_mov_b32 s21, 0
	s_mov_b32 s7, 8
.LBB80_151:                             ;   in Loop: Header=BB80_12 Depth=1
	s_and_not1_b32 vcc_lo, exec_lo, s21
	s_cbranch_vccnz .LBB80_153
; %bb.152:                              ;   in Loop: Header=BB80_12 Depth=1
	s_sub_i32 s20, s20, s19
	s_mov_b32 s21, -1
	s_mov_b32 s7, 0
	s_mov_b32 s22, s66
	;; [unrolled: 1-line block ×3, first 2 shown]
.LBB80_153:                             ;   in Loop: Header=BB80_12 Depth=1
	s_delay_alu instid0(SALU_CYCLE_1)
	s_mov_b32 s67, s23
	s_mov_b32 s66, s22
	;; [unrolled: 1-line block ×3, first 2 shown]
	s_and_not1_b32 vcc_lo, exec_lo, s21
	s_mov_b32 s26, -1
	s_cbranch_vccz .LBB80_156
.LBB80_154:                             ;   in Loop: Header=BB80_12 Depth=1
                                        ; implicit-def: $sgpr20
                                        ; implicit-def: $sgpr21
                                        ; implicit-def: $sgpr19
	s_branch .LBB80_238
.LBB80_155:                             ;   in Loop: Header=BB80_12 Depth=1
	s_mov_b32 s7, 1
	s_and_not1_b32 vcc_lo, exec_lo, s21
	s_mov_b32 s26, -1
	s_cbranch_vccnz .LBB80_154
.LBB80_156:                             ;   in Loop: Header=BB80_12 Depth=1
	s_cmp_eq_u32 s15, 1
	s_mov_b32 s25, -1
	s_cselect_b32 s7, -1, 0
	s_cmp_eq_u32 s24, 1
	s_cselect_b32 s19, -1, 0
	s_delay_alu instid0(SALU_CYCLE_1) | instskip(NEXT) | instid1(SALU_CYCLE_1)
	s_and_b32 s23, s7, s19
	s_and_b32 vcc_lo, exec_lo, s23
	s_cbranch_vccz .LBB80_168
; %bb.157:                              ;   in Loop: Header=BB80_12 Depth=1
	ds_load_b32 v1, v21 offset:4104
	s_waitcnt lgkmcnt(0)
	s_barrier
	buffer_gl0_inv
	v_readfirstlane_b32 s19, v1
	s_and_saveexec_b32 s7, s1
	s_cbranch_execz .LBB80_159
; %bb.158:                              ;   in Loop: Header=BB80_12 Depth=1
	ds_store_b8 v0, v21 offset:3072
.LBB80_159:                             ;   in Loop: Header=BB80_12 Depth=1
	s_or_b32 exec_lo, exec_lo, s7
	s_lshl_b32 s7, 2, s16
	s_and_b32 s20, s66, s17
	s_or_b32 s67, s67, s10
	s_or_b32 s66, s20, s7
	s_cmp_eq_u32 s19, 0
	s_waitcnt lgkmcnt(0)
	s_barrier
	buffer_gl0_inv
	s_cbranch_scc1 .LBB80_169
; %bb.160:                              ;   in Loop: Header=BB80_12 Depth=1
	s_add_i32 s7, s19, s46
	s_mov_b32 s25, 0
	s_mul_hi_u32 s20, s7, s55
                                        ; implicit-def: $vgpr22
	s_delay_alu instid0(SALU_CYCLE_1) | instskip(NEXT) | instid1(SALU_CYCLE_1)
	s_mul_i32 s20, s20, s31
	s_sub_i32 s20, s7, s20
	s_delay_alu instid0(SALU_CYCLE_1) | instskip(SKIP_2) | instid1(SALU_CYCLE_1)
	s_sub_i32 s21, s20, s31
	s_cmp_ge_u32 s20, s31
	s_cselect_b32 s20, s21, s20
	s_sub_i32 s21, s20, s31
	s_cmp_ge_u32 s20, s31
	s_cselect_b32 s20, s21, s20
	s_delay_alu instid0(SALU_CYCLE_1)
	s_sub_i32 s21, s7, s20
	s_mov_b32 s20, exec_lo
	v_cmpx_gt_u32_e64 s21, v0
	s_cbranch_execz .LBB80_171
; %bb.161:                              ;   in Loop: Header=BB80_12 Depth=1
	v_mov_b32_e32 v1, v0
	s_mov_b32 s22, 0
                                        ; implicit-def: $sgpr25
	s_set_inst_prefetch_distance 0x1
	s_branch .LBB80_163
	.p2align	6
.LBB80_162:                             ;   in Loop: Header=BB80_163 Depth=2
	s_or_b32 exec_lo, exec_lo, s7
	s_waitcnt lgkmcnt(0)
	s_barrier
	buffer_gl0_inv
	ds_load_u16 v2, v21 offset:3072
	v_add_nc_u32_e32 v1, s31, v1
	s_waitcnt lgkmcnt(0)
	s_barrier
	buffer_gl0_inv
	v_cmp_le_u32_e32 vcc_lo, s21, v1
	v_and_b32_e32 v3, 0xff, v2
	s_delay_alu instid0(VALU_DEP_1) | instskip(NEXT) | instid1(VALU_DEP_1)
	v_cmp_ne_u16_e64 s7, 0, v3
	s_or_b32 s26, vcc_lo, s7
	s_delay_alu instid0(SALU_CYCLE_1) | instskip(NEXT) | instid1(SALU_CYCLE_1)
	s_and_b32 s26, exec_lo, s26
	s_or_b32 s22, s26, s22
	s_and_not1_b32 s25, s25, exec_lo
	s_and_b32 s7, s7, exec_lo
	s_delay_alu instid0(SALU_CYCLE_1)
	s_or_b32 s25, s25, s7
	s_and_not1_b32 exec_lo, exec_lo, s22
	s_cbranch_execz .LBB80_170
.LBB80_163:                             ;   Parent Loop BB80_12 Depth=1
                                        ; =>  This Inner Loop Header: Depth=2
	s_delay_alu instid0(VALU_DEP_1)
	v_cmp_gt_u32_e32 vcc_lo, s19, v1
	v_mov_b32_e32 v2, 0
	s_and_saveexec_b32 s7, vcc_lo
	s_cbranch_execz .LBB80_165
; %bb.164:                              ;   in Loop: Header=BB80_163 Depth=2
	ds_load_u8 v2, v1
.LBB80_165:                             ;   in Loop: Header=BB80_163 Depth=2
	s_or_b32 exec_lo, exec_lo, s7
	s_and_saveexec_b32 s7, vcc_lo
	s_cbranch_execz .LBB80_162
; %bb.166:                              ;   in Loop: Header=BB80_163 Depth=2
	s_waitcnt lgkmcnt(0)
	v_bfe_i32 v3, v2, 0, 8
	s_delay_alu instid0(VALU_DEP_1) | instskip(NEXT) | instid1(VALU_DEP_1)
	v_add_nc_u32_e32 v3, 0x80, v3
	v_and_b32_e32 v3, s67, v3
	s_delay_alu instid0(VALU_DEP_1)
	v_cmp_eq_u32_e32 vcc_lo, s66, v3
	s_and_b32 exec_lo, exec_lo, vcc_lo
	s_cbranch_execz .LBB80_162
; %bb.167:                              ;   in Loop: Header=BB80_163 Depth=2
	v_lshlrev_b16 v2, 8, v2
	s_delay_alu instid0(VALU_DEP_1)
	v_or_b32_e32 v2, 1, v2
	ds_store_b16 v21, v2 offset:3072
	s_branch .LBB80_162
.LBB80_168:                             ;   in Loop: Header=BB80_12 Depth=1
                                        ; implicit-def: $sgpr19
                                        ; implicit-def: $sgpr21
                                        ; implicit-def: $sgpr20
	s_branch .LBB80_182
.LBB80_169:                             ;   in Loop: Header=BB80_12 Depth=1
	s_mov_b32 s19, -1
	s_mov_b32 s25, 0
                                        ; implicit-def: $sgpr20
                                        ; implicit-def: $vgpr22
	s_mov_b32 s21, s19
	s_cbranch_execnz .LBB80_172
	s_branch .LBB80_182
.LBB80_170:                             ;   in Loop: Header=BB80_12 Depth=1
	s_set_inst_prefetch_distance 0x2
	s_or_b32 exec_lo, exec_lo, s22
	v_lshrrev_b16 v22, 8, v2
	s_and_b32 s25, s25, exec_lo
.LBB80_171:                             ;   in Loop: Header=BB80_12 Depth=1
	s_or_b32 exec_lo, exec_lo, s20
	s_mov_b32 s20, -1
	s_mov_b32 s19, 0
	s_delay_alu instid0(SALU_CYCLE_1)
	s_mov_b32 s21, s19
	s_branch .LBB80_182
.LBB80_172:                             ;   in Loop: Header=BB80_12 Depth=1
	s_mov_b32 s25, 0
                                        ; implicit-def: $vgpr22
	s_and_saveexec_b32 s19, s6
	s_cbranch_execz .LBB80_181
; %bb.173:                              ;   in Loop: Header=BB80_12 Depth=1
	v_dual_mov_b32 v1, v10 :: v_dual_mov_b32 v2, v0
	s_mov_b32 s20, 0
                                        ; implicit-def: $sgpr21
	s_set_inst_prefetch_distance 0x1
	s_branch .LBB80_175
	.p2align	6
.LBB80_174:                             ;   in Loop: Header=BB80_175 Depth=2
	s_or_b32 exec_lo, exec_lo, s7
	s_waitcnt vmcnt(0) lgkmcnt(0)
	s_barrier
	buffer_gl0_inv
	ds_load_u16 v3, v21 offset:3072
	v_add_nc_u32_e32 v2, s31, v2
	v_add_nc_u32_e32 v1, s45, v1
	s_waitcnt lgkmcnt(0)
	s_barrier
	buffer_gl0_inv
	v_cmp_le_u32_e32 vcc_lo, s57, v2
	v_and_b32_e32 v4, 0xff, v3
	s_delay_alu instid0(VALU_DEP_1) | instskip(NEXT) | instid1(VALU_DEP_1)
	v_cmp_ne_u16_e64 s7, 0, v4
	s_or_b32 s22, vcc_lo, s7
	s_delay_alu instid0(SALU_CYCLE_1) | instskip(NEXT) | instid1(SALU_CYCLE_1)
	s_and_b32 s22, exec_lo, s22
	s_or_b32 s20, s22, s20
	s_and_not1_b32 s21, s21, exec_lo
	s_and_b32 s7, s7, exec_lo
	s_delay_alu instid0(SALU_CYCLE_1)
	s_or_b32 s21, s21, s7
	s_and_not1_b32 exec_lo, exec_lo, s20
	s_cbranch_execz .LBB80_180
.LBB80_175:                             ;   Parent Loop BB80_12 Depth=1
                                        ; =>  This Inner Loop Header: Depth=2
	s_delay_alu instid0(VALU_DEP_1)
	v_cmp_gt_u32_e32 vcc_lo, s28, v2
	v_mov_b32_e32 v3, 0
	s_and_saveexec_b32 s7, vcc_lo
	s_cbranch_execz .LBB80_177
; %bb.176:                              ;   in Loop: Header=BB80_175 Depth=2
	global_load_u8 v3, v1, s[36:37]
.LBB80_177:                             ;   in Loop: Header=BB80_175 Depth=2
	s_or_b32 exec_lo, exec_lo, s7
	s_and_saveexec_b32 s7, vcc_lo
	s_cbranch_execz .LBB80_174
; %bb.178:                              ;   in Loop: Header=BB80_175 Depth=2
	s_waitcnt vmcnt(0)
	v_bfe_i32 v4, v3, 0, 8
	s_delay_alu instid0(VALU_DEP_1) | instskip(NEXT) | instid1(VALU_DEP_1)
	v_add_nc_u32_e32 v4, 0x80, v4
	v_and_b32_e32 v4, s67, v4
	s_delay_alu instid0(VALU_DEP_1)
	v_cmp_eq_u32_e32 vcc_lo, s66, v4
	s_and_b32 exec_lo, exec_lo, vcc_lo
	s_cbranch_execz .LBB80_174
; %bb.179:                              ;   in Loop: Header=BB80_175 Depth=2
	v_lshlrev_b16 v3, 8, v3
	s_delay_alu instid0(VALU_DEP_1)
	v_or_b32_e32 v3, 1, v3
	ds_store_b16 v21, v3 offset:3072
	s_branch .LBB80_174
.LBB80_180:                             ;   in Loop: Header=BB80_12 Depth=1
	s_set_inst_prefetch_distance 0x2
	s_or_b32 exec_lo, exec_lo, s20
	v_lshrrev_b16 v22, 8, v3
	s_and_b32 s25, s21, exec_lo
.LBB80_181:                             ;   in Loop: Header=BB80_12 Depth=1
	s_or_b32 exec_lo, exec_lo, s19
	s_mov_b32 s21, -1
	s_mov_b32 s19, 0
	s_mov_b32 s20, 0
.LBB80_182:                             ;   in Loop: Header=BB80_12 Depth=1
	s_mov_b32 s26, 0
                                        ; implicit-def: $sgpr7
	s_and_saveexec_b32 s22, s25
	s_cbranch_execz .LBB80_237
; %bb.183:                              ;   in Loop: Header=BB80_12 Depth=1
	s_xor_b32 s7, s23, -1
	s_mov_b32 s25, 0
	s_and_not1_b32 vcc_lo, exec_lo, s7
	s_mov_b32 s23, 1
	s_cbranch_vccnz .LBB80_194
; %bb.184:                              ;   in Loop: Header=BB80_12 Depth=1
	s_cmp_gt_u32 s24, s15
	s_mov_b32 s25, -1
                                        ; implicit-def: $sgpr7
                                        ; implicit-def: $sgpr23
                                        ; implicit-def: $sgpr26
	s_cbranch_scc1 .LBB80_190
; %bb.185:                              ;   in Loop: Header=BB80_12 Depth=1
	ds_load_b32 v1, v21 offset:4104
	s_waitcnt lgkmcnt(0)
	v_cmp_ne_u32_e32 vcc_lo, 0, v1
	s_cbranch_vccnz .LBB80_189
; %bb.186:                              ;   in Loop: Header=BB80_12 Depth=1
	s_and_saveexec_b32 s7, s2
	s_cbranch_execz .LBB80_188
; %bb.187:                              ;   in Loop: Header=BB80_12 Depth=1
	v_mov_b32_e32 v1, s15
	ds_store_b32 v21, v1 offset:4108
.LBB80_188:                             ;   in Loop: Header=BB80_12 Depth=1
	s_or_b32 exec_lo, exec_lo, s7
	s_waitcnt lgkmcnt(0)
	s_barrier
	buffer_gl0_inv
.LBB80_189:                             ;   in Loop: Header=BB80_12 Depth=1
	s_lshl_b32 s7, 2, s16
	s_and_b32 s16, s66, s17
	s_or_b32 s26, s67, s10
	s_or_b32 s23, s16, s7
	s_mov_b32 s25, 0
	s_mov_b32 s7, 8
.LBB80_190:                             ;   in Loop: Header=BB80_12 Depth=1
	s_and_not1_b32 vcc_lo, exec_lo, s25
	s_cbranch_vccnz .LBB80_192
; %bb.191:                              ;   in Loop: Header=BB80_12 Depth=1
	s_sub_i32 s24, s24, s15
	s_mov_b32 s25, -1
	s_mov_b32 s7, 0
	s_mov_b32 s23, s66
	;; [unrolled: 1-line block ×3, first 2 shown]
.LBB80_192:                             ;   in Loop: Header=BB80_12 Depth=1
	s_delay_alu instid0(SALU_CYCLE_1)
	s_mov_b32 s67, s26
	s_mov_b32 s66, s23
	;; [unrolled: 1-line block ×3, first 2 shown]
	s_and_not1_b32 vcc_lo, exec_lo, s25
	s_mov_b32 s68, -1
	s_cbranch_vccz .LBB80_195
.LBB80_193:                             ;   in Loop: Header=BB80_12 Depth=1
                                        ; implicit-def: $sgpr16
                                        ; implicit-def: $sgpr24
                                        ; implicit-def: $sgpr17
	s_branch .LBB80_236
.LBB80_194:                             ;   in Loop: Header=BB80_12 Depth=1
	s_mov_b32 s7, 1
	s_and_not1_b32 vcc_lo, exec_lo, s25
	s_mov_b32 s68, -1
	s_cbranch_vccnz .LBB80_193
.LBB80_195:                             ;   in Loop: Header=BB80_12 Depth=1
	s_cmp_eq_u32 s8, 1
	s_mov_b32 s25, -1
	s_cselect_b32 s7, -1, 0
	s_cmp_eq_u32 s23, 1
	s_cselect_b32 s15, -1, 0
	s_delay_alu instid0(SALU_CYCLE_1) | instskip(NEXT) | instid1(SALU_CYCLE_1)
	s_and_b32 s15, s7, s15
	s_and_b32 vcc_lo, exec_lo, s15
	s_cbranch_vccz .LBB80_207
; %bb.196:                              ;   in Loop: Header=BB80_12 Depth=1
	ds_load_b32 v1, v21 offset:4104
	s_waitcnt lgkmcnt(0)
	s_barrier
	buffer_gl0_inv
	v_readfirstlane_b32 s16, v1
	s_and_saveexec_b32 s7, s1
	s_cbranch_execz .LBB80_198
; %bb.197:                              ;   in Loop: Header=BB80_12 Depth=1
	ds_store_b8 v0, v21 offset:3072
.LBB80_198:                             ;   in Loop: Header=BB80_12 Depth=1
	s_or_b32 exec_lo, exec_lo, s7
	s_or_b32 s66, s66, s10
	s_or_b32 s67, s67, s10
	s_cmp_eq_u32 s16, 0
	s_waitcnt lgkmcnt(0)
	s_barrier
	buffer_gl0_inv
	s_cbranch_scc1 .LBB80_208
; %bb.199:                              ;   in Loop: Header=BB80_12 Depth=1
	s_add_i32 s7, s16, s46
	s_mov_b32 s25, 0
	s_mul_hi_u32 s17, s7, s55
                                        ; implicit-def: $vgpr22
	s_delay_alu instid0(SALU_CYCLE_1) | instskip(NEXT) | instid1(SALU_CYCLE_1)
	s_mul_i32 s17, s17, s31
	s_sub_i32 s17, s7, s17
	s_delay_alu instid0(SALU_CYCLE_1) | instskip(SKIP_2) | instid1(SALU_CYCLE_1)
	s_sub_i32 s24, s17, s31
	s_cmp_ge_u32 s17, s31
	s_cselect_b32 s17, s24, s17
	s_sub_i32 s24, s17, s31
	s_cmp_ge_u32 s17, s31
	s_cselect_b32 s17, s24, s17
	s_delay_alu instid0(SALU_CYCLE_1)
	s_sub_i32 s24, s7, s17
	s_mov_b32 s17, exec_lo
	v_cmpx_gt_u32_e64 s24, v0
	s_cbranch_execz .LBB80_210
; %bb.200:                              ;   in Loop: Header=BB80_12 Depth=1
	v_mov_b32_e32 v1, v0
                                        ; implicit-def: $sgpr26
	s_set_inst_prefetch_distance 0x1
	s_branch .LBB80_202
	.p2align	6
.LBB80_201:                             ;   in Loop: Header=BB80_202 Depth=2
	s_or_b32 exec_lo, exec_lo, s7
	s_waitcnt lgkmcnt(0)
	s_barrier
	buffer_gl0_inv
	ds_load_u16 v2, v21 offset:3072
	v_add_nc_u32_e32 v1, s31, v1
	s_waitcnt lgkmcnt(0)
	s_barrier
	buffer_gl0_inv
	v_cmp_le_u32_e32 vcc_lo, s24, v1
	v_and_b32_e32 v3, 0xff, v2
	s_delay_alu instid0(VALU_DEP_1) | instskip(NEXT) | instid1(VALU_DEP_1)
	v_cmp_ne_u16_e64 s7, 0, v3
	s_or_b32 s68, vcc_lo, s7
	s_delay_alu instid0(SALU_CYCLE_1) | instskip(NEXT) | instid1(SALU_CYCLE_1)
	s_and_b32 s68, exec_lo, s68
	s_or_b32 s25, s68, s25
	s_and_not1_b32 s26, s26, exec_lo
	s_and_b32 s7, s7, exec_lo
	s_delay_alu instid0(SALU_CYCLE_1)
	s_or_b32 s26, s26, s7
	s_and_not1_b32 exec_lo, exec_lo, s25
	s_cbranch_execz .LBB80_209
.LBB80_202:                             ;   Parent Loop BB80_12 Depth=1
                                        ; =>  This Inner Loop Header: Depth=2
	s_delay_alu instid0(VALU_DEP_1)
	v_cmp_gt_u32_e32 vcc_lo, s16, v1
	v_mov_b32_e32 v2, 0
	s_and_saveexec_b32 s7, vcc_lo
	s_cbranch_execz .LBB80_204
; %bb.203:                              ;   in Loop: Header=BB80_202 Depth=2
	ds_load_u8 v2, v1
.LBB80_204:                             ;   in Loop: Header=BB80_202 Depth=2
	s_or_b32 exec_lo, exec_lo, s7
	s_and_saveexec_b32 s7, vcc_lo
	s_cbranch_execz .LBB80_201
; %bb.205:                              ;   in Loop: Header=BB80_202 Depth=2
	s_waitcnt lgkmcnt(0)
	v_bfe_i32 v3, v2, 0, 8
	s_delay_alu instid0(VALU_DEP_1) | instskip(NEXT) | instid1(VALU_DEP_1)
	v_add_nc_u32_e32 v3, 0x80, v3
	v_and_b32_e32 v3, s67, v3
	s_delay_alu instid0(VALU_DEP_1)
	v_cmp_eq_u32_e32 vcc_lo, s66, v3
	s_and_b32 exec_lo, exec_lo, vcc_lo
	s_cbranch_execz .LBB80_201
; %bb.206:                              ;   in Loop: Header=BB80_202 Depth=2
	v_lshlrev_b16 v2, 8, v2
	s_delay_alu instid0(VALU_DEP_1)
	v_or_b32_e32 v2, 1, v2
	ds_store_b16 v21, v2 offset:3072
	s_branch .LBB80_201
.LBB80_207:                             ;   in Loop: Header=BB80_12 Depth=1
                                        ; implicit-def: $sgpr16
                                        ; implicit-def: $sgpr24
                                        ; implicit-def: $sgpr17
	s_branch .LBB80_221
.LBB80_208:                             ;   in Loop: Header=BB80_12 Depth=1
	s_mov_b32 s16, -1
	s_mov_b32 s25, 0
                                        ; implicit-def: $sgpr17
                                        ; implicit-def: $vgpr22
	s_mov_b32 s24, s16
	s_cbranch_execnz .LBB80_211
	s_branch .LBB80_221
.LBB80_209:                             ;   in Loop: Header=BB80_12 Depth=1
	s_set_inst_prefetch_distance 0x2
	s_or_b32 exec_lo, exec_lo, s25
	v_lshrrev_b16 v22, 8, v2
	s_and_b32 s25, s26, exec_lo
.LBB80_210:                             ;   in Loop: Header=BB80_12 Depth=1
	s_or_b32 exec_lo, exec_lo, s17
	s_mov_b32 s17, -1
	s_mov_b32 s16, 0
	s_delay_alu instid0(SALU_CYCLE_1)
	s_mov_b32 s24, s16
	s_branch .LBB80_221
.LBB80_211:                             ;   in Loop: Header=BB80_12 Depth=1
	s_mov_b32 s25, 0
                                        ; implicit-def: $vgpr22
	s_and_saveexec_b32 s16, s6
	s_cbranch_execz .LBB80_220
; %bb.212:                              ;   in Loop: Header=BB80_12 Depth=1
	v_dual_mov_b32 v1, v10 :: v_dual_mov_b32 v2, v0
	s_mov_b32 s17, 0
                                        ; implicit-def: $sgpr24
	s_set_inst_prefetch_distance 0x1
	s_branch .LBB80_214
	.p2align	6
.LBB80_213:                             ;   in Loop: Header=BB80_214 Depth=2
	s_or_b32 exec_lo, exec_lo, s7
	s_waitcnt vmcnt(0) lgkmcnt(0)
	s_barrier
	buffer_gl0_inv
	ds_load_u16 v3, v21 offset:3072
	v_add_nc_u32_e32 v2, s31, v2
	v_add_nc_u32_e32 v1, s45, v1
	s_waitcnt lgkmcnt(0)
	s_barrier
	buffer_gl0_inv
	v_cmp_le_u32_e32 vcc_lo, s57, v2
	v_and_b32_e32 v4, 0xff, v3
	s_delay_alu instid0(VALU_DEP_1) | instskip(NEXT) | instid1(VALU_DEP_1)
	v_cmp_ne_u16_e64 s7, 0, v4
	s_or_b32 s25, vcc_lo, s7
	s_delay_alu instid0(SALU_CYCLE_1) | instskip(NEXT) | instid1(SALU_CYCLE_1)
	s_and_b32 s25, exec_lo, s25
	s_or_b32 s17, s25, s17
	s_and_not1_b32 s24, s24, exec_lo
	s_and_b32 s7, s7, exec_lo
	s_delay_alu instid0(SALU_CYCLE_1)
	s_or_b32 s24, s24, s7
	s_and_not1_b32 exec_lo, exec_lo, s17
	s_cbranch_execz .LBB80_219
.LBB80_214:                             ;   Parent Loop BB80_12 Depth=1
                                        ; =>  This Inner Loop Header: Depth=2
	s_delay_alu instid0(VALU_DEP_1)
	v_cmp_gt_u32_e32 vcc_lo, s28, v2
	v_mov_b32_e32 v3, 0
	s_and_saveexec_b32 s7, vcc_lo
	s_cbranch_execz .LBB80_216
; %bb.215:                              ;   in Loop: Header=BB80_214 Depth=2
	global_load_u8 v3, v1, s[36:37]
.LBB80_216:                             ;   in Loop: Header=BB80_214 Depth=2
	s_or_b32 exec_lo, exec_lo, s7
	s_and_saveexec_b32 s7, vcc_lo
	s_cbranch_execz .LBB80_213
; %bb.217:                              ;   in Loop: Header=BB80_214 Depth=2
	s_waitcnt vmcnt(0)
	v_bfe_i32 v4, v3, 0, 8
	s_delay_alu instid0(VALU_DEP_1) | instskip(NEXT) | instid1(VALU_DEP_1)
	v_add_nc_u32_e32 v4, 0x80, v4
	v_and_b32_e32 v4, s67, v4
	s_delay_alu instid0(VALU_DEP_1)
	v_cmp_eq_u32_e32 vcc_lo, s66, v4
	s_and_b32 exec_lo, exec_lo, vcc_lo
	s_cbranch_execz .LBB80_213
; %bb.218:                              ;   in Loop: Header=BB80_214 Depth=2
	v_lshlrev_b16 v3, 8, v3
	s_delay_alu instid0(VALU_DEP_1)
	v_or_b32_e32 v3, 1, v3
	ds_store_b16 v21, v3 offset:3072
	s_branch .LBB80_213
.LBB80_219:                             ;   in Loop: Header=BB80_12 Depth=1
	s_set_inst_prefetch_distance 0x2
	s_or_b32 exec_lo, exec_lo, s17
	v_lshrrev_b16 v22, 8, v3
	s_and_b32 s25, s24, exec_lo
.LBB80_220:                             ;   in Loop: Header=BB80_12 Depth=1
	s_or_b32 exec_lo, exec_lo, s16
	s_mov_b32 s24, -1
	s_mov_b32 s16, 0
	s_mov_b32 s17, 0
.LBB80_221:                             ;   in Loop: Header=BB80_12 Depth=1
	s_mov_b32 s68, 0
                                        ; implicit-def: $sgpr7
	s_and_saveexec_b32 s26, s25
	s_cbranch_execz .LBB80_235
; %bb.222:                              ;   in Loop: Header=BB80_12 Depth=1
	s_xor_b32 s7, s15, -1
	s_delay_alu instid0(SALU_CYCLE_1)
	s_and_not1_b32 vcc_lo, exec_lo, s7
	s_mov_b32 s7, 1
	s_cbranch_vccnz .LBB80_229
; %bb.223:                              ;   in Loop: Header=BB80_12 Depth=1
	s_cmp_gt_u32 s23, s8
	s_cbranch_scc1 .LBB80_230
; %bb.224:                              ;   in Loop: Header=BB80_12 Depth=1
	ds_load_b32 v1, v21 offset:4104
	s_waitcnt lgkmcnt(0)
	v_cmp_ne_u32_e32 vcc_lo, 0, v1
	s_cbranch_vccnz .LBB80_228
; %bb.225:                              ;   in Loop: Header=BB80_12 Depth=1
	s_and_saveexec_b32 s7, s2
	s_cbranch_execz .LBB80_227
; %bb.226:                              ;   in Loop: Header=BB80_12 Depth=1
	v_mov_b32_e32 v1, s8
	ds_store_b32 v21, v1 offset:4108
.LBB80_227:                             ;   in Loop: Header=BB80_12 Depth=1
	s_or_b32 exec_lo, exec_lo, s7
	s_waitcnt lgkmcnt(0)
	s_barrier
	buffer_gl0_inv
.LBB80_228:                             ;   in Loop: Header=BB80_12 Depth=1
	s_or_b32 s15, s66, s10
	s_or_b32 s10, s67, s10
	s_mov_b32 s25, 0
	s_mov_b32 s7, 8
	s_branch .LBB80_231
.LBB80_229:                             ;   in Loop: Header=BB80_12 Depth=1
	s_mov_b32 s23, 1
	s_branch .LBB80_234
.LBB80_230:                             ;   in Loop: Header=BB80_12 Depth=1
	s_mov_b32 s25, -1
                                        ; implicit-def: $sgpr7
                                        ; implicit-def: $sgpr15
                                        ; implicit-def: $sgpr10
.LBB80_231:                             ;   in Loop: Header=BB80_12 Depth=1
	s_delay_alu instid0(SALU_CYCLE_1)
	s_and_not1_b32 vcc_lo, exec_lo, s25
	s_cbranch_vccnz .LBB80_233
; %bb.232:                              ;   in Loop: Header=BB80_12 Depth=1
	s_sub_i32 s23, s23, s8
	s_mov_b32 s7, 8
	s_mov_b32 s15, s66
	;; [unrolled: 1-line block ×3, first 2 shown]
.LBB80_233:                             ;   in Loop: Header=BB80_12 Depth=1
	s_mov_b32 s66, s15
	s_mov_b32 s67, s10
.LBB80_234:                             ;   in Loop: Header=BB80_12 Depth=1
	s_mov_b32 s68, exec_lo
.LBB80_235:                             ;   in Loop: Header=BB80_12 Depth=1
	s_or_b32 exec_lo, exec_lo, s26
.LBB80_236:                             ;   in Loop: Header=BB80_12 Depth=1
	s_delay_alu instid0(SALU_CYCLE_1)
	s_and_not1_b32 s8, s19, exec_lo
	s_and_b32 s10, s16, exec_lo
	s_and_not1_b32 s15, s20, exec_lo
	s_or_b32 s19, s8, s10
	s_and_not1_b32 s8, s21, exec_lo
	s_and_b32 s10, s24, exec_lo
	s_and_b32 s16, s17, exec_lo
	s_or_b32 s21, s8, s10
	s_or_b32 s20, s15, s16
	s_and_b32 s26, s68, exec_lo
	s_mov_b32 s24, s23
.LBB80_237:                             ;   in Loop: Header=BB80_12 Depth=1
	s_or_b32 exec_lo, exec_lo, s22
.LBB80_238:                             ;   in Loop: Header=BB80_12 Depth=1
	s_delay_alu instid0(SALU_CYCLE_1)
	s_and_not1_b32 s8, s13, exec_lo
	s_and_b32 s10, s19, exec_lo
	s_and_not1_b32 s12, s12, exec_lo
	s_or_b32 s13, s8, s10
	s_and_not1_b32 s8, s14, exec_lo
	s_and_b32 s10, s21, exec_lo
	s_and_b32 s15, s20, exec_lo
	s_or_b32 s14, s8, s10
	s_or_b32 s12, s12, s15
	s_and_b32 s23, s26, exec_lo
	s_mov_b32 s20, s24
.LBB80_239:                             ;   in Loop: Header=BB80_12 Depth=1
	s_or_b32 exec_lo, exec_lo, s18
                                        ; implicit-def: $sgpr68
	s_and_saveexec_b32 s8, s23
	s_delay_alu instid0(SALU_CYCLE_1)
	s_xor_b32 s8, exec_lo, s8
	s_cbranch_execz .LBB80_10
.LBB80_240:                             ;   in Loop: Header=BB80_12 Depth=1
	s_and_b32 s7, s7, -9
	s_delay_alu instid0(SALU_CYCLE_1)
	s_cmp_eq_u32 s7, 0
	s_cbranch_scc1 .LBB80_8
; %bb.241:                              ;   in Loop: Header=BB80_12 Depth=1
	s_mov_b32 s7, -1
	s_mov_b32 s10, -1
                                        ; implicit-def: $sgpr67
                                        ; implicit-def: $sgpr20
                                        ; implicit-def: $sgpr54
                                        ; implicit-def: $sgpr64
	s_branch .LBB80_9
.LBB80_242:
	s_or_b32 exec_lo, exec_lo, s42
	s_xor_b32 s4, s61, -1
	s_xor_b32 s1, s59, -1
	;; [unrolled: 1-line block ×3, first 2 shown]
	s_mov_b32 s2, 0
	s_and_saveexec_b32 s5, s1
	s_delay_alu instid0(SALU_CYCLE_1)
	s_xor_b32 s1, exec_lo, s5
	s_cbranch_execz .LBB80_256
; %bb.243:
	s_and_saveexec_b32 s2, s4
	s_delay_alu instid0(SALU_CYCLE_1)
	s_xor_b32 s2, exec_lo, s2
	s_cbranch_execz .LBB80_254
; %bb.244:
	s_and_saveexec_b32 s4, s3
	s_delay_alu instid0(SALU_CYCLE_1)
	s_xor_b32 s3, exec_lo, s4
; %bb.245:
	v_xor_b32_e32 v22, 0xffffff80, v1
; %bb.246:
	s_or_b32 exec_lo, exec_lo, s3
	s_mul_i32 s3, s33, s27
	s_delay_alu instid0(SALU_CYCLE_1)
	v_mov_b32_e32 v1, s3
	global_store_b8 v1, v22, s[38:39]
	s_and_saveexec_b32 s3, s0
	s_cbranch_execz .LBB80_253
; %bb.247:
	v_and_b32_e32 v2, 0xff, v22
	s_mov_b32 s0, 0
                                        ; implicit-def: $sgpr4
                                        ; implicit-def: $sgpr6
                                        ; implicit-def: $sgpr5
	s_set_inst_prefetch_distance 0x1
	s_branch .LBB80_249
	.p2align	6
.LBB80_248:                             ;   in Loop: Header=BB80_249 Depth=1
	s_or_b32 exec_lo, exec_lo, s7
	s_delay_alu instid0(SALU_CYCLE_1) | instskip(NEXT) | instid1(SALU_CYCLE_1)
	s_and_b32 s7, exec_lo, s6
	s_or_b32 s0, s7, s0
	s_and_not1_b32 s4, s4, exec_lo
	s_and_b32 s7, s5, exec_lo
	s_delay_alu instid0(SALU_CYCLE_1)
	s_or_b32 s4, s4, s7
	s_and_not1_b32 exec_lo, exec_lo, s0
	s_cbranch_execz .LBB80_251
.LBB80_249:                             ; =>This Inner Loop Header: Depth=1
	global_load_u8 v3, v10, s[36:37]
	v_mov_b32_e32 v1, v0
	s_or_b32 s5, s5, exec_lo
	s_or_b32 s6, s6, exec_lo
	s_mov_b32 s7, exec_lo
                                        ; implicit-def: $vgpr0
	s_waitcnt vmcnt(0)
	v_cmpx_ne_u16_e64 v3, v2
	s_cbranch_execz .LBB80_248
; %bb.250:                              ;   in Loop: Header=BB80_249 Depth=1
	v_add_nc_u32_e32 v0, s31, v1
	s_and_not1_b32 s6, s6, exec_lo
	v_add_nc_u32_e32 v10, s45, v10
	s_and_not1_b32 s5, s5, exec_lo
	s_delay_alu instid0(VALU_DEP_2) | instskip(SKIP_1) | instid1(SALU_CYCLE_1)
	v_cmp_le_u32_e32 vcc_lo, s28, v0
	s_and_b32 s8, vcc_lo, exec_lo
	s_or_b32 s6, s6, s8
	s_branch .LBB80_248
.LBB80_251:
	s_set_inst_prefetch_distance 0x2
	s_or_b32 exec_lo, exec_lo, s0
	s_and_saveexec_b32 s0, s4
	s_delay_alu instid0(SALU_CYCLE_1)
	s_xor_b32 s0, exec_lo, s0
	s_cbranch_execz .LBB80_253
; %bb.252:
	s_mul_i32 s4, s29, s27
	s_mov_b32 s5, 0
	v_mov_b32_e32 v2, 0
	s_lshl_b64 s[4:5], s[4:5], 3
	s_delay_alu instid0(SALU_CYCLE_1)
	s_add_u32 s4, s34, s4
	s_addc_u32 s5, s35, s5
	global_store_b64 v2, v[1:2], s[4:5]
.LBB80_253:
	s_or_b32 exec_lo, exec_lo, s3
.LBB80_254:
	s_or_saveexec_b32 s0, s2
	s_mov_b32 s2, 0
	s_xor_b32 exec_lo, exec_lo, s0
	s_cbranch_execnz .LBB80_262
.LBB80_255:
	s_or_b32 exec_lo, exec_lo, s0
	s_delay_alu instid0(SALU_CYCLE_1)
	s_and_b32 s2, s2, exec_lo
.LBB80_256:
	s_and_not1_saveexec_b32 s0, s1
	s_cbranch_execnz .LBB80_260
; %bb.257:
	s_or_b32 exec_lo, exec_lo, s0
	s_and_saveexec_b32 s0, s2
.LBB80_258:
	; divergent unreachable
.LBB80_259:
	s_nop 0
	s_sendmsg sendmsg(MSG_DEALLOC_VGPRS)
	s_endpgm
.LBB80_260:
	s_cbranch_execnz .LBB80_264
; %bb.261:
	s_or_b32 s2, s2, exec_lo
	s_or_b32 exec_lo, exec_lo, s0
	s_and_saveexec_b32 s0, s2
	s_cbranch_execnz .LBB80_258
	s_branch .LBB80_259
.LBB80_262:
	s_cbranch_execnz .LBB80_266
; %bb.263:
	s_mov_b32 s2, exec_lo
	s_branch .LBB80_255
.LBB80_264:
	s_trap 2
	s_sendmsg_rtn_b32 s0, sendmsg(MSG_RTN_GET_DOORBELL)
	s_mov_b32 ttmp2, m0
	s_waitcnt lgkmcnt(0)
	s_and_b32 s0, s0, 0x3ff
	s_delay_alu instid0(SALU_CYCLE_1) | instskip(NEXT) | instid1(SALU_CYCLE_1)
	s_bitset1_b32 s0, 10
	s_mov_b32 m0, s0
	s_sendmsg sendmsg(MSG_INTERRUPT)
	s_mov_b32 m0, ttmp2
.LBB80_265:                             ; =>This Inner Loop Header: Depth=1
	s_sethalt 5
	s_branch .LBB80_265
.LBB80_266:
	s_trap 2
	s_sendmsg_rtn_b32 s0, sendmsg(MSG_RTN_GET_DOORBELL)
	s_mov_b32 ttmp2, m0
	s_waitcnt lgkmcnt(0)
	s_and_b32 s0, s0, 0x3ff
	s_delay_alu instid0(SALU_CYCLE_1) | instskip(NEXT) | instid1(SALU_CYCLE_1)
	s_bitset1_b32 s0, 10
	s_mov_b32 m0, s0
	s_sendmsg sendmsg(MSG_INTERRUPT)
	s_mov_b32 m0, ttmp2
.LBB80_267:                             ; =>This Inner Loop Header: Depth=1
	s_sethalt 5
	s_branch .LBB80_267
	.section	.rodata,"a",@progbits
	.p2align	6, 0x0
	.amdhsa_kernel _ZN2at6native12_GLOBAL__N_112gatherMedianIajLi1EEEvNS_4cuda6detail10TensorInfoIT_T0_EENS5_IlS7_EENS5_IKS6_S7_EES7_S7_S7_b
		.amdhsa_group_segment_fixed_size 4120
		.amdhsa_private_segment_fixed_size 0
		.amdhsa_kernarg_size 920
		.amdhsa_user_sgpr_count 13
		.amdhsa_user_sgpr_dispatch_ptr 0
		.amdhsa_user_sgpr_queue_ptr 0
		.amdhsa_user_sgpr_kernarg_segment_ptr 1
		.amdhsa_user_sgpr_dispatch_id 0
		.amdhsa_user_sgpr_private_segment_size 0
		.amdhsa_wavefront_size32 1
		.amdhsa_uses_dynamic_stack 0
		.amdhsa_enable_private_segment 0
		.amdhsa_system_sgpr_workgroup_id_x 1
		.amdhsa_system_sgpr_workgroup_id_y 1
		.amdhsa_system_sgpr_workgroup_id_z 1
		.amdhsa_system_sgpr_workgroup_info 0
		.amdhsa_system_vgpr_workitem_id 0
		.amdhsa_next_free_vgpr 36
		.amdhsa_next_free_sgpr 78
		.amdhsa_reserve_vcc 1
		.amdhsa_float_round_mode_32 0
		.amdhsa_float_round_mode_16_64 0
		.amdhsa_float_denorm_mode_32 3
		.amdhsa_float_denorm_mode_16_64 3
		.amdhsa_dx10_clamp 1
		.amdhsa_ieee_mode 1
		.amdhsa_fp16_overflow 0
		.amdhsa_workgroup_processor_mode 1
		.amdhsa_memory_ordered 1
		.amdhsa_forward_progress 0
		.amdhsa_shared_vgpr_count 0
		.amdhsa_exception_fp_ieee_invalid_op 0
		.amdhsa_exception_fp_denorm_src 0
		.amdhsa_exception_fp_ieee_div_zero 0
		.amdhsa_exception_fp_ieee_overflow 0
		.amdhsa_exception_fp_ieee_underflow 0
		.amdhsa_exception_fp_ieee_inexact 0
		.amdhsa_exception_int_div_zero 0
	.end_amdhsa_kernel
	.section	.text._ZN2at6native12_GLOBAL__N_112gatherMedianIajLi1EEEvNS_4cuda6detail10TensorInfoIT_T0_EENS5_IlS7_EENS5_IKS6_S7_EES7_S7_S7_b,"axG",@progbits,_ZN2at6native12_GLOBAL__N_112gatherMedianIajLi1EEEvNS_4cuda6detail10TensorInfoIT_T0_EENS5_IlS7_EENS5_IKS6_S7_EES7_S7_S7_b,comdat
.Lfunc_end80:
	.size	_ZN2at6native12_GLOBAL__N_112gatherMedianIajLi1EEEvNS_4cuda6detail10TensorInfoIT_T0_EENS5_IlS7_EENS5_IKS6_S7_EES7_S7_S7_b, .Lfunc_end80-_ZN2at6native12_GLOBAL__N_112gatherMedianIajLi1EEEvNS_4cuda6detail10TensorInfoIT_T0_EENS5_IlS7_EENS5_IKS6_S7_EES7_S7_S7_b
                                        ; -- End function
	.section	.AMDGPU.csdata,"",@progbits
; Kernel info:
; codeLenInByte = 9380
; NumSgprs: 80
; NumVgprs: 36
; ScratchSize: 0
; MemoryBound: 0
; FloatMode: 240
; IeeeMode: 1
; LDSByteSize: 4120 bytes/workgroup (compile time only)
; SGPRBlocks: 9
; VGPRBlocks: 4
; NumSGPRsForWavesPerEU: 80
; NumVGPRsForWavesPerEU: 36
; Occupancy: 16
; WaveLimiterHint : 1
; COMPUTE_PGM_RSRC2:SCRATCH_EN: 0
; COMPUTE_PGM_RSRC2:USER_SGPR: 13
; COMPUTE_PGM_RSRC2:TRAP_HANDLER: 0
; COMPUTE_PGM_RSRC2:TGID_X_EN: 1
; COMPUTE_PGM_RSRC2:TGID_Y_EN: 1
; COMPUTE_PGM_RSRC2:TGID_Z_EN: 1
; COMPUTE_PGM_RSRC2:TIDIG_COMP_CNT: 0
	.section	.text._ZN2at6native12_GLOBAL__N_112gatherMedianIajLi2EEEvNS_4cuda6detail10TensorInfoIT_T0_EENS5_IlS7_EENS5_IKS6_S7_EES7_S7_S7_b,"axG",@progbits,_ZN2at6native12_GLOBAL__N_112gatherMedianIajLi2EEEvNS_4cuda6detail10TensorInfoIT_T0_EENS5_IlS7_EENS5_IKS6_S7_EES7_S7_S7_b,comdat
	.globl	_ZN2at6native12_GLOBAL__N_112gatherMedianIajLi2EEEvNS_4cuda6detail10TensorInfoIT_T0_EENS5_IlS7_EENS5_IKS6_S7_EES7_S7_S7_b ; -- Begin function _ZN2at6native12_GLOBAL__N_112gatherMedianIajLi2EEEvNS_4cuda6detail10TensorInfoIT_T0_EENS5_IlS7_EENS5_IKS6_S7_EES7_S7_S7_b
	.p2align	8
	.type	_ZN2at6native12_GLOBAL__N_112gatherMedianIajLi2EEEvNS_4cuda6detail10TensorInfoIT_T0_EENS5_IlS7_EENS5_IKS6_S7_EES7_S7_S7_b,@function
_ZN2at6native12_GLOBAL__N_112gatherMedianIajLi2EEEvNS_4cuda6detail10TensorInfoIT_T0_EENS5_IlS7_EENS5_IKS6_S7_EES7_S7_S7_b: ; @_ZN2at6native12_GLOBAL__N_112gatherMedianIajLi2EEEvNS_4cuda6detail10TensorInfoIT_T0_EENS5_IlS7_EENS5_IKS6_S7_EES7_S7_S7_b
; %bb.0:
	s_clause 0x1
	s_load_b64 s[6:7], s[0:1], 0x298
	s_load_b128 s[28:31], s[0:1], 0x288
	s_add_u32 s4, s0, 0x298
	s_addc_u32 s5, s1, 0
	s_waitcnt lgkmcnt(0)
	s_mul_i32 s2, s7, s15
	s_delay_alu instid0(SALU_CYCLE_1) | instskip(NEXT) | instid1(SALU_CYCLE_1)
	s_add_i32 s2, s2, s14
	s_mul_i32 s27, s2, s6
	s_delay_alu instid0(SALU_CYCLE_1) | instskip(NEXT) | instid1(SALU_CYCLE_1)
	s_add_i32 s27, s27, s13
	s_cmp_ge_u32 s27, s29
	s_cbranch_scc1 .LBB81_259
; %bb.1:
	s_clause 0x2
	s_load_b32 s33, s[0:1], 0xc
	s_load_b32 s29, s[0:1], 0xe4
	;; [unrolled: 1-line block ×3, first 2 shown]
	v_cmp_eq_u32_e64 s2, 0, v0
	s_waitcnt lgkmcnt(0)
	v_cvt_f32_u32_e32 v1, s33
	v_cvt_f32_u32_e32 v2, s29
	;; [unrolled: 1-line block ×3, first 2 shown]
	s_sub_i32 s11, 0, s3
	s_sub_i32 s9, 0, s33
	v_rcp_iflag_f32_e32 v1, v1
	v_rcp_iflag_f32_e32 v2, v2
	;; [unrolled: 1-line block ×3, first 2 shown]
	s_sub_i32 s10, 0, s29
	s_waitcnt_depctr 0xfff
	v_dual_mul_f32 v1, 0x4f7ffffe, v1 :: v_dual_mul_f32 v2, 0x4f7ffffe, v2
	v_mul_f32_e32 v3, 0x4f7ffffe, v3
	s_delay_alu instid0(VALU_DEP_2) | instskip(NEXT) | instid1(VALU_DEP_3)
	v_cvt_u32_f32_e32 v1, v1
	v_cvt_u32_f32_e32 v2, v2
	s_delay_alu instid0(VALU_DEP_3) | instskip(NEXT) | instid1(VALU_DEP_3)
	v_cvt_u32_f32_e32 v3, v3
	v_readfirstlane_b32 s8, v1
	s_delay_alu instid0(VALU_DEP_3) | instskip(NEXT) | instid1(VALU_DEP_3)
	v_readfirstlane_b32 s7, v2
	v_readfirstlane_b32 s12, v3
	s_delay_alu instid0(VALU_DEP_3) | instskip(NEXT) | instid1(VALU_DEP_2)
	s_mul_i32 s9, s9, s8
	s_mul_i32 s10, s10, s7
	s_delay_alu instid0(VALU_DEP_1)
	s_mul_i32 s11, s11, s12
	s_mul_hi_u32 s9, s8, s9
	s_mul_hi_u32 s11, s12, s11
	;; [unrolled: 1-line block ×3, first 2 shown]
	s_add_i32 s12, s12, s11
	s_and_saveexec_b32 s10, s2
	s_cbranch_execz .LBB81_3
; %bb.2:
	v_mov_b32_e32 v1, 0
	s_delay_alu instid0(VALU_DEP_1)
	v_mov_b32_e32 v2, v1
	ds_store_b64 v1, v[1:2] offset:4096
.LBB81_3:
	s_or_b32 exec_lo, exec_lo, s10
	v_mov_b32_e32 v1, 0
	s_waitcnt lgkmcnt(0)
	s_barrier
	buffer_gl0_inv
	s_barrier
	buffer_gl0_inv
	ds_load_b64 v[1:2], v1 offset:4096
	s_add_i32 s15, s8, s9
	s_clause 0x1
	s_load_b64 s[10:11], s[0:1], 0x21c
	s_load_b64 s[8:9], s[0:1], 0x1b0
	s_add_i32 s14, s7, s14
	s_bitcmp1_b32 s31, 0
	s_mov_b32 s74, s28
	s_cselect_b32 s7, -1, 0
	s_waitcnt lgkmcnt(0)
	v_cmp_gt_i64_e32 vcc_lo, 1, v[1:2]
	s_or_b32 s16, s7, vcc_lo
	s_mul_hi_u32 s7, s27, s12
	s_and_not1_b32 vcc_lo, exec_lo, s16
	s_cbranch_vccnz .LBB81_5
; %bb.4:
	v_not_b32_e32 v1, v1
	v_not_b32_e32 v2, v2
	s_delay_alu instid0(VALU_DEP_2) | instskip(NEXT) | instid1(VALU_DEP_2)
	v_add_co_u32 v1, vcc_lo, v1, s28
	v_add_co_ci_u32_e32 v2, vcc_lo, 0, v2, vcc_lo
	s_delay_alu instid0(VALU_DEP_1) | instskip(NEXT) | instid1(VALU_DEP_1)
	v_lshrrev_b32_e32 v3, 31, v2
	v_add_co_u32 v1, vcc_lo, v1, v3
	v_add_co_ci_u32_e32 v2, vcc_lo, 0, v2, vcc_lo
	s_delay_alu instid0(VALU_DEP_1) | instskip(NEXT) | instid1(VALU_DEP_1)
	v_alignbit_b32 v1, v2, v1, 1
	v_readfirstlane_b32 s12, v1
	s_delay_alu instid0(VALU_DEP_1)
	s_add_i32 s74, s12, 1
.LBB81_5:
	s_clause 0x3
	s_load_b64 s[36:37], s[0:1], 0x144
	s_load_b64 s[34:35], s[0:1], 0xd8
	;; [unrolled: 1-line block ×4, first 2 shown]
	s_mul_hi_u32 s47, s27, s15
	s_mul_hi_u32 s31, s27, s14
	s_and_saveexec_b32 s0, s2
	s_cbranch_execz .LBB81_7
; %bb.6:
	v_dual_mov_b32 v1, 0 :: v_dual_mov_b32 v2, s28
	ds_store_b32 v1, v1 offset:4112
	ds_store_b64 v1, v[1:2] offset:4104
.LBB81_7:
	s_or_b32 exec_lo, exec_lo, s0
	s_mul_i32 s0, s7, s3
	s_waitcnt lgkmcnt(0)
	s_sub_i32 s0, s27, s0
	s_barrier
	buffer_gl0_inv
	s_load_b32 s14, s[4:5], 0xc
	s_add_i32 s1, s7, 1
	s_sub_i32 s12, s0, s3
	s_cmp_ge_u32 s0, s3
	v_mbcnt_lo_u32_b32 v12, -1, 0
	s_cselect_b32 s1, s1, s7
	s_cselect_b32 s0, s12, s0
	s_add_i32 s7, s1, 1
	s_cmp_ge_u32 s0, s3
	v_cmp_gt_u32_e32 vcc_lo, 32, v0
	s_cselect_b32 s0, s7, s1
	v_mul_lo_u32 v11, v0, s30
	s_mul_i32 s1, s0, s3
	s_mul_i32 s0, s0, s10
	s_sub_i32 s1, s27, s1
	v_dual_mov_b32 v22, 0 :: v_dual_lshlrev_b32 v13, 2, v0
	s_mul_i32 s1, s1, s11
	v_lshrrev_b32_e32 v3, 3, v0
	s_add_i32 s0, s0, s1
	s_delay_alu instid0(VALU_DEP_2)
	v_mad_u64_u32 v[9:10], null, s30, v13, s[30:31]
	s_add_u32 s38, s8, s0
	s_addc_u32 s39, s9, 0
	s_waitcnt lgkmcnt(0)
	s_and_b32 s46, s14, 0xffff
	v_cmp_gt_i32_e64 s0, 4, v12
	s_lshl_b32 s48, s46, 2
	s_add_i32 s50, s46, -1
	v_cvt_f32_u32_e32 v1, s48
	s_bfe_u32 s1, s14, 0xb0005
	s_and_b32 s51, vcc_lo, s0
	s_add_i32 s7, s50, s28
	s_cmpk_gt_u32 s28, 0xc00
	v_rcp_iflag_f32_e32 v1, v1
	s_cselect_b32 s52, -1, 0
	s_cmp_gt_u32 s46, 31
	v_cvt_f32_u32_e32 v2, s46
	s_cselect_b32 s53, -1, 0
	s_cmp_lt_u32 s13, s6
	v_add_co_u32 v5, s6, s38, v11
	s_cselect_b32 s0, 12, 18
	v_rcp_iflag_f32_e32 v2, v2
	s_waitcnt_depctr 0xfff
	v_mul_f32_e32 v1, 0x4f7ffffe, v1
	s_add_u32 s44, s4, s0
	s_addc_u32 s45, s5, 0
	s_add_i32 s0, s1, -1
	s_bfe_u32 s54, s46, 0x30005
	v_cvt_u32_f32_e32 v1, v1
	s_cmp_gt_u32 s0, 6
	v_lshlrev_b32_e32 v18, 2, v11
	s_cselect_b32 s55, -1, 0
	s_and_b32 s56, s1, 0x7f8
	v_readfirstlane_b32 s1, v1
	s_cmp_lg_u32 s54, 0
	v_mul_f32_e32 v1, 0x4f7ffffe, v2
	s_cselect_b32 s57, -1, 0
	s_sub_i32 s0, 0, s48
	v_add_co_ci_u32_e64 v6, null, s39, 0, s6
	s_mul_i32 s0, s0, s1
	v_cvt_u32_f32_e32 v1, v1
	s_mul_hi_u32 s3, s1, s0
	v_dual_mov_b32 v21, 0 :: v_dual_and_b32 v14, 0x7c, v3
	s_add_i32 s59, s1, s3
	v_or_b32_e32 v3, 3, v13
	s_mul_hi_u32 s1, s28, s59
	v_cmp_gt_u32_e64 s0, s28, v0
	s_mul_i32 s3, s1, s48
	v_cmp_gt_u32_e64 s1, 2, v0
	s_sub_i32 s3, s28, s3
	v_mul_lo_u32 v17, s30, v3
	s_sub_i32 s4, s3, s48
	s_cmp_ge_u32 s3, s48
	v_lshl_or_b32 v20, v12, 2, 0xc00
	s_cselect_b32 s3, s4, s3
	v_readfirstlane_b32 s4, v1
	s_sub_i32 s5, s3, s48
	s_cmp_ge_u32 s3, s48
	v_lshlrev_b64 v[1:2], v12, -1
	s_cselect_b32 s8, s5, s3
	s_sub_i32 s3, 0, s46
	s_sub_i32 s61, s28, s8
	s_mul_i32 s3, s3, s4
	v_add_nc_u32_e32 v16, s61, v0
	s_mul_hi_u32 s5, s4, s3
	v_not_b32_e32 v15, v1
	s_add_i32 s60, s4, s5
	v_or_b32_e32 v2, 2, v13
	s_mul_hi_u32 s4, s7, s60
	v_mul_lo_u32 v1, v16, s30
	s_mul_i32 s4, s4, s46
	v_cmp_eq_u32_e64 s3, 0, v12
	s_sub_i32 s4, s7, s4
	v_mul_lo_u32 v10, s30, v2
	s_sub_i32 s5, s4, s46
	s_cmp_ge_u32 s4, s46
	s_mul_i32 s49, s30, s46
	s_cselect_b32 s5, s5, s4
	v_cmp_gt_u32_e64 s4, s61, v13
	s_sub_i32 s6, s5, s46
	s_cmp_ge_u32 s5, s46
	s_mov_b32 s58, 0
	s_cselect_b32 s6, s6, s5
	v_cmp_gt_u32_e64 s5, s28, v16
	s_sub_i32 s63, s7, s6
	v_add_co_u32 v7, s6, s38, v1
	v_add3_u32 v1, s46, s28, v0
	v_add_co_ci_u32_e64 v8, null, s39, 0, s6
	v_cmp_gt_u32_e64 s6, s63, v0
	s_mov_b32 s62, 6
	s_delay_alu instid0(VALU_DEP_3)
	v_subrev_nc_u32_e32 v1, s8, v1
	s_lshl_b32 s64, s49, 2
	s_mov_b32 s70, 0
	s_mov_b32 s72, 0
	;; [unrolled: 1-line block ×3, first 2 shown]
	v_mul_lo_u32 v19, s30, v1
                                        ; implicit-def: $sgpr65
                                        ; implicit-def: $sgpr67
                                        ; implicit-def: $sgpr66
                                        ; implicit-def: $sgpr69
                                        ; implicit-def: $sgpr71
                                        ; implicit-def: $sgpr68
	s_branch .LBB81_12
.LBB81_8:                               ;   in Loop: Header=BB81_12 Depth=1
	s_xor_b32 s70, s70, 1
	s_add_i32 s11, s62, -2
	s_cmp_eq_u32 s62, 0
	s_mov_b32 s7, 0
	s_cselect_b32 s10, -1, 0
	s_mov_b32 s62, s11
.LBB81_9:                               ;   in Loop: Header=BB81_12 Depth=1
	s_and_not1_b32 s11, s13, exec_lo
	s_and_b32 s7, s7, exec_lo
	s_and_not1_b32 s14, s14, exec_lo
	s_or_b32 s13, s11, s7
	s_and_not1_b32 s12, s12, exec_lo
	s_or_not1_b32 s11, s10, exec_lo
	s_mov_b32 s74, s20
.LBB81_10:                              ;   in Loop: Header=BB81_12 Depth=1
	s_or_b32 exec_lo, exec_lo, s8
	s_delay_alu instid0(SALU_CYCLE_1)
	s_and_not1_b32 s7, s68, exec_lo
	s_and_b32 s8, s13, exec_lo
	s_and_not1_b32 s10, s69, exec_lo
	s_or_b32 s68, s7, s8
	s_and_not1_b32 s7, s71, exec_lo
	s_and_b32 s8, s14, exec_lo
	s_and_b32 s12, s12, exec_lo
	s_or_b32 s71, s7, s8
	s_or_b32 s69, s10, s12
	s_or_not1_b32 s12, s11, exec_lo
.LBB81_11:                              ;   in Loop: Header=BB81_12 Depth=1
	s_or_b32 exec_lo, exec_lo, s9
	s_delay_alu instid0(SALU_CYCLE_1)
	s_and_b32 s7, exec_lo, s12
	v_mov_b32_e32 v1, s72
	s_or_b32 s58, s7, s58
	s_and_not1_b32 s7, s66, exec_lo
	s_and_b32 s8, s68, exec_lo
	s_and_not1_b32 s9, s65, exec_lo
	s_or_b32 s66, s7, s8
	s_and_not1_b32 s7, s67, exec_lo
	s_and_b32 s8, s71, exec_lo
	s_and_b32 s10, s69, exec_lo
	s_or_b32 s67, s7, s8
	s_or_b32 s65, s9, s10
	s_and_not1_b32 exec_lo, exec_lo, s58
	s_cbranch_execz .LBB81_242
.LBB81_12:                              ; =>This Loop Header: Depth=1
                                        ;     Child Loop BB81_17 Depth 2
                                        ;     Child Loop BB81_32 Depth 2
	;; [unrolled: 1-line block ×16, first 2 shown]
	ds_load_b64 v[1:2], v21 offset:4104
	s_waitcnt lgkmcnt(0)
	v_readfirstlane_b32 s75, v1
	s_delay_alu instid0(VALU_DEP_1)
	s_cmp_lg_u32 s75, 0
	s_cbranch_scc1 .LBB81_39
; %bb.13:                               ;   in Loop: Header=BB81_12 Depth=1
	s_and_b32 vcc_lo, exec_lo, s52
	s_cbranch_vccz .LBB81_25
; %bb.14:                               ;   in Loop: Header=BB81_12 Depth=1
	v_cmp_gt_u32_e32 vcc_lo, 0xc01, v2
	s_mov_b32 s75, 0
	s_mov_b32 s7, 0
	s_cbranch_vccz .LBB81_26
; %bb.15:                               ;   in Loop: Header=BB81_12 Depth=1
	global_load_u16 v1, v21, s[44:45]
	global_load_u8 v4, v[5:6], off
	v_mov_b32_e32 v23, v0
	s_mov_b32 s9, 0
	s_waitcnt vmcnt(1)
	v_add_nc_u32_e32 v2, v0, v1
	v_mul_lo_u32 v3, s30, v1
	s_delay_alu instid0(VALU_DEP_2)
	v_mul_lo_u32 v2, s30, v2
	s_branch .LBB81_17
.LBB81_16:                              ;   in Loop: Header=BB81_17 Depth=2
	s_or_b32 exec_lo, exec_lo, s8
	v_add_nc_u32_e32 v2, v2, v3
	v_mov_b32_e32 v4, v24
	s_and_not1_b32 exec_lo, exec_lo, s9
	s_cbranch_execz .LBB81_127
.LBB81_17:                              ;   Parent Loop BB81_12 Depth=1
                                        ; =>  This Inner Loop Header: Depth=2
	v_dual_mov_b32 v24, 0 :: v_dual_add_nc_u32 v23, v23, v1
	s_waitcnt lgkmcnt(0)
	v_mov_b32_e32 v25, 0
	s_mov_b32 s8, exec_lo
	s_delay_alu instid0(VALU_DEP_2)
	v_cmp_le_u32_e32 vcc_lo, s28, v23
	v_cmpx_gt_u32_e64 s28, v23
	s_cbranch_execz .LBB81_19
; %bb.18:                               ;   in Loop: Header=BB81_17 Depth=2
	global_load_u8 v24, v2, s[38:39]
.LBB81_19:                              ;   in Loop: Header=BB81_17 Depth=2
	s_or_b32 exec_lo, exec_lo, s8
	s_waitcnt vmcnt(0)
	v_bfe_i32 v26, v4, 0, 8
	s_delay_alu instid0(VALU_DEP_1) | instskip(NEXT) | instid1(VALU_DEP_1)
	v_add_nc_u32_e32 v26, 0x80, v26
	v_and_b32_e32 v26, s73, v26
	s_delay_alu instid0(VALU_DEP_1) | instskip(NEXT) | instid1(VALU_DEP_1)
	v_cmp_eq_u32_e64 s7, s72, v26
	s_cmp_lg_u32 s7, 0
	s_cselect_b32 s8, -1, 0
	s_delay_alu instid0(SALU_CYCLE_1) | instskip(NEXT) | instid1(SALU_CYCLE_1)
	s_and_b32 s8, s3, s8
	s_and_saveexec_b32 s10, s8
	s_cbranch_execz .LBB81_23
; %bb.20:                               ;   in Loop: Header=BB81_17 Depth=2
	s_mov_b32 s13, exec_lo
	s_bcnt1_i32_b32 s11, s7
	v_mbcnt_lo_u32_b32 v25, s13, 0
	s_mov_b32 s12, exec_lo
                                        ; implicit-def: $vgpr26
	s_delay_alu instid0(VALU_DEP_1)
	v_cmpx_eq_u32_e32 0, v25
	s_cbranch_execz .LBB81_22
; %bb.21:                               ;   in Loop: Header=BB81_17 Depth=2
	s_bcnt1_i32_b32 s8, s13
	s_delay_alu instid0(SALU_CYCLE_1) | instskip(NEXT) | instid1(SALU_CYCLE_1)
	s_mul_i32 s8, s11, s8
	v_mov_b32_e32 v26, s8
	ds_add_rtn_u32 v26, v21, v26 offset:4112
.LBB81_22:                              ;   in Loop: Header=BB81_17 Depth=2
	s_or_b32 exec_lo, exec_lo, s12
	s_waitcnt lgkmcnt(0)
	v_readfirstlane_b32 s8, v26
	s_delay_alu instid0(VALU_DEP_1)
	v_mad_u32_u24 v25, s11, v25, s8
.LBB81_23:                              ;   in Loop: Header=BB81_17 Depth=2
	s_or_b32 exec_lo, exec_lo, s10
	ds_bpermute_b32 v25, v21, v25
	s_and_b32 s8, exec_lo, vcc_lo
	s_delay_alu instid0(SALU_CYCLE_1)
	s_or_b32 s9, s8, s9
	s_and_saveexec_b32 s8, s7
	s_cbranch_execz .LBB81_16
; %bb.24:                               ;   in Loop: Header=BB81_17 Depth=2
	v_and_b32_e32 v26, s7, v15
	s_waitcnt lgkmcnt(0)
	s_delay_alu instid0(VALU_DEP_1)
	v_bcnt_u32_b32 v25, v26, v25
	ds_store_b8 v25, v4
	s_branch .LBB81_16
.LBB81_25:                              ;   in Loop: Header=BB81_12 Depth=1
	s_mov_b32 s75, -1
	s_mov_b32 s7, 0
.LBB81_26:                              ;   in Loop: Header=BB81_12 Depth=1
	s_and_b32 vcc_lo, exec_lo, s75
	s_cbranch_vccz .LBB81_37
.LBB81_27:                              ;   in Loop: Header=BB81_12 Depth=1
	v_mov_b32_e32 v1, 0
	s_and_saveexec_b32 s7, s0
	s_cbranch_execz .LBB81_29
; %bb.28:                               ;   in Loop: Header=BB81_12 Depth=1
	global_load_u8 v1, v[5:6], off
.LBB81_29:                              ;   in Loop: Header=BB81_12 Depth=1
	s_or_b32 exec_lo, exec_lo, s7
	s_and_saveexec_b32 s8, s0
	s_cbranch_execz .LBB81_34
; %bb.30:                               ;   in Loop: Header=BB81_12 Depth=1
	global_load_u16 v2, v21, s[44:45]
	v_mov_b32_e32 v23, v0
	s_mov_b32 s9, 0
	s_waitcnt vmcnt(0)
	v_add_nc_u32_e32 v3, v0, v2
	v_mul_lo_u32 v4, s30, v2
	s_delay_alu instid0(VALU_DEP_2)
	v_mul_lo_u32 v3, s30, v3
	s_branch .LBB81_32
	.p2align	6
.LBB81_31:                              ;   in Loop: Header=BB81_32 Depth=2
	s_or_b32 exec_lo, exec_lo, s10
	ds_store_b8 v23, v1
	v_add_nc_u32_e32 v3, v3, v4
	s_waitcnt vmcnt(0)
	v_mov_b32_e32 v1, v25
	v_mov_b32_e32 v23, v24
	s_and_b32 s7, exec_lo, vcc_lo
	s_delay_alu instid0(SALU_CYCLE_1) | instskip(NEXT) | instid1(SALU_CYCLE_1)
	s_or_b32 s9, s7, s9
	s_and_not1_b32 exec_lo, exec_lo, s9
	s_cbranch_execz .LBB81_34
.LBB81_32:                              ;   Parent Loop BB81_12 Depth=1
                                        ; =>  This Inner Loop Header: Depth=2
	v_dual_mov_b32 v25, 0 :: v_dual_add_nc_u32 v24, v23, v2
	s_mov_b32 s10, exec_lo
	s_delay_alu instid0(VALU_DEP_1)
	v_cmp_le_u32_e32 vcc_lo, s28, v24
	v_cmpx_gt_u32_e64 s28, v24
	s_cbranch_execz .LBB81_31
; %bb.33:                               ;   in Loop: Header=BB81_32 Depth=2
	global_load_u8 v25, v3, s[38:39]
	s_branch .LBB81_31
.LBB81_34:                              ;   in Loop: Header=BB81_12 Depth=1
	s_or_b32 exec_lo, exec_lo, s8
	s_waitcnt vmcnt(0) lgkmcnt(0)
	s_barrier
	buffer_gl0_inv
	s_and_saveexec_b32 s7, s2
	s_cbranch_execz .LBB81_36
; %bb.35:                               ;   in Loop: Header=BB81_12 Depth=1
	v_mov_b32_e32 v1, s28
	ds_store_b32 v21, v1 offset:4104
.LBB81_36:                              ;   in Loop: Header=BB81_12 Depth=1
	s_or_b32 exec_lo, exec_lo, s7
	s_mov_b32 s7, -1
	s_waitcnt lgkmcnt(0)
	s_barrier
                                        ; implicit-def: $sgpr75
.LBB81_37:                              ;   in Loop: Header=BB81_12 Depth=1
	s_and_b32 vcc_lo, exec_lo, s7
	s_cbranch_vccz .LBB81_39
; %bb.38:                               ;   in Loop: Header=BB81_12 Depth=1
	buffer_gl0_inv
	ds_load_b32 v1, v21 offset:4104
	s_waitcnt lgkmcnt(0)
	v_readfirstlane_b32 s75, v1
.LBB81_39:                              ;   in Loop: Header=BB81_12 Depth=1
	s_delay_alu instid0(VALU_DEP_1)
	s_cmp_lt_i32 s75, 1
	s_cbranch_scc0 .LBB81_43
; %bb.40:                               ;   in Loop: Header=BB81_12 Depth=1
	v_dual_mov_b32 v1, 0 :: v_dual_mov_b32 v2, 0
	v_dual_mov_b32 v3, 0 :: v_dual_mov_b32 v4, 0
	s_mov_b32 s77, 0
	s_and_saveexec_b32 s76, s4
	s_cbranch_execnz .LBB81_44
; %bb.41:                               ;   in Loop: Header=BB81_12 Depth=1
	s_or_b32 exec_lo, exec_lo, s76
	v_mov_b32_e32 v26, 0
	s_and_saveexec_b32 s7, s5
	s_cbranch_execnz .LBB81_47
.LBB81_42:                              ;   in Loop: Header=BB81_12 Depth=1
	s_or_b32 exec_lo, exec_lo, s7
	s_and_saveexec_b32 s11, s5
	s_cbranch_execnz .LBB81_48
	s_branch .LBB81_53
.LBB81_43:                              ;   in Loop: Header=BB81_12 Depth=1
                                        ; implicit-def: $vgpr4
	s_cbranch_execnz .LBB81_54
	s_branch .LBB81_63
.LBB81_44:                              ;   in Loop: Header=BB81_12 Depth=1
	v_mov_b32_e32 v23, v13
	s_and_b32 s78, s62, 0xfe
	s_mov_b32 s79, 0
	s_mov_b32 s80, 0
	;; [unrolled: 1-line block ×5, first 2 shown]
.LBB81_45:                              ;   Parent Loop BB81_12 Depth=1
                                        ; =>  This Inner Loop Header: Depth=2
	v_add_nc_u32_e32 v1, s79, v18
	v_add_nc_u32_e32 v2, s79, v9
	;; [unrolled: 1-line block ×5, first 2 shown]
	s_clause 0x3
	global_load_i8 v1, v1, s[38:39]
	global_load_i8 v2, v2, s[38:39]
	;; [unrolled: 1-line block ×4, first 2 shown]
	s_add_i32 s79, s79, s64
	v_cmp_le_u32_e32 vcc_lo, s61, v23
	s_waitcnt vmcnt(3)
	v_add_nc_u32_e32 v1, 0x80, v1
	s_waitcnt vmcnt(2)
	v_add_nc_u32_e32 v2, 0x80, v2
	;; [unrolled: 2-line block ×4, first 2 shown]
	v_and_b32_e32 v24, s73, v1
	v_bfe_u32 v1, v1, s78, 2
	v_and_b32_e32 v25, s73, v2
	v_bfe_u32 v2, v2, s78, 2
	;; [unrolled: 2-line block ×3, first 2 shown]
	v_cmp_eq_u32_e64 s7, s72, v24
	v_cmp_eq_u32_e64 s11, 0, v1
	v_and_b32_e32 v27, s73, v4
	v_bfe_u32 v4, v4, s78, 2
	v_cmp_eq_u32_e64 s8, s72, v25
	v_cmp_eq_u32_e64 s12, 0, v2
	;; [unrolled: 1-line block ×4, first 2 shown]
	s_and_b32 s11, s7, s11
	v_cmp_eq_u32_e64 s10, s72, v27
	v_cmp_eq_u32_e64 s14, 0, v4
	;; [unrolled: 1-line block ×5, first 2 shown]
	v_cndmask_b32_e64 v1, 0, 1, s11
	s_and_b32 s11, s8, s12
	v_cmp_eq_u32_e64 s16, 1, v2
	v_cmp_eq_u32_e64 s20, 2, v2
	v_cmp_eq_u32_e64 s24, 3, v2
	v_cndmask_b32_e64 v2, 0, 1, s11
	s_and_b32 s11, s9, s13
	v_cmp_eq_u32_e64 s17, 1, v3
	v_cmp_eq_u32_e64 s21, 2, v3
	v_cmp_eq_u32_e64 s25, 3, v3
	;; [unrolled: 5-line block ×3, first 2 shown]
	v_cndmask_b32_e64 v4, 0, 1, s11
	s_and_b32 s11, s7, s15
	s_delay_alu instid0(SALU_CYCLE_1) | instskip(SKIP_1) | instid1(SALU_CYCLE_1)
	v_cndmask_b32_e64 v24, 0, 1, s11
	s_and_b32 s11, s8, s16
	v_cndmask_b32_e64 v25, 0, 1, s11
	s_and_b32 s11, s9, s17
	s_delay_alu instid0(SALU_CYCLE_1) | instskip(SKIP_1) | instid1(VALU_DEP_2)
	v_cndmask_b32_e64 v26, 0, 1, s11
	s_and_b32 s11, s10, s18
	v_cmp_ne_u32_e64 s12, 0, v25
	v_cndmask_b32_e64 v27, 0, 1, s11
	s_and_b32 s11, s7, s19
	s_and_b32 s7, s7, s23
	v_cndmask_b32_e64 v28, 0, 1, s11
	s_and_b32 s11, s8, s20
	v_cndmask_b32_e64 v32, 0, 1, s7
	;; [unrolled: 2-line block ×7, first 2 shown]
	v_cndmask_b32_e64 v35, 0, 1, s7
	v_cmp_ne_u32_e64 s7, 0, v1
	v_cmp_ne_u32_e64 s11, 0, v24
	;; [unrolled: 1-line block ×11, first 2 shown]
	s_bcnt1_i32_b32 s7, s7
	s_bcnt1_i32_b32 s11, s11
	;; [unrolled: 1-line block ×4, first 2 shown]
	v_cmp_ne_u32_e64 s10, 0, v4
	v_cmp_ne_u32_e64 s14, 0, v27
	v_cmp_ne_u32_e64 s18, 0, v31
	v_cmp_ne_u32_e64 s22, 0, v35
	s_bcnt1_i32_b32 s8, s8
	s_bcnt1_i32_b32 s12, s12
	s_bcnt1_i32_b32 s16, s16
	s_bcnt1_i32_b32 s20, s20
	s_add_i32 s7, s7, s83
	s_add_i32 s11, s11, s82
	s_add_i32 s15, s15, s81
	s_add_i32 s19, s19, s80
	s_bcnt1_i32_b32 s9, s9
	s_bcnt1_i32_b32 s13, s13
	s_bcnt1_i32_b32 s17, s17
	s_bcnt1_i32_b32 s21, s21
	s_add_i32 s7, s7, s8
	s_add_i32 s8, s11, s12
	s_add_i32 s11, s15, s16
	s_add_i32 s12, s19, s20
	;; [unrolled: 8-line block ×3, first 2 shown]
	s_add_i32 s83, s7, s10
	s_add_i32 s82, s8, s14
	;; [unrolled: 1-line block ×4, first 2 shown]
	v_mov_b32_e32 v3, s81
	v_dual_mov_b32 v1, s83 :: v_dual_mov_b32 v2, s82
	v_mov_b32_e32 v4, s80
	s_or_b32 s77, vcc_lo, s77
	s_delay_alu instid0(SALU_CYCLE_1)
	s_and_not1_b32 exec_lo, exec_lo, s77
	s_cbranch_execnz .LBB81_45
; %bb.46:                               ;   in Loop: Header=BB81_12 Depth=1
	s_or_b32 exec_lo, exec_lo, s77
	s_delay_alu instid0(SALU_CYCLE_1)
	s_or_b32 exec_lo, exec_lo, s76
	v_mov_b32_e32 v26, 0
	s_and_saveexec_b32 s7, s5
	s_cbranch_execz .LBB81_42
.LBB81_47:                              ;   in Loop: Header=BB81_12 Depth=1
	global_load_u8 v26, v[7:8], off
	s_or_b32 exec_lo, exec_lo, s7
	s_and_saveexec_b32 s11, s5
	s_cbranch_execz .LBB81_53
.LBB81_48:                              ;   in Loop: Header=BB81_12 Depth=1
	v_dual_mov_b32 v23, v19 :: v_dual_mov_b32 v24, v16
	s_and_b32 s13, s62, 0xfe
	s_mov_b32 s12, 0
	s_branch .LBB81_50
.LBB81_49:                              ;   in Loop: Header=BB81_50 Depth=2
	s_or_b32 exec_lo, exec_lo, s8
	s_waitcnt vmcnt(0)
	v_bfe_i32 v26, v26, 0, 8
	s_and_b32 s8, exec_lo, vcc_lo
	v_add_nc_u32_e32 v23, s49, v23
	s_or_b32 s12, s8, s12
	s_delay_alu instid0(VALU_DEP_2) | instskip(NEXT) | instid1(VALU_DEP_1)
	v_add_nc_u32_e32 v26, 0x80, v26
	v_and_b32_e32 v27, s73, v26
	v_bfe_u32 v26, v26, s13, 2
	s_delay_alu instid0(VALU_DEP_2) | instskip(NEXT) | instid1(VALU_DEP_2)
	v_cmp_eq_u32_e32 vcc_lo, s72, v27
	v_cmp_eq_u32_e64 s7, 0, v26
	v_cmp_eq_u32_e64 s8, 1, v26
	;; [unrolled: 1-line block ×4, first 2 shown]
	s_delay_alu instid0(VALU_DEP_4) | instskip(NEXT) | instid1(SALU_CYCLE_1)
	s_and_b32 s7, vcc_lo, s7
	v_cndmask_b32_e64 v26, 0, 1, s7
	s_and_b32 s7, vcc_lo, s8
	s_delay_alu instid0(SALU_CYCLE_1) | instskip(SKIP_1) | instid1(SALU_CYCLE_1)
	v_cndmask_b32_e64 v27, 0, 1, s7
	s_and_b32 s7, vcc_lo, s9
	v_cndmask_b32_e64 v28, 0, 1, s7
	s_and_b32 s7, vcc_lo, s10
	v_cmp_ne_u32_e32 vcc_lo, 0, v26
	v_mov_b32_e32 v26, v25
	v_cndmask_b32_e64 v29, 0, 1, s7
	v_cmp_ne_u32_e64 s7, 0, v27
	v_cmp_ne_u32_e64 s8, 0, v28
	s_bcnt1_i32_b32 s10, vcc_lo
	s_delay_alu instid0(VALU_DEP_3) | instskip(NEXT) | instid1(VALU_DEP_3)
	v_cmp_ne_u32_e64 s9, 0, v29
	s_bcnt1_i32_b32 s7, s7
	s_delay_alu instid0(VALU_DEP_2)
	s_bcnt1_i32_b32 s8, s8
	v_add_nc_u32_e32 v1, s10, v1
	v_add_nc_u32_e32 v2, s7, v2
	s_bcnt1_i32_b32 s9, s9
	v_add_nc_u32_e32 v3, s8, v3
	v_add_nc_u32_e32 v4, s9, v4
	s_and_not1_b32 exec_lo, exec_lo, s12
	s_cbranch_execz .LBB81_52
.LBB81_50:                              ;   Parent Loop BB81_12 Depth=1
                                        ; =>  This Inner Loop Header: Depth=2
	s_delay_alu instid0(VALU_DEP_1) | instskip(SKIP_1) | instid1(VALU_DEP_1)
	v_dual_mov_b32 v25, 0 :: v_dual_add_nc_u32 v24, s46, v24
	s_mov_b32 s8, exec_lo
	v_cmp_le_u32_e32 vcc_lo, s28, v24
	v_cmpx_gt_u32_e64 s28, v24
	s_cbranch_execz .LBB81_49
; %bb.51:                               ;   in Loop: Header=BB81_50 Depth=2
	global_load_u8 v25, v23, s[38:39]
	s_branch .LBB81_49
.LBB81_52:                              ;   in Loop: Header=BB81_12 Depth=1
	s_or_b32 exec_lo, exec_lo, s12
.LBB81_53:                              ;   in Loop: Header=BB81_12 Depth=1
	s_delay_alu instid0(SALU_CYCLE_1)
	s_or_b32 exec_lo, exec_lo, s11
	s_branch .LBB81_63
.LBB81_54:                              ;   in Loop: Header=BB81_12 Depth=1
	s_mul_hi_u32 s7, s75, s59
	v_dual_mov_b32 v1, 0 :: v_dual_mov_b32 v2, 0
	s_mul_i32 s7, s7, s48
	v_dual_mov_b32 v3, 0 :: v_dual_mov_b32 v4, 0
	s_sub_i32 s7, s75, s7
	s_mov_b32 s78, 0
	s_sub_i32 s8, s7, s48
	s_cmp_ge_u32 s7, s48
	s_mov_b32 s77, exec_lo
	s_cselect_b32 s7, s8, s7
	s_delay_alu instid0(SALU_CYCLE_1) | instskip(SKIP_2) | instid1(SALU_CYCLE_1)
	s_sub_i32 s8, s7, s48
	s_cmp_ge_u32 s7, s48
	s_cselect_b32 s7, s8, s7
	s_sub_i32 s76, s75, s7
	s_delay_alu instid0(SALU_CYCLE_1)
	v_cmpx_gt_u32_e64 s76, v13
	s_cbranch_execz .LBB81_58
; %bb.55:                               ;   in Loop: Header=BB81_12 Depth=1
	v_mov_b32_e32 v23, v13
	s_and_b32 s79, s62, 0xfe
	s_mov_b32 s80, 0
	s_mov_b32 s81, 0
	;; [unrolled: 1-line block ×4, first 2 shown]
.LBB81_56:                              ;   Parent Loop BB81_12 Depth=1
                                        ; =>  This Inner Loop Header: Depth=2
	ds_load_b32 v1, v23
	s_waitcnt lgkmcnt(0)
	v_bfe_i32 v2, v1, 0, 8
	v_bfe_i32 v3, v1, 8, 8
	v_bfe_i32 v4, v1, 16, 8
	v_ashrrev_i32_e32 v1, 24, v1
	s_delay_alu instid0(VALU_DEP_4) | instskip(NEXT) | instid1(VALU_DEP_4)
	v_add_nc_u32_e32 v2, 0x80, v2
	v_add_nc_u32_e32 v3, 0x80, v3
	s_delay_alu instid0(VALU_DEP_4) | instskip(NEXT) | instid1(VALU_DEP_4)
	v_add_nc_u32_e32 v4, 0x80, v4
	v_add_nc_u32_e32 v1, 0x80, v1
	s_delay_alu instid0(VALU_DEP_4)
	v_and_b32_e32 v24, s73, v2
	v_bfe_u32 v2, v2, s79, 2
	v_and_b32_e32 v25, s73, v3
	v_bfe_u32 v3, v3, s79, 2
	s_waitcnt vmcnt(0)
	v_and_b32_e32 v26, s73, v4
	v_bfe_u32 v4, v4, s79, 2
	v_cmp_eq_u32_e64 s7, s72, v24
	v_cmp_eq_u32_e64 s11, 0, v2
	v_and_b32_e32 v27, s73, v1
	v_bfe_u32 v1, v1, s79, 2
	v_cmp_eq_u32_e64 s8, s72, v25
	v_cmp_eq_u32_e64 s12, 0, v3
	;; [unrolled: 1-line block ×4, first 2 shown]
	s_and_b32 s11, s7, s11
	v_cmp_eq_u32_e64 s10, s72, v27
	v_cmp_eq_u32_e64 s14, 0, v1
	;; [unrolled: 1-line block ×5, first 2 shown]
	v_cndmask_b32_e64 v1, 0, 1, s11
	s_and_b32 s11, s8, s12
	v_cmp_eq_u32_e64 s15, 1, v2
	v_cmp_eq_u32_e64 s19, 2, v2
	v_cmp_eq_u32_e64 s23, 3, v2
	v_cndmask_b32_e64 v2, 0, 1, s11
	s_and_b32 s11, s9, s13
	v_cmp_eq_u32_e64 s16, 1, v3
	v_cmp_eq_u32_e64 s20, 2, v3
	v_cmp_eq_u32_e64 s24, 3, v3
	;; [unrolled: 5-line block ×3, first 2 shown]
	v_cndmask_b32_e64 v4, 0, 1, s11
	s_and_b32 s11, s7, s15
	s_delay_alu instid0(SALU_CYCLE_1) | instskip(SKIP_1) | instid1(SALU_CYCLE_1)
	v_cndmask_b32_e64 v24, 0, 1, s11
	s_and_b32 s11, s8, s16
	v_cndmask_b32_e64 v25, 0, 1, s11
	s_and_b32 s11, s9, s17
	s_delay_alu instid0(SALU_CYCLE_1) | instskip(SKIP_1) | instid1(VALU_DEP_2)
	v_cndmask_b32_e64 v26, 0, 1, s11
	s_and_b32 s11, s10, s18
	v_cmp_ne_u32_e64 s12, 0, v25
	v_cndmask_b32_e64 v27, 0, 1, s11
	s_and_b32 s11, s7, s19
	s_and_b32 s7, s7, s23
	v_cndmask_b32_e64 v28, 0, 1, s11
	s_and_b32 s11, s8, s20
	v_cndmask_b32_e64 v32, 0, 1, s7
	;; [unrolled: 2-line block ×7, first 2 shown]
	v_cndmask_b32_e64 v35, 0, 1, s7
	v_cmp_ne_u32_e64 s7, 0, v1
	v_cmp_ne_u32_e64 s11, 0, v24
	;; [unrolled: 1-line block ×6, first 2 shown]
	s_bcnt1_i32_b32 s7, s7
	s_bcnt1_i32_b32 s11, s11
	v_cmp_ne_u32_e64 s14, 0, v27
	v_cmp_ne_u32_e64 s16, 0, v29
	;; [unrolled: 1-line block ×3, first 2 shown]
	s_bcnt1_i32_b32 s8, s8
	s_bcnt1_i32_b32 s12, s12
	s_add_i32 s7, s7, s83
	s_add_i32 s11, s11, s82
	v_cmp_ne_u32_e64 s9, 0, v3
	v_cmp_ne_u32_e64 s17, 0, v30
	;; [unrolled: 1-line block ×3, first 2 shown]
	s_bcnt1_i32_b32 s13, s13
	s_add_i32 s7, s7, s8
	s_add_i32 s8, s11, s12
	s_bcnt1_i32_b32 s15, s15
	s_bcnt1_i32_b32 s19, s19
	v_cmp_ne_u32_e64 s10, 0, v4
	v_cmp_ne_u32_e64 s18, 0, v31
	;; [unrolled: 1-line block ×3, first 2 shown]
	s_bcnt1_i32_b32 s14, s14
	s_add_i32 s8, s8, s13
	s_bcnt1_i32_b32 s16, s16
	s_bcnt1_i32_b32 s20, s20
	s_add_i32 s15, s15, s81
	s_add_i32 s19, s19, s80
	;; [unrolled: 1-line block ×3, first 2 shown]
	s_delay_alu instid0(SALU_CYCLE_1)
	v_dual_mov_b32 v2, s82 :: v_dual_add_nc_u32 v23, s48, v23
	s_bcnt1_i32_b32 s9, s9
	s_bcnt1_i32_b32 s17, s17
	;; [unrolled: 1-line block ×3, first 2 shown]
	s_add_i32 s11, s15, s16
	s_add_i32 s12, s19, s20
	s_bcnt1_i32_b32 s10, s10
	s_bcnt1_i32_b32 s18, s18
	;; [unrolled: 1-line block ×3, first 2 shown]
	s_add_i32 s7, s7, s9
	s_add_i32 s9, s11, s17
	;; [unrolled: 1-line block ×3, first 2 shown]
	v_cmp_le_u32_e32 vcc_lo, s76, v23
	s_add_i32 s83, s7, s10
	s_add_i32 s81, s9, s18
	;; [unrolled: 1-line block ×3, first 2 shown]
	v_mov_b32_e32 v1, s83
	v_dual_mov_b32 v3, s81 :: v_dual_mov_b32 v4, s80
	s_or_b32 s78, vcc_lo, s78
	s_delay_alu instid0(SALU_CYCLE_1)
	s_and_not1_b32 exec_lo, exec_lo, s78
	s_cbranch_execnz .LBB81_56
; %bb.57:                               ;   in Loop: Header=BB81_12 Depth=1
	s_or_b32 exec_lo, exec_lo, s78
.LBB81_58:                              ;   in Loop: Header=BB81_12 Depth=1
	s_delay_alu instid0(SALU_CYCLE_1) | instskip(SKIP_2) | instid1(VALU_DEP_1)
	s_or_b32 exec_lo, exec_lo, s77
	v_add_nc_u32_e32 v23, s76, v0
	s_mov_b32 s12, exec_lo
	v_cmpx_gt_u32_e64 s75, v23
	s_cbranch_execz .LBB81_62
; %bb.59:                               ;   in Loop: Header=BB81_12 Depth=1
	s_and_b32 s14, s62, 0xfe
	s_mov_b32 s13, 0
.LBB81_60:                              ;   Parent Loop BB81_12 Depth=1
                                        ; =>  This Inner Loop Header: Depth=2
	ds_load_i8 v24, v23
	v_add_nc_u32_e32 v23, s46, v23
	s_delay_alu instid0(VALU_DEP_1) | instskip(SKIP_2) | instid1(VALU_DEP_1)
	v_cmp_le_u32_e32 vcc_lo, s75, v23
	s_waitcnt lgkmcnt(0)
	v_add_nc_u32_e32 v24, 0x80, v24
	v_and_b32_e32 v25, s73, v24
	v_bfe_u32 v24, v24, s14, 2
	s_delay_alu instid0(VALU_DEP_2) | instskip(NEXT) | instid1(VALU_DEP_2)
	v_cmp_eq_u32_e64 s7, s72, v25
	v_cmp_eq_u32_e64 s8, 0, v24
	;; [unrolled: 1-line block ×5, first 2 shown]
	s_delay_alu instid0(VALU_DEP_4) | instskip(NEXT) | instid1(SALU_CYCLE_1)
	s_and_b32 s8, s7, s8
	v_cndmask_b32_e64 v24, 0, 1, s8
	s_and_b32 s8, s7, s9
	s_delay_alu instid0(SALU_CYCLE_1)
	v_cndmask_b32_e64 v25, 0, 1, s8
	s_and_b32 s8, s7, s10
	s_and_b32 s7, s7, s11
	s_waitcnt vmcnt(0)
	v_cndmask_b32_e64 v26, 0, 1, s8
	v_cndmask_b32_e64 v27, 0, 1, s7
	v_cmp_ne_u32_e64 s7, 0, v24
	v_cmp_ne_u32_e64 s8, 0, v25
	s_delay_alu instid0(VALU_DEP_4) | instskip(NEXT) | instid1(VALU_DEP_4)
	v_cmp_ne_u32_e64 s9, 0, v26
	v_cmp_ne_u32_e64 s10, 0, v27
	s_delay_alu instid0(VALU_DEP_4) | instskip(NEXT) | instid1(VALU_DEP_3)
	s_bcnt1_i32_b32 s7, s7
	s_bcnt1_i32_b32 s8, s8
	v_add_nc_u32_e32 v1, s7, v1
	s_bcnt1_i32_b32 s9, s9
	s_bcnt1_i32_b32 s10, s10
	v_add_nc_u32_e32 v2, s8, v2
	v_add_nc_u32_e32 v3, s9, v3
	;; [unrolled: 1-line block ×3, first 2 shown]
	s_or_b32 s13, vcc_lo, s13
	s_delay_alu instid0(SALU_CYCLE_1)
	s_and_not1_b32 exec_lo, exec_lo, s13
	s_cbranch_execnz .LBB81_60
; %bb.61:                               ;   in Loop: Header=BB81_12 Depth=1
	s_or_b32 exec_lo, exec_lo, s13
.LBB81_62:                              ;   in Loop: Header=BB81_12 Depth=1
	s_delay_alu instid0(SALU_CYCLE_1)
	s_or_b32 exec_lo, exec_lo, s12
.LBB81_63:                              ;   in Loop: Header=BB81_12 Depth=1
	s_lshl_b32 s7, s70, 7
	s_and_saveexec_b32 s8, s3
	s_cbranch_execz .LBB81_65
; %bb.64:                               ;   in Loop: Header=BB81_12 Depth=1
	v_or_b32_e32 v23, s7, v14
	s_delay_alu instid0(VALU_DEP_1)
	v_lshlrev_b32_e32 v23, 2, v23
	ds_store_b128 v23, v[1:4] offset:3072
.LBB81_65:                              ;   in Loop: Header=BB81_12 Depth=1
	s_or_b32 exec_lo, exec_lo, s8
	s_waitcnt vmcnt(0) lgkmcnt(0)
	s_barrier
	buffer_gl0_inv
	s_and_saveexec_b32 s8, s51
	s_cbranch_execz .LBB81_75
; %bb.66:                               ;   in Loop: Header=BB81_12 Depth=1
	v_mov_b32_e32 v1, 0
	s_and_not1_b32 vcc_lo, exec_lo, s53
	s_cbranch_vccnz .LBB81_74
; %bb.67:                               ;   in Loop: Header=BB81_12 Depth=1
	v_mov_b32_e32 v1, 0
	s_and_not1_b32 vcc_lo, exec_lo, s55
	s_mov_b32 s9, 0
	s_cbranch_vccnz .LBB81_71
; %bb.68:                               ;   in Loop: Header=BB81_12 Depth=1
	v_lshl_add_u32 v2, s70, 9, v20
	v_mov_b32_e32 v1, 0
	.p2align	6
.LBB81_69:                              ;   Parent Loop BB81_12 Depth=1
                                        ; =>  This Inner Loop Header: Depth=2
	ds_load_2addr_b32 v[3:4], v2 offset1:4
	ds_load_2addr_b32 v[23:24], v2 offset0:8 offset1:12
	ds_load_2addr_b32 v[25:26], v2 offset0:16 offset1:20
	;; [unrolled: 1-line block ×3, first 2 shown]
	v_add_nc_u32_e32 v2, 0x80, v2
	s_add_i32 s9, s9, 8
	s_delay_alu instid0(SALU_CYCLE_1) | instskip(SKIP_3) | instid1(VALU_DEP_1)
	s_cmp_eq_u32 s56, s9
	s_waitcnt lgkmcnt(3)
	v_add3_u32 v1, v3, v1, v4
	s_waitcnt lgkmcnt(2)
	v_add3_u32 v1, v23, v1, v24
	s_waitcnt lgkmcnt(1)
	s_delay_alu instid0(VALU_DEP_1) | instskip(SKIP_1) | instid1(VALU_DEP_1)
	v_add3_u32 v1, v25, v1, v26
	s_waitcnt lgkmcnt(0)
	v_add3_u32 v1, v27, v1, v28
	s_cbranch_scc0 .LBB81_69
; %bb.70:                               ;   in Loop: Header=BB81_12 Depth=1
	s_mov_b32 s9, s56
.LBB81_71:                              ;   in Loop: Header=BB81_12 Depth=1
	s_and_not1_b32 vcc_lo, exec_lo, s57
	s_cbranch_vccnz .LBB81_74
; %bb.72:                               ;   in Loop: Header=BB81_12 Depth=1
	s_lshl_b32 s10, s70, 9
	s_lshl_b32 s9, s9, 4
	s_delay_alu instid0(SALU_CYCLE_1)
	v_add3_u32 v2, s10, s9, v20
	s_mov_b32 s9, s54
.LBB81_73:                              ;   Parent Loop BB81_12 Depth=1
                                        ; =>  This Inner Loop Header: Depth=2
	ds_load_b32 v3, v2
	v_add_nc_u32_e32 v2, 16, v2
	s_add_i32 s9, s9, -1
	s_delay_alu instid0(SALU_CYCLE_1)
	s_cmp_lg_u32 s9, 0
	s_waitcnt lgkmcnt(0)
	v_add_nc_u32_e32 v1, v3, v1
	s_cbranch_scc1 .LBB81_73
.LBB81_74:                              ;   in Loop: Header=BB81_12 Depth=1
	v_add_lshl_u32 v2, s7, v12, 2
	ds_store_b32 v2, v1 offset:3072
.LBB81_75:                              ;   in Loop: Header=BB81_12 Depth=1
	s_or_b32 exec_lo, exec_lo, s8
	s_lshl_b32 s7, s7, 2
	s_waitcnt lgkmcnt(0)
	v_mov_b32_e32 v1, s7
	s_barrier
	buffer_gl0_inv
	s_and_b32 s16, s62, 0xfe
	s_mov_b32 s12, -1
	ds_load_b128 v[1:4], v1 offset:3072
	s_lshl_b32 s10, 3, s16
	s_delay_alu instid0(SALU_CYCLE_1) | instskip(SKIP_4) | instid1(VALU_DEP_3)
	s_not_b32 s17, s10
	s_waitcnt lgkmcnt(0)
	v_readfirstlane_b32 s11, v1
	v_readfirstlane_b32 s19, v2
	;; [unrolled: 1-line block ×3, first 2 shown]
	s_cmp_eq_u32 s11, 1
	s_cselect_b32 s7, -1, 0
	s_cmp_eq_u32 s74, 1
	s_cselect_b32 s8, -1, 0
	s_delay_alu instid0(SALU_CYCLE_1)
	s_and_b32 s13, s7, s8
	v_readfirstlane_b32 s8, v4
	s_and_b32 vcc_lo, exec_lo, s13
	s_cbranch_vccz .LBB81_87
; %bb.76:                               ;   in Loop: Header=BB81_12 Depth=1
	ds_load_b32 v1, v21 offset:4104
	s_waitcnt lgkmcnt(0)
	s_barrier
	buffer_gl0_inv
	v_readfirstlane_b32 s9, v1
	s_and_saveexec_b32 s7, s1
	s_cbranch_execz .LBB81_78
; %bb.77:                               ;   in Loop: Header=BB81_12 Depth=1
	ds_store_b8 v0, v21 offset:3072
.LBB81_78:                              ;   in Loop: Header=BB81_12 Depth=1
	s_or_b32 exec_lo, exec_lo, s7
	s_and_b32 s72, s72, s17
	s_or_b32 s73, s73, s10
	s_cmp_eq_u32 s9, 0
	s_waitcnt lgkmcnt(0)
	s_barrier
	buffer_gl0_inv
	s_cbranch_scc1 .LBB81_88
; %bb.79:                               ;   in Loop: Header=BB81_12 Depth=1
	s_add_i32 s7, s9, s50
                                        ; implicit-def: $vgpr22
	s_delay_alu instid0(SALU_CYCLE_1) | instskip(NEXT) | instid1(SALU_CYCLE_1)
	s_mul_hi_u32 s14, s7, s60
	s_mul_i32 s14, s14, s46
	s_delay_alu instid0(SALU_CYCLE_1) | instskip(NEXT) | instid1(SALU_CYCLE_1)
	s_sub_i32 s14, s7, s14
	s_sub_i32 s18, s14, s46
	s_cmp_ge_u32 s14, s46
	s_cselect_b32 s14, s18, s14
	s_delay_alu instid0(SALU_CYCLE_1) | instskip(SKIP_2) | instid1(SALU_CYCLE_1)
	s_sub_i32 s18, s14, s46
	s_cmp_ge_u32 s14, s46
	s_cselect_b32 s14, s18, s14
	s_sub_i32 s18, s7, s14
	s_mov_b32 s7, 0
	s_mov_b32 s14, exec_lo
	v_cmpx_gt_u32_e64 s18, v0
	s_cbranch_execz .LBB81_90
; %bb.80:                               ;   in Loop: Header=BB81_12 Depth=1
	v_mov_b32_e32 v1, v0
	s_mov_b32 s20, 0
                                        ; implicit-def: $sgpr21
	s_set_inst_prefetch_distance 0x1
	s_branch .LBB81_82
	.p2align	6
.LBB81_81:                              ;   in Loop: Header=BB81_82 Depth=2
	s_or_b32 exec_lo, exec_lo, s7
	s_waitcnt lgkmcnt(0)
	s_barrier
	buffer_gl0_inv
	ds_load_u16 v2, v21 offset:3072
	v_add_nc_u32_e32 v1, s46, v1
	s_waitcnt lgkmcnt(0)
	s_barrier
	buffer_gl0_inv
	v_cmp_le_u32_e32 vcc_lo, s18, v1
	v_and_b32_e32 v3, 0xff, v2
	s_delay_alu instid0(VALU_DEP_1) | instskip(NEXT) | instid1(VALU_DEP_1)
	v_cmp_ne_u16_e64 s7, 0, v3
	s_or_b32 s22, vcc_lo, s7
	s_delay_alu instid0(SALU_CYCLE_1) | instskip(NEXT) | instid1(SALU_CYCLE_1)
	s_and_b32 s22, exec_lo, s22
	s_or_b32 s20, s22, s20
	s_and_not1_b32 s21, s21, exec_lo
	s_and_b32 s7, s7, exec_lo
	s_delay_alu instid0(SALU_CYCLE_1)
	s_or_b32 s21, s21, s7
	s_and_not1_b32 exec_lo, exec_lo, s20
	s_cbranch_execz .LBB81_89
.LBB81_82:                              ;   Parent Loop BB81_12 Depth=1
                                        ; =>  This Inner Loop Header: Depth=2
	s_delay_alu instid0(VALU_DEP_1)
	v_cmp_gt_u32_e32 vcc_lo, s9, v1
	v_mov_b32_e32 v2, 0
	s_and_saveexec_b32 s7, vcc_lo
	s_cbranch_execz .LBB81_84
; %bb.83:                               ;   in Loop: Header=BB81_82 Depth=2
	ds_load_u8 v2, v1
.LBB81_84:                              ;   in Loop: Header=BB81_82 Depth=2
	s_or_b32 exec_lo, exec_lo, s7
	s_and_saveexec_b32 s7, vcc_lo
	s_cbranch_execz .LBB81_81
; %bb.85:                               ;   in Loop: Header=BB81_82 Depth=2
	s_waitcnt lgkmcnt(0)
	v_bfe_i32 v3, v2, 0, 8
	s_delay_alu instid0(VALU_DEP_1) | instskip(NEXT) | instid1(VALU_DEP_1)
	v_add_nc_u32_e32 v3, 0x80, v3
	v_and_b32_e32 v3, s73, v3
	s_delay_alu instid0(VALU_DEP_1)
	v_cmp_eq_u32_e32 vcc_lo, s72, v3
	s_and_b32 exec_lo, exec_lo, vcc_lo
	s_cbranch_execz .LBB81_81
; %bb.86:                               ;   in Loop: Header=BB81_82 Depth=2
	v_lshlrev_b16 v2, 8, v2
	s_delay_alu instid0(VALU_DEP_1)
	v_or_b32_e32 v2, 1, v2
	ds_store_b16 v21, v2 offset:3072
	s_branch .LBB81_81
.LBB81_87:                              ;   in Loop: Header=BB81_12 Depth=1
	s_mov_b32 s7, -1
                                        ; implicit-def: $sgpr9
                                        ; implicit-def: $sgpr18
                                        ; implicit-def: $sgpr14
	s_branch .LBB81_101
.LBB81_88:                              ;   in Loop: Header=BB81_12 Depth=1
	s_mov_b32 s9, -1
	s_mov_b32 s7, 0
                                        ; implicit-def: $sgpr14
                                        ; implicit-def: $vgpr22
	s_mov_b32 s18, s9
	s_cbranch_execnz .LBB81_91
	s_branch .LBB81_101
.LBB81_89:                              ;   in Loop: Header=BB81_12 Depth=1
	s_set_inst_prefetch_distance 0x2
	s_or_b32 exec_lo, exec_lo, s20
	v_lshrrev_b16 v22, 8, v2
	s_and_b32 s7, s21, exec_lo
.LBB81_90:                              ;   in Loop: Header=BB81_12 Depth=1
	s_or_b32 exec_lo, exec_lo, s14
	s_mov_b32 s14, -1
	s_mov_b32 s9, 0
	s_delay_alu instid0(SALU_CYCLE_1)
	s_mov_b32 s18, s9
	s_branch .LBB81_101
.LBB81_91:                              ;   in Loop: Header=BB81_12 Depth=1
	s_mov_b32 s7, 0
                                        ; implicit-def: $vgpr22
	s_and_saveexec_b32 s9, s6
	s_cbranch_execz .LBB81_100
; %bb.92:                               ;   in Loop: Header=BB81_12 Depth=1
	v_dual_mov_b32 v1, v11 :: v_dual_mov_b32 v2, v0
	s_mov_b32 s14, 0
                                        ; implicit-def: $sgpr18
	s_set_inst_prefetch_distance 0x1
	s_branch .LBB81_94
	.p2align	6
.LBB81_93:                              ;   in Loop: Header=BB81_94 Depth=2
	s_or_b32 exec_lo, exec_lo, s7
	s_waitcnt vmcnt(0) lgkmcnt(0)
	s_barrier
	buffer_gl0_inv
	ds_load_u16 v3, v21 offset:3072
	v_add_nc_u32_e32 v2, s46, v2
	v_add_nc_u32_e32 v1, s49, v1
	s_waitcnt lgkmcnt(0)
	s_barrier
	buffer_gl0_inv
	v_cmp_le_u32_e32 vcc_lo, s63, v2
	v_and_b32_e32 v4, 0xff, v3
	s_delay_alu instid0(VALU_DEP_1) | instskip(NEXT) | instid1(VALU_DEP_1)
	v_cmp_ne_u16_e64 s7, 0, v4
	s_or_b32 s20, vcc_lo, s7
	s_delay_alu instid0(SALU_CYCLE_1) | instskip(NEXT) | instid1(SALU_CYCLE_1)
	s_and_b32 s20, exec_lo, s20
	s_or_b32 s14, s20, s14
	s_and_not1_b32 s18, s18, exec_lo
	s_and_b32 s7, s7, exec_lo
	s_delay_alu instid0(SALU_CYCLE_1)
	s_or_b32 s18, s18, s7
	s_and_not1_b32 exec_lo, exec_lo, s14
	s_cbranch_execz .LBB81_99
.LBB81_94:                              ;   Parent Loop BB81_12 Depth=1
                                        ; =>  This Inner Loop Header: Depth=2
	s_delay_alu instid0(VALU_DEP_1)
	v_cmp_gt_u32_e32 vcc_lo, s28, v2
	v_mov_b32_e32 v3, 0
	s_and_saveexec_b32 s7, vcc_lo
	s_cbranch_execz .LBB81_96
; %bb.95:                               ;   in Loop: Header=BB81_94 Depth=2
	global_load_u8 v3, v1, s[38:39]
.LBB81_96:                              ;   in Loop: Header=BB81_94 Depth=2
	s_or_b32 exec_lo, exec_lo, s7
	s_and_saveexec_b32 s7, vcc_lo
	s_cbranch_execz .LBB81_93
; %bb.97:                               ;   in Loop: Header=BB81_94 Depth=2
	s_waitcnt vmcnt(0)
	v_bfe_i32 v4, v3, 0, 8
	s_delay_alu instid0(VALU_DEP_1) | instskip(NEXT) | instid1(VALU_DEP_1)
	v_add_nc_u32_e32 v4, 0x80, v4
	v_and_b32_e32 v4, s73, v4
	s_delay_alu instid0(VALU_DEP_1)
	v_cmp_eq_u32_e32 vcc_lo, s72, v4
	s_and_b32 exec_lo, exec_lo, vcc_lo
	s_cbranch_execz .LBB81_93
; %bb.98:                               ;   in Loop: Header=BB81_94 Depth=2
	v_lshlrev_b16 v3, 8, v3
	s_delay_alu instid0(VALU_DEP_1)
	v_or_b32_e32 v3, 1, v3
	ds_store_b16 v21, v3 offset:3072
	s_branch .LBB81_93
.LBB81_99:                              ;   in Loop: Header=BB81_12 Depth=1
	s_set_inst_prefetch_distance 0x2
	s_or_b32 exec_lo, exec_lo, s14
	v_lshrrev_b16 v22, 8, v3
	s_and_b32 s7, s18, exec_lo
.LBB81_100:                             ;   in Loop: Header=BB81_12 Depth=1
	s_or_b32 exec_lo, exec_lo, s9
	s_mov_b32 s18, -1
	s_mov_b32 s9, 0
	s_mov_b32 s14, 0
.LBB81_101:                             ;   in Loop: Header=BB81_12 Depth=1
	s_and_not1_b32 s20, s68, exec_lo
	s_and_b32 s9, s9, exec_lo
	s_and_b32 s18, s18, exec_lo
	s_or_b32 s68, s20, s9
	s_and_not1_b32 s9, s71, exec_lo
	s_and_not1_b32 s20, s69, exec_lo
	s_and_b32 s14, s14, exec_lo
	s_or_b32 s71, s9, s18
	s_or_b32 s69, s20, s14
	s_and_saveexec_b32 s9, s7
	s_cbranch_execz .LBB81_11
; %bb.102:                              ;   in Loop: Header=BB81_12 Depth=1
	s_xor_b32 s7, s13, -1
	s_mov_b32 s12, 0
	s_and_not1_b32 vcc_lo, exec_lo, s7
	s_mov_b32 s20, 1
	s_cbranch_vccnz .LBB81_113
; %bb.103:                              ;   in Loop: Header=BB81_12 Depth=1
	s_cmp_gt_u32 s74, s11
	s_mov_b32 s12, -1
                                        ; implicit-def: $sgpr7
                                        ; implicit-def: $sgpr13
                                        ; implicit-def: $sgpr14
	s_cbranch_scc1 .LBB81_109
; %bb.104:                              ;   in Loop: Header=BB81_12 Depth=1
	ds_load_b32 v1, v21 offset:4104
	s_waitcnt lgkmcnt(0)
	v_cmp_ne_u32_e32 vcc_lo, 0, v1
	s_cbranch_vccnz .LBB81_108
; %bb.105:                              ;   in Loop: Header=BB81_12 Depth=1
	s_and_saveexec_b32 s7, s2
	s_cbranch_execz .LBB81_107
; %bb.106:                              ;   in Loop: Header=BB81_12 Depth=1
	v_mov_b32_e32 v1, s11
	ds_store_b32 v21, v1 offset:4108
.LBB81_107:                             ;   in Loop: Header=BB81_12 Depth=1
	s_or_b32 exec_lo, exec_lo, s7
	s_waitcnt lgkmcnt(0)
	s_barrier
	buffer_gl0_inv
.LBB81_108:                             ;   in Loop: Header=BB81_12 Depth=1
	s_and_b32 s13, s72, s17
	s_or_b32 s14, s73, s10
	s_mov_b32 s12, 0
	s_mov_b32 s7, 8
.LBB81_109:                             ;   in Loop: Header=BB81_12 Depth=1
	s_and_not1_b32 vcc_lo, exec_lo, s12
	s_cbranch_vccnz .LBB81_111
; %bb.110:                              ;   in Loop: Header=BB81_12 Depth=1
	s_sub_i32 s74, s74, s11
	s_mov_b32 s12, -1
	s_mov_b32 s7, 0
	s_mov_b32 s13, s72
	;; [unrolled: 1-line block ×3, first 2 shown]
.LBB81_111:                             ;   in Loop: Header=BB81_12 Depth=1
	s_delay_alu instid0(SALU_CYCLE_1)
	s_mov_b32 s73, s14
	s_mov_b32 s72, s13
	;; [unrolled: 1-line block ×3, first 2 shown]
	s_and_b32 vcc_lo, exec_lo, s12
	s_mov_b32 s11, -1
	s_cbranch_vccnz .LBB81_114
.LBB81_112:                             ;   in Loop: Header=BB81_12 Depth=1
	s_mov_b32 s23, -1
                                        ; implicit-def: $sgpr12
                                        ; implicit-def: $sgpr14
                                        ; implicit-def: $sgpr13
                                        ; implicit-def: $sgpr74
	s_delay_alu instid0(SALU_CYCLE_1) | instskip(NEXT) | instid1(SALU_CYCLE_1)
	s_and_saveexec_b32 s8, s23
	s_xor_b32 s8, exec_lo, s8
	s_cbranch_execz .LBB81_10
	s_branch .LBB81_240
.LBB81_113:                             ;   in Loop: Header=BB81_12 Depth=1
	s_mov_b32 s7, 1
	s_and_b32 vcc_lo, exec_lo, s12
	s_mov_b32 s11, -1
	s_cbranch_vccz .LBB81_112
.LBB81_114:                             ;   in Loop: Header=BB81_12 Depth=1
	s_cmp_eq_u32 s19, 1
	s_mov_b32 s22, -1
	s_cselect_b32 s7, -1, 0
	s_cmp_eq_u32 s20, 1
	s_cselect_b32 s12, -1, 0
	s_delay_alu instid0(SALU_CYCLE_1) | instskip(NEXT) | instid1(SALU_CYCLE_1)
	s_and_b32 s21, s7, s12
	s_and_b32 vcc_lo, exec_lo, s21
	s_cbranch_vccz .LBB81_126
; %bb.115:                              ;   in Loop: Header=BB81_12 Depth=1
	ds_load_b32 v1, v21 offset:4104
	s_waitcnt lgkmcnt(0)
	s_barrier
	buffer_gl0_inv
	v_readfirstlane_b32 s12, v1
	s_and_saveexec_b32 s7, s1
	s_cbranch_execz .LBB81_117
; %bb.116:                              ;   in Loop: Header=BB81_12 Depth=1
	ds_store_b8 v0, v21 offset:3072
.LBB81_117:                             ;   in Loop: Header=BB81_12 Depth=1
	s_or_b32 exec_lo, exec_lo, s7
	s_lshl_b32 s7, 1, s16
	s_and_b32 s13, s72, s17
	s_or_b32 s73, s73, s10
	s_or_b32 s72, s13, s7
	s_cmp_eq_u32 s12, 0
	s_waitcnt lgkmcnt(0)
	s_barrier
	buffer_gl0_inv
	s_cbranch_scc1 .LBB81_130
; %bb.118:                              ;   in Loop: Header=BB81_12 Depth=1
	s_add_i32 s7, s12, s50
	s_mov_b32 s22, 0
	s_mul_hi_u32 s13, s7, s60
                                        ; implicit-def: $vgpr22
	s_delay_alu instid0(SALU_CYCLE_1) | instskip(NEXT) | instid1(SALU_CYCLE_1)
	s_mul_i32 s13, s13, s46
	s_sub_i32 s13, s7, s13
	s_delay_alu instid0(SALU_CYCLE_1) | instskip(SKIP_2) | instid1(SALU_CYCLE_1)
	s_sub_i32 s14, s13, s46
	s_cmp_ge_u32 s13, s46
	s_cselect_b32 s13, s14, s13
	s_sub_i32 s14, s13, s46
	s_cmp_ge_u32 s13, s46
	s_cselect_b32 s13, s14, s13
	s_delay_alu instid0(SALU_CYCLE_1)
	s_sub_i32 s14, s7, s13
	s_mov_b32 s13, exec_lo
	v_cmpx_gt_u32_e64 s14, v0
	s_cbranch_execz .LBB81_132
; %bb.119:                              ;   in Loop: Header=BB81_12 Depth=1
	v_mov_b32_e32 v1, v0
	s_mov_b32 s18, 0
                                        ; implicit-def: $sgpr22
	s_set_inst_prefetch_distance 0x1
	s_branch .LBB81_121
	.p2align	6
.LBB81_120:                             ;   in Loop: Header=BB81_121 Depth=2
	s_or_b32 exec_lo, exec_lo, s7
	s_waitcnt lgkmcnt(0)
	s_barrier
	buffer_gl0_inv
	ds_load_u16 v2, v21 offset:3072
	v_add_nc_u32_e32 v1, s46, v1
	s_waitcnt lgkmcnt(0)
	s_barrier
	buffer_gl0_inv
	v_cmp_le_u32_e32 vcc_lo, s14, v1
	v_and_b32_e32 v3, 0xff, v2
	s_delay_alu instid0(VALU_DEP_1) | instskip(NEXT) | instid1(VALU_DEP_1)
	v_cmp_ne_u16_e64 s7, 0, v3
	s_or_b32 s23, vcc_lo, s7
	s_delay_alu instid0(SALU_CYCLE_1) | instskip(NEXT) | instid1(SALU_CYCLE_1)
	s_and_b32 s23, exec_lo, s23
	s_or_b32 s18, s23, s18
	s_and_not1_b32 s22, s22, exec_lo
	s_and_b32 s7, s7, exec_lo
	s_delay_alu instid0(SALU_CYCLE_1)
	s_or_b32 s22, s22, s7
	s_and_not1_b32 exec_lo, exec_lo, s18
	s_cbranch_execz .LBB81_131
.LBB81_121:                             ;   Parent Loop BB81_12 Depth=1
                                        ; =>  This Inner Loop Header: Depth=2
	s_delay_alu instid0(VALU_DEP_1)
	v_cmp_gt_u32_e32 vcc_lo, s12, v1
	v_mov_b32_e32 v2, 0
	s_and_saveexec_b32 s7, vcc_lo
	s_cbranch_execz .LBB81_123
; %bb.122:                              ;   in Loop: Header=BB81_121 Depth=2
	ds_load_u8 v2, v1
.LBB81_123:                             ;   in Loop: Header=BB81_121 Depth=2
	s_or_b32 exec_lo, exec_lo, s7
	s_and_saveexec_b32 s7, vcc_lo
	s_cbranch_execz .LBB81_120
; %bb.124:                              ;   in Loop: Header=BB81_121 Depth=2
	s_waitcnt lgkmcnt(0)
	v_bfe_i32 v3, v2, 0, 8
	s_delay_alu instid0(VALU_DEP_1) | instskip(NEXT) | instid1(VALU_DEP_1)
	v_add_nc_u32_e32 v3, 0x80, v3
	v_and_b32_e32 v3, s73, v3
	s_delay_alu instid0(VALU_DEP_1)
	v_cmp_eq_u32_e32 vcc_lo, s72, v3
	s_and_b32 exec_lo, exec_lo, vcc_lo
	s_cbranch_execz .LBB81_120
; %bb.125:                              ;   in Loop: Header=BB81_121 Depth=2
	v_lshlrev_b16 v2, 8, v2
	s_delay_alu instid0(VALU_DEP_1)
	v_or_b32_e32 v2, 1, v2
	ds_store_b16 v21, v2 offset:3072
	s_branch .LBB81_120
.LBB81_126:                             ;   in Loop: Header=BB81_12 Depth=1
                                        ; implicit-def: $sgpr13
                                        ; implicit-def: $sgpr14
                                        ; implicit-def: $sgpr12
	s_branch .LBB81_143
.LBB81_127:                             ;   in Loop: Header=BB81_12 Depth=1
	s_or_b32 exec_lo, exec_lo, s9
	s_waitcnt lgkmcnt(0)
	s_barrier
	buffer_gl0_inv
	s_and_saveexec_b32 s7, s2
	s_cbranch_execz .LBB81_129
; %bb.128:                              ;   in Loop: Header=BB81_12 Depth=1
	ds_load_b32 v1, v21 offset:4112
	s_waitcnt lgkmcnt(0)
	ds_store_b32 v21, v1 offset:4104
.LBB81_129:                             ;   in Loop: Header=BB81_12 Depth=1
	s_or_b32 exec_lo, exec_lo, s7
	s_waitcnt lgkmcnt(0)
	s_mov_b32 s7, -1
	s_barrier
	s_and_b32 vcc_lo, exec_lo, s75
	s_cbranch_vccnz .LBB81_27
	s_branch .LBB81_37
.LBB81_130:                             ;   in Loop: Header=BB81_12 Depth=1
	s_mov_b32 s13, -1
	s_mov_b32 s22, 0
                                        ; implicit-def: $sgpr12
                                        ; implicit-def: $vgpr22
	s_mov_b32 s14, s13
	s_cbranch_execnz .LBB81_133
	s_branch .LBB81_143
.LBB81_131:                             ;   in Loop: Header=BB81_12 Depth=1
	s_set_inst_prefetch_distance 0x2
	s_or_b32 exec_lo, exec_lo, s18
	v_lshrrev_b16 v22, 8, v2
	s_and_b32 s22, s22, exec_lo
.LBB81_132:                             ;   in Loop: Header=BB81_12 Depth=1
	s_or_b32 exec_lo, exec_lo, s13
	s_mov_b32 s12, -1
	s_mov_b32 s13, 0
	s_delay_alu instid0(SALU_CYCLE_1)
	s_mov_b32 s14, s13
	s_branch .LBB81_143
.LBB81_133:                             ;   in Loop: Header=BB81_12 Depth=1
	s_mov_b32 s22, 0
                                        ; implicit-def: $vgpr22
	s_and_saveexec_b32 s12, s6
	s_cbranch_execz .LBB81_142
; %bb.134:                              ;   in Loop: Header=BB81_12 Depth=1
	v_dual_mov_b32 v1, v11 :: v_dual_mov_b32 v2, v0
	s_mov_b32 s13, 0
                                        ; implicit-def: $sgpr14
	s_set_inst_prefetch_distance 0x1
	s_branch .LBB81_136
	.p2align	6
.LBB81_135:                             ;   in Loop: Header=BB81_136 Depth=2
	s_or_b32 exec_lo, exec_lo, s7
	s_waitcnt vmcnt(0) lgkmcnt(0)
	s_barrier
	buffer_gl0_inv
	ds_load_u16 v3, v21 offset:3072
	v_add_nc_u32_e32 v2, s46, v2
	v_add_nc_u32_e32 v1, s49, v1
	s_waitcnt lgkmcnt(0)
	s_barrier
	buffer_gl0_inv
	v_cmp_le_u32_e32 vcc_lo, s63, v2
	v_and_b32_e32 v4, 0xff, v3
	s_delay_alu instid0(VALU_DEP_1) | instskip(NEXT) | instid1(VALU_DEP_1)
	v_cmp_ne_u16_e64 s7, 0, v4
	s_or_b32 s18, vcc_lo, s7
	s_delay_alu instid0(SALU_CYCLE_1) | instskip(NEXT) | instid1(SALU_CYCLE_1)
	s_and_b32 s18, exec_lo, s18
	s_or_b32 s13, s18, s13
	s_and_not1_b32 s14, s14, exec_lo
	s_and_b32 s7, s7, exec_lo
	s_delay_alu instid0(SALU_CYCLE_1)
	s_or_b32 s14, s14, s7
	s_and_not1_b32 exec_lo, exec_lo, s13
	s_cbranch_execz .LBB81_141
.LBB81_136:                             ;   Parent Loop BB81_12 Depth=1
                                        ; =>  This Inner Loop Header: Depth=2
	s_delay_alu instid0(VALU_DEP_1)
	v_cmp_gt_u32_e32 vcc_lo, s28, v2
	v_mov_b32_e32 v3, 0
	s_and_saveexec_b32 s7, vcc_lo
	s_cbranch_execz .LBB81_138
; %bb.137:                              ;   in Loop: Header=BB81_136 Depth=2
	global_load_u8 v3, v1, s[38:39]
.LBB81_138:                             ;   in Loop: Header=BB81_136 Depth=2
	s_or_b32 exec_lo, exec_lo, s7
	s_and_saveexec_b32 s7, vcc_lo
	s_cbranch_execz .LBB81_135
; %bb.139:                              ;   in Loop: Header=BB81_136 Depth=2
	s_waitcnt vmcnt(0)
	v_bfe_i32 v4, v3, 0, 8
	s_delay_alu instid0(VALU_DEP_1) | instskip(NEXT) | instid1(VALU_DEP_1)
	v_add_nc_u32_e32 v4, 0x80, v4
	v_and_b32_e32 v4, s73, v4
	s_delay_alu instid0(VALU_DEP_1)
	v_cmp_eq_u32_e32 vcc_lo, s72, v4
	s_and_b32 exec_lo, exec_lo, vcc_lo
	s_cbranch_execz .LBB81_135
; %bb.140:                              ;   in Loop: Header=BB81_136 Depth=2
	v_lshlrev_b16 v3, 8, v3
	s_delay_alu instid0(VALU_DEP_1)
	v_or_b32_e32 v3, 1, v3
	ds_store_b16 v21, v3 offset:3072
	s_branch .LBB81_135
.LBB81_141:                             ;   in Loop: Header=BB81_12 Depth=1
	s_set_inst_prefetch_distance 0x2
	s_or_b32 exec_lo, exec_lo, s13
	v_lshrrev_b16 v22, 8, v3
	s_and_b32 s22, s14, exec_lo
.LBB81_142:                             ;   in Loop: Header=BB81_12 Depth=1
	s_or_b32 exec_lo, exec_lo, s12
	s_mov_b32 s14, -1
	s_mov_b32 s13, 0
	s_mov_b32 s12, 0
.LBB81_143:                             ;   in Loop: Header=BB81_12 Depth=1
	s_mov_b32 s23, 0
                                        ; implicit-def: $sgpr7
	s_and_saveexec_b32 s18, s22
	s_cbranch_execz .LBB81_239
; %bb.144:                              ;   in Loop: Header=BB81_12 Depth=1
	s_xor_b32 s7, s21, -1
	s_mov_b32 s21, 0
	s_and_not1_b32 vcc_lo, exec_lo, s7
	s_mov_b32 s24, 1
	s_cbranch_vccnz .LBB81_155
; %bb.145:                              ;   in Loop: Header=BB81_12 Depth=1
	s_cmp_gt_u32 s20, s19
	s_mov_b32 s21, -1
                                        ; implicit-def: $sgpr7
                                        ; implicit-def: $sgpr22
                                        ; implicit-def: $sgpr23
	s_cbranch_scc1 .LBB81_151
; %bb.146:                              ;   in Loop: Header=BB81_12 Depth=1
	ds_load_b32 v1, v21 offset:4104
	s_waitcnt lgkmcnt(0)
	v_cmp_ne_u32_e32 vcc_lo, 0, v1
	s_cbranch_vccnz .LBB81_150
; %bb.147:                              ;   in Loop: Header=BB81_12 Depth=1
	s_and_saveexec_b32 s7, s2
	s_cbranch_execz .LBB81_149
; %bb.148:                              ;   in Loop: Header=BB81_12 Depth=1
	v_mov_b32_e32 v1, s19
	ds_store_b32 v21, v1 offset:4108
.LBB81_149:                             ;   in Loop: Header=BB81_12 Depth=1
	s_or_b32 exec_lo, exec_lo, s7
	s_waitcnt lgkmcnt(0)
	s_barrier
	buffer_gl0_inv
.LBB81_150:                             ;   in Loop: Header=BB81_12 Depth=1
	s_lshl_b32 s7, 1, s16
	s_and_b32 s21, s72, s17
	s_or_b32 s23, s73, s10
	s_or_b32 s22, s21, s7
	s_mov_b32 s21, 0
	s_mov_b32 s7, 8
.LBB81_151:                             ;   in Loop: Header=BB81_12 Depth=1
	s_and_not1_b32 vcc_lo, exec_lo, s21
	s_cbranch_vccnz .LBB81_153
; %bb.152:                              ;   in Loop: Header=BB81_12 Depth=1
	s_sub_i32 s20, s20, s19
	s_mov_b32 s21, -1
	s_mov_b32 s7, 0
	s_mov_b32 s22, s72
	;; [unrolled: 1-line block ×3, first 2 shown]
.LBB81_153:                             ;   in Loop: Header=BB81_12 Depth=1
	s_delay_alu instid0(SALU_CYCLE_1)
	s_mov_b32 s73, s23
	s_mov_b32 s72, s22
	;; [unrolled: 1-line block ×3, first 2 shown]
	s_and_not1_b32 vcc_lo, exec_lo, s21
	s_mov_b32 s26, -1
	s_cbranch_vccz .LBB81_156
.LBB81_154:                             ;   in Loop: Header=BB81_12 Depth=1
                                        ; implicit-def: $sgpr20
                                        ; implicit-def: $sgpr21
                                        ; implicit-def: $sgpr19
	s_branch .LBB81_238
.LBB81_155:                             ;   in Loop: Header=BB81_12 Depth=1
	s_mov_b32 s7, 1
	s_and_not1_b32 vcc_lo, exec_lo, s21
	s_mov_b32 s26, -1
	s_cbranch_vccnz .LBB81_154
.LBB81_156:                             ;   in Loop: Header=BB81_12 Depth=1
	s_cmp_eq_u32 s15, 1
	s_mov_b32 s25, -1
	s_cselect_b32 s7, -1, 0
	s_cmp_eq_u32 s24, 1
	s_cselect_b32 s19, -1, 0
	s_delay_alu instid0(SALU_CYCLE_1) | instskip(NEXT) | instid1(SALU_CYCLE_1)
	s_and_b32 s23, s7, s19
	s_and_b32 vcc_lo, exec_lo, s23
	s_cbranch_vccz .LBB81_168
; %bb.157:                              ;   in Loop: Header=BB81_12 Depth=1
	ds_load_b32 v1, v21 offset:4104
	s_waitcnt lgkmcnt(0)
	s_barrier
	buffer_gl0_inv
	v_readfirstlane_b32 s19, v1
	s_and_saveexec_b32 s7, s1
	s_cbranch_execz .LBB81_159
; %bb.158:                              ;   in Loop: Header=BB81_12 Depth=1
	ds_store_b8 v0, v21 offset:3072
.LBB81_159:                             ;   in Loop: Header=BB81_12 Depth=1
	s_or_b32 exec_lo, exec_lo, s7
	s_lshl_b32 s7, 2, s16
	s_and_b32 s20, s72, s17
	s_or_b32 s73, s73, s10
	s_or_b32 s72, s20, s7
	s_cmp_eq_u32 s19, 0
	s_waitcnt lgkmcnt(0)
	s_barrier
	buffer_gl0_inv
	s_cbranch_scc1 .LBB81_169
; %bb.160:                              ;   in Loop: Header=BB81_12 Depth=1
	s_add_i32 s7, s19, s50
	s_mov_b32 s25, 0
	s_mul_hi_u32 s20, s7, s60
                                        ; implicit-def: $vgpr22
	s_delay_alu instid0(SALU_CYCLE_1) | instskip(NEXT) | instid1(SALU_CYCLE_1)
	s_mul_i32 s20, s20, s46
	s_sub_i32 s20, s7, s20
	s_delay_alu instid0(SALU_CYCLE_1) | instskip(SKIP_2) | instid1(SALU_CYCLE_1)
	s_sub_i32 s21, s20, s46
	s_cmp_ge_u32 s20, s46
	s_cselect_b32 s20, s21, s20
	s_sub_i32 s21, s20, s46
	s_cmp_ge_u32 s20, s46
	s_cselect_b32 s20, s21, s20
	s_delay_alu instid0(SALU_CYCLE_1)
	s_sub_i32 s21, s7, s20
	s_mov_b32 s20, exec_lo
	v_cmpx_gt_u32_e64 s21, v0
	s_cbranch_execz .LBB81_171
; %bb.161:                              ;   in Loop: Header=BB81_12 Depth=1
	v_mov_b32_e32 v1, v0
	s_mov_b32 s22, 0
                                        ; implicit-def: $sgpr25
	s_set_inst_prefetch_distance 0x1
	s_branch .LBB81_163
	.p2align	6
.LBB81_162:                             ;   in Loop: Header=BB81_163 Depth=2
	s_or_b32 exec_lo, exec_lo, s7
	s_waitcnt lgkmcnt(0)
	s_barrier
	buffer_gl0_inv
	ds_load_u16 v2, v21 offset:3072
	v_add_nc_u32_e32 v1, s46, v1
	s_waitcnt lgkmcnt(0)
	s_barrier
	buffer_gl0_inv
	v_cmp_le_u32_e32 vcc_lo, s21, v1
	v_and_b32_e32 v3, 0xff, v2
	s_delay_alu instid0(VALU_DEP_1) | instskip(NEXT) | instid1(VALU_DEP_1)
	v_cmp_ne_u16_e64 s7, 0, v3
	s_or_b32 s26, vcc_lo, s7
	s_delay_alu instid0(SALU_CYCLE_1) | instskip(NEXT) | instid1(SALU_CYCLE_1)
	s_and_b32 s26, exec_lo, s26
	s_or_b32 s22, s26, s22
	s_and_not1_b32 s25, s25, exec_lo
	s_and_b32 s7, s7, exec_lo
	s_delay_alu instid0(SALU_CYCLE_1)
	s_or_b32 s25, s25, s7
	s_and_not1_b32 exec_lo, exec_lo, s22
	s_cbranch_execz .LBB81_170
.LBB81_163:                             ;   Parent Loop BB81_12 Depth=1
                                        ; =>  This Inner Loop Header: Depth=2
	s_delay_alu instid0(VALU_DEP_1)
	v_cmp_gt_u32_e32 vcc_lo, s19, v1
	v_mov_b32_e32 v2, 0
	s_and_saveexec_b32 s7, vcc_lo
	s_cbranch_execz .LBB81_165
; %bb.164:                              ;   in Loop: Header=BB81_163 Depth=2
	ds_load_u8 v2, v1
.LBB81_165:                             ;   in Loop: Header=BB81_163 Depth=2
	s_or_b32 exec_lo, exec_lo, s7
	s_and_saveexec_b32 s7, vcc_lo
	s_cbranch_execz .LBB81_162
; %bb.166:                              ;   in Loop: Header=BB81_163 Depth=2
	s_waitcnt lgkmcnt(0)
	v_bfe_i32 v3, v2, 0, 8
	s_delay_alu instid0(VALU_DEP_1) | instskip(NEXT) | instid1(VALU_DEP_1)
	v_add_nc_u32_e32 v3, 0x80, v3
	v_and_b32_e32 v3, s73, v3
	s_delay_alu instid0(VALU_DEP_1)
	v_cmp_eq_u32_e32 vcc_lo, s72, v3
	s_and_b32 exec_lo, exec_lo, vcc_lo
	s_cbranch_execz .LBB81_162
; %bb.167:                              ;   in Loop: Header=BB81_163 Depth=2
	v_lshlrev_b16 v2, 8, v2
	s_delay_alu instid0(VALU_DEP_1)
	v_or_b32_e32 v2, 1, v2
	ds_store_b16 v21, v2 offset:3072
	s_branch .LBB81_162
.LBB81_168:                             ;   in Loop: Header=BB81_12 Depth=1
                                        ; implicit-def: $sgpr19
                                        ; implicit-def: $sgpr21
                                        ; implicit-def: $sgpr20
	s_branch .LBB81_182
.LBB81_169:                             ;   in Loop: Header=BB81_12 Depth=1
	s_mov_b32 s19, -1
	s_mov_b32 s25, 0
                                        ; implicit-def: $sgpr20
                                        ; implicit-def: $vgpr22
	s_mov_b32 s21, s19
	s_cbranch_execnz .LBB81_172
	s_branch .LBB81_182
.LBB81_170:                             ;   in Loop: Header=BB81_12 Depth=1
	s_set_inst_prefetch_distance 0x2
	s_or_b32 exec_lo, exec_lo, s22
	v_lshrrev_b16 v22, 8, v2
	s_and_b32 s25, s25, exec_lo
.LBB81_171:                             ;   in Loop: Header=BB81_12 Depth=1
	s_or_b32 exec_lo, exec_lo, s20
	s_mov_b32 s20, -1
	s_mov_b32 s19, 0
	s_delay_alu instid0(SALU_CYCLE_1)
	s_mov_b32 s21, s19
	s_branch .LBB81_182
.LBB81_172:                             ;   in Loop: Header=BB81_12 Depth=1
	s_mov_b32 s25, 0
                                        ; implicit-def: $vgpr22
	s_and_saveexec_b32 s19, s6
	s_cbranch_execz .LBB81_181
; %bb.173:                              ;   in Loop: Header=BB81_12 Depth=1
	v_dual_mov_b32 v1, v11 :: v_dual_mov_b32 v2, v0
	s_mov_b32 s20, 0
                                        ; implicit-def: $sgpr21
	s_set_inst_prefetch_distance 0x1
	s_branch .LBB81_175
	.p2align	6
.LBB81_174:                             ;   in Loop: Header=BB81_175 Depth=2
	s_or_b32 exec_lo, exec_lo, s7
	s_waitcnt vmcnt(0) lgkmcnt(0)
	s_barrier
	buffer_gl0_inv
	ds_load_u16 v3, v21 offset:3072
	v_add_nc_u32_e32 v2, s46, v2
	v_add_nc_u32_e32 v1, s49, v1
	s_waitcnt lgkmcnt(0)
	s_barrier
	buffer_gl0_inv
	v_cmp_le_u32_e32 vcc_lo, s63, v2
	v_and_b32_e32 v4, 0xff, v3
	s_delay_alu instid0(VALU_DEP_1) | instskip(NEXT) | instid1(VALU_DEP_1)
	v_cmp_ne_u16_e64 s7, 0, v4
	s_or_b32 s22, vcc_lo, s7
	s_delay_alu instid0(SALU_CYCLE_1) | instskip(NEXT) | instid1(SALU_CYCLE_1)
	s_and_b32 s22, exec_lo, s22
	s_or_b32 s20, s22, s20
	s_and_not1_b32 s21, s21, exec_lo
	s_and_b32 s7, s7, exec_lo
	s_delay_alu instid0(SALU_CYCLE_1)
	s_or_b32 s21, s21, s7
	s_and_not1_b32 exec_lo, exec_lo, s20
	s_cbranch_execz .LBB81_180
.LBB81_175:                             ;   Parent Loop BB81_12 Depth=1
                                        ; =>  This Inner Loop Header: Depth=2
	s_delay_alu instid0(VALU_DEP_1)
	v_cmp_gt_u32_e32 vcc_lo, s28, v2
	v_mov_b32_e32 v3, 0
	s_and_saveexec_b32 s7, vcc_lo
	s_cbranch_execz .LBB81_177
; %bb.176:                              ;   in Loop: Header=BB81_175 Depth=2
	global_load_u8 v3, v1, s[38:39]
.LBB81_177:                             ;   in Loop: Header=BB81_175 Depth=2
	s_or_b32 exec_lo, exec_lo, s7
	s_and_saveexec_b32 s7, vcc_lo
	s_cbranch_execz .LBB81_174
; %bb.178:                              ;   in Loop: Header=BB81_175 Depth=2
	s_waitcnt vmcnt(0)
	v_bfe_i32 v4, v3, 0, 8
	s_delay_alu instid0(VALU_DEP_1) | instskip(NEXT) | instid1(VALU_DEP_1)
	v_add_nc_u32_e32 v4, 0x80, v4
	v_and_b32_e32 v4, s73, v4
	s_delay_alu instid0(VALU_DEP_1)
	v_cmp_eq_u32_e32 vcc_lo, s72, v4
	s_and_b32 exec_lo, exec_lo, vcc_lo
	s_cbranch_execz .LBB81_174
; %bb.179:                              ;   in Loop: Header=BB81_175 Depth=2
	v_lshlrev_b16 v3, 8, v3
	s_delay_alu instid0(VALU_DEP_1)
	v_or_b32_e32 v3, 1, v3
	ds_store_b16 v21, v3 offset:3072
	s_branch .LBB81_174
.LBB81_180:                             ;   in Loop: Header=BB81_12 Depth=1
	s_set_inst_prefetch_distance 0x2
	s_or_b32 exec_lo, exec_lo, s20
	v_lshrrev_b16 v22, 8, v3
	s_and_b32 s25, s21, exec_lo
.LBB81_181:                             ;   in Loop: Header=BB81_12 Depth=1
	s_or_b32 exec_lo, exec_lo, s19
	s_mov_b32 s21, -1
	s_mov_b32 s19, 0
	s_mov_b32 s20, 0
.LBB81_182:                             ;   in Loop: Header=BB81_12 Depth=1
	s_mov_b32 s26, 0
                                        ; implicit-def: $sgpr7
	s_and_saveexec_b32 s22, s25
	s_cbranch_execz .LBB81_237
; %bb.183:                              ;   in Loop: Header=BB81_12 Depth=1
	s_xor_b32 s7, s23, -1
	s_mov_b32 s25, 0
	s_and_not1_b32 vcc_lo, exec_lo, s7
	s_mov_b32 s23, 1
	s_cbranch_vccnz .LBB81_194
; %bb.184:                              ;   in Loop: Header=BB81_12 Depth=1
	s_cmp_gt_u32 s24, s15
	s_mov_b32 s25, -1
                                        ; implicit-def: $sgpr7
                                        ; implicit-def: $sgpr23
                                        ; implicit-def: $sgpr26
	s_cbranch_scc1 .LBB81_190
; %bb.185:                              ;   in Loop: Header=BB81_12 Depth=1
	ds_load_b32 v1, v21 offset:4104
	s_waitcnt lgkmcnt(0)
	v_cmp_ne_u32_e32 vcc_lo, 0, v1
	s_cbranch_vccnz .LBB81_189
; %bb.186:                              ;   in Loop: Header=BB81_12 Depth=1
	s_and_saveexec_b32 s7, s2
	s_cbranch_execz .LBB81_188
; %bb.187:                              ;   in Loop: Header=BB81_12 Depth=1
	v_mov_b32_e32 v1, s15
	ds_store_b32 v21, v1 offset:4108
.LBB81_188:                             ;   in Loop: Header=BB81_12 Depth=1
	s_or_b32 exec_lo, exec_lo, s7
	s_waitcnt lgkmcnt(0)
	s_barrier
	buffer_gl0_inv
.LBB81_189:                             ;   in Loop: Header=BB81_12 Depth=1
	s_lshl_b32 s7, 2, s16
	s_and_b32 s16, s72, s17
	s_or_b32 s26, s73, s10
	s_or_b32 s23, s16, s7
	s_mov_b32 s25, 0
	s_mov_b32 s7, 8
.LBB81_190:                             ;   in Loop: Header=BB81_12 Depth=1
	s_and_not1_b32 vcc_lo, exec_lo, s25
	s_cbranch_vccnz .LBB81_192
; %bb.191:                              ;   in Loop: Header=BB81_12 Depth=1
	s_sub_i32 s24, s24, s15
	s_mov_b32 s25, -1
	s_mov_b32 s7, 0
	s_mov_b32 s23, s72
	;; [unrolled: 1-line block ×3, first 2 shown]
.LBB81_192:                             ;   in Loop: Header=BB81_12 Depth=1
	s_delay_alu instid0(SALU_CYCLE_1)
	s_mov_b32 s73, s26
	s_mov_b32 s72, s23
	;; [unrolled: 1-line block ×3, first 2 shown]
	s_and_not1_b32 vcc_lo, exec_lo, s25
	s_mov_b32 s74, -1
	s_cbranch_vccz .LBB81_195
.LBB81_193:                             ;   in Loop: Header=BB81_12 Depth=1
                                        ; implicit-def: $sgpr16
                                        ; implicit-def: $sgpr24
                                        ; implicit-def: $sgpr17
	s_branch .LBB81_236
.LBB81_194:                             ;   in Loop: Header=BB81_12 Depth=1
	s_mov_b32 s7, 1
	s_and_not1_b32 vcc_lo, exec_lo, s25
	s_mov_b32 s74, -1
	s_cbranch_vccnz .LBB81_193
.LBB81_195:                             ;   in Loop: Header=BB81_12 Depth=1
	s_cmp_eq_u32 s8, 1
	s_mov_b32 s25, -1
	s_cselect_b32 s7, -1, 0
	s_cmp_eq_u32 s23, 1
	s_cselect_b32 s15, -1, 0
	s_delay_alu instid0(SALU_CYCLE_1) | instskip(NEXT) | instid1(SALU_CYCLE_1)
	s_and_b32 s15, s7, s15
	s_and_b32 vcc_lo, exec_lo, s15
	s_cbranch_vccz .LBB81_207
; %bb.196:                              ;   in Loop: Header=BB81_12 Depth=1
	ds_load_b32 v1, v21 offset:4104
	s_waitcnt lgkmcnt(0)
	s_barrier
	buffer_gl0_inv
	v_readfirstlane_b32 s16, v1
	s_and_saveexec_b32 s7, s1
	s_cbranch_execz .LBB81_198
; %bb.197:                              ;   in Loop: Header=BB81_12 Depth=1
	ds_store_b8 v0, v21 offset:3072
.LBB81_198:                             ;   in Loop: Header=BB81_12 Depth=1
	s_or_b32 exec_lo, exec_lo, s7
	s_or_b32 s72, s72, s10
	s_or_b32 s73, s73, s10
	s_cmp_eq_u32 s16, 0
	s_waitcnt lgkmcnt(0)
	s_barrier
	buffer_gl0_inv
	s_cbranch_scc1 .LBB81_208
; %bb.199:                              ;   in Loop: Header=BB81_12 Depth=1
	s_add_i32 s7, s16, s50
	s_mov_b32 s25, 0
	s_mul_hi_u32 s17, s7, s60
                                        ; implicit-def: $vgpr22
	s_delay_alu instid0(SALU_CYCLE_1) | instskip(NEXT) | instid1(SALU_CYCLE_1)
	s_mul_i32 s17, s17, s46
	s_sub_i32 s17, s7, s17
	s_delay_alu instid0(SALU_CYCLE_1) | instskip(SKIP_2) | instid1(SALU_CYCLE_1)
	s_sub_i32 s24, s17, s46
	s_cmp_ge_u32 s17, s46
	s_cselect_b32 s17, s24, s17
	s_sub_i32 s24, s17, s46
	s_cmp_ge_u32 s17, s46
	s_cselect_b32 s17, s24, s17
	s_delay_alu instid0(SALU_CYCLE_1)
	s_sub_i32 s24, s7, s17
	s_mov_b32 s17, exec_lo
	v_cmpx_gt_u32_e64 s24, v0
	s_cbranch_execz .LBB81_210
; %bb.200:                              ;   in Loop: Header=BB81_12 Depth=1
	v_mov_b32_e32 v1, v0
                                        ; implicit-def: $sgpr26
	s_set_inst_prefetch_distance 0x1
	s_branch .LBB81_202
	.p2align	6
.LBB81_201:                             ;   in Loop: Header=BB81_202 Depth=2
	s_or_b32 exec_lo, exec_lo, s7
	s_waitcnt lgkmcnt(0)
	s_barrier
	buffer_gl0_inv
	ds_load_u16 v2, v21 offset:3072
	v_add_nc_u32_e32 v1, s46, v1
	s_waitcnt lgkmcnt(0)
	s_barrier
	buffer_gl0_inv
	v_cmp_le_u32_e32 vcc_lo, s24, v1
	v_and_b32_e32 v3, 0xff, v2
	s_delay_alu instid0(VALU_DEP_1) | instskip(NEXT) | instid1(VALU_DEP_1)
	v_cmp_ne_u16_e64 s7, 0, v3
	s_or_b32 s74, vcc_lo, s7
	s_delay_alu instid0(SALU_CYCLE_1) | instskip(NEXT) | instid1(SALU_CYCLE_1)
	s_and_b32 s74, exec_lo, s74
	s_or_b32 s25, s74, s25
	s_and_not1_b32 s26, s26, exec_lo
	s_and_b32 s7, s7, exec_lo
	s_delay_alu instid0(SALU_CYCLE_1)
	s_or_b32 s26, s26, s7
	s_and_not1_b32 exec_lo, exec_lo, s25
	s_cbranch_execz .LBB81_209
.LBB81_202:                             ;   Parent Loop BB81_12 Depth=1
                                        ; =>  This Inner Loop Header: Depth=2
	s_delay_alu instid0(VALU_DEP_1)
	v_cmp_gt_u32_e32 vcc_lo, s16, v1
	v_mov_b32_e32 v2, 0
	s_and_saveexec_b32 s7, vcc_lo
	s_cbranch_execz .LBB81_204
; %bb.203:                              ;   in Loop: Header=BB81_202 Depth=2
	ds_load_u8 v2, v1
.LBB81_204:                             ;   in Loop: Header=BB81_202 Depth=2
	s_or_b32 exec_lo, exec_lo, s7
	s_and_saveexec_b32 s7, vcc_lo
	s_cbranch_execz .LBB81_201
; %bb.205:                              ;   in Loop: Header=BB81_202 Depth=2
	s_waitcnt lgkmcnt(0)
	v_bfe_i32 v3, v2, 0, 8
	s_delay_alu instid0(VALU_DEP_1) | instskip(NEXT) | instid1(VALU_DEP_1)
	v_add_nc_u32_e32 v3, 0x80, v3
	v_and_b32_e32 v3, s73, v3
	s_delay_alu instid0(VALU_DEP_1)
	v_cmp_eq_u32_e32 vcc_lo, s72, v3
	s_and_b32 exec_lo, exec_lo, vcc_lo
	s_cbranch_execz .LBB81_201
; %bb.206:                              ;   in Loop: Header=BB81_202 Depth=2
	v_lshlrev_b16 v2, 8, v2
	s_delay_alu instid0(VALU_DEP_1)
	v_or_b32_e32 v2, 1, v2
	ds_store_b16 v21, v2 offset:3072
	s_branch .LBB81_201
.LBB81_207:                             ;   in Loop: Header=BB81_12 Depth=1
                                        ; implicit-def: $sgpr16
                                        ; implicit-def: $sgpr24
                                        ; implicit-def: $sgpr17
	s_branch .LBB81_221
.LBB81_208:                             ;   in Loop: Header=BB81_12 Depth=1
	s_mov_b32 s16, -1
	s_mov_b32 s25, 0
                                        ; implicit-def: $sgpr17
                                        ; implicit-def: $vgpr22
	s_mov_b32 s24, s16
	s_cbranch_execnz .LBB81_211
	s_branch .LBB81_221
.LBB81_209:                             ;   in Loop: Header=BB81_12 Depth=1
	s_set_inst_prefetch_distance 0x2
	s_or_b32 exec_lo, exec_lo, s25
	v_lshrrev_b16 v22, 8, v2
	s_and_b32 s25, s26, exec_lo
.LBB81_210:                             ;   in Loop: Header=BB81_12 Depth=1
	s_or_b32 exec_lo, exec_lo, s17
	s_mov_b32 s17, -1
	s_mov_b32 s16, 0
	s_delay_alu instid0(SALU_CYCLE_1)
	s_mov_b32 s24, s16
	s_branch .LBB81_221
.LBB81_211:                             ;   in Loop: Header=BB81_12 Depth=1
	s_mov_b32 s25, 0
                                        ; implicit-def: $vgpr22
	s_and_saveexec_b32 s16, s6
	s_cbranch_execz .LBB81_220
; %bb.212:                              ;   in Loop: Header=BB81_12 Depth=1
	v_dual_mov_b32 v1, v11 :: v_dual_mov_b32 v2, v0
	s_mov_b32 s17, 0
                                        ; implicit-def: $sgpr24
	s_set_inst_prefetch_distance 0x1
	s_branch .LBB81_214
	.p2align	6
.LBB81_213:                             ;   in Loop: Header=BB81_214 Depth=2
	s_or_b32 exec_lo, exec_lo, s7
	s_waitcnt vmcnt(0) lgkmcnt(0)
	s_barrier
	buffer_gl0_inv
	ds_load_u16 v3, v21 offset:3072
	v_add_nc_u32_e32 v2, s46, v2
	v_add_nc_u32_e32 v1, s49, v1
	s_waitcnt lgkmcnt(0)
	s_barrier
	buffer_gl0_inv
	v_cmp_le_u32_e32 vcc_lo, s63, v2
	v_and_b32_e32 v4, 0xff, v3
	s_delay_alu instid0(VALU_DEP_1) | instskip(NEXT) | instid1(VALU_DEP_1)
	v_cmp_ne_u16_e64 s7, 0, v4
	s_or_b32 s25, vcc_lo, s7
	s_delay_alu instid0(SALU_CYCLE_1) | instskip(NEXT) | instid1(SALU_CYCLE_1)
	s_and_b32 s25, exec_lo, s25
	s_or_b32 s17, s25, s17
	s_and_not1_b32 s24, s24, exec_lo
	s_and_b32 s7, s7, exec_lo
	s_delay_alu instid0(SALU_CYCLE_1)
	s_or_b32 s24, s24, s7
	s_and_not1_b32 exec_lo, exec_lo, s17
	s_cbranch_execz .LBB81_219
.LBB81_214:                             ;   Parent Loop BB81_12 Depth=1
                                        ; =>  This Inner Loop Header: Depth=2
	s_delay_alu instid0(VALU_DEP_1)
	v_cmp_gt_u32_e32 vcc_lo, s28, v2
	v_mov_b32_e32 v3, 0
	s_and_saveexec_b32 s7, vcc_lo
	s_cbranch_execz .LBB81_216
; %bb.215:                              ;   in Loop: Header=BB81_214 Depth=2
	global_load_u8 v3, v1, s[38:39]
.LBB81_216:                             ;   in Loop: Header=BB81_214 Depth=2
	s_or_b32 exec_lo, exec_lo, s7
	s_and_saveexec_b32 s7, vcc_lo
	s_cbranch_execz .LBB81_213
; %bb.217:                              ;   in Loop: Header=BB81_214 Depth=2
	s_waitcnt vmcnt(0)
	v_bfe_i32 v4, v3, 0, 8
	s_delay_alu instid0(VALU_DEP_1) | instskip(NEXT) | instid1(VALU_DEP_1)
	v_add_nc_u32_e32 v4, 0x80, v4
	v_and_b32_e32 v4, s73, v4
	s_delay_alu instid0(VALU_DEP_1)
	v_cmp_eq_u32_e32 vcc_lo, s72, v4
	s_and_b32 exec_lo, exec_lo, vcc_lo
	s_cbranch_execz .LBB81_213
; %bb.218:                              ;   in Loop: Header=BB81_214 Depth=2
	v_lshlrev_b16 v3, 8, v3
	s_delay_alu instid0(VALU_DEP_1)
	v_or_b32_e32 v3, 1, v3
	ds_store_b16 v21, v3 offset:3072
	s_branch .LBB81_213
.LBB81_219:                             ;   in Loop: Header=BB81_12 Depth=1
	s_set_inst_prefetch_distance 0x2
	s_or_b32 exec_lo, exec_lo, s17
	v_lshrrev_b16 v22, 8, v3
	s_and_b32 s25, s24, exec_lo
.LBB81_220:                             ;   in Loop: Header=BB81_12 Depth=1
	s_or_b32 exec_lo, exec_lo, s16
	s_mov_b32 s24, -1
	s_mov_b32 s16, 0
	s_mov_b32 s17, 0
.LBB81_221:                             ;   in Loop: Header=BB81_12 Depth=1
	s_mov_b32 s74, 0
                                        ; implicit-def: $sgpr7
	s_and_saveexec_b32 s26, s25
	s_cbranch_execz .LBB81_235
; %bb.222:                              ;   in Loop: Header=BB81_12 Depth=1
	s_xor_b32 s7, s15, -1
	s_delay_alu instid0(SALU_CYCLE_1)
	s_and_not1_b32 vcc_lo, exec_lo, s7
	s_mov_b32 s7, 1
	s_cbranch_vccnz .LBB81_229
; %bb.223:                              ;   in Loop: Header=BB81_12 Depth=1
	s_cmp_gt_u32 s23, s8
	s_cbranch_scc1 .LBB81_230
; %bb.224:                              ;   in Loop: Header=BB81_12 Depth=1
	ds_load_b32 v1, v21 offset:4104
	s_waitcnt lgkmcnt(0)
	v_cmp_ne_u32_e32 vcc_lo, 0, v1
	s_cbranch_vccnz .LBB81_228
; %bb.225:                              ;   in Loop: Header=BB81_12 Depth=1
	s_and_saveexec_b32 s7, s2
	s_cbranch_execz .LBB81_227
; %bb.226:                              ;   in Loop: Header=BB81_12 Depth=1
	v_mov_b32_e32 v1, s8
	ds_store_b32 v21, v1 offset:4108
.LBB81_227:                             ;   in Loop: Header=BB81_12 Depth=1
	s_or_b32 exec_lo, exec_lo, s7
	s_waitcnt lgkmcnt(0)
	s_barrier
	buffer_gl0_inv
.LBB81_228:                             ;   in Loop: Header=BB81_12 Depth=1
	s_or_b32 s15, s72, s10
	s_or_b32 s10, s73, s10
	s_mov_b32 s25, 0
	s_mov_b32 s7, 8
	s_branch .LBB81_231
.LBB81_229:                             ;   in Loop: Header=BB81_12 Depth=1
	s_mov_b32 s23, 1
	s_branch .LBB81_234
.LBB81_230:                             ;   in Loop: Header=BB81_12 Depth=1
	s_mov_b32 s25, -1
                                        ; implicit-def: $sgpr7
                                        ; implicit-def: $sgpr15
                                        ; implicit-def: $sgpr10
.LBB81_231:                             ;   in Loop: Header=BB81_12 Depth=1
	s_delay_alu instid0(SALU_CYCLE_1)
	s_and_not1_b32 vcc_lo, exec_lo, s25
	s_cbranch_vccnz .LBB81_233
; %bb.232:                              ;   in Loop: Header=BB81_12 Depth=1
	s_sub_i32 s23, s23, s8
	s_mov_b32 s7, 8
	s_mov_b32 s15, s72
	;; [unrolled: 1-line block ×3, first 2 shown]
.LBB81_233:                             ;   in Loop: Header=BB81_12 Depth=1
	s_mov_b32 s72, s15
	s_mov_b32 s73, s10
.LBB81_234:                             ;   in Loop: Header=BB81_12 Depth=1
	s_mov_b32 s74, exec_lo
.LBB81_235:                             ;   in Loop: Header=BB81_12 Depth=1
	s_or_b32 exec_lo, exec_lo, s26
.LBB81_236:                             ;   in Loop: Header=BB81_12 Depth=1
	s_delay_alu instid0(SALU_CYCLE_1)
	s_and_not1_b32 s8, s19, exec_lo
	s_and_b32 s10, s16, exec_lo
	s_and_not1_b32 s15, s20, exec_lo
	s_or_b32 s19, s8, s10
	s_and_not1_b32 s8, s21, exec_lo
	s_and_b32 s10, s24, exec_lo
	s_and_b32 s16, s17, exec_lo
	s_or_b32 s21, s8, s10
	s_or_b32 s20, s15, s16
	s_and_b32 s26, s74, exec_lo
	s_mov_b32 s24, s23
.LBB81_237:                             ;   in Loop: Header=BB81_12 Depth=1
	s_or_b32 exec_lo, exec_lo, s22
.LBB81_238:                             ;   in Loop: Header=BB81_12 Depth=1
	s_delay_alu instid0(SALU_CYCLE_1)
	s_and_not1_b32 s8, s13, exec_lo
	s_and_b32 s10, s19, exec_lo
	s_and_not1_b32 s12, s12, exec_lo
	s_or_b32 s13, s8, s10
	s_and_not1_b32 s8, s14, exec_lo
	s_and_b32 s10, s21, exec_lo
	s_and_b32 s15, s20, exec_lo
	s_or_b32 s14, s8, s10
	s_or_b32 s12, s12, s15
	s_and_b32 s23, s26, exec_lo
	s_mov_b32 s20, s24
.LBB81_239:                             ;   in Loop: Header=BB81_12 Depth=1
	s_or_b32 exec_lo, exec_lo, s18
                                        ; implicit-def: $sgpr74
	s_and_saveexec_b32 s8, s23
	s_delay_alu instid0(SALU_CYCLE_1)
	s_xor_b32 s8, exec_lo, s8
	s_cbranch_execz .LBB81_10
.LBB81_240:                             ;   in Loop: Header=BB81_12 Depth=1
	s_and_b32 s7, s7, -9
	s_delay_alu instid0(SALU_CYCLE_1)
	s_cmp_eq_u32 s7, 0
	s_cbranch_scc1 .LBB81_8
; %bb.241:                              ;   in Loop: Header=BB81_12 Depth=1
	s_mov_b32 s7, -1
	s_mov_b32 s10, -1
                                        ; implicit-def: $sgpr73
                                        ; implicit-def: $sgpr20
                                        ; implicit-def: $sgpr62
                                        ; implicit-def: $sgpr70
	s_branch .LBB81_9
.LBB81_242:
	s_or_b32 exec_lo, exec_lo, s58
	s_xor_b32 s4, s67, -1
	s_xor_b32 s1, s65, -1
	;; [unrolled: 1-line block ×3, first 2 shown]
	s_mov_b32 s2, 0
	s_and_saveexec_b32 s5, s1
	s_delay_alu instid0(SALU_CYCLE_1)
	s_xor_b32 s1, exec_lo, s5
	s_cbranch_execz .LBB81_256
; %bb.243:
	s_and_saveexec_b32 s2, s4
	s_delay_alu instid0(SALU_CYCLE_1)
	s_xor_b32 s2, exec_lo, s2
	s_cbranch_execz .LBB81_254
; %bb.244:
	s_and_saveexec_b32 s4, s3
	s_delay_alu instid0(SALU_CYCLE_1)
	s_xor_b32 s3, exec_lo, s4
; %bb.245:
	v_xor_b32_e32 v22, 0xffffff80, v1
; %bb.246:
	s_or_b32 exec_lo, exec_lo, s3
	s_mul_i32 s3, s47, s33
	s_add_i32 s4, s47, 1
	s_sub_i32 s3, s27, s3
	s_delay_alu instid0(SALU_CYCLE_1)
	s_sub_i32 s5, s3, s33
	s_cmp_ge_u32 s3, s33
	s_cselect_b32 s4, s4, s47
	s_cselect_b32 s3, s5, s3
	s_add_i32 s5, s4, 1
	s_cmp_ge_u32 s3, s33
	s_cselect_b32 s3, s5, s4
	s_delay_alu instid0(SALU_CYCLE_1) | instskip(SKIP_2) | instid1(SALU_CYCLE_1)
	s_mul_i32 s4, s3, s33
	s_mul_i32 s3, s3, s42
	s_sub_i32 s4, s27, s4
	s_mul_i32 s4, s4, s43
	s_delay_alu instid0(SALU_CYCLE_1) | instskip(NEXT) | instid1(SALU_CYCLE_1)
	s_add_i32 s3, s3, s4
	v_mov_b32_e32 v1, s3
	global_store_b8 v1, v22, s[40:41]
	s_and_saveexec_b32 s3, s0
	s_cbranch_execz .LBB81_253
; %bb.247:
	v_and_b32_e32 v2, 0xff, v22
	s_mov_b32 s0, 0
                                        ; implicit-def: $sgpr4
                                        ; implicit-def: $sgpr6
                                        ; implicit-def: $sgpr5
	s_set_inst_prefetch_distance 0x1
	s_branch .LBB81_249
	.p2align	6
.LBB81_248:                             ;   in Loop: Header=BB81_249 Depth=1
	s_or_b32 exec_lo, exec_lo, s7
	s_delay_alu instid0(SALU_CYCLE_1) | instskip(NEXT) | instid1(SALU_CYCLE_1)
	s_and_b32 s7, exec_lo, s6
	s_or_b32 s0, s7, s0
	s_and_not1_b32 s4, s4, exec_lo
	s_and_b32 s7, s5, exec_lo
	s_delay_alu instid0(SALU_CYCLE_1)
	s_or_b32 s4, s4, s7
	s_and_not1_b32 exec_lo, exec_lo, s0
	s_cbranch_execz .LBB81_251
.LBB81_249:                             ; =>This Inner Loop Header: Depth=1
	global_load_u8 v3, v11, s[38:39]
	v_mov_b32_e32 v1, v0
	s_or_b32 s5, s5, exec_lo
	s_or_b32 s6, s6, exec_lo
	s_mov_b32 s7, exec_lo
                                        ; implicit-def: $vgpr0
	s_waitcnt vmcnt(0)
	v_cmpx_ne_u16_e64 v3, v2
	s_cbranch_execz .LBB81_248
; %bb.250:                              ;   in Loop: Header=BB81_249 Depth=1
	v_add_nc_u32_e32 v0, s46, v1
	s_and_not1_b32 s6, s6, exec_lo
	v_add_nc_u32_e32 v11, s49, v11
	s_and_not1_b32 s5, s5, exec_lo
	s_delay_alu instid0(VALU_DEP_2) | instskip(SKIP_1) | instid1(SALU_CYCLE_1)
	v_cmp_le_u32_e32 vcc_lo, s28, v0
	s_and_b32 s8, vcc_lo, exec_lo
	s_or_b32 s6, s6, s8
	s_branch .LBB81_248
.LBB81_251:
	s_set_inst_prefetch_distance 0x2
	s_or_b32 exec_lo, exec_lo, s0
	s_and_saveexec_b32 s0, s4
	s_delay_alu instid0(SALU_CYCLE_1)
	s_xor_b32 s0, exec_lo, s0
	s_cbranch_execz .LBB81_253
; %bb.252:
	s_mul_i32 s0, s31, s29
	s_add_i32 s4, s31, 1
	s_sub_i32 s0, s27, s0
	v_mov_b32_e32 v2, 0
	s_sub_i32 s5, s0, s29
	s_cmp_ge_u32 s0, s29
	s_cselect_b32 s4, s4, s31
	s_cselect_b32 s0, s5, s0
	s_add_i32 s5, s4, 1
	s_cmp_ge_u32 s0, s29
	s_cselect_b32 s0, s5, s4
	s_mov_b32 s5, 0
	s_mul_i32 s4, s0, s29
	s_mul_i32 s0, s0, s36
	s_sub_i32 s4, s27, s4
	s_delay_alu instid0(SALU_CYCLE_1) | instskip(NEXT) | instid1(SALU_CYCLE_1)
	s_mul_i32 s4, s4, s37
	s_add_i32 s4, s0, s4
	s_delay_alu instid0(SALU_CYCLE_1) | instskip(NEXT) | instid1(SALU_CYCLE_1)
	s_lshl_b64 s[4:5], s[4:5], 3
	s_add_u32 s4, s34, s4
	s_addc_u32 s5, s35, s5
	global_store_b64 v2, v[1:2], s[4:5]
.LBB81_253:
	s_or_b32 exec_lo, exec_lo, s3
.LBB81_254:
	s_or_saveexec_b32 s0, s2
	s_mov_b32 s2, 0
	s_xor_b32 exec_lo, exec_lo, s0
	s_cbranch_execnz .LBB81_262
.LBB81_255:
	s_or_b32 exec_lo, exec_lo, s0
	s_delay_alu instid0(SALU_CYCLE_1)
	s_and_b32 s2, s2, exec_lo
.LBB81_256:
	s_and_not1_saveexec_b32 s0, s1
	s_cbranch_execnz .LBB81_260
; %bb.257:
	s_or_b32 exec_lo, exec_lo, s0
	s_and_saveexec_b32 s0, s2
.LBB81_258:
	; divergent unreachable
.LBB81_259:
	s_nop 0
	s_sendmsg sendmsg(MSG_DEALLOC_VGPRS)
	s_endpgm
.LBB81_260:
	s_cbranch_execnz .LBB81_264
; %bb.261:
	s_or_b32 s2, s2, exec_lo
	s_or_b32 exec_lo, exec_lo, s0
	s_and_saveexec_b32 s0, s2
	s_cbranch_execnz .LBB81_258
	s_branch .LBB81_259
.LBB81_262:
	s_cbranch_execnz .LBB81_266
; %bb.263:
	s_mov_b32 s2, exec_lo
	s_branch .LBB81_255
.LBB81_264:
	s_trap 2
	s_sendmsg_rtn_b32 s0, sendmsg(MSG_RTN_GET_DOORBELL)
	s_mov_b32 ttmp2, m0
	s_waitcnt lgkmcnt(0)
	s_and_b32 s0, s0, 0x3ff
	s_delay_alu instid0(SALU_CYCLE_1) | instskip(NEXT) | instid1(SALU_CYCLE_1)
	s_bitset1_b32 s0, 10
	s_mov_b32 m0, s0
	s_sendmsg sendmsg(MSG_INTERRUPT)
	s_mov_b32 m0, ttmp2
.LBB81_265:                             ; =>This Inner Loop Header: Depth=1
	s_sethalt 5
	s_branch .LBB81_265
.LBB81_266:
	s_trap 2
	s_sendmsg_rtn_b32 s0, sendmsg(MSG_RTN_GET_DOORBELL)
	s_mov_b32 ttmp2, m0
	s_waitcnt lgkmcnt(0)
	s_and_b32 s0, s0, 0x3ff
	s_delay_alu instid0(SALU_CYCLE_1) | instskip(NEXT) | instid1(SALU_CYCLE_1)
	s_bitset1_b32 s0, 10
	s_mov_b32 m0, s0
	s_sendmsg sendmsg(MSG_INTERRUPT)
	s_mov_b32 m0, ttmp2
.LBB81_267:                             ; =>This Inner Loop Header: Depth=1
	s_sethalt 5
	s_branch .LBB81_267
	.section	.rodata,"a",@progbits
	.p2align	6, 0x0
	.amdhsa_kernel _ZN2at6native12_GLOBAL__N_112gatherMedianIajLi2EEEvNS_4cuda6detail10TensorInfoIT_T0_EENS5_IlS7_EENS5_IKS6_S7_EES7_S7_S7_b
		.amdhsa_group_segment_fixed_size 4120
		.amdhsa_private_segment_fixed_size 0
		.amdhsa_kernarg_size 920
		.amdhsa_user_sgpr_count 13
		.amdhsa_user_sgpr_dispatch_ptr 0
		.amdhsa_user_sgpr_queue_ptr 0
		.amdhsa_user_sgpr_kernarg_segment_ptr 1
		.amdhsa_user_sgpr_dispatch_id 0
		.amdhsa_user_sgpr_private_segment_size 0
		.amdhsa_wavefront_size32 1
		.amdhsa_uses_dynamic_stack 0
		.amdhsa_enable_private_segment 0
		.amdhsa_system_sgpr_workgroup_id_x 1
		.amdhsa_system_sgpr_workgroup_id_y 1
		.amdhsa_system_sgpr_workgroup_id_z 1
		.amdhsa_system_sgpr_workgroup_info 0
		.amdhsa_system_vgpr_workitem_id 0
		.amdhsa_next_free_vgpr 36
		.amdhsa_next_free_sgpr 84
		.amdhsa_reserve_vcc 1
		.amdhsa_float_round_mode_32 0
		.amdhsa_float_round_mode_16_64 0
		.amdhsa_float_denorm_mode_32 3
		.amdhsa_float_denorm_mode_16_64 3
		.amdhsa_dx10_clamp 1
		.amdhsa_ieee_mode 1
		.amdhsa_fp16_overflow 0
		.amdhsa_workgroup_processor_mode 1
		.amdhsa_memory_ordered 1
		.amdhsa_forward_progress 0
		.amdhsa_shared_vgpr_count 0
		.amdhsa_exception_fp_ieee_invalid_op 0
		.amdhsa_exception_fp_denorm_src 0
		.amdhsa_exception_fp_ieee_div_zero 0
		.amdhsa_exception_fp_ieee_overflow 0
		.amdhsa_exception_fp_ieee_underflow 0
		.amdhsa_exception_fp_ieee_inexact 0
		.amdhsa_exception_int_div_zero 0
	.end_amdhsa_kernel
	.section	.text._ZN2at6native12_GLOBAL__N_112gatherMedianIajLi2EEEvNS_4cuda6detail10TensorInfoIT_T0_EENS5_IlS7_EENS5_IKS6_S7_EES7_S7_S7_b,"axG",@progbits,_ZN2at6native12_GLOBAL__N_112gatherMedianIajLi2EEEvNS_4cuda6detail10TensorInfoIT_T0_EENS5_IlS7_EENS5_IKS6_S7_EES7_S7_S7_b,comdat
.Lfunc_end81:
	.size	_ZN2at6native12_GLOBAL__N_112gatherMedianIajLi2EEEvNS_4cuda6detail10TensorInfoIT_T0_EENS5_IlS7_EENS5_IKS6_S7_EES7_S7_S7_b, .Lfunc_end81-_ZN2at6native12_GLOBAL__N_112gatherMedianIajLi2EEEvNS_4cuda6detail10TensorInfoIT_T0_EENS5_IlS7_EENS5_IKS6_S7_EES7_S7_S7_b
                                        ; -- End function
	.section	.AMDGPU.csdata,"",@progbits
; Kernel info:
; codeLenInByte = 9708
; NumSgprs: 86
; NumVgprs: 36
; ScratchSize: 0
; MemoryBound: 0
; FloatMode: 240
; IeeeMode: 1
; LDSByteSize: 4120 bytes/workgroup (compile time only)
; SGPRBlocks: 10
; VGPRBlocks: 4
; NumSGPRsForWavesPerEU: 86
; NumVGPRsForWavesPerEU: 36
; Occupancy: 16
; WaveLimiterHint : 1
; COMPUTE_PGM_RSRC2:SCRATCH_EN: 0
; COMPUTE_PGM_RSRC2:USER_SGPR: 13
; COMPUTE_PGM_RSRC2:TRAP_HANDLER: 0
; COMPUTE_PGM_RSRC2:TGID_X_EN: 1
; COMPUTE_PGM_RSRC2:TGID_Y_EN: 1
; COMPUTE_PGM_RSRC2:TGID_Z_EN: 1
; COMPUTE_PGM_RSRC2:TIDIG_COMP_CNT: 0
	.section	.text._ZN2at6native12_GLOBAL__N_112gatherMedianIajLi3EEEvNS_4cuda6detail10TensorInfoIT_T0_EENS5_IlS7_EENS5_IKS6_S7_EES7_S7_S7_b,"axG",@progbits,_ZN2at6native12_GLOBAL__N_112gatherMedianIajLi3EEEvNS_4cuda6detail10TensorInfoIT_T0_EENS5_IlS7_EENS5_IKS6_S7_EES7_S7_S7_b,comdat
	.globl	_ZN2at6native12_GLOBAL__N_112gatherMedianIajLi3EEEvNS_4cuda6detail10TensorInfoIT_T0_EENS5_IlS7_EENS5_IKS6_S7_EES7_S7_S7_b ; -- Begin function _ZN2at6native12_GLOBAL__N_112gatherMedianIajLi3EEEvNS_4cuda6detail10TensorInfoIT_T0_EENS5_IlS7_EENS5_IKS6_S7_EES7_S7_S7_b
	.p2align	8
	.type	_ZN2at6native12_GLOBAL__N_112gatherMedianIajLi3EEEvNS_4cuda6detail10TensorInfoIT_T0_EENS5_IlS7_EENS5_IKS6_S7_EES7_S7_S7_b,@function
_ZN2at6native12_GLOBAL__N_112gatherMedianIajLi3EEEvNS_4cuda6detail10TensorInfoIT_T0_EENS5_IlS7_EENS5_IKS6_S7_EES7_S7_S7_b: ; @_ZN2at6native12_GLOBAL__N_112gatherMedianIajLi3EEEvNS_4cuda6detail10TensorInfoIT_T0_EENS5_IlS7_EENS5_IKS6_S7_EES7_S7_S7_b
; %bb.0:
	s_clause 0x1
	s_load_b64 s[10:11], s[0:1], 0x298
	s_load_b128 s[28:31], s[0:1], 0x288
	s_add_u32 s8, s0, 0x298
	s_addc_u32 s9, s1, 0
	s_waitcnt lgkmcnt(0)
	s_mul_i32 s2, s11, s15
	s_delay_alu instid0(SALU_CYCLE_1) | instskip(NEXT) | instid1(SALU_CYCLE_1)
	s_add_i32 s2, s2, s14
	s_mul_i32 s27, s2, s10
	s_delay_alu instid0(SALU_CYCLE_1) | instskip(NEXT) | instid1(SALU_CYCLE_1)
	s_add_i32 s27, s27, s13
	s_cmp_ge_u32 s27, s29
	s_cbranch_scc1 .LBB82_259
; %bb.1:
	s_clause 0x2
	s_load_b64 s[44:45], s[0:1], 0xc
	s_load_b64 s[34:35], s[0:1], 0xe4
	;; [unrolled: 1-line block ×3, first 2 shown]
	s_waitcnt lgkmcnt(0)
	v_cvt_f32_u32_e32 v1, s45
	v_cvt_f32_u32_e32 v2, s35
	s_sub_i32 s2, 0, s45
	v_cvt_f32_u32_e32 v3, s44
	s_delay_alu instid0(VALU_DEP_3) | instskip(NEXT) | instid1(VALU_DEP_2)
	v_rcp_iflag_f32_e32 v1, v1
	v_rcp_iflag_f32_e32 v2, v2
	s_delay_alu instid0(VALU_DEP_1) | instskip(SKIP_2) | instid1(VALU_DEP_1)
	v_rcp_iflag_f32_e32 v3, v3
	s_waitcnt_depctr 0xfff
	v_dual_mul_f32 v1, 0x4f7ffffe, v1 :: v_dual_mul_f32 v2, 0x4f7ffffe, v2
	v_cvt_u32_f32_e32 v1, v1
	s_delay_alu instid0(VALU_DEP_2) | instskip(NEXT) | instid1(VALU_DEP_2)
	v_cvt_u32_f32_e32 v2, v2
	v_readfirstlane_b32 s3, v1
	s_delay_alu instid0(VALU_DEP_2) | instskip(SKIP_1) | instid1(VALU_DEP_3)
	v_readfirstlane_b32 s11, v2
	v_cvt_f32_u32_e32 v1, s34
	s_mul_i32 s2, s2, s3
	s_delay_alu instid0(VALU_DEP_1) | instskip(SKIP_1) | instid1(SALU_CYCLE_1)
	v_rcp_iflag_f32_e32 v1, v1
	s_mul_hi_u32 s2, s3, s2
	s_add_i32 s3, s3, s2
	s_delay_alu instid0(SALU_CYCLE_1) | instskip(NEXT) | instid1(SALU_CYCLE_1)
	s_mul_hi_u32 s2, s27, s3
	s_mul_i32 s3, s2, s45
	s_add_i32 s4, s2, 1
	s_sub_i32 s3, s27, s3
	s_waitcnt_depctr 0xfff
	v_mul_f32_e32 v1, 0x4f7ffffe, v1
	s_sub_i32 s5, s3, s45
	s_cmp_ge_u32 s3, s45
	s_cselect_b32 s2, s4, s2
	s_cselect_b32 s3, s5, s3
	s_load_b128 s[4:7], s[0:1], 0x21c
	v_cvt_f32_u32_e32 v4, s15
	s_add_i32 s12, s2, 1
	s_cmp_ge_u32 s3, s45
	v_cvt_f32_u32_e32 v5, s14
	s_cselect_b32 s33, s12, s2
	v_rcp_iflag_f32_e32 v4, v4
	s_sub_i32 s2, 0, s35
	v_mul_f32_e32 v2, 0x4f7ffffe, v3
	s_mul_i32 s2, s2, s11
	s_sub_i32 s12, 0, s44
	s_mul_hi_u32 s2, s11, s2
	v_rcp_iflag_f32_e32 v5, v5
	s_add_i32 s11, s11, s2
	v_cvt_u32_f32_e32 v1, v1
	s_mul_hi_u32 s2, s27, s11
	s_waitcnt_depctr 0xfff
	v_mul_f32_e32 v3, 0x4f7ffffe, v4
	s_mul_i32 s3, s2, s35
	s_waitcnt lgkmcnt(0)
	s_add_i32 s7, s2, 1
	s_sub_i32 s3, s27, s3
	v_cvt_u32_f32_e32 v2, v2
	v_cvt_u32_f32_e32 v3, v3
	s_sub_i32 s11, s3, s35
	s_cmp_ge_u32 s3, s35
	v_mul_f32_e32 v4, 0x4f7ffffe, v5
	s_cselect_b32 s2, s7, s2
	s_cselect_b32 s3, s11, s3
	v_readfirstlane_b32 s16, v3
	s_add_i32 s7, s2, 1
	s_cmp_ge_u32 s3, s35
	v_cvt_u32_f32_e32 v3, v4
	s_cselect_b32 s29, s7, s2
	s_sub_i32 s2, 0, s15
	v_readfirstlane_b32 s11, v2
	s_mul_i32 s2, s2, s16
	v_readfirstlane_b32 s18, v3
	s_mul_hi_u32 s2, s16, s2
	v_readfirstlane_b32 s7, v1
	s_add_i32 s16, s16, s2
	s_mul_i32 s12, s12, s11
	s_mul_hi_u32 s2, s27, s16
	s_sub_i32 s16, 0, s34
	s_mul_i32 s3, s2, s15
	s_add_i32 s17, s2, 1
	s_sub_i32 s3, s27, s3
	s_mul_i32 s16, s16, s7
	s_sub_i32 s19, s3, s15
	s_cmp_ge_u32 s3, s15
	s_mul_hi_u32 s12, s11, s12
	s_cselect_b32 s2, s17, s2
	s_cselect_b32 s3, s19, s3
	s_add_i32 s17, s2, 1
	s_cmp_ge_u32 s3, s15
	s_mul_hi_u32 s19, s7, s16
	s_cselect_b32 s3, s17, s2
	s_sub_i32 s2, 0, s14
	s_delay_alu instid0(SALU_CYCLE_1) | instskip(SKIP_2) | instid1(SALU_CYCLE_1)
	s_mul_i32 s17, s2, s18
	v_cmp_eq_u32_e64 s2, 0, v0
	s_mul_hi_u32 s17, s18, s17
	s_add_i32 s18, s18, s17
	s_delay_alu instid0(VALU_DEP_1)
	s_and_saveexec_b32 s16, s2
	s_cbranch_execz .LBB82_3
; %bb.2:
	v_mov_b32_e32 v1, 0
	s_delay_alu instid0(VALU_DEP_1)
	v_mov_b32_e32 v2, v1
	ds_store_b64 v1, v[1:2] offset:4096
.LBB82_3:
	s_or_b32 exec_lo, exec_lo, s16
	v_mov_b32_e32 v1, 0
	s_waitcnt lgkmcnt(0)
	s_barrier
	buffer_gl0_inv
	s_barrier
	buffer_gl0_inv
	ds_load_b64 v[1:2], v1 offset:4096
	s_clause 0x2
	s_load_b128 s[36:39], s[0:1], 0x144
	s_load_b128 s[40:43], s[0:1], 0x6c
	s_load_b64 s[16:17], s[0:1], 0x1b0
	s_add_i32 s11, s11, s12
	s_add_i32 s12, s7, s19
	s_bitcmp1_b32 s31, 0
	s_mov_b32 s80, s28
	s_cselect_b32 s7, -1, 0
	s_waitcnt lgkmcnt(0)
	v_cmp_gt_i64_e32 vcc_lo, 1, v[1:2]
	s_or_b32 s19, s7, vcc_lo
	s_mul_hi_u32 s7, s3, s18
	s_and_not1_b32 vcc_lo, exec_lo, s19
	s_cbranch_vccnz .LBB82_5
; %bb.4:
	v_not_b32_e32 v1, v1
	v_not_b32_e32 v2, v2
	s_delay_alu instid0(VALU_DEP_2) | instskip(NEXT) | instid1(VALU_DEP_2)
	v_add_co_u32 v1, vcc_lo, v1, s28
	v_add_co_ci_u32_e32 v2, vcc_lo, 0, v2, vcc_lo
	s_delay_alu instid0(VALU_DEP_1) | instskip(NEXT) | instid1(VALU_DEP_1)
	v_lshrrev_b32_e32 v3, 31, v2
	v_add_co_u32 v1, vcc_lo, v1, v3
	v_add_co_ci_u32_e32 v2, vcc_lo, 0, v2, vcc_lo
	s_delay_alu instid0(VALU_DEP_1) | instskip(NEXT) | instid1(VALU_DEP_1)
	v_alignbit_b32 v1, v2, v1, 1
	v_readfirstlane_b32 s18, v1
	s_delay_alu instid0(VALU_DEP_1)
	s_add_i32 s80, s18, 1
.LBB82_5:
	s_clause 0x1
	s_load_b64 s[46:47], s[0:1], 0xd8
	s_load_b64 s[50:51], s[0:1], 0x0
	s_mul_hi_u32 s43, s33, s11
	s_mul_hi_u32 s31, s29, s12
	s_and_saveexec_b32 s0, s2
	s_cbranch_execz .LBB82_7
; %bb.6:
	v_dual_mov_b32 v1, 0 :: v_dual_mov_b32 v2, s28
	ds_store_b32 v1, v1 offset:4112
	ds_store_b64 v1, v[1:2] offset:4104
.LBB82_7:
	s_or_b32 exec_lo, exec_lo, s0
	s_mul_i32 s1, s7, s14
	s_mul_i32 s0, s3, s15
	s_sub_i32 s1, s3, s1
	s_sub_i32 s0, s27, s0
	s_add_i32 s11, s7, 1
	s_sub_i32 s12, s1, s14
	s_cmp_ge_u32 s1, s14
	s_waitcnt lgkmcnt(0)
	s_barrier
	buffer_gl0_inv
	s_load_b32 s15, s[8:9], 0xc
	s_cselect_b32 s7, s11, s7
	s_cselect_b32 s1, s12, s1
	s_add_i32 s11, s7, 1
	s_cmp_ge_u32 s1, s14
	s_mul_i32 s0, s0, s6
	s_cselect_b32 s1, s11, s7
	v_mbcnt_lo_u32_b32 v12, -1, 0
	s_mul_i32 s7, s1, s14
	s_mul_i32 s1, s1, s4
	s_sub_i32 s3, s3, s7
	v_cmp_gt_u32_e32 vcc_lo, 32, v0
	s_mul_i32 s3, s3, s5
	v_mul_lo_u32 v11, v0, s30
	s_add_i32 s0, s3, s0
	v_dual_mov_b32 v22, 0 :: v_dual_lshlrev_b32 v13, 2, v0
	s_add_i32 s0, s0, s1
	v_lshrrev_b32_e32 v3, 3, v0
	s_add_u32 s48, s16, s0
	s_addc_u32 s49, s17, 0
	s_waitcnt lgkmcnt(0)
	s_and_b32 s39, s15, 0xffff
	v_cmp_gt_i32_e64 s0, 4, v12
	s_lshl_b32 s54, s39, 2
	s_add_i32 s56, s39, -1
	v_cvt_f32_u32_e32 v1, s54
	s_bfe_u32 s1, s15, 0xb0005
	s_and_b32 s57, vcc_lo, s0
	s_add_i32 s6, s56, s28
	s_cmpk_gt_u32 s28, 0xc00
	v_rcp_iflag_f32_e32 v1, v1
	s_cselect_b32 s58, -1, 0
	s_cmp_gt_u32 s39, 31
	v_cvt_f32_u32_e32 v2, s39
	s_cselect_b32 s59, -1, 0
	s_cmp_lt_u32 s13, s10
	v_dual_mov_b32 v21, 0 :: v_dual_and_b32 v14, 0x7c, v3
	s_cselect_b32 s0, 12, 18
	v_rcp_iflag_f32_e32 v2, v2
	s_waitcnt_depctr 0xfff
	v_mul_f32_e32 v1, 0x4f7ffffe, v1
	s_add_u32 s52, s8, s0
	s_addc_u32 s53, s9, 0
	s_add_i32 s0, s1, -1
	s_bfe_u32 s60, s39, 0x30005
	v_cvt_u32_f32_e32 v1, v1
	s_cmp_gt_u32 s0, 6
	v_lshlrev_b32_e32 v18, 2, v11
	s_cselect_b32 s61, -1, 0
	s_and_b32 s62, s1, 0x7f8
	v_readfirstlane_b32 s1, v1
	s_cmp_lg_u32 s60, 0
	v_mul_f32_e32 v1, 0x4f7ffffe, v2
	s_cselect_b32 s63, -1, 0
	s_sub_i32 s0, 0, s54
	v_add_co_u32 v5, s8, s48, v11
	s_mul_i32 s0, s0, s1
	v_cvt_u32_f32_e32 v1, v1
	s_mul_hi_u32 s3, s1, s0
	v_add_co_ci_u32_e64 v6, null, s49, 0, s8
	s_add_i32 s65, s1, s3
	v_or_b32_e32 v3, 3, v13
	s_mul_hi_u32 s1, s28, s65
	v_mad_u64_u32 v[9:10], null, s30, v13, s[30:31]
	s_mul_i32 s3, s1, s54
	s_delay_alu instid0(VALU_DEP_2)
	v_mul_lo_u32 v17, s30, v3
	s_sub_i32 s3, s28, s3
	v_cmp_gt_u32_e64 s0, s28, v0
	s_sub_i32 s4, s3, s54
	s_cmp_ge_u32 s3, s54
	v_cmp_gt_u32_e64 s1, 2, v0
	s_cselect_b32 s3, s4, s3
	v_readfirstlane_b32 s4, v1
	s_sub_i32 s5, s3, s54
	s_cmp_ge_u32 s3, s54
	v_lshlrev_b64 v[1:2], v12, -1
	s_cselect_b32 s7, s5, s3
	s_sub_i32 s5, 0, s39
	s_sub_i32 s67, s28, s7
	s_mul_i32 s5, s5, s4
	v_add_nc_u32_e32 v16, s67, v0
	s_mul_hi_u32 s5, s4, s5
	v_not_b32_e32 v15, v1
	s_add_i32 s66, s4, s5
	v_or_b32_e32 v2, 2, v13
	s_mul_hi_u32 s4, s6, s66
	v_mul_lo_u32 v1, v16, s30
	s_mul_i32 s4, s4, s39
	v_cmp_eq_u32_e64 s3, 0, v12
	s_sub_i32 s4, s6, s4
	v_mul_lo_u32 v10, s30, v2
	s_sub_i32 s5, s4, s39
	s_cmp_ge_u32 s4, s39
	v_lshl_or_b32 v20, v12, 2, 0xc00
	s_cselect_b32 s5, s5, s4
	v_cmp_gt_u32_e64 s4, s67, v13
	s_sub_i32 s8, s5, s39
	s_cmp_ge_u32 s5, s39
	s_mul_i32 s55, s30, s39
	s_cselect_b32 s8, s8, s5
	v_cmp_gt_u32_e64 s5, s28, v16
	s_sub_i32 s68, s6, s8
	v_add_co_u32 v7, s6, s48, v1
	v_add3_u32 v1, s39, s28, v0
	v_add_co_ci_u32_e64 v8, null, s49, 0, s6
	v_cmp_gt_u32_e64 s6, s68, v0
	s_mov_b32 s64, 0
	s_delay_alu instid0(VALU_DEP_3)
	v_subrev_nc_u32_e32 v1, s7, v1
	s_mov_b32 s69, 6
	s_lshl_b32 s70, s55, 2
	s_mov_b32 s76, 0
	s_mov_b32 s78, 0
	v_mul_lo_u32 v19, s30, v1
	s_mov_b32 s79, 0
                                        ; implicit-def: $sgpr71
                                        ; implicit-def: $sgpr73
                                        ; implicit-def: $sgpr72
                                        ; implicit-def: $sgpr75
                                        ; implicit-def: $sgpr77
                                        ; implicit-def: $sgpr74
	s_branch .LBB82_12
.LBB82_8:                               ;   in Loop: Header=BB82_12 Depth=1
	s_xor_b32 s76, s76, 1
	s_add_i32 s11, s69, -2
	s_cmp_eq_u32 s69, 0
	s_mov_b32 s7, 0
	s_cselect_b32 s10, -1, 0
	s_mov_b32 s69, s11
.LBB82_9:                               ;   in Loop: Header=BB82_12 Depth=1
	s_and_not1_b32 s11, s13, exec_lo
	s_and_b32 s7, s7, exec_lo
	s_and_not1_b32 s14, s14, exec_lo
	s_or_b32 s13, s11, s7
	s_and_not1_b32 s12, s12, exec_lo
	s_or_not1_b32 s11, s10, exec_lo
	s_mov_b32 s80, s20
.LBB82_10:                              ;   in Loop: Header=BB82_12 Depth=1
	s_or_b32 exec_lo, exec_lo, s8
	s_delay_alu instid0(SALU_CYCLE_1)
	s_and_not1_b32 s7, s74, exec_lo
	s_and_b32 s8, s13, exec_lo
	s_and_not1_b32 s10, s75, exec_lo
	s_or_b32 s74, s7, s8
	s_and_not1_b32 s7, s77, exec_lo
	s_and_b32 s8, s14, exec_lo
	s_and_b32 s12, s12, exec_lo
	s_or_b32 s77, s7, s8
	s_or_b32 s75, s10, s12
	s_or_not1_b32 s12, s11, exec_lo
.LBB82_11:                              ;   in Loop: Header=BB82_12 Depth=1
	s_or_b32 exec_lo, exec_lo, s9
	s_delay_alu instid0(SALU_CYCLE_1)
	s_and_b32 s7, exec_lo, s12
	v_mov_b32_e32 v1, s78
	s_or_b32 s64, s7, s64
	s_and_not1_b32 s7, s72, exec_lo
	s_and_b32 s8, s74, exec_lo
	s_and_not1_b32 s9, s71, exec_lo
	s_or_b32 s72, s7, s8
	s_and_not1_b32 s7, s73, exec_lo
	s_and_b32 s8, s77, exec_lo
	s_and_b32 s10, s75, exec_lo
	s_or_b32 s73, s7, s8
	s_or_b32 s71, s9, s10
	s_and_not1_b32 exec_lo, exec_lo, s64
	s_cbranch_execz .LBB82_242
.LBB82_12:                              ; =>This Loop Header: Depth=1
                                        ;     Child Loop BB82_17 Depth 2
                                        ;     Child Loop BB82_32 Depth 2
	;; [unrolled: 1-line block ×16, first 2 shown]
	ds_load_b64 v[1:2], v21 offset:4104
	s_waitcnt lgkmcnt(0)
	v_readfirstlane_b32 s81, v1
	s_delay_alu instid0(VALU_DEP_1)
	s_cmp_lg_u32 s81, 0
	s_cbranch_scc1 .LBB82_39
; %bb.13:                               ;   in Loop: Header=BB82_12 Depth=1
	s_and_b32 vcc_lo, exec_lo, s58
	s_cbranch_vccz .LBB82_25
; %bb.14:                               ;   in Loop: Header=BB82_12 Depth=1
	v_cmp_gt_u32_e32 vcc_lo, 0xc01, v2
	s_mov_b32 s81, 0
	s_mov_b32 s7, 0
	s_cbranch_vccz .LBB82_26
; %bb.15:                               ;   in Loop: Header=BB82_12 Depth=1
	global_load_u16 v1, v21, s[52:53]
	global_load_u8 v4, v[5:6], off
	v_mov_b32_e32 v23, v0
	s_mov_b32 s9, 0
	s_waitcnt vmcnt(1)
	v_add_nc_u32_e32 v2, v0, v1
	v_mul_lo_u32 v3, s30, v1
	s_delay_alu instid0(VALU_DEP_2)
	v_mul_lo_u32 v2, s30, v2
	s_branch .LBB82_17
.LBB82_16:                              ;   in Loop: Header=BB82_17 Depth=2
	s_or_b32 exec_lo, exec_lo, s8
	v_add_nc_u32_e32 v2, v2, v3
	v_mov_b32_e32 v4, v24
	s_and_not1_b32 exec_lo, exec_lo, s9
	s_cbranch_execz .LBB82_127
.LBB82_17:                              ;   Parent Loop BB82_12 Depth=1
                                        ; =>  This Inner Loop Header: Depth=2
	v_dual_mov_b32 v24, 0 :: v_dual_add_nc_u32 v23, v23, v1
	s_waitcnt lgkmcnt(0)
	v_mov_b32_e32 v25, 0
	s_mov_b32 s8, exec_lo
	s_delay_alu instid0(VALU_DEP_2)
	v_cmp_le_u32_e32 vcc_lo, s28, v23
	v_cmpx_gt_u32_e64 s28, v23
	s_cbranch_execz .LBB82_19
; %bb.18:                               ;   in Loop: Header=BB82_17 Depth=2
	global_load_u8 v24, v2, s[48:49]
.LBB82_19:                              ;   in Loop: Header=BB82_17 Depth=2
	s_or_b32 exec_lo, exec_lo, s8
	s_waitcnt vmcnt(0)
	v_bfe_i32 v26, v4, 0, 8
	s_delay_alu instid0(VALU_DEP_1) | instskip(NEXT) | instid1(VALU_DEP_1)
	v_add_nc_u32_e32 v26, 0x80, v26
	v_and_b32_e32 v26, s79, v26
	s_delay_alu instid0(VALU_DEP_1) | instskip(NEXT) | instid1(VALU_DEP_1)
	v_cmp_eq_u32_e64 s7, s78, v26
	s_cmp_lg_u32 s7, 0
	s_cselect_b32 s8, -1, 0
	s_delay_alu instid0(SALU_CYCLE_1) | instskip(NEXT) | instid1(SALU_CYCLE_1)
	s_and_b32 s8, s3, s8
	s_and_saveexec_b32 s10, s8
	s_cbranch_execz .LBB82_23
; %bb.20:                               ;   in Loop: Header=BB82_17 Depth=2
	s_mov_b32 s13, exec_lo
	s_bcnt1_i32_b32 s11, s7
	v_mbcnt_lo_u32_b32 v25, s13, 0
	s_mov_b32 s12, exec_lo
                                        ; implicit-def: $vgpr26
	s_delay_alu instid0(VALU_DEP_1)
	v_cmpx_eq_u32_e32 0, v25
	s_cbranch_execz .LBB82_22
; %bb.21:                               ;   in Loop: Header=BB82_17 Depth=2
	s_bcnt1_i32_b32 s8, s13
	s_delay_alu instid0(SALU_CYCLE_1) | instskip(NEXT) | instid1(SALU_CYCLE_1)
	s_mul_i32 s8, s11, s8
	v_mov_b32_e32 v26, s8
	ds_add_rtn_u32 v26, v21, v26 offset:4112
.LBB82_22:                              ;   in Loop: Header=BB82_17 Depth=2
	s_or_b32 exec_lo, exec_lo, s12
	s_waitcnt lgkmcnt(0)
	v_readfirstlane_b32 s8, v26
	s_delay_alu instid0(VALU_DEP_1)
	v_mad_u32_u24 v25, s11, v25, s8
.LBB82_23:                              ;   in Loop: Header=BB82_17 Depth=2
	s_or_b32 exec_lo, exec_lo, s10
	ds_bpermute_b32 v25, v21, v25
	s_and_b32 s8, exec_lo, vcc_lo
	s_delay_alu instid0(SALU_CYCLE_1)
	s_or_b32 s9, s8, s9
	s_and_saveexec_b32 s8, s7
	s_cbranch_execz .LBB82_16
; %bb.24:                               ;   in Loop: Header=BB82_17 Depth=2
	v_and_b32_e32 v26, s7, v15
	s_waitcnt lgkmcnt(0)
	s_delay_alu instid0(VALU_DEP_1)
	v_bcnt_u32_b32 v25, v26, v25
	ds_store_b8 v25, v4
	s_branch .LBB82_16
.LBB82_25:                              ;   in Loop: Header=BB82_12 Depth=1
	s_mov_b32 s81, -1
	s_mov_b32 s7, 0
.LBB82_26:                              ;   in Loop: Header=BB82_12 Depth=1
	s_and_b32 vcc_lo, exec_lo, s81
	s_cbranch_vccz .LBB82_37
.LBB82_27:                              ;   in Loop: Header=BB82_12 Depth=1
	v_mov_b32_e32 v1, 0
	s_and_saveexec_b32 s7, s0
	s_cbranch_execz .LBB82_29
; %bb.28:                               ;   in Loop: Header=BB82_12 Depth=1
	global_load_u8 v1, v[5:6], off
.LBB82_29:                              ;   in Loop: Header=BB82_12 Depth=1
	s_or_b32 exec_lo, exec_lo, s7
	s_and_saveexec_b32 s8, s0
	s_cbranch_execz .LBB82_34
; %bb.30:                               ;   in Loop: Header=BB82_12 Depth=1
	global_load_u16 v2, v21, s[52:53]
	v_mov_b32_e32 v23, v0
	s_mov_b32 s9, 0
	s_waitcnt vmcnt(0)
	v_add_nc_u32_e32 v3, v0, v2
	v_mul_lo_u32 v4, s30, v2
	s_delay_alu instid0(VALU_DEP_2)
	v_mul_lo_u32 v3, s30, v3
	s_branch .LBB82_32
	.p2align	6
.LBB82_31:                              ;   in Loop: Header=BB82_32 Depth=2
	s_or_b32 exec_lo, exec_lo, s10
	ds_store_b8 v23, v1
	v_add_nc_u32_e32 v3, v3, v4
	s_waitcnt vmcnt(0)
	v_mov_b32_e32 v1, v25
	v_mov_b32_e32 v23, v24
	s_and_b32 s7, exec_lo, vcc_lo
	s_delay_alu instid0(SALU_CYCLE_1) | instskip(NEXT) | instid1(SALU_CYCLE_1)
	s_or_b32 s9, s7, s9
	s_and_not1_b32 exec_lo, exec_lo, s9
	s_cbranch_execz .LBB82_34
.LBB82_32:                              ;   Parent Loop BB82_12 Depth=1
                                        ; =>  This Inner Loop Header: Depth=2
	v_dual_mov_b32 v25, 0 :: v_dual_add_nc_u32 v24, v23, v2
	s_mov_b32 s10, exec_lo
	s_delay_alu instid0(VALU_DEP_1)
	v_cmp_le_u32_e32 vcc_lo, s28, v24
	v_cmpx_gt_u32_e64 s28, v24
	s_cbranch_execz .LBB82_31
; %bb.33:                               ;   in Loop: Header=BB82_32 Depth=2
	global_load_u8 v25, v3, s[48:49]
	s_branch .LBB82_31
.LBB82_34:                              ;   in Loop: Header=BB82_12 Depth=1
	s_or_b32 exec_lo, exec_lo, s8
	s_waitcnt vmcnt(0) lgkmcnt(0)
	s_barrier
	buffer_gl0_inv
	s_and_saveexec_b32 s7, s2
	s_cbranch_execz .LBB82_36
; %bb.35:                               ;   in Loop: Header=BB82_12 Depth=1
	v_mov_b32_e32 v1, s28
	ds_store_b32 v21, v1 offset:4104
.LBB82_36:                              ;   in Loop: Header=BB82_12 Depth=1
	s_or_b32 exec_lo, exec_lo, s7
	s_mov_b32 s7, -1
	s_waitcnt lgkmcnt(0)
	s_barrier
                                        ; implicit-def: $sgpr81
.LBB82_37:                              ;   in Loop: Header=BB82_12 Depth=1
	s_and_b32 vcc_lo, exec_lo, s7
	s_cbranch_vccz .LBB82_39
; %bb.38:                               ;   in Loop: Header=BB82_12 Depth=1
	buffer_gl0_inv
	ds_load_b32 v1, v21 offset:4104
	s_waitcnt lgkmcnt(0)
	v_readfirstlane_b32 s81, v1
.LBB82_39:                              ;   in Loop: Header=BB82_12 Depth=1
	s_delay_alu instid0(VALU_DEP_1)
	s_cmp_lt_i32 s81, 1
	s_cbranch_scc0 .LBB82_43
; %bb.40:                               ;   in Loop: Header=BB82_12 Depth=1
	v_dual_mov_b32 v1, 0 :: v_dual_mov_b32 v2, 0
	v_dual_mov_b32 v3, 0 :: v_dual_mov_b32 v4, 0
	s_mov_b32 s83, 0
	s_and_saveexec_b32 s82, s4
	s_cbranch_execnz .LBB82_44
; %bb.41:                               ;   in Loop: Header=BB82_12 Depth=1
	s_or_b32 exec_lo, exec_lo, s82
	v_mov_b32_e32 v26, 0
	s_and_saveexec_b32 s7, s5
	s_cbranch_execnz .LBB82_47
.LBB82_42:                              ;   in Loop: Header=BB82_12 Depth=1
	s_or_b32 exec_lo, exec_lo, s7
	s_and_saveexec_b32 s11, s5
	s_cbranch_execnz .LBB82_48
	s_branch .LBB82_53
.LBB82_43:                              ;   in Loop: Header=BB82_12 Depth=1
                                        ; implicit-def: $vgpr4
	s_cbranch_execnz .LBB82_54
	s_branch .LBB82_63
.LBB82_44:                              ;   in Loop: Header=BB82_12 Depth=1
	v_mov_b32_e32 v23, v13
	s_and_b32 s84, s69, 0xfe
	s_mov_b32 s85, 0
	s_mov_b32 s86, 0
	;; [unrolled: 1-line block ×5, first 2 shown]
.LBB82_45:                              ;   Parent Loop BB82_12 Depth=1
                                        ; =>  This Inner Loop Header: Depth=2
	v_add_nc_u32_e32 v1, s85, v18
	v_add_nc_u32_e32 v2, s85, v9
	;; [unrolled: 1-line block ×5, first 2 shown]
	s_clause 0x3
	global_load_i8 v1, v1, s[48:49]
	global_load_i8 v2, v2, s[48:49]
	;; [unrolled: 1-line block ×4, first 2 shown]
	s_add_i32 s85, s85, s70
	v_cmp_le_u32_e32 vcc_lo, s67, v23
	s_waitcnt vmcnt(3)
	v_add_nc_u32_e32 v1, 0x80, v1
	s_waitcnt vmcnt(2)
	v_add_nc_u32_e32 v2, 0x80, v2
	;; [unrolled: 2-line block ×4, first 2 shown]
	v_and_b32_e32 v24, s79, v1
	v_bfe_u32 v1, v1, s84, 2
	v_and_b32_e32 v25, s79, v2
	v_bfe_u32 v2, v2, s84, 2
	;; [unrolled: 2-line block ×3, first 2 shown]
	v_cmp_eq_u32_e64 s7, s78, v24
	v_cmp_eq_u32_e64 s11, 0, v1
	v_and_b32_e32 v27, s79, v4
	v_bfe_u32 v4, v4, s84, 2
	v_cmp_eq_u32_e64 s8, s78, v25
	v_cmp_eq_u32_e64 s12, 0, v2
	;; [unrolled: 1-line block ×4, first 2 shown]
	s_and_b32 s11, s7, s11
	v_cmp_eq_u32_e64 s10, s78, v27
	v_cmp_eq_u32_e64 s14, 0, v4
	;; [unrolled: 1-line block ×5, first 2 shown]
	v_cndmask_b32_e64 v1, 0, 1, s11
	s_and_b32 s11, s8, s12
	v_cmp_eq_u32_e64 s16, 1, v2
	v_cmp_eq_u32_e64 s20, 2, v2
	v_cmp_eq_u32_e64 s24, 3, v2
	v_cndmask_b32_e64 v2, 0, 1, s11
	s_and_b32 s11, s9, s13
	v_cmp_eq_u32_e64 s17, 1, v3
	v_cmp_eq_u32_e64 s21, 2, v3
	v_cmp_eq_u32_e64 s25, 3, v3
	v_cndmask_b32_e64 v3, 0, 1, s11
	s_and_b32 s11, s10, s14
	v_cmp_eq_u32_e64 s18, 1, v4
	v_cmp_eq_u32_e64 s22, 2, v4
	v_cmp_eq_u32_e64 s26, 3, v4
	v_cndmask_b32_e64 v4, 0, 1, s11
	s_and_b32 s11, s7, s15
	s_delay_alu instid0(SALU_CYCLE_1) | instskip(SKIP_1) | instid1(SALU_CYCLE_1)
	v_cndmask_b32_e64 v24, 0, 1, s11
	s_and_b32 s11, s8, s16
	v_cndmask_b32_e64 v25, 0, 1, s11
	s_and_b32 s11, s9, s17
	s_delay_alu instid0(SALU_CYCLE_1) | instskip(SKIP_1) | instid1(VALU_DEP_2)
	v_cndmask_b32_e64 v26, 0, 1, s11
	s_and_b32 s11, s10, s18
	v_cmp_ne_u32_e64 s12, 0, v25
	v_cndmask_b32_e64 v27, 0, 1, s11
	s_and_b32 s11, s7, s19
	s_and_b32 s7, s7, s23
	v_cndmask_b32_e64 v28, 0, 1, s11
	s_and_b32 s11, s8, s20
	v_cndmask_b32_e64 v32, 0, 1, s7
	;; [unrolled: 2-line block ×7, first 2 shown]
	v_cndmask_b32_e64 v35, 0, 1, s7
	v_cmp_ne_u32_e64 s7, 0, v1
	v_cmp_ne_u32_e64 s11, 0, v24
	;; [unrolled: 1-line block ×11, first 2 shown]
	s_bcnt1_i32_b32 s7, s7
	s_bcnt1_i32_b32 s11, s11
	;; [unrolled: 1-line block ×4, first 2 shown]
	v_cmp_ne_u32_e64 s10, 0, v4
	v_cmp_ne_u32_e64 s14, 0, v27
	;; [unrolled: 1-line block ×4, first 2 shown]
	s_bcnt1_i32_b32 s8, s8
	s_bcnt1_i32_b32 s12, s12
	s_bcnt1_i32_b32 s16, s16
	s_bcnt1_i32_b32 s20, s20
	s_add_i32 s7, s7, s89
	s_add_i32 s11, s11, s88
	s_add_i32 s15, s15, s87
	s_add_i32 s19, s19, s86
	s_bcnt1_i32_b32 s9, s9
	s_bcnt1_i32_b32 s13, s13
	s_bcnt1_i32_b32 s17, s17
	s_bcnt1_i32_b32 s21, s21
	s_add_i32 s7, s7, s8
	s_add_i32 s8, s11, s12
	s_add_i32 s11, s15, s16
	s_add_i32 s12, s19, s20
	;; [unrolled: 8-line block ×3, first 2 shown]
	s_add_i32 s89, s7, s10
	s_add_i32 s88, s8, s14
	;; [unrolled: 1-line block ×4, first 2 shown]
	v_mov_b32_e32 v3, s87
	v_dual_mov_b32 v1, s89 :: v_dual_mov_b32 v2, s88
	v_mov_b32_e32 v4, s86
	s_or_b32 s83, vcc_lo, s83
	s_delay_alu instid0(SALU_CYCLE_1)
	s_and_not1_b32 exec_lo, exec_lo, s83
	s_cbranch_execnz .LBB82_45
; %bb.46:                               ;   in Loop: Header=BB82_12 Depth=1
	s_or_b32 exec_lo, exec_lo, s83
	s_delay_alu instid0(SALU_CYCLE_1)
	s_or_b32 exec_lo, exec_lo, s82
	v_mov_b32_e32 v26, 0
	s_and_saveexec_b32 s7, s5
	s_cbranch_execz .LBB82_42
.LBB82_47:                              ;   in Loop: Header=BB82_12 Depth=1
	global_load_u8 v26, v[7:8], off
	s_or_b32 exec_lo, exec_lo, s7
	s_and_saveexec_b32 s11, s5
	s_cbranch_execz .LBB82_53
.LBB82_48:                              ;   in Loop: Header=BB82_12 Depth=1
	v_dual_mov_b32 v23, v19 :: v_dual_mov_b32 v24, v16
	s_and_b32 s13, s69, 0xfe
	s_mov_b32 s12, 0
	s_branch .LBB82_50
.LBB82_49:                              ;   in Loop: Header=BB82_50 Depth=2
	s_or_b32 exec_lo, exec_lo, s8
	s_waitcnt vmcnt(0)
	v_bfe_i32 v26, v26, 0, 8
	s_and_b32 s8, exec_lo, vcc_lo
	v_add_nc_u32_e32 v23, s55, v23
	s_or_b32 s12, s8, s12
	s_delay_alu instid0(VALU_DEP_2) | instskip(NEXT) | instid1(VALU_DEP_1)
	v_add_nc_u32_e32 v26, 0x80, v26
	v_and_b32_e32 v27, s79, v26
	v_bfe_u32 v26, v26, s13, 2
	s_delay_alu instid0(VALU_DEP_2) | instskip(NEXT) | instid1(VALU_DEP_2)
	v_cmp_eq_u32_e32 vcc_lo, s78, v27
	v_cmp_eq_u32_e64 s7, 0, v26
	v_cmp_eq_u32_e64 s8, 1, v26
	;; [unrolled: 1-line block ×4, first 2 shown]
	s_delay_alu instid0(VALU_DEP_4) | instskip(NEXT) | instid1(SALU_CYCLE_1)
	s_and_b32 s7, vcc_lo, s7
	v_cndmask_b32_e64 v26, 0, 1, s7
	s_and_b32 s7, vcc_lo, s8
	s_delay_alu instid0(SALU_CYCLE_1) | instskip(SKIP_1) | instid1(SALU_CYCLE_1)
	v_cndmask_b32_e64 v27, 0, 1, s7
	s_and_b32 s7, vcc_lo, s9
	v_cndmask_b32_e64 v28, 0, 1, s7
	s_and_b32 s7, vcc_lo, s10
	v_cmp_ne_u32_e32 vcc_lo, 0, v26
	v_mov_b32_e32 v26, v25
	v_cndmask_b32_e64 v29, 0, 1, s7
	v_cmp_ne_u32_e64 s7, 0, v27
	v_cmp_ne_u32_e64 s8, 0, v28
	s_bcnt1_i32_b32 s10, vcc_lo
	s_delay_alu instid0(VALU_DEP_3) | instskip(NEXT) | instid1(VALU_DEP_3)
	v_cmp_ne_u32_e64 s9, 0, v29
	s_bcnt1_i32_b32 s7, s7
	s_delay_alu instid0(VALU_DEP_2)
	s_bcnt1_i32_b32 s8, s8
	v_add_nc_u32_e32 v1, s10, v1
	v_add_nc_u32_e32 v2, s7, v2
	s_bcnt1_i32_b32 s9, s9
	v_add_nc_u32_e32 v3, s8, v3
	v_add_nc_u32_e32 v4, s9, v4
	s_and_not1_b32 exec_lo, exec_lo, s12
	s_cbranch_execz .LBB82_52
.LBB82_50:                              ;   Parent Loop BB82_12 Depth=1
                                        ; =>  This Inner Loop Header: Depth=2
	s_delay_alu instid0(VALU_DEP_1) | instskip(SKIP_1) | instid1(VALU_DEP_1)
	v_dual_mov_b32 v25, 0 :: v_dual_add_nc_u32 v24, s39, v24
	s_mov_b32 s8, exec_lo
	v_cmp_le_u32_e32 vcc_lo, s28, v24
	v_cmpx_gt_u32_e64 s28, v24
	s_cbranch_execz .LBB82_49
; %bb.51:                               ;   in Loop: Header=BB82_50 Depth=2
	global_load_u8 v25, v23, s[48:49]
	s_branch .LBB82_49
.LBB82_52:                              ;   in Loop: Header=BB82_12 Depth=1
	s_or_b32 exec_lo, exec_lo, s12
.LBB82_53:                              ;   in Loop: Header=BB82_12 Depth=1
	s_delay_alu instid0(SALU_CYCLE_1)
	s_or_b32 exec_lo, exec_lo, s11
	s_branch .LBB82_63
.LBB82_54:                              ;   in Loop: Header=BB82_12 Depth=1
	s_mul_hi_u32 s7, s81, s65
	v_dual_mov_b32 v1, 0 :: v_dual_mov_b32 v2, 0
	s_mul_i32 s7, s7, s54
	v_dual_mov_b32 v3, 0 :: v_dual_mov_b32 v4, 0
	s_sub_i32 s7, s81, s7
	s_mov_b32 s84, 0
	s_sub_i32 s8, s7, s54
	s_cmp_ge_u32 s7, s54
	s_mov_b32 s83, exec_lo
	s_cselect_b32 s7, s8, s7
	s_delay_alu instid0(SALU_CYCLE_1) | instskip(SKIP_2) | instid1(SALU_CYCLE_1)
	s_sub_i32 s8, s7, s54
	s_cmp_ge_u32 s7, s54
	s_cselect_b32 s7, s8, s7
	s_sub_i32 s82, s81, s7
	s_delay_alu instid0(SALU_CYCLE_1)
	v_cmpx_gt_u32_e64 s82, v13
	s_cbranch_execz .LBB82_58
; %bb.55:                               ;   in Loop: Header=BB82_12 Depth=1
	v_mov_b32_e32 v23, v13
	s_and_b32 s85, s69, 0xfe
	s_mov_b32 s86, 0
	s_mov_b32 s87, 0
	;; [unrolled: 1-line block ×4, first 2 shown]
.LBB82_56:                              ;   Parent Loop BB82_12 Depth=1
                                        ; =>  This Inner Loop Header: Depth=2
	ds_load_b32 v1, v23
	s_waitcnt lgkmcnt(0)
	v_bfe_i32 v2, v1, 0, 8
	v_bfe_i32 v3, v1, 8, 8
	;; [unrolled: 1-line block ×3, first 2 shown]
	v_ashrrev_i32_e32 v1, 24, v1
	s_delay_alu instid0(VALU_DEP_4) | instskip(NEXT) | instid1(VALU_DEP_4)
	v_add_nc_u32_e32 v2, 0x80, v2
	v_add_nc_u32_e32 v3, 0x80, v3
	s_delay_alu instid0(VALU_DEP_4) | instskip(NEXT) | instid1(VALU_DEP_4)
	v_add_nc_u32_e32 v4, 0x80, v4
	v_add_nc_u32_e32 v1, 0x80, v1
	s_delay_alu instid0(VALU_DEP_4)
	v_and_b32_e32 v24, s79, v2
	v_bfe_u32 v2, v2, s85, 2
	v_and_b32_e32 v25, s79, v3
	v_bfe_u32 v3, v3, s85, 2
	s_waitcnt vmcnt(0)
	v_and_b32_e32 v26, s79, v4
	v_bfe_u32 v4, v4, s85, 2
	v_cmp_eq_u32_e64 s7, s78, v24
	v_cmp_eq_u32_e64 s11, 0, v2
	v_and_b32_e32 v27, s79, v1
	v_bfe_u32 v1, v1, s85, 2
	v_cmp_eq_u32_e64 s8, s78, v25
	v_cmp_eq_u32_e64 s12, 0, v3
	;; [unrolled: 1-line block ×4, first 2 shown]
	s_and_b32 s11, s7, s11
	v_cmp_eq_u32_e64 s10, s78, v27
	v_cmp_eq_u32_e64 s14, 0, v1
	;; [unrolled: 1-line block ×5, first 2 shown]
	v_cndmask_b32_e64 v1, 0, 1, s11
	s_and_b32 s11, s8, s12
	v_cmp_eq_u32_e64 s15, 1, v2
	v_cmp_eq_u32_e64 s19, 2, v2
	v_cmp_eq_u32_e64 s23, 3, v2
	v_cndmask_b32_e64 v2, 0, 1, s11
	s_and_b32 s11, s9, s13
	v_cmp_eq_u32_e64 s16, 1, v3
	v_cmp_eq_u32_e64 s20, 2, v3
	v_cmp_eq_u32_e64 s24, 3, v3
	;; [unrolled: 5-line block ×3, first 2 shown]
	v_cndmask_b32_e64 v4, 0, 1, s11
	s_and_b32 s11, s7, s15
	s_delay_alu instid0(SALU_CYCLE_1) | instskip(SKIP_1) | instid1(SALU_CYCLE_1)
	v_cndmask_b32_e64 v24, 0, 1, s11
	s_and_b32 s11, s8, s16
	v_cndmask_b32_e64 v25, 0, 1, s11
	s_and_b32 s11, s9, s17
	s_delay_alu instid0(SALU_CYCLE_1) | instskip(SKIP_1) | instid1(VALU_DEP_2)
	v_cndmask_b32_e64 v26, 0, 1, s11
	s_and_b32 s11, s10, s18
	v_cmp_ne_u32_e64 s12, 0, v25
	v_cndmask_b32_e64 v27, 0, 1, s11
	s_and_b32 s11, s7, s19
	s_and_b32 s7, s7, s23
	v_cndmask_b32_e64 v28, 0, 1, s11
	s_and_b32 s11, s8, s20
	v_cndmask_b32_e64 v32, 0, 1, s7
	;; [unrolled: 2-line block ×7, first 2 shown]
	v_cndmask_b32_e64 v35, 0, 1, s7
	v_cmp_ne_u32_e64 s7, 0, v1
	v_cmp_ne_u32_e64 s11, 0, v24
	;; [unrolled: 1-line block ×6, first 2 shown]
	s_bcnt1_i32_b32 s7, s7
	s_bcnt1_i32_b32 s11, s11
	v_cmp_ne_u32_e64 s14, 0, v27
	v_cmp_ne_u32_e64 s16, 0, v29
	;; [unrolled: 1-line block ×3, first 2 shown]
	s_bcnt1_i32_b32 s8, s8
	s_bcnt1_i32_b32 s12, s12
	s_add_i32 s7, s7, s89
	s_add_i32 s11, s11, s88
	v_cmp_ne_u32_e64 s9, 0, v3
	v_cmp_ne_u32_e64 s17, 0, v30
	;; [unrolled: 1-line block ×3, first 2 shown]
	s_bcnt1_i32_b32 s13, s13
	s_add_i32 s7, s7, s8
	s_add_i32 s8, s11, s12
	s_bcnt1_i32_b32 s15, s15
	s_bcnt1_i32_b32 s19, s19
	v_cmp_ne_u32_e64 s10, 0, v4
	v_cmp_ne_u32_e64 s18, 0, v31
	;; [unrolled: 1-line block ×3, first 2 shown]
	s_bcnt1_i32_b32 s14, s14
	s_add_i32 s8, s8, s13
	s_bcnt1_i32_b32 s16, s16
	s_bcnt1_i32_b32 s20, s20
	s_add_i32 s15, s15, s87
	s_add_i32 s19, s19, s86
	s_add_i32 s88, s8, s14
	s_delay_alu instid0(SALU_CYCLE_1)
	v_dual_mov_b32 v2, s88 :: v_dual_add_nc_u32 v23, s54, v23
	s_bcnt1_i32_b32 s9, s9
	s_bcnt1_i32_b32 s17, s17
	;; [unrolled: 1-line block ×3, first 2 shown]
	s_add_i32 s11, s15, s16
	s_add_i32 s12, s19, s20
	s_bcnt1_i32_b32 s10, s10
	s_bcnt1_i32_b32 s18, s18
	;; [unrolled: 1-line block ×3, first 2 shown]
	s_add_i32 s7, s7, s9
	s_add_i32 s9, s11, s17
	s_add_i32 s11, s12, s21
	v_cmp_le_u32_e32 vcc_lo, s82, v23
	s_add_i32 s89, s7, s10
	s_add_i32 s87, s9, s18
	;; [unrolled: 1-line block ×3, first 2 shown]
	v_mov_b32_e32 v1, s89
	v_dual_mov_b32 v3, s87 :: v_dual_mov_b32 v4, s86
	s_or_b32 s84, vcc_lo, s84
	s_delay_alu instid0(SALU_CYCLE_1)
	s_and_not1_b32 exec_lo, exec_lo, s84
	s_cbranch_execnz .LBB82_56
; %bb.57:                               ;   in Loop: Header=BB82_12 Depth=1
	s_or_b32 exec_lo, exec_lo, s84
.LBB82_58:                              ;   in Loop: Header=BB82_12 Depth=1
	s_delay_alu instid0(SALU_CYCLE_1) | instskip(SKIP_2) | instid1(VALU_DEP_1)
	s_or_b32 exec_lo, exec_lo, s83
	v_add_nc_u32_e32 v23, s82, v0
	s_mov_b32 s12, exec_lo
	v_cmpx_gt_u32_e64 s81, v23
	s_cbranch_execz .LBB82_62
; %bb.59:                               ;   in Loop: Header=BB82_12 Depth=1
	s_and_b32 s14, s69, 0xfe
	s_mov_b32 s13, 0
.LBB82_60:                              ;   Parent Loop BB82_12 Depth=1
                                        ; =>  This Inner Loop Header: Depth=2
	ds_load_i8 v24, v23
	v_add_nc_u32_e32 v23, s39, v23
	s_delay_alu instid0(VALU_DEP_1) | instskip(SKIP_2) | instid1(VALU_DEP_1)
	v_cmp_le_u32_e32 vcc_lo, s81, v23
	s_waitcnt lgkmcnt(0)
	v_add_nc_u32_e32 v24, 0x80, v24
	v_and_b32_e32 v25, s79, v24
	v_bfe_u32 v24, v24, s14, 2
	s_delay_alu instid0(VALU_DEP_2) | instskip(NEXT) | instid1(VALU_DEP_2)
	v_cmp_eq_u32_e64 s7, s78, v25
	v_cmp_eq_u32_e64 s8, 0, v24
	;; [unrolled: 1-line block ×5, first 2 shown]
	s_delay_alu instid0(VALU_DEP_4) | instskip(NEXT) | instid1(SALU_CYCLE_1)
	s_and_b32 s8, s7, s8
	v_cndmask_b32_e64 v24, 0, 1, s8
	s_and_b32 s8, s7, s9
	s_delay_alu instid0(SALU_CYCLE_1)
	v_cndmask_b32_e64 v25, 0, 1, s8
	s_and_b32 s8, s7, s10
	s_and_b32 s7, s7, s11
	s_waitcnt vmcnt(0)
	v_cndmask_b32_e64 v26, 0, 1, s8
	v_cndmask_b32_e64 v27, 0, 1, s7
	v_cmp_ne_u32_e64 s7, 0, v24
	v_cmp_ne_u32_e64 s8, 0, v25
	s_delay_alu instid0(VALU_DEP_4) | instskip(NEXT) | instid1(VALU_DEP_4)
	v_cmp_ne_u32_e64 s9, 0, v26
	v_cmp_ne_u32_e64 s10, 0, v27
	s_delay_alu instid0(VALU_DEP_4) | instskip(NEXT) | instid1(VALU_DEP_3)
	s_bcnt1_i32_b32 s7, s7
	s_bcnt1_i32_b32 s8, s8
	v_add_nc_u32_e32 v1, s7, v1
	s_bcnt1_i32_b32 s9, s9
	s_bcnt1_i32_b32 s10, s10
	v_add_nc_u32_e32 v2, s8, v2
	v_add_nc_u32_e32 v3, s9, v3
	;; [unrolled: 1-line block ×3, first 2 shown]
	s_or_b32 s13, vcc_lo, s13
	s_delay_alu instid0(SALU_CYCLE_1)
	s_and_not1_b32 exec_lo, exec_lo, s13
	s_cbranch_execnz .LBB82_60
; %bb.61:                               ;   in Loop: Header=BB82_12 Depth=1
	s_or_b32 exec_lo, exec_lo, s13
.LBB82_62:                              ;   in Loop: Header=BB82_12 Depth=1
	s_delay_alu instid0(SALU_CYCLE_1)
	s_or_b32 exec_lo, exec_lo, s12
.LBB82_63:                              ;   in Loop: Header=BB82_12 Depth=1
	s_lshl_b32 s7, s76, 7
	s_and_saveexec_b32 s8, s3
	s_cbranch_execz .LBB82_65
; %bb.64:                               ;   in Loop: Header=BB82_12 Depth=1
	v_or_b32_e32 v23, s7, v14
	s_delay_alu instid0(VALU_DEP_1)
	v_lshlrev_b32_e32 v23, 2, v23
	ds_store_b128 v23, v[1:4] offset:3072
.LBB82_65:                              ;   in Loop: Header=BB82_12 Depth=1
	s_or_b32 exec_lo, exec_lo, s8
	s_waitcnt vmcnt(0) lgkmcnt(0)
	s_barrier
	buffer_gl0_inv
	s_and_saveexec_b32 s8, s57
	s_cbranch_execz .LBB82_75
; %bb.66:                               ;   in Loop: Header=BB82_12 Depth=1
	v_mov_b32_e32 v1, 0
	s_and_not1_b32 vcc_lo, exec_lo, s59
	s_cbranch_vccnz .LBB82_74
; %bb.67:                               ;   in Loop: Header=BB82_12 Depth=1
	v_mov_b32_e32 v1, 0
	s_and_not1_b32 vcc_lo, exec_lo, s61
	s_mov_b32 s9, 0
	s_cbranch_vccnz .LBB82_71
; %bb.68:                               ;   in Loop: Header=BB82_12 Depth=1
	v_lshl_add_u32 v2, s76, 9, v20
	v_mov_b32_e32 v1, 0
	.p2align	6
.LBB82_69:                              ;   Parent Loop BB82_12 Depth=1
                                        ; =>  This Inner Loop Header: Depth=2
	ds_load_2addr_b32 v[3:4], v2 offset1:4
	ds_load_2addr_b32 v[23:24], v2 offset0:8 offset1:12
	ds_load_2addr_b32 v[25:26], v2 offset0:16 offset1:20
	;; [unrolled: 1-line block ×3, first 2 shown]
	v_add_nc_u32_e32 v2, 0x80, v2
	s_add_i32 s9, s9, 8
	s_delay_alu instid0(SALU_CYCLE_1) | instskip(SKIP_3) | instid1(VALU_DEP_1)
	s_cmp_eq_u32 s62, s9
	s_waitcnt lgkmcnt(3)
	v_add3_u32 v1, v3, v1, v4
	s_waitcnt lgkmcnt(2)
	v_add3_u32 v1, v23, v1, v24
	s_waitcnt lgkmcnt(1)
	s_delay_alu instid0(VALU_DEP_1) | instskip(SKIP_1) | instid1(VALU_DEP_1)
	v_add3_u32 v1, v25, v1, v26
	s_waitcnt lgkmcnt(0)
	v_add3_u32 v1, v27, v1, v28
	s_cbranch_scc0 .LBB82_69
; %bb.70:                               ;   in Loop: Header=BB82_12 Depth=1
	s_mov_b32 s9, s62
.LBB82_71:                              ;   in Loop: Header=BB82_12 Depth=1
	s_and_not1_b32 vcc_lo, exec_lo, s63
	s_cbranch_vccnz .LBB82_74
; %bb.72:                               ;   in Loop: Header=BB82_12 Depth=1
	s_lshl_b32 s10, s76, 9
	s_lshl_b32 s9, s9, 4
	s_delay_alu instid0(SALU_CYCLE_1)
	v_add3_u32 v2, s10, s9, v20
	s_mov_b32 s9, s60
.LBB82_73:                              ;   Parent Loop BB82_12 Depth=1
                                        ; =>  This Inner Loop Header: Depth=2
	ds_load_b32 v3, v2
	v_add_nc_u32_e32 v2, 16, v2
	s_add_i32 s9, s9, -1
	s_delay_alu instid0(SALU_CYCLE_1)
	s_cmp_lg_u32 s9, 0
	s_waitcnt lgkmcnt(0)
	v_add_nc_u32_e32 v1, v3, v1
	s_cbranch_scc1 .LBB82_73
.LBB82_74:                              ;   in Loop: Header=BB82_12 Depth=1
	v_add_lshl_u32 v2, s7, v12, 2
	ds_store_b32 v2, v1 offset:3072
.LBB82_75:                              ;   in Loop: Header=BB82_12 Depth=1
	s_or_b32 exec_lo, exec_lo, s8
	s_lshl_b32 s7, s7, 2
	s_waitcnt lgkmcnt(0)
	v_mov_b32_e32 v1, s7
	s_barrier
	buffer_gl0_inv
	s_and_b32 s16, s69, 0xfe
	s_mov_b32 s12, -1
	ds_load_b128 v[1:4], v1 offset:3072
	s_lshl_b32 s10, 3, s16
	s_delay_alu instid0(SALU_CYCLE_1) | instskip(SKIP_4) | instid1(VALU_DEP_3)
	s_not_b32 s17, s10
	s_waitcnt lgkmcnt(0)
	v_readfirstlane_b32 s11, v1
	v_readfirstlane_b32 s19, v2
	;; [unrolled: 1-line block ×3, first 2 shown]
	s_cmp_eq_u32 s11, 1
	s_cselect_b32 s7, -1, 0
	s_cmp_eq_u32 s80, 1
	s_cselect_b32 s8, -1, 0
	s_delay_alu instid0(SALU_CYCLE_1)
	s_and_b32 s13, s7, s8
	v_readfirstlane_b32 s8, v4
	s_and_b32 vcc_lo, exec_lo, s13
	s_cbranch_vccz .LBB82_87
; %bb.76:                               ;   in Loop: Header=BB82_12 Depth=1
	ds_load_b32 v1, v21 offset:4104
	s_waitcnt lgkmcnt(0)
	s_barrier
	buffer_gl0_inv
	v_readfirstlane_b32 s9, v1
	s_and_saveexec_b32 s7, s1
	s_cbranch_execz .LBB82_78
; %bb.77:                               ;   in Loop: Header=BB82_12 Depth=1
	ds_store_b8 v0, v21 offset:3072
.LBB82_78:                              ;   in Loop: Header=BB82_12 Depth=1
	s_or_b32 exec_lo, exec_lo, s7
	s_and_b32 s78, s78, s17
	s_or_b32 s79, s79, s10
	s_cmp_eq_u32 s9, 0
	s_waitcnt lgkmcnt(0)
	s_barrier
	buffer_gl0_inv
	s_cbranch_scc1 .LBB82_88
; %bb.79:                               ;   in Loop: Header=BB82_12 Depth=1
	s_add_i32 s7, s9, s56
                                        ; implicit-def: $vgpr22
	s_delay_alu instid0(SALU_CYCLE_1) | instskip(NEXT) | instid1(SALU_CYCLE_1)
	s_mul_hi_u32 s14, s7, s66
	s_mul_i32 s14, s14, s39
	s_delay_alu instid0(SALU_CYCLE_1) | instskip(NEXT) | instid1(SALU_CYCLE_1)
	s_sub_i32 s14, s7, s14
	s_sub_i32 s18, s14, s39
	s_cmp_ge_u32 s14, s39
	s_cselect_b32 s14, s18, s14
	s_delay_alu instid0(SALU_CYCLE_1) | instskip(SKIP_2) | instid1(SALU_CYCLE_1)
	s_sub_i32 s18, s14, s39
	s_cmp_ge_u32 s14, s39
	s_cselect_b32 s14, s18, s14
	s_sub_i32 s18, s7, s14
	s_mov_b32 s7, 0
	s_mov_b32 s14, exec_lo
	v_cmpx_gt_u32_e64 s18, v0
	s_cbranch_execz .LBB82_90
; %bb.80:                               ;   in Loop: Header=BB82_12 Depth=1
	v_mov_b32_e32 v1, v0
	s_mov_b32 s20, 0
                                        ; implicit-def: $sgpr21
	s_set_inst_prefetch_distance 0x1
	s_branch .LBB82_82
	.p2align	6
.LBB82_81:                              ;   in Loop: Header=BB82_82 Depth=2
	s_or_b32 exec_lo, exec_lo, s7
	s_waitcnt lgkmcnt(0)
	s_barrier
	buffer_gl0_inv
	ds_load_u16 v2, v21 offset:3072
	v_add_nc_u32_e32 v1, s39, v1
	s_waitcnt lgkmcnt(0)
	s_barrier
	buffer_gl0_inv
	v_cmp_le_u32_e32 vcc_lo, s18, v1
	v_and_b32_e32 v3, 0xff, v2
	s_delay_alu instid0(VALU_DEP_1) | instskip(NEXT) | instid1(VALU_DEP_1)
	v_cmp_ne_u16_e64 s7, 0, v3
	s_or_b32 s22, vcc_lo, s7
	s_delay_alu instid0(SALU_CYCLE_1) | instskip(NEXT) | instid1(SALU_CYCLE_1)
	s_and_b32 s22, exec_lo, s22
	s_or_b32 s20, s22, s20
	s_and_not1_b32 s21, s21, exec_lo
	s_and_b32 s7, s7, exec_lo
	s_delay_alu instid0(SALU_CYCLE_1)
	s_or_b32 s21, s21, s7
	s_and_not1_b32 exec_lo, exec_lo, s20
	s_cbranch_execz .LBB82_89
.LBB82_82:                              ;   Parent Loop BB82_12 Depth=1
                                        ; =>  This Inner Loop Header: Depth=2
	s_delay_alu instid0(VALU_DEP_1)
	v_cmp_gt_u32_e32 vcc_lo, s9, v1
	v_mov_b32_e32 v2, 0
	s_and_saveexec_b32 s7, vcc_lo
	s_cbranch_execz .LBB82_84
; %bb.83:                               ;   in Loop: Header=BB82_82 Depth=2
	ds_load_u8 v2, v1
.LBB82_84:                              ;   in Loop: Header=BB82_82 Depth=2
	s_or_b32 exec_lo, exec_lo, s7
	s_and_saveexec_b32 s7, vcc_lo
	s_cbranch_execz .LBB82_81
; %bb.85:                               ;   in Loop: Header=BB82_82 Depth=2
	s_waitcnt lgkmcnt(0)
	v_bfe_i32 v3, v2, 0, 8
	s_delay_alu instid0(VALU_DEP_1) | instskip(NEXT) | instid1(VALU_DEP_1)
	v_add_nc_u32_e32 v3, 0x80, v3
	v_and_b32_e32 v3, s79, v3
	s_delay_alu instid0(VALU_DEP_1)
	v_cmp_eq_u32_e32 vcc_lo, s78, v3
	s_and_b32 exec_lo, exec_lo, vcc_lo
	s_cbranch_execz .LBB82_81
; %bb.86:                               ;   in Loop: Header=BB82_82 Depth=2
	v_lshlrev_b16 v2, 8, v2
	s_delay_alu instid0(VALU_DEP_1)
	v_or_b32_e32 v2, 1, v2
	ds_store_b16 v21, v2 offset:3072
	s_branch .LBB82_81
.LBB82_87:                              ;   in Loop: Header=BB82_12 Depth=1
	s_mov_b32 s7, -1
                                        ; implicit-def: $sgpr9
                                        ; implicit-def: $sgpr18
                                        ; implicit-def: $sgpr14
	s_branch .LBB82_101
.LBB82_88:                              ;   in Loop: Header=BB82_12 Depth=1
	s_mov_b32 s9, -1
	s_mov_b32 s7, 0
                                        ; implicit-def: $sgpr14
                                        ; implicit-def: $vgpr22
	s_mov_b32 s18, s9
	s_cbranch_execnz .LBB82_91
	s_branch .LBB82_101
.LBB82_89:                              ;   in Loop: Header=BB82_12 Depth=1
	s_set_inst_prefetch_distance 0x2
	s_or_b32 exec_lo, exec_lo, s20
	v_lshrrev_b16 v22, 8, v2
	s_and_b32 s7, s21, exec_lo
.LBB82_90:                              ;   in Loop: Header=BB82_12 Depth=1
	s_or_b32 exec_lo, exec_lo, s14
	s_mov_b32 s14, -1
	s_mov_b32 s9, 0
	s_delay_alu instid0(SALU_CYCLE_1)
	s_mov_b32 s18, s9
	s_branch .LBB82_101
.LBB82_91:                              ;   in Loop: Header=BB82_12 Depth=1
	s_mov_b32 s7, 0
                                        ; implicit-def: $vgpr22
	s_and_saveexec_b32 s9, s6
	s_cbranch_execz .LBB82_100
; %bb.92:                               ;   in Loop: Header=BB82_12 Depth=1
	v_dual_mov_b32 v1, v11 :: v_dual_mov_b32 v2, v0
	s_mov_b32 s14, 0
                                        ; implicit-def: $sgpr18
	s_set_inst_prefetch_distance 0x1
	s_branch .LBB82_94
	.p2align	6
.LBB82_93:                              ;   in Loop: Header=BB82_94 Depth=2
	s_or_b32 exec_lo, exec_lo, s7
	s_waitcnt vmcnt(0) lgkmcnt(0)
	s_barrier
	buffer_gl0_inv
	ds_load_u16 v3, v21 offset:3072
	v_add_nc_u32_e32 v2, s39, v2
	v_add_nc_u32_e32 v1, s55, v1
	s_waitcnt lgkmcnt(0)
	s_barrier
	buffer_gl0_inv
	v_cmp_le_u32_e32 vcc_lo, s68, v2
	v_and_b32_e32 v4, 0xff, v3
	s_delay_alu instid0(VALU_DEP_1) | instskip(NEXT) | instid1(VALU_DEP_1)
	v_cmp_ne_u16_e64 s7, 0, v4
	s_or_b32 s20, vcc_lo, s7
	s_delay_alu instid0(SALU_CYCLE_1) | instskip(NEXT) | instid1(SALU_CYCLE_1)
	s_and_b32 s20, exec_lo, s20
	s_or_b32 s14, s20, s14
	s_and_not1_b32 s18, s18, exec_lo
	s_and_b32 s7, s7, exec_lo
	s_delay_alu instid0(SALU_CYCLE_1)
	s_or_b32 s18, s18, s7
	s_and_not1_b32 exec_lo, exec_lo, s14
	s_cbranch_execz .LBB82_99
.LBB82_94:                              ;   Parent Loop BB82_12 Depth=1
                                        ; =>  This Inner Loop Header: Depth=2
	s_delay_alu instid0(VALU_DEP_1)
	v_cmp_gt_u32_e32 vcc_lo, s28, v2
	v_mov_b32_e32 v3, 0
	s_and_saveexec_b32 s7, vcc_lo
	s_cbranch_execz .LBB82_96
; %bb.95:                               ;   in Loop: Header=BB82_94 Depth=2
	global_load_u8 v3, v1, s[48:49]
.LBB82_96:                              ;   in Loop: Header=BB82_94 Depth=2
	s_or_b32 exec_lo, exec_lo, s7
	s_and_saveexec_b32 s7, vcc_lo
	s_cbranch_execz .LBB82_93
; %bb.97:                               ;   in Loop: Header=BB82_94 Depth=2
	s_waitcnt vmcnt(0)
	v_bfe_i32 v4, v3, 0, 8
	s_delay_alu instid0(VALU_DEP_1) | instskip(NEXT) | instid1(VALU_DEP_1)
	v_add_nc_u32_e32 v4, 0x80, v4
	v_and_b32_e32 v4, s79, v4
	s_delay_alu instid0(VALU_DEP_1)
	v_cmp_eq_u32_e32 vcc_lo, s78, v4
	s_and_b32 exec_lo, exec_lo, vcc_lo
	s_cbranch_execz .LBB82_93
; %bb.98:                               ;   in Loop: Header=BB82_94 Depth=2
	v_lshlrev_b16 v3, 8, v3
	s_delay_alu instid0(VALU_DEP_1)
	v_or_b32_e32 v3, 1, v3
	ds_store_b16 v21, v3 offset:3072
	s_branch .LBB82_93
.LBB82_99:                              ;   in Loop: Header=BB82_12 Depth=1
	s_set_inst_prefetch_distance 0x2
	s_or_b32 exec_lo, exec_lo, s14
	v_lshrrev_b16 v22, 8, v3
	s_and_b32 s7, s18, exec_lo
.LBB82_100:                             ;   in Loop: Header=BB82_12 Depth=1
	s_or_b32 exec_lo, exec_lo, s9
	s_mov_b32 s18, -1
	s_mov_b32 s9, 0
	s_mov_b32 s14, 0
.LBB82_101:                             ;   in Loop: Header=BB82_12 Depth=1
	s_and_not1_b32 s20, s74, exec_lo
	s_and_b32 s9, s9, exec_lo
	s_and_b32 s18, s18, exec_lo
	s_or_b32 s74, s20, s9
	s_and_not1_b32 s9, s77, exec_lo
	s_and_not1_b32 s20, s75, exec_lo
	s_and_b32 s14, s14, exec_lo
	s_or_b32 s77, s9, s18
	s_or_b32 s75, s20, s14
	s_and_saveexec_b32 s9, s7
	s_cbranch_execz .LBB82_11
; %bb.102:                              ;   in Loop: Header=BB82_12 Depth=1
	s_xor_b32 s7, s13, -1
	s_mov_b32 s12, 0
	s_and_not1_b32 vcc_lo, exec_lo, s7
	s_mov_b32 s20, 1
	s_cbranch_vccnz .LBB82_113
; %bb.103:                              ;   in Loop: Header=BB82_12 Depth=1
	s_cmp_gt_u32 s80, s11
	s_mov_b32 s12, -1
                                        ; implicit-def: $sgpr7
                                        ; implicit-def: $sgpr13
                                        ; implicit-def: $sgpr14
	s_cbranch_scc1 .LBB82_109
; %bb.104:                              ;   in Loop: Header=BB82_12 Depth=1
	ds_load_b32 v1, v21 offset:4104
	s_waitcnt lgkmcnt(0)
	v_cmp_ne_u32_e32 vcc_lo, 0, v1
	s_cbranch_vccnz .LBB82_108
; %bb.105:                              ;   in Loop: Header=BB82_12 Depth=1
	s_and_saveexec_b32 s7, s2
	s_cbranch_execz .LBB82_107
; %bb.106:                              ;   in Loop: Header=BB82_12 Depth=1
	v_mov_b32_e32 v1, s11
	ds_store_b32 v21, v1 offset:4108
.LBB82_107:                             ;   in Loop: Header=BB82_12 Depth=1
	s_or_b32 exec_lo, exec_lo, s7
	s_waitcnt lgkmcnt(0)
	s_barrier
	buffer_gl0_inv
.LBB82_108:                             ;   in Loop: Header=BB82_12 Depth=1
	s_and_b32 s13, s78, s17
	s_or_b32 s14, s79, s10
	s_mov_b32 s12, 0
	s_mov_b32 s7, 8
.LBB82_109:                             ;   in Loop: Header=BB82_12 Depth=1
	s_and_not1_b32 vcc_lo, exec_lo, s12
	s_cbranch_vccnz .LBB82_111
; %bb.110:                              ;   in Loop: Header=BB82_12 Depth=1
	s_sub_i32 s80, s80, s11
	s_mov_b32 s12, -1
	s_mov_b32 s7, 0
	s_mov_b32 s13, s78
	;; [unrolled: 1-line block ×3, first 2 shown]
.LBB82_111:                             ;   in Loop: Header=BB82_12 Depth=1
	s_delay_alu instid0(SALU_CYCLE_1)
	s_mov_b32 s79, s14
	s_mov_b32 s78, s13
	;; [unrolled: 1-line block ×3, first 2 shown]
	s_and_b32 vcc_lo, exec_lo, s12
	s_mov_b32 s11, -1
	s_cbranch_vccnz .LBB82_114
.LBB82_112:                             ;   in Loop: Header=BB82_12 Depth=1
	s_mov_b32 s23, -1
                                        ; implicit-def: $sgpr12
                                        ; implicit-def: $sgpr14
                                        ; implicit-def: $sgpr13
                                        ; implicit-def: $sgpr80
	s_delay_alu instid0(SALU_CYCLE_1) | instskip(NEXT) | instid1(SALU_CYCLE_1)
	s_and_saveexec_b32 s8, s23
	s_xor_b32 s8, exec_lo, s8
	s_cbranch_execz .LBB82_10
	s_branch .LBB82_240
.LBB82_113:                             ;   in Loop: Header=BB82_12 Depth=1
	s_mov_b32 s7, 1
	s_and_b32 vcc_lo, exec_lo, s12
	s_mov_b32 s11, -1
	s_cbranch_vccz .LBB82_112
.LBB82_114:                             ;   in Loop: Header=BB82_12 Depth=1
	s_cmp_eq_u32 s19, 1
	s_mov_b32 s22, -1
	s_cselect_b32 s7, -1, 0
	s_cmp_eq_u32 s20, 1
	s_cselect_b32 s12, -1, 0
	s_delay_alu instid0(SALU_CYCLE_1) | instskip(NEXT) | instid1(SALU_CYCLE_1)
	s_and_b32 s21, s7, s12
	s_and_b32 vcc_lo, exec_lo, s21
	s_cbranch_vccz .LBB82_126
; %bb.115:                              ;   in Loop: Header=BB82_12 Depth=1
	ds_load_b32 v1, v21 offset:4104
	s_waitcnt lgkmcnt(0)
	s_barrier
	buffer_gl0_inv
	v_readfirstlane_b32 s12, v1
	s_and_saveexec_b32 s7, s1
	s_cbranch_execz .LBB82_117
; %bb.116:                              ;   in Loop: Header=BB82_12 Depth=1
	ds_store_b8 v0, v21 offset:3072
.LBB82_117:                             ;   in Loop: Header=BB82_12 Depth=1
	s_or_b32 exec_lo, exec_lo, s7
	s_lshl_b32 s7, 1, s16
	s_and_b32 s13, s78, s17
	s_or_b32 s79, s79, s10
	s_or_b32 s78, s13, s7
	s_cmp_eq_u32 s12, 0
	s_waitcnt lgkmcnt(0)
	s_barrier
	buffer_gl0_inv
	s_cbranch_scc1 .LBB82_130
; %bb.118:                              ;   in Loop: Header=BB82_12 Depth=1
	s_add_i32 s7, s12, s56
	s_mov_b32 s22, 0
	s_mul_hi_u32 s13, s7, s66
                                        ; implicit-def: $vgpr22
	s_delay_alu instid0(SALU_CYCLE_1) | instskip(NEXT) | instid1(SALU_CYCLE_1)
	s_mul_i32 s13, s13, s39
	s_sub_i32 s13, s7, s13
	s_delay_alu instid0(SALU_CYCLE_1) | instskip(SKIP_2) | instid1(SALU_CYCLE_1)
	s_sub_i32 s14, s13, s39
	s_cmp_ge_u32 s13, s39
	s_cselect_b32 s13, s14, s13
	s_sub_i32 s14, s13, s39
	s_cmp_ge_u32 s13, s39
	s_cselect_b32 s13, s14, s13
	s_delay_alu instid0(SALU_CYCLE_1)
	s_sub_i32 s14, s7, s13
	s_mov_b32 s13, exec_lo
	v_cmpx_gt_u32_e64 s14, v0
	s_cbranch_execz .LBB82_132
; %bb.119:                              ;   in Loop: Header=BB82_12 Depth=1
	v_mov_b32_e32 v1, v0
	s_mov_b32 s18, 0
                                        ; implicit-def: $sgpr22
	s_set_inst_prefetch_distance 0x1
	s_branch .LBB82_121
	.p2align	6
.LBB82_120:                             ;   in Loop: Header=BB82_121 Depth=2
	s_or_b32 exec_lo, exec_lo, s7
	s_waitcnt lgkmcnt(0)
	s_barrier
	buffer_gl0_inv
	ds_load_u16 v2, v21 offset:3072
	v_add_nc_u32_e32 v1, s39, v1
	s_waitcnt lgkmcnt(0)
	s_barrier
	buffer_gl0_inv
	v_cmp_le_u32_e32 vcc_lo, s14, v1
	v_and_b32_e32 v3, 0xff, v2
	s_delay_alu instid0(VALU_DEP_1) | instskip(NEXT) | instid1(VALU_DEP_1)
	v_cmp_ne_u16_e64 s7, 0, v3
	s_or_b32 s23, vcc_lo, s7
	s_delay_alu instid0(SALU_CYCLE_1) | instskip(NEXT) | instid1(SALU_CYCLE_1)
	s_and_b32 s23, exec_lo, s23
	s_or_b32 s18, s23, s18
	s_and_not1_b32 s22, s22, exec_lo
	s_and_b32 s7, s7, exec_lo
	s_delay_alu instid0(SALU_CYCLE_1)
	s_or_b32 s22, s22, s7
	s_and_not1_b32 exec_lo, exec_lo, s18
	s_cbranch_execz .LBB82_131
.LBB82_121:                             ;   Parent Loop BB82_12 Depth=1
                                        ; =>  This Inner Loop Header: Depth=2
	s_delay_alu instid0(VALU_DEP_1)
	v_cmp_gt_u32_e32 vcc_lo, s12, v1
	v_mov_b32_e32 v2, 0
	s_and_saveexec_b32 s7, vcc_lo
	s_cbranch_execz .LBB82_123
; %bb.122:                              ;   in Loop: Header=BB82_121 Depth=2
	ds_load_u8 v2, v1
.LBB82_123:                             ;   in Loop: Header=BB82_121 Depth=2
	s_or_b32 exec_lo, exec_lo, s7
	s_and_saveexec_b32 s7, vcc_lo
	s_cbranch_execz .LBB82_120
; %bb.124:                              ;   in Loop: Header=BB82_121 Depth=2
	s_waitcnt lgkmcnt(0)
	v_bfe_i32 v3, v2, 0, 8
	s_delay_alu instid0(VALU_DEP_1) | instskip(NEXT) | instid1(VALU_DEP_1)
	v_add_nc_u32_e32 v3, 0x80, v3
	v_and_b32_e32 v3, s79, v3
	s_delay_alu instid0(VALU_DEP_1)
	v_cmp_eq_u32_e32 vcc_lo, s78, v3
	s_and_b32 exec_lo, exec_lo, vcc_lo
	s_cbranch_execz .LBB82_120
; %bb.125:                              ;   in Loop: Header=BB82_121 Depth=2
	v_lshlrev_b16 v2, 8, v2
	s_delay_alu instid0(VALU_DEP_1)
	v_or_b32_e32 v2, 1, v2
	ds_store_b16 v21, v2 offset:3072
	s_branch .LBB82_120
.LBB82_126:                             ;   in Loop: Header=BB82_12 Depth=1
                                        ; implicit-def: $sgpr13
                                        ; implicit-def: $sgpr14
                                        ; implicit-def: $sgpr12
	s_branch .LBB82_143
.LBB82_127:                             ;   in Loop: Header=BB82_12 Depth=1
	s_or_b32 exec_lo, exec_lo, s9
	s_waitcnt lgkmcnt(0)
	s_barrier
	buffer_gl0_inv
	s_and_saveexec_b32 s7, s2
	s_cbranch_execz .LBB82_129
; %bb.128:                              ;   in Loop: Header=BB82_12 Depth=1
	ds_load_b32 v1, v21 offset:4112
	s_waitcnt lgkmcnt(0)
	ds_store_b32 v21, v1 offset:4104
.LBB82_129:                             ;   in Loop: Header=BB82_12 Depth=1
	s_or_b32 exec_lo, exec_lo, s7
	s_waitcnt lgkmcnt(0)
	s_mov_b32 s7, -1
	s_barrier
	s_and_b32 vcc_lo, exec_lo, s81
	s_cbranch_vccnz .LBB82_27
	s_branch .LBB82_37
.LBB82_130:                             ;   in Loop: Header=BB82_12 Depth=1
	s_mov_b32 s13, -1
	s_mov_b32 s22, 0
                                        ; implicit-def: $sgpr12
                                        ; implicit-def: $vgpr22
	s_mov_b32 s14, s13
	s_cbranch_execnz .LBB82_133
	s_branch .LBB82_143
.LBB82_131:                             ;   in Loop: Header=BB82_12 Depth=1
	s_set_inst_prefetch_distance 0x2
	s_or_b32 exec_lo, exec_lo, s18
	v_lshrrev_b16 v22, 8, v2
	s_and_b32 s22, s22, exec_lo
.LBB82_132:                             ;   in Loop: Header=BB82_12 Depth=1
	s_or_b32 exec_lo, exec_lo, s13
	s_mov_b32 s12, -1
	s_mov_b32 s13, 0
	s_delay_alu instid0(SALU_CYCLE_1)
	s_mov_b32 s14, s13
	s_branch .LBB82_143
.LBB82_133:                             ;   in Loop: Header=BB82_12 Depth=1
	s_mov_b32 s22, 0
                                        ; implicit-def: $vgpr22
	s_and_saveexec_b32 s12, s6
	s_cbranch_execz .LBB82_142
; %bb.134:                              ;   in Loop: Header=BB82_12 Depth=1
	v_dual_mov_b32 v1, v11 :: v_dual_mov_b32 v2, v0
	s_mov_b32 s13, 0
                                        ; implicit-def: $sgpr14
	s_set_inst_prefetch_distance 0x1
	s_branch .LBB82_136
	.p2align	6
.LBB82_135:                             ;   in Loop: Header=BB82_136 Depth=2
	s_or_b32 exec_lo, exec_lo, s7
	s_waitcnt vmcnt(0) lgkmcnt(0)
	s_barrier
	buffer_gl0_inv
	ds_load_u16 v3, v21 offset:3072
	v_add_nc_u32_e32 v2, s39, v2
	v_add_nc_u32_e32 v1, s55, v1
	s_waitcnt lgkmcnt(0)
	s_barrier
	buffer_gl0_inv
	v_cmp_le_u32_e32 vcc_lo, s68, v2
	v_and_b32_e32 v4, 0xff, v3
	s_delay_alu instid0(VALU_DEP_1) | instskip(NEXT) | instid1(VALU_DEP_1)
	v_cmp_ne_u16_e64 s7, 0, v4
	s_or_b32 s18, vcc_lo, s7
	s_delay_alu instid0(SALU_CYCLE_1) | instskip(NEXT) | instid1(SALU_CYCLE_1)
	s_and_b32 s18, exec_lo, s18
	s_or_b32 s13, s18, s13
	s_and_not1_b32 s14, s14, exec_lo
	s_and_b32 s7, s7, exec_lo
	s_delay_alu instid0(SALU_CYCLE_1)
	s_or_b32 s14, s14, s7
	s_and_not1_b32 exec_lo, exec_lo, s13
	s_cbranch_execz .LBB82_141
.LBB82_136:                             ;   Parent Loop BB82_12 Depth=1
                                        ; =>  This Inner Loop Header: Depth=2
	s_delay_alu instid0(VALU_DEP_1)
	v_cmp_gt_u32_e32 vcc_lo, s28, v2
	v_mov_b32_e32 v3, 0
	s_and_saveexec_b32 s7, vcc_lo
	s_cbranch_execz .LBB82_138
; %bb.137:                              ;   in Loop: Header=BB82_136 Depth=2
	global_load_u8 v3, v1, s[48:49]
.LBB82_138:                             ;   in Loop: Header=BB82_136 Depth=2
	s_or_b32 exec_lo, exec_lo, s7
	s_and_saveexec_b32 s7, vcc_lo
	s_cbranch_execz .LBB82_135
; %bb.139:                              ;   in Loop: Header=BB82_136 Depth=2
	s_waitcnt vmcnt(0)
	v_bfe_i32 v4, v3, 0, 8
	s_delay_alu instid0(VALU_DEP_1) | instskip(NEXT) | instid1(VALU_DEP_1)
	v_add_nc_u32_e32 v4, 0x80, v4
	v_and_b32_e32 v4, s79, v4
	s_delay_alu instid0(VALU_DEP_1)
	v_cmp_eq_u32_e32 vcc_lo, s78, v4
	s_and_b32 exec_lo, exec_lo, vcc_lo
	s_cbranch_execz .LBB82_135
; %bb.140:                              ;   in Loop: Header=BB82_136 Depth=2
	v_lshlrev_b16 v3, 8, v3
	s_delay_alu instid0(VALU_DEP_1)
	v_or_b32_e32 v3, 1, v3
	ds_store_b16 v21, v3 offset:3072
	s_branch .LBB82_135
.LBB82_141:                             ;   in Loop: Header=BB82_12 Depth=1
	s_set_inst_prefetch_distance 0x2
	s_or_b32 exec_lo, exec_lo, s13
	v_lshrrev_b16 v22, 8, v3
	s_and_b32 s22, s14, exec_lo
.LBB82_142:                             ;   in Loop: Header=BB82_12 Depth=1
	s_or_b32 exec_lo, exec_lo, s12
	s_mov_b32 s14, -1
	s_mov_b32 s13, 0
	s_mov_b32 s12, 0
.LBB82_143:                             ;   in Loop: Header=BB82_12 Depth=1
	s_mov_b32 s23, 0
                                        ; implicit-def: $sgpr7
	s_and_saveexec_b32 s18, s22
	s_cbranch_execz .LBB82_239
; %bb.144:                              ;   in Loop: Header=BB82_12 Depth=1
	s_xor_b32 s7, s21, -1
	s_mov_b32 s21, 0
	s_and_not1_b32 vcc_lo, exec_lo, s7
	s_mov_b32 s24, 1
	s_cbranch_vccnz .LBB82_155
; %bb.145:                              ;   in Loop: Header=BB82_12 Depth=1
	s_cmp_gt_u32 s20, s19
	s_mov_b32 s21, -1
                                        ; implicit-def: $sgpr7
                                        ; implicit-def: $sgpr22
                                        ; implicit-def: $sgpr23
	s_cbranch_scc1 .LBB82_151
; %bb.146:                              ;   in Loop: Header=BB82_12 Depth=1
	ds_load_b32 v1, v21 offset:4104
	s_waitcnt lgkmcnt(0)
	v_cmp_ne_u32_e32 vcc_lo, 0, v1
	s_cbranch_vccnz .LBB82_150
; %bb.147:                              ;   in Loop: Header=BB82_12 Depth=1
	s_and_saveexec_b32 s7, s2
	s_cbranch_execz .LBB82_149
; %bb.148:                              ;   in Loop: Header=BB82_12 Depth=1
	v_mov_b32_e32 v1, s19
	ds_store_b32 v21, v1 offset:4108
.LBB82_149:                             ;   in Loop: Header=BB82_12 Depth=1
	s_or_b32 exec_lo, exec_lo, s7
	s_waitcnt lgkmcnt(0)
	s_barrier
	buffer_gl0_inv
.LBB82_150:                             ;   in Loop: Header=BB82_12 Depth=1
	s_lshl_b32 s7, 1, s16
	s_and_b32 s21, s78, s17
	s_or_b32 s23, s79, s10
	s_or_b32 s22, s21, s7
	s_mov_b32 s21, 0
	s_mov_b32 s7, 8
.LBB82_151:                             ;   in Loop: Header=BB82_12 Depth=1
	s_and_not1_b32 vcc_lo, exec_lo, s21
	s_cbranch_vccnz .LBB82_153
; %bb.152:                              ;   in Loop: Header=BB82_12 Depth=1
	s_sub_i32 s20, s20, s19
	s_mov_b32 s21, -1
	s_mov_b32 s7, 0
	s_mov_b32 s22, s78
	;; [unrolled: 1-line block ×3, first 2 shown]
.LBB82_153:                             ;   in Loop: Header=BB82_12 Depth=1
	s_delay_alu instid0(SALU_CYCLE_1)
	s_mov_b32 s79, s23
	s_mov_b32 s78, s22
	;; [unrolled: 1-line block ×3, first 2 shown]
	s_and_not1_b32 vcc_lo, exec_lo, s21
	s_mov_b32 s26, -1
	s_cbranch_vccz .LBB82_156
.LBB82_154:                             ;   in Loop: Header=BB82_12 Depth=1
                                        ; implicit-def: $sgpr20
                                        ; implicit-def: $sgpr21
                                        ; implicit-def: $sgpr19
	s_branch .LBB82_238
.LBB82_155:                             ;   in Loop: Header=BB82_12 Depth=1
	s_mov_b32 s7, 1
	s_and_not1_b32 vcc_lo, exec_lo, s21
	s_mov_b32 s26, -1
	s_cbranch_vccnz .LBB82_154
.LBB82_156:                             ;   in Loop: Header=BB82_12 Depth=1
	s_cmp_eq_u32 s15, 1
	s_mov_b32 s25, -1
	s_cselect_b32 s7, -1, 0
	s_cmp_eq_u32 s24, 1
	s_cselect_b32 s19, -1, 0
	s_delay_alu instid0(SALU_CYCLE_1) | instskip(NEXT) | instid1(SALU_CYCLE_1)
	s_and_b32 s23, s7, s19
	s_and_b32 vcc_lo, exec_lo, s23
	s_cbranch_vccz .LBB82_168
; %bb.157:                              ;   in Loop: Header=BB82_12 Depth=1
	ds_load_b32 v1, v21 offset:4104
	s_waitcnt lgkmcnt(0)
	s_barrier
	buffer_gl0_inv
	v_readfirstlane_b32 s19, v1
	s_and_saveexec_b32 s7, s1
	s_cbranch_execz .LBB82_159
; %bb.158:                              ;   in Loop: Header=BB82_12 Depth=1
	ds_store_b8 v0, v21 offset:3072
.LBB82_159:                             ;   in Loop: Header=BB82_12 Depth=1
	s_or_b32 exec_lo, exec_lo, s7
	s_lshl_b32 s7, 2, s16
	s_and_b32 s20, s78, s17
	s_or_b32 s79, s79, s10
	s_or_b32 s78, s20, s7
	s_cmp_eq_u32 s19, 0
	s_waitcnt lgkmcnt(0)
	s_barrier
	buffer_gl0_inv
	s_cbranch_scc1 .LBB82_169
; %bb.160:                              ;   in Loop: Header=BB82_12 Depth=1
	s_add_i32 s7, s19, s56
	s_mov_b32 s25, 0
	s_mul_hi_u32 s20, s7, s66
                                        ; implicit-def: $vgpr22
	s_delay_alu instid0(SALU_CYCLE_1) | instskip(NEXT) | instid1(SALU_CYCLE_1)
	s_mul_i32 s20, s20, s39
	s_sub_i32 s20, s7, s20
	s_delay_alu instid0(SALU_CYCLE_1) | instskip(SKIP_2) | instid1(SALU_CYCLE_1)
	s_sub_i32 s21, s20, s39
	s_cmp_ge_u32 s20, s39
	s_cselect_b32 s20, s21, s20
	s_sub_i32 s21, s20, s39
	s_cmp_ge_u32 s20, s39
	s_cselect_b32 s20, s21, s20
	s_delay_alu instid0(SALU_CYCLE_1)
	s_sub_i32 s21, s7, s20
	s_mov_b32 s20, exec_lo
	v_cmpx_gt_u32_e64 s21, v0
	s_cbranch_execz .LBB82_171
; %bb.161:                              ;   in Loop: Header=BB82_12 Depth=1
	v_mov_b32_e32 v1, v0
	s_mov_b32 s22, 0
                                        ; implicit-def: $sgpr25
	s_set_inst_prefetch_distance 0x1
	s_branch .LBB82_163
	.p2align	6
.LBB82_162:                             ;   in Loop: Header=BB82_163 Depth=2
	s_or_b32 exec_lo, exec_lo, s7
	s_waitcnt lgkmcnt(0)
	s_barrier
	buffer_gl0_inv
	ds_load_u16 v2, v21 offset:3072
	v_add_nc_u32_e32 v1, s39, v1
	s_waitcnt lgkmcnt(0)
	s_barrier
	buffer_gl0_inv
	v_cmp_le_u32_e32 vcc_lo, s21, v1
	v_and_b32_e32 v3, 0xff, v2
	s_delay_alu instid0(VALU_DEP_1) | instskip(NEXT) | instid1(VALU_DEP_1)
	v_cmp_ne_u16_e64 s7, 0, v3
	s_or_b32 s26, vcc_lo, s7
	s_delay_alu instid0(SALU_CYCLE_1) | instskip(NEXT) | instid1(SALU_CYCLE_1)
	s_and_b32 s26, exec_lo, s26
	s_or_b32 s22, s26, s22
	s_and_not1_b32 s25, s25, exec_lo
	s_and_b32 s7, s7, exec_lo
	s_delay_alu instid0(SALU_CYCLE_1)
	s_or_b32 s25, s25, s7
	s_and_not1_b32 exec_lo, exec_lo, s22
	s_cbranch_execz .LBB82_170
.LBB82_163:                             ;   Parent Loop BB82_12 Depth=1
                                        ; =>  This Inner Loop Header: Depth=2
	s_delay_alu instid0(VALU_DEP_1)
	v_cmp_gt_u32_e32 vcc_lo, s19, v1
	v_mov_b32_e32 v2, 0
	s_and_saveexec_b32 s7, vcc_lo
	s_cbranch_execz .LBB82_165
; %bb.164:                              ;   in Loop: Header=BB82_163 Depth=2
	ds_load_u8 v2, v1
.LBB82_165:                             ;   in Loop: Header=BB82_163 Depth=2
	s_or_b32 exec_lo, exec_lo, s7
	s_and_saveexec_b32 s7, vcc_lo
	s_cbranch_execz .LBB82_162
; %bb.166:                              ;   in Loop: Header=BB82_163 Depth=2
	s_waitcnt lgkmcnt(0)
	v_bfe_i32 v3, v2, 0, 8
	s_delay_alu instid0(VALU_DEP_1) | instskip(NEXT) | instid1(VALU_DEP_1)
	v_add_nc_u32_e32 v3, 0x80, v3
	v_and_b32_e32 v3, s79, v3
	s_delay_alu instid0(VALU_DEP_1)
	v_cmp_eq_u32_e32 vcc_lo, s78, v3
	s_and_b32 exec_lo, exec_lo, vcc_lo
	s_cbranch_execz .LBB82_162
; %bb.167:                              ;   in Loop: Header=BB82_163 Depth=2
	v_lshlrev_b16 v2, 8, v2
	s_delay_alu instid0(VALU_DEP_1)
	v_or_b32_e32 v2, 1, v2
	ds_store_b16 v21, v2 offset:3072
	s_branch .LBB82_162
.LBB82_168:                             ;   in Loop: Header=BB82_12 Depth=1
                                        ; implicit-def: $sgpr19
                                        ; implicit-def: $sgpr21
                                        ; implicit-def: $sgpr20
	s_branch .LBB82_182
.LBB82_169:                             ;   in Loop: Header=BB82_12 Depth=1
	s_mov_b32 s19, -1
	s_mov_b32 s25, 0
                                        ; implicit-def: $sgpr20
                                        ; implicit-def: $vgpr22
	s_mov_b32 s21, s19
	s_cbranch_execnz .LBB82_172
	s_branch .LBB82_182
.LBB82_170:                             ;   in Loop: Header=BB82_12 Depth=1
	s_set_inst_prefetch_distance 0x2
	s_or_b32 exec_lo, exec_lo, s22
	v_lshrrev_b16 v22, 8, v2
	s_and_b32 s25, s25, exec_lo
.LBB82_171:                             ;   in Loop: Header=BB82_12 Depth=1
	s_or_b32 exec_lo, exec_lo, s20
	s_mov_b32 s20, -1
	s_mov_b32 s19, 0
	s_delay_alu instid0(SALU_CYCLE_1)
	s_mov_b32 s21, s19
	s_branch .LBB82_182
.LBB82_172:                             ;   in Loop: Header=BB82_12 Depth=1
	s_mov_b32 s25, 0
                                        ; implicit-def: $vgpr22
	s_and_saveexec_b32 s19, s6
	s_cbranch_execz .LBB82_181
; %bb.173:                              ;   in Loop: Header=BB82_12 Depth=1
	v_dual_mov_b32 v1, v11 :: v_dual_mov_b32 v2, v0
	s_mov_b32 s20, 0
                                        ; implicit-def: $sgpr21
	s_set_inst_prefetch_distance 0x1
	s_branch .LBB82_175
	.p2align	6
.LBB82_174:                             ;   in Loop: Header=BB82_175 Depth=2
	s_or_b32 exec_lo, exec_lo, s7
	s_waitcnt vmcnt(0) lgkmcnt(0)
	s_barrier
	buffer_gl0_inv
	ds_load_u16 v3, v21 offset:3072
	v_add_nc_u32_e32 v2, s39, v2
	v_add_nc_u32_e32 v1, s55, v1
	s_waitcnt lgkmcnt(0)
	s_barrier
	buffer_gl0_inv
	v_cmp_le_u32_e32 vcc_lo, s68, v2
	v_and_b32_e32 v4, 0xff, v3
	s_delay_alu instid0(VALU_DEP_1) | instskip(NEXT) | instid1(VALU_DEP_1)
	v_cmp_ne_u16_e64 s7, 0, v4
	s_or_b32 s22, vcc_lo, s7
	s_delay_alu instid0(SALU_CYCLE_1) | instskip(NEXT) | instid1(SALU_CYCLE_1)
	s_and_b32 s22, exec_lo, s22
	s_or_b32 s20, s22, s20
	s_and_not1_b32 s21, s21, exec_lo
	s_and_b32 s7, s7, exec_lo
	s_delay_alu instid0(SALU_CYCLE_1)
	s_or_b32 s21, s21, s7
	s_and_not1_b32 exec_lo, exec_lo, s20
	s_cbranch_execz .LBB82_180
.LBB82_175:                             ;   Parent Loop BB82_12 Depth=1
                                        ; =>  This Inner Loop Header: Depth=2
	s_delay_alu instid0(VALU_DEP_1)
	v_cmp_gt_u32_e32 vcc_lo, s28, v2
	v_mov_b32_e32 v3, 0
	s_and_saveexec_b32 s7, vcc_lo
	s_cbranch_execz .LBB82_177
; %bb.176:                              ;   in Loop: Header=BB82_175 Depth=2
	global_load_u8 v3, v1, s[48:49]
.LBB82_177:                             ;   in Loop: Header=BB82_175 Depth=2
	s_or_b32 exec_lo, exec_lo, s7
	s_and_saveexec_b32 s7, vcc_lo
	s_cbranch_execz .LBB82_174
; %bb.178:                              ;   in Loop: Header=BB82_175 Depth=2
	s_waitcnt vmcnt(0)
	v_bfe_i32 v4, v3, 0, 8
	s_delay_alu instid0(VALU_DEP_1) | instskip(NEXT) | instid1(VALU_DEP_1)
	v_add_nc_u32_e32 v4, 0x80, v4
	v_and_b32_e32 v4, s79, v4
	s_delay_alu instid0(VALU_DEP_1)
	v_cmp_eq_u32_e32 vcc_lo, s78, v4
	s_and_b32 exec_lo, exec_lo, vcc_lo
	s_cbranch_execz .LBB82_174
; %bb.179:                              ;   in Loop: Header=BB82_175 Depth=2
	v_lshlrev_b16 v3, 8, v3
	s_delay_alu instid0(VALU_DEP_1)
	v_or_b32_e32 v3, 1, v3
	ds_store_b16 v21, v3 offset:3072
	s_branch .LBB82_174
.LBB82_180:                             ;   in Loop: Header=BB82_12 Depth=1
	s_set_inst_prefetch_distance 0x2
	s_or_b32 exec_lo, exec_lo, s20
	v_lshrrev_b16 v22, 8, v3
	s_and_b32 s25, s21, exec_lo
.LBB82_181:                             ;   in Loop: Header=BB82_12 Depth=1
	s_or_b32 exec_lo, exec_lo, s19
	s_mov_b32 s21, -1
	s_mov_b32 s19, 0
	s_mov_b32 s20, 0
.LBB82_182:                             ;   in Loop: Header=BB82_12 Depth=1
	s_mov_b32 s26, 0
                                        ; implicit-def: $sgpr7
	s_and_saveexec_b32 s22, s25
	s_cbranch_execz .LBB82_237
; %bb.183:                              ;   in Loop: Header=BB82_12 Depth=1
	s_xor_b32 s7, s23, -1
	s_mov_b32 s25, 0
	s_and_not1_b32 vcc_lo, exec_lo, s7
	s_mov_b32 s23, 1
	s_cbranch_vccnz .LBB82_194
; %bb.184:                              ;   in Loop: Header=BB82_12 Depth=1
	s_cmp_gt_u32 s24, s15
	s_mov_b32 s25, -1
                                        ; implicit-def: $sgpr7
                                        ; implicit-def: $sgpr23
                                        ; implicit-def: $sgpr26
	s_cbranch_scc1 .LBB82_190
; %bb.185:                              ;   in Loop: Header=BB82_12 Depth=1
	ds_load_b32 v1, v21 offset:4104
	s_waitcnt lgkmcnt(0)
	v_cmp_ne_u32_e32 vcc_lo, 0, v1
	s_cbranch_vccnz .LBB82_189
; %bb.186:                              ;   in Loop: Header=BB82_12 Depth=1
	s_and_saveexec_b32 s7, s2
	s_cbranch_execz .LBB82_188
; %bb.187:                              ;   in Loop: Header=BB82_12 Depth=1
	v_mov_b32_e32 v1, s15
	ds_store_b32 v21, v1 offset:4108
.LBB82_188:                             ;   in Loop: Header=BB82_12 Depth=1
	s_or_b32 exec_lo, exec_lo, s7
	s_waitcnt lgkmcnt(0)
	s_barrier
	buffer_gl0_inv
.LBB82_189:                             ;   in Loop: Header=BB82_12 Depth=1
	s_lshl_b32 s7, 2, s16
	s_and_b32 s16, s78, s17
	s_or_b32 s26, s79, s10
	s_or_b32 s23, s16, s7
	s_mov_b32 s25, 0
	s_mov_b32 s7, 8
.LBB82_190:                             ;   in Loop: Header=BB82_12 Depth=1
	s_and_not1_b32 vcc_lo, exec_lo, s25
	s_cbranch_vccnz .LBB82_192
; %bb.191:                              ;   in Loop: Header=BB82_12 Depth=1
	s_sub_i32 s24, s24, s15
	s_mov_b32 s25, -1
	s_mov_b32 s7, 0
	s_mov_b32 s23, s78
	;; [unrolled: 1-line block ×3, first 2 shown]
.LBB82_192:                             ;   in Loop: Header=BB82_12 Depth=1
	s_delay_alu instid0(SALU_CYCLE_1)
	s_mov_b32 s79, s26
	s_mov_b32 s78, s23
	;; [unrolled: 1-line block ×3, first 2 shown]
	s_and_not1_b32 vcc_lo, exec_lo, s25
	s_mov_b32 s80, -1
	s_cbranch_vccz .LBB82_195
.LBB82_193:                             ;   in Loop: Header=BB82_12 Depth=1
                                        ; implicit-def: $sgpr16
                                        ; implicit-def: $sgpr24
                                        ; implicit-def: $sgpr17
	s_branch .LBB82_236
.LBB82_194:                             ;   in Loop: Header=BB82_12 Depth=1
	s_mov_b32 s7, 1
	s_and_not1_b32 vcc_lo, exec_lo, s25
	s_mov_b32 s80, -1
	s_cbranch_vccnz .LBB82_193
.LBB82_195:                             ;   in Loop: Header=BB82_12 Depth=1
	s_cmp_eq_u32 s8, 1
	s_mov_b32 s25, -1
	s_cselect_b32 s7, -1, 0
	s_cmp_eq_u32 s23, 1
	s_cselect_b32 s15, -1, 0
	s_delay_alu instid0(SALU_CYCLE_1) | instskip(NEXT) | instid1(SALU_CYCLE_1)
	s_and_b32 s15, s7, s15
	s_and_b32 vcc_lo, exec_lo, s15
	s_cbranch_vccz .LBB82_207
; %bb.196:                              ;   in Loop: Header=BB82_12 Depth=1
	ds_load_b32 v1, v21 offset:4104
	s_waitcnt lgkmcnt(0)
	s_barrier
	buffer_gl0_inv
	v_readfirstlane_b32 s16, v1
	s_and_saveexec_b32 s7, s1
	s_cbranch_execz .LBB82_198
; %bb.197:                              ;   in Loop: Header=BB82_12 Depth=1
	ds_store_b8 v0, v21 offset:3072
.LBB82_198:                             ;   in Loop: Header=BB82_12 Depth=1
	s_or_b32 exec_lo, exec_lo, s7
	s_or_b32 s78, s78, s10
	s_or_b32 s79, s79, s10
	s_cmp_eq_u32 s16, 0
	s_waitcnt lgkmcnt(0)
	s_barrier
	buffer_gl0_inv
	s_cbranch_scc1 .LBB82_208
; %bb.199:                              ;   in Loop: Header=BB82_12 Depth=1
	s_add_i32 s7, s16, s56
	s_mov_b32 s25, 0
	s_mul_hi_u32 s17, s7, s66
                                        ; implicit-def: $vgpr22
	s_delay_alu instid0(SALU_CYCLE_1) | instskip(NEXT) | instid1(SALU_CYCLE_1)
	s_mul_i32 s17, s17, s39
	s_sub_i32 s17, s7, s17
	s_delay_alu instid0(SALU_CYCLE_1) | instskip(SKIP_2) | instid1(SALU_CYCLE_1)
	s_sub_i32 s24, s17, s39
	s_cmp_ge_u32 s17, s39
	s_cselect_b32 s17, s24, s17
	s_sub_i32 s24, s17, s39
	s_cmp_ge_u32 s17, s39
	s_cselect_b32 s17, s24, s17
	s_delay_alu instid0(SALU_CYCLE_1)
	s_sub_i32 s24, s7, s17
	s_mov_b32 s17, exec_lo
	v_cmpx_gt_u32_e64 s24, v0
	s_cbranch_execz .LBB82_210
; %bb.200:                              ;   in Loop: Header=BB82_12 Depth=1
	v_mov_b32_e32 v1, v0
                                        ; implicit-def: $sgpr26
	s_set_inst_prefetch_distance 0x1
	s_branch .LBB82_202
	.p2align	6
.LBB82_201:                             ;   in Loop: Header=BB82_202 Depth=2
	s_or_b32 exec_lo, exec_lo, s7
	s_waitcnt lgkmcnt(0)
	s_barrier
	buffer_gl0_inv
	ds_load_u16 v2, v21 offset:3072
	v_add_nc_u32_e32 v1, s39, v1
	s_waitcnt lgkmcnt(0)
	s_barrier
	buffer_gl0_inv
	v_cmp_le_u32_e32 vcc_lo, s24, v1
	v_and_b32_e32 v3, 0xff, v2
	s_delay_alu instid0(VALU_DEP_1) | instskip(NEXT) | instid1(VALU_DEP_1)
	v_cmp_ne_u16_e64 s7, 0, v3
	s_or_b32 s80, vcc_lo, s7
	s_delay_alu instid0(SALU_CYCLE_1) | instskip(NEXT) | instid1(SALU_CYCLE_1)
	s_and_b32 s80, exec_lo, s80
	s_or_b32 s25, s80, s25
	s_and_not1_b32 s26, s26, exec_lo
	s_and_b32 s7, s7, exec_lo
	s_delay_alu instid0(SALU_CYCLE_1)
	s_or_b32 s26, s26, s7
	s_and_not1_b32 exec_lo, exec_lo, s25
	s_cbranch_execz .LBB82_209
.LBB82_202:                             ;   Parent Loop BB82_12 Depth=1
                                        ; =>  This Inner Loop Header: Depth=2
	s_delay_alu instid0(VALU_DEP_1)
	v_cmp_gt_u32_e32 vcc_lo, s16, v1
	v_mov_b32_e32 v2, 0
	s_and_saveexec_b32 s7, vcc_lo
	s_cbranch_execz .LBB82_204
; %bb.203:                              ;   in Loop: Header=BB82_202 Depth=2
	ds_load_u8 v2, v1
.LBB82_204:                             ;   in Loop: Header=BB82_202 Depth=2
	s_or_b32 exec_lo, exec_lo, s7
	s_and_saveexec_b32 s7, vcc_lo
	s_cbranch_execz .LBB82_201
; %bb.205:                              ;   in Loop: Header=BB82_202 Depth=2
	s_waitcnt lgkmcnt(0)
	v_bfe_i32 v3, v2, 0, 8
	s_delay_alu instid0(VALU_DEP_1) | instskip(NEXT) | instid1(VALU_DEP_1)
	v_add_nc_u32_e32 v3, 0x80, v3
	v_and_b32_e32 v3, s79, v3
	s_delay_alu instid0(VALU_DEP_1)
	v_cmp_eq_u32_e32 vcc_lo, s78, v3
	s_and_b32 exec_lo, exec_lo, vcc_lo
	s_cbranch_execz .LBB82_201
; %bb.206:                              ;   in Loop: Header=BB82_202 Depth=2
	v_lshlrev_b16 v2, 8, v2
	s_delay_alu instid0(VALU_DEP_1)
	v_or_b32_e32 v2, 1, v2
	ds_store_b16 v21, v2 offset:3072
	s_branch .LBB82_201
.LBB82_207:                             ;   in Loop: Header=BB82_12 Depth=1
                                        ; implicit-def: $sgpr16
                                        ; implicit-def: $sgpr24
                                        ; implicit-def: $sgpr17
	s_branch .LBB82_221
.LBB82_208:                             ;   in Loop: Header=BB82_12 Depth=1
	s_mov_b32 s16, -1
	s_mov_b32 s25, 0
                                        ; implicit-def: $sgpr17
                                        ; implicit-def: $vgpr22
	s_mov_b32 s24, s16
	s_cbranch_execnz .LBB82_211
	s_branch .LBB82_221
.LBB82_209:                             ;   in Loop: Header=BB82_12 Depth=1
	s_set_inst_prefetch_distance 0x2
	s_or_b32 exec_lo, exec_lo, s25
	v_lshrrev_b16 v22, 8, v2
	s_and_b32 s25, s26, exec_lo
.LBB82_210:                             ;   in Loop: Header=BB82_12 Depth=1
	s_or_b32 exec_lo, exec_lo, s17
	s_mov_b32 s17, -1
	s_mov_b32 s16, 0
	s_delay_alu instid0(SALU_CYCLE_1)
	s_mov_b32 s24, s16
	s_branch .LBB82_221
.LBB82_211:                             ;   in Loop: Header=BB82_12 Depth=1
	s_mov_b32 s25, 0
                                        ; implicit-def: $vgpr22
	s_and_saveexec_b32 s16, s6
	s_cbranch_execz .LBB82_220
; %bb.212:                              ;   in Loop: Header=BB82_12 Depth=1
	v_dual_mov_b32 v1, v11 :: v_dual_mov_b32 v2, v0
	s_mov_b32 s17, 0
                                        ; implicit-def: $sgpr24
	s_set_inst_prefetch_distance 0x1
	s_branch .LBB82_214
	.p2align	6
.LBB82_213:                             ;   in Loop: Header=BB82_214 Depth=2
	s_or_b32 exec_lo, exec_lo, s7
	s_waitcnt vmcnt(0) lgkmcnt(0)
	s_barrier
	buffer_gl0_inv
	ds_load_u16 v3, v21 offset:3072
	v_add_nc_u32_e32 v2, s39, v2
	v_add_nc_u32_e32 v1, s55, v1
	s_waitcnt lgkmcnt(0)
	s_barrier
	buffer_gl0_inv
	v_cmp_le_u32_e32 vcc_lo, s68, v2
	v_and_b32_e32 v4, 0xff, v3
	s_delay_alu instid0(VALU_DEP_1) | instskip(NEXT) | instid1(VALU_DEP_1)
	v_cmp_ne_u16_e64 s7, 0, v4
	s_or_b32 s25, vcc_lo, s7
	s_delay_alu instid0(SALU_CYCLE_1) | instskip(NEXT) | instid1(SALU_CYCLE_1)
	s_and_b32 s25, exec_lo, s25
	s_or_b32 s17, s25, s17
	s_and_not1_b32 s24, s24, exec_lo
	s_and_b32 s7, s7, exec_lo
	s_delay_alu instid0(SALU_CYCLE_1)
	s_or_b32 s24, s24, s7
	s_and_not1_b32 exec_lo, exec_lo, s17
	s_cbranch_execz .LBB82_219
.LBB82_214:                             ;   Parent Loop BB82_12 Depth=1
                                        ; =>  This Inner Loop Header: Depth=2
	s_delay_alu instid0(VALU_DEP_1)
	v_cmp_gt_u32_e32 vcc_lo, s28, v2
	v_mov_b32_e32 v3, 0
	s_and_saveexec_b32 s7, vcc_lo
	s_cbranch_execz .LBB82_216
; %bb.215:                              ;   in Loop: Header=BB82_214 Depth=2
	global_load_u8 v3, v1, s[48:49]
.LBB82_216:                             ;   in Loop: Header=BB82_214 Depth=2
	s_or_b32 exec_lo, exec_lo, s7
	s_and_saveexec_b32 s7, vcc_lo
	s_cbranch_execz .LBB82_213
; %bb.217:                              ;   in Loop: Header=BB82_214 Depth=2
	s_waitcnt vmcnt(0)
	v_bfe_i32 v4, v3, 0, 8
	s_delay_alu instid0(VALU_DEP_1) | instskip(NEXT) | instid1(VALU_DEP_1)
	v_add_nc_u32_e32 v4, 0x80, v4
	v_and_b32_e32 v4, s79, v4
	s_delay_alu instid0(VALU_DEP_1)
	v_cmp_eq_u32_e32 vcc_lo, s78, v4
	s_and_b32 exec_lo, exec_lo, vcc_lo
	s_cbranch_execz .LBB82_213
; %bb.218:                              ;   in Loop: Header=BB82_214 Depth=2
	v_lshlrev_b16 v3, 8, v3
	s_delay_alu instid0(VALU_DEP_1)
	v_or_b32_e32 v3, 1, v3
	ds_store_b16 v21, v3 offset:3072
	s_branch .LBB82_213
.LBB82_219:                             ;   in Loop: Header=BB82_12 Depth=1
	s_set_inst_prefetch_distance 0x2
	s_or_b32 exec_lo, exec_lo, s17
	v_lshrrev_b16 v22, 8, v3
	s_and_b32 s25, s24, exec_lo
.LBB82_220:                             ;   in Loop: Header=BB82_12 Depth=1
	s_or_b32 exec_lo, exec_lo, s16
	s_mov_b32 s24, -1
	s_mov_b32 s16, 0
	s_mov_b32 s17, 0
.LBB82_221:                             ;   in Loop: Header=BB82_12 Depth=1
	s_mov_b32 s80, 0
                                        ; implicit-def: $sgpr7
	s_and_saveexec_b32 s26, s25
	s_cbranch_execz .LBB82_235
; %bb.222:                              ;   in Loop: Header=BB82_12 Depth=1
	s_xor_b32 s7, s15, -1
	s_delay_alu instid0(SALU_CYCLE_1)
	s_and_not1_b32 vcc_lo, exec_lo, s7
	s_mov_b32 s7, 1
	s_cbranch_vccnz .LBB82_229
; %bb.223:                              ;   in Loop: Header=BB82_12 Depth=1
	s_cmp_gt_u32 s23, s8
	s_cbranch_scc1 .LBB82_230
; %bb.224:                              ;   in Loop: Header=BB82_12 Depth=1
	ds_load_b32 v1, v21 offset:4104
	s_waitcnt lgkmcnt(0)
	v_cmp_ne_u32_e32 vcc_lo, 0, v1
	s_cbranch_vccnz .LBB82_228
; %bb.225:                              ;   in Loop: Header=BB82_12 Depth=1
	s_and_saveexec_b32 s7, s2
	s_cbranch_execz .LBB82_227
; %bb.226:                              ;   in Loop: Header=BB82_12 Depth=1
	v_mov_b32_e32 v1, s8
	ds_store_b32 v21, v1 offset:4108
.LBB82_227:                             ;   in Loop: Header=BB82_12 Depth=1
	s_or_b32 exec_lo, exec_lo, s7
	s_waitcnt lgkmcnt(0)
	s_barrier
	buffer_gl0_inv
.LBB82_228:                             ;   in Loop: Header=BB82_12 Depth=1
	s_or_b32 s15, s78, s10
	s_or_b32 s10, s79, s10
	s_mov_b32 s25, 0
	s_mov_b32 s7, 8
	s_branch .LBB82_231
.LBB82_229:                             ;   in Loop: Header=BB82_12 Depth=1
	s_mov_b32 s23, 1
	s_branch .LBB82_234
.LBB82_230:                             ;   in Loop: Header=BB82_12 Depth=1
	s_mov_b32 s25, -1
                                        ; implicit-def: $sgpr7
                                        ; implicit-def: $sgpr15
                                        ; implicit-def: $sgpr10
.LBB82_231:                             ;   in Loop: Header=BB82_12 Depth=1
	s_delay_alu instid0(SALU_CYCLE_1)
	s_and_not1_b32 vcc_lo, exec_lo, s25
	s_cbranch_vccnz .LBB82_233
; %bb.232:                              ;   in Loop: Header=BB82_12 Depth=1
	s_sub_i32 s23, s23, s8
	s_mov_b32 s7, 8
	s_mov_b32 s15, s78
	;; [unrolled: 1-line block ×3, first 2 shown]
.LBB82_233:                             ;   in Loop: Header=BB82_12 Depth=1
	s_mov_b32 s78, s15
	s_mov_b32 s79, s10
.LBB82_234:                             ;   in Loop: Header=BB82_12 Depth=1
	s_mov_b32 s80, exec_lo
.LBB82_235:                             ;   in Loop: Header=BB82_12 Depth=1
	s_or_b32 exec_lo, exec_lo, s26
.LBB82_236:                             ;   in Loop: Header=BB82_12 Depth=1
	s_delay_alu instid0(SALU_CYCLE_1)
	s_and_not1_b32 s8, s19, exec_lo
	s_and_b32 s10, s16, exec_lo
	s_and_not1_b32 s15, s20, exec_lo
	s_or_b32 s19, s8, s10
	s_and_not1_b32 s8, s21, exec_lo
	s_and_b32 s10, s24, exec_lo
	s_and_b32 s16, s17, exec_lo
	s_or_b32 s21, s8, s10
	s_or_b32 s20, s15, s16
	s_and_b32 s26, s80, exec_lo
	s_mov_b32 s24, s23
.LBB82_237:                             ;   in Loop: Header=BB82_12 Depth=1
	s_or_b32 exec_lo, exec_lo, s22
.LBB82_238:                             ;   in Loop: Header=BB82_12 Depth=1
	s_delay_alu instid0(SALU_CYCLE_1)
	s_and_not1_b32 s8, s13, exec_lo
	s_and_b32 s10, s19, exec_lo
	s_and_not1_b32 s12, s12, exec_lo
	s_or_b32 s13, s8, s10
	s_and_not1_b32 s8, s14, exec_lo
	s_and_b32 s10, s21, exec_lo
	s_and_b32 s15, s20, exec_lo
	s_or_b32 s14, s8, s10
	s_or_b32 s12, s12, s15
	s_and_b32 s23, s26, exec_lo
	s_mov_b32 s20, s24
.LBB82_239:                             ;   in Loop: Header=BB82_12 Depth=1
	s_or_b32 exec_lo, exec_lo, s18
                                        ; implicit-def: $sgpr80
	s_and_saveexec_b32 s8, s23
	s_delay_alu instid0(SALU_CYCLE_1)
	s_xor_b32 s8, exec_lo, s8
	s_cbranch_execz .LBB82_10
.LBB82_240:                             ;   in Loop: Header=BB82_12 Depth=1
	s_and_b32 s7, s7, -9
	s_delay_alu instid0(SALU_CYCLE_1)
	s_cmp_eq_u32 s7, 0
	s_cbranch_scc1 .LBB82_8
; %bb.241:                              ;   in Loop: Header=BB82_12 Depth=1
	s_mov_b32 s7, -1
	s_mov_b32 s10, -1
                                        ; implicit-def: $sgpr79
                                        ; implicit-def: $sgpr20
                                        ; implicit-def: $sgpr69
                                        ; implicit-def: $sgpr76
	s_branch .LBB82_9
.LBB82_242:
	s_or_b32 exec_lo, exec_lo, s64
	s_xor_b32 s4, s73, -1
	s_xor_b32 s1, s71, -1
	;; [unrolled: 1-line block ×3, first 2 shown]
	s_mov_b32 s2, 0
	s_and_saveexec_b32 s5, s1
	s_delay_alu instid0(SALU_CYCLE_1)
	s_xor_b32 s1, exec_lo, s5
	s_cbranch_execz .LBB82_256
; %bb.243:
	s_and_saveexec_b32 s2, s4
	s_delay_alu instid0(SALU_CYCLE_1)
	s_xor_b32 s2, exec_lo, s2
	s_cbranch_execz .LBB82_254
; %bb.244:
	s_and_saveexec_b32 s4, s3
	s_delay_alu instid0(SALU_CYCLE_1)
	s_xor_b32 s3, exec_lo, s4
; %bb.245:
	v_xor_b32_e32 v22, 0xffffff80, v1
; %bb.246:
	s_or_b32 exec_lo, exec_lo, s3
	s_mul_i32 s4, s43, s44
	s_mul_i32 s3, s33, s45
	s_sub_i32 s4, s33, s4
	s_sub_i32 s3, s27, s3
	s_add_i32 s5, s43, 1
	s_sub_i32 s6, s4, s44
	s_cmp_ge_u32 s4, s44
	s_mul_i32 s3, s3, s42
	s_cselect_b32 s5, s5, s43
	s_cselect_b32 s4, s6, s4
	s_add_i32 s6, s5, 1
	s_cmp_ge_u32 s4, s44
	s_cselect_b32 s4, s6, s5
	s_delay_alu instid0(SALU_CYCLE_1) | instskip(SKIP_2) | instid1(SALU_CYCLE_1)
	s_mul_i32 s5, s4, s44
	s_mul_i32 s4, s4, s40
	s_sub_i32 s5, s33, s5
	s_mul_i32 s5, s5, s41
	s_delay_alu instid0(SALU_CYCLE_1) | instskip(NEXT) | instid1(SALU_CYCLE_1)
	s_add_i32 s3, s5, s3
	s_add_i32 s3, s3, s4
	s_delay_alu instid0(SALU_CYCLE_1)
	v_mov_b32_e32 v1, s3
	global_store_b8 v1, v22, s[50:51]
	s_and_saveexec_b32 s3, s0
	s_cbranch_execz .LBB82_253
; %bb.247:
	v_and_b32_e32 v2, 0xff, v22
	s_mov_b32 s0, 0
                                        ; implicit-def: $sgpr4
                                        ; implicit-def: $sgpr6
                                        ; implicit-def: $sgpr5
	s_set_inst_prefetch_distance 0x1
	s_branch .LBB82_249
	.p2align	6
.LBB82_248:                             ;   in Loop: Header=BB82_249 Depth=1
	s_or_b32 exec_lo, exec_lo, s7
	s_delay_alu instid0(SALU_CYCLE_1) | instskip(NEXT) | instid1(SALU_CYCLE_1)
	s_and_b32 s7, exec_lo, s6
	s_or_b32 s0, s7, s0
	s_and_not1_b32 s4, s4, exec_lo
	s_and_b32 s7, s5, exec_lo
	s_delay_alu instid0(SALU_CYCLE_1)
	s_or_b32 s4, s4, s7
	s_and_not1_b32 exec_lo, exec_lo, s0
	s_cbranch_execz .LBB82_251
.LBB82_249:                             ; =>This Inner Loop Header: Depth=1
	global_load_u8 v3, v11, s[48:49]
	v_mov_b32_e32 v1, v0
	s_or_b32 s5, s5, exec_lo
	s_or_b32 s6, s6, exec_lo
	s_mov_b32 s7, exec_lo
                                        ; implicit-def: $vgpr0
	s_waitcnt vmcnt(0)
	v_cmpx_ne_u16_e64 v3, v2
	s_cbranch_execz .LBB82_248
; %bb.250:                              ;   in Loop: Header=BB82_249 Depth=1
	v_add_nc_u32_e32 v0, s39, v1
	s_and_not1_b32 s6, s6, exec_lo
	v_add_nc_u32_e32 v11, s55, v11
	s_and_not1_b32 s5, s5, exec_lo
	s_delay_alu instid0(VALU_DEP_2) | instskip(SKIP_1) | instid1(SALU_CYCLE_1)
	v_cmp_le_u32_e32 vcc_lo, s28, v0
	s_and_b32 s8, vcc_lo, exec_lo
	s_or_b32 s6, s6, s8
	s_branch .LBB82_248
.LBB82_251:
	s_set_inst_prefetch_distance 0x2
	s_or_b32 exec_lo, exec_lo, s0
	s_and_saveexec_b32 s0, s4
	s_delay_alu instid0(SALU_CYCLE_1)
	s_xor_b32 s0, exec_lo, s0
	s_cbranch_execz .LBB82_253
; %bb.252:
	s_mul_i32 s4, s31, s34
	s_mul_i32 s0, s29, s35
	s_sub_i32 s4, s29, s4
	s_sub_i32 s0, s27, s0
	s_add_i32 s5, s31, 1
	s_sub_i32 s6, s4, s34
	s_cmp_ge_u32 s4, s34
	s_mul_i32 s0, s0, s38
	s_cselect_b32 s5, s5, s31
	s_cselect_b32 s4, s6, s4
	s_add_i32 s6, s5, 1
	s_cmp_ge_u32 s4, s34
	v_mov_b32_e32 v2, 0
	s_cselect_b32 s4, s6, s5
	s_delay_alu instid0(SALU_CYCLE_1) | instskip(SKIP_2) | instid1(SALU_CYCLE_1)
	s_mul_i32 s5, s4, s34
	s_mul_i32 s4, s4, s36
	s_sub_i32 s5, s29, s5
	s_mul_i32 s5, s5, s37
	s_delay_alu instid0(SALU_CYCLE_1) | instskip(SKIP_2) | instid1(SALU_CYCLE_1)
	s_add_i32 s0, s5, s0
	s_mov_b32 s5, 0
	s_add_i32 s4, s0, s4
	s_lshl_b64 s[4:5], s[4:5], 3
	s_delay_alu instid0(SALU_CYCLE_1)
	s_add_u32 s4, s46, s4
	s_addc_u32 s5, s47, s5
	global_store_b64 v2, v[1:2], s[4:5]
.LBB82_253:
	s_or_b32 exec_lo, exec_lo, s3
.LBB82_254:
	s_or_saveexec_b32 s0, s2
	s_mov_b32 s2, 0
	s_xor_b32 exec_lo, exec_lo, s0
	s_cbranch_execnz .LBB82_262
.LBB82_255:
	s_or_b32 exec_lo, exec_lo, s0
	s_delay_alu instid0(SALU_CYCLE_1)
	s_and_b32 s2, s2, exec_lo
.LBB82_256:
	s_and_not1_saveexec_b32 s0, s1
	s_cbranch_execnz .LBB82_260
; %bb.257:
	s_or_b32 exec_lo, exec_lo, s0
	s_and_saveexec_b32 s0, s2
.LBB82_258:
	; divergent unreachable
.LBB82_259:
	s_nop 0
	s_sendmsg sendmsg(MSG_DEALLOC_VGPRS)
	s_endpgm
.LBB82_260:
	s_cbranch_execnz .LBB82_264
; %bb.261:
	s_or_b32 s2, s2, exec_lo
	s_or_b32 exec_lo, exec_lo, s0
	s_and_saveexec_b32 s0, s2
	s_cbranch_execnz .LBB82_258
	s_branch .LBB82_259
.LBB82_262:
	s_cbranch_execnz .LBB82_266
; %bb.263:
	s_mov_b32 s2, exec_lo
	s_branch .LBB82_255
.LBB82_264:
	s_trap 2
	s_sendmsg_rtn_b32 s0, sendmsg(MSG_RTN_GET_DOORBELL)
	s_mov_b32 ttmp2, m0
	s_waitcnt lgkmcnt(0)
	s_and_b32 s0, s0, 0x3ff
	s_delay_alu instid0(SALU_CYCLE_1) | instskip(NEXT) | instid1(SALU_CYCLE_1)
	s_bitset1_b32 s0, 10
	s_mov_b32 m0, s0
	s_sendmsg sendmsg(MSG_INTERRUPT)
	s_mov_b32 m0, ttmp2
.LBB82_265:                             ; =>This Inner Loop Header: Depth=1
	s_sethalt 5
	s_branch .LBB82_265
.LBB82_266:
	s_trap 2
	s_sendmsg_rtn_b32 s0, sendmsg(MSG_RTN_GET_DOORBELL)
	s_mov_b32 ttmp2, m0
	s_waitcnt lgkmcnt(0)
	s_and_b32 s0, s0, 0x3ff
	s_delay_alu instid0(SALU_CYCLE_1) | instskip(NEXT) | instid1(SALU_CYCLE_1)
	s_bitset1_b32 s0, 10
	s_mov_b32 m0, s0
	s_sendmsg sendmsg(MSG_INTERRUPT)
	s_mov_b32 m0, ttmp2
.LBB82_267:                             ; =>This Inner Loop Header: Depth=1
	s_sethalt 5
	s_branch .LBB82_267
	.section	.rodata,"a",@progbits
	.p2align	6, 0x0
	.amdhsa_kernel _ZN2at6native12_GLOBAL__N_112gatherMedianIajLi3EEEvNS_4cuda6detail10TensorInfoIT_T0_EENS5_IlS7_EENS5_IKS6_S7_EES7_S7_S7_b
		.amdhsa_group_segment_fixed_size 4120
		.amdhsa_private_segment_fixed_size 0
		.amdhsa_kernarg_size 920
		.amdhsa_user_sgpr_count 13
		.amdhsa_user_sgpr_dispatch_ptr 0
		.amdhsa_user_sgpr_queue_ptr 0
		.amdhsa_user_sgpr_kernarg_segment_ptr 1
		.amdhsa_user_sgpr_dispatch_id 0
		.amdhsa_user_sgpr_private_segment_size 0
		.amdhsa_wavefront_size32 1
		.amdhsa_uses_dynamic_stack 0
		.amdhsa_enable_private_segment 0
		.amdhsa_system_sgpr_workgroup_id_x 1
		.amdhsa_system_sgpr_workgroup_id_y 1
		.amdhsa_system_sgpr_workgroup_id_z 1
		.amdhsa_system_sgpr_workgroup_info 0
		.amdhsa_system_vgpr_workitem_id 0
		.amdhsa_next_free_vgpr 36
		.amdhsa_next_free_sgpr 90
		.amdhsa_reserve_vcc 1
		.amdhsa_float_round_mode_32 0
		.amdhsa_float_round_mode_16_64 0
		.amdhsa_float_denorm_mode_32 3
		.amdhsa_float_denorm_mode_16_64 3
		.amdhsa_dx10_clamp 1
		.amdhsa_ieee_mode 1
		.amdhsa_fp16_overflow 0
		.amdhsa_workgroup_processor_mode 1
		.amdhsa_memory_ordered 1
		.amdhsa_forward_progress 0
		.amdhsa_shared_vgpr_count 0
		.amdhsa_exception_fp_ieee_invalid_op 0
		.amdhsa_exception_fp_denorm_src 0
		.amdhsa_exception_fp_ieee_div_zero 0
		.amdhsa_exception_fp_ieee_overflow 0
		.amdhsa_exception_fp_ieee_underflow 0
		.amdhsa_exception_fp_ieee_inexact 0
		.amdhsa_exception_int_div_zero 0
	.end_amdhsa_kernel
	.section	.text._ZN2at6native12_GLOBAL__N_112gatherMedianIajLi3EEEvNS_4cuda6detail10TensorInfoIT_T0_EENS5_IlS7_EENS5_IKS6_S7_EES7_S7_S7_b,"axG",@progbits,_ZN2at6native12_GLOBAL__N_112gatherMedianIajLi3EEEvNS_4cuda6detail10TensorInfoIT_T0_EENS5_IlS7_EENS5_IKS6_S7_EES7_S7_S7_b,comdat
.Lfunc_end82:
	.size	_ZN2at6native12_GLOBAL__N_112gatherMedianIajLi3EEEvNS_4cuda6detail10TensorInfoIT_T0_EENS5_IlS7_EENS5_IKS6_S7_EES7_S7_S7_b, .Lfunc_end82-_ZN2at6native12_GLOBAL__N_112gatherMedianIajLi3EEEvNS_4cuda6detail10TensorInfoIT_T0_EENS5_IlS7_EENS5_IKS6_S7_EES7_S7_S7_b
                                        ; -- End function
	.section	.AMDGPU.csdata,"",@progbits
; Kernel info:
; codeLenInByte = 10036
; NumSgprs: 92
; NumVgprs: 36
; ScratchSize: 0
; MemoryBound: 0
; FloatMode: 240
; IeeeMode: 1
; LDSByteSize: 4120 bytes/workgroup (compile time only)
; SGPRBlocks: 11
; VGPRBlocks: 4
; NumSGPRsForWavesPerEU: 92
; NumVGPRsForWavesPerEU: 36
; Occupancy: 16
; WaveLimiterHint : 1
; COMPUTE_PGM_RSRC2:SCRATCH_EN: 0
; COMPUTE_PGM_RSRC2:USER_SGPR: 13
; COMPUTE_PGM_RSRC2:TRAP_HANDLER: 0
; COMPUTE_PGM_RSRC2:TGID_X_EN: 1
; COMPUTE_PGM_RSRC2:TGID_Y_EN: 1
; COMPUTE_PGM_RSRC2:TGID_Z_EN: 1
; COMPUTE_PGM_RSRC2:TIDIG_COMP_CNT: 0
	.section	.text._ZN2at6native12_GLOBAL__N_112gatherMedianIajLin1EEEvNS_4cuda6detail10TensorInfoIT_T0_EENS5_IlS7_EENS5_IKS6_S7_EES7_S7_S7_b,"axG",@progbits,_ZN2at6native12_GLOBAL__N_112gatherMedianIajLin1EEEvNS_4cuda6detail10TensorInfoIT_T0_EENS5_IlS7_EENS5_IKS6_S7_EES7_S7_S7_b,comdat
	.globl	_ZN2at6native12_GLOBAL__N_112gatherMedianIajLin1EEEvNS_4cuda6detail10TensorInfoIT_T0_EENS5_IlS7_EENS5_IKS6_S7_EES7_S7_S7_b ; -- Begin function _ZN2at6native12_GLOBAL__N_112gatherMedianIajLin1EEEvNS_4cuda6detail10TensorInfoIT_T0_EENS5_IlS7_EENS5_IKS6_S7_EES7_S7_S7_b
	.p2align	8
	.type	_ZN2at6native12_GLOBAL__N_112gatherMedianIajLin1EEEvNS_4cuda6detail10TensorInfoIT_T0_EENS5_IlS7_EENS5_IKS6_S7_EES7_S7_S7_b,@function
_ZN2at6native12_GLOBAL__N_112gatherMedianIajLin1EEEvNS_4cuda6detail10TensorInfoIT_T0_EENS5_IlS7_EENS5_IKS6_S7_EES7_S7_S7_b: ; @_ZN2at6native12_GLOBAL__N_112gatherMedianIajLin1EEEvNS_4cuda6detail10TensorInfoIT_T0_EENS5_IlS7_EENS5_IKS6_S7_EES7_S7_S7_b
; %bb.0:
	s_clause 0x1
	s_load_b64 s[6:7], s[0:1], 0x298
	s_load_b128 s[28:31], s[0:1], 0x288
	s_add_u32 s4, s0, 0x298
	s_addc_u32 s5, s1, 0
	s_waitcnt lgkmcnt(0)
	s_mul_i32 s2, s7, s15
	s_delay_alu instid0(SALU_CYCLE_1) | instskip(NEXT) | instid1(SALU_CYCLE_1)
	s_add_i32 s2, s2, s14
	s_mul_i32 s2, s2, s6
	s_delay_alu instid0(SALU_CYCLE_1) | instskip(NEXT) | instid1(SALU_CYCLE_1)
	s_add_i32 s7, s2, s13
	s_cmp_ge_u32 s7, s29
	s_cbranch_scc1 .LBB83_268
; %bb.1:
	s_load_b32 s2, s[0:1], 0xd0
	s_mov_b32 s27, 0
	s_mov_b32 s29, s7
	s_waitcnt lgkmcnt(0)
	s_cmp_lt_i32 s2, 2
	s_cbranch_scc1 .LBB83_4
; %bb.2:
	s_add_i32 s26, s2, -1
	s_add_i32 s8, s2, 1
	s_lshl_b64 s[10:11], s[26:27], 2
	s_mov_b32 s29, s7
	s_add_u32 s2, s10, s0
	s_addc_u32 s3, s11, s1
	s_add_u32 s2, s2, 8
	s_addc_u32 s3, s3, 0
	s_set_inst_prefetch_distance 0x1
	.p2align	6
.LBB83_3:                               ; =>This Inner Loop Header: Depth=1
	s_clause 0x1
	s_load_b32 s9, s[2:3], 0x0
	s_load_b32 s10, s[2:3], 0x64
	s_mov_b32 s14, s29
	s_waitcnt lgkmcnt(0)
	v_cvt_f32_u32_e32 v1, s9
	s_sub_i32 s12, 0, s9
	s_waitcnt_depctr 0xfff
	v_rcp_iflag_f32_e32 v1, v1
	s_waitcnt_depctr 0xfff
	v_mul_f32_e32 v1, 0x4f7ffffe, v1
	s_delay_alu instid0(VALU_DEP_1) | instskip(NEXT) | instid1(VALU_DEP_1)
	v_cvt_u32_f32_e32 v1, v1
	v_readfirstlane_b32 s11, v1
	s_delay_alu instid0(VALU_DEP_1) | instskip(NEXT) | instid1(SALU_CYCLE_1)
	s_mul_i32 s12, s12, s11
	s_mul_hi_u32 s12, s11, s12
	s_delay_alu instid0(SALU_CYCLE_1) | instskip(NEXT) | instid1(SALU_CYCLE_1)
	s_add_i32 s11, s11, s12
	s_mul_hi_u32 s11, s29, s11
	s_delay_alu instid0(SALU_CYCLE_1) | instskip(SKIP_2) | instid1(SALU_CYCLE_1)
	s_mul_i32 s12, s11, s9
	s_add_i32 s15, s11, 1
	s_sub_i32 s12, s29, s12
	s_sub_i32 s16, s12, s9
	s_cmp_ge_u32 s12, s9
	s_cselect_b32 s11, s15, s11
	s_cselect_b32 s12, s16, s12
	s_add_i32 s15, s11, 1
	s_cmp_ge_u32 s12, s9
	s_cselect_b32 s29, s15, s11
	s_add_i32 s8, s8, -1
	s_mul_i32 s9, s29, s9
	s_delay_alu instid0(SALU_CYCLE_1) | instskip(NEXT) | instid1(SALU_CYCLE_1)
	s_sub_i32 s9, s14, s9
	s_mul_i32 s9, s10, s9
	s_delay_alu instid0(SALU_CYCLE_1)
	s_add_i32 s27, s9, s27
	s_add_u32 s2, s2, -4
	s_addc_u32 s3, s3, -1
	s_cmp_gt_u32 s8, 2
	s_cbranch_scc1 .LBB83_3
.LBB83_4:
	s_set_inst_prefetch_distance 0x2
	s_load_b32 s8, s[0:1], 0x1a8
	s_add_u32 s2, s0, 0xd8
	s_addc_u32 s3, s1, 0
	s_mov_b32 s35, 0
	s_mov_b32 s33, s7
	s_waitcnt lgkmcnt(0)
	s_cmp_lt_i32 s8, 2
	s_cbranch_scc1 .LBB83_7
; %bb.5:
	s_add_i32 s34, s8, -1
	s_add_i32 s10, s8, 1
	s_lshl_b64 s[14:15], s[34:35], 2
	s_mov_b32 s33, s7
	s_add_u32 s8, s14, s2
	s_addc_u32 s9, s15, s3
	s_add_u32 s8, s8, 8
	s_addc_u32 s9, s9, 0
	s_set_inst_prefetch_distance 0x1
	.p2align	6
.LBB83_6:                               ; =>This Inner Loop Header: Depth=1
	s_clause 0x1
	s_load_b32 s11, s[8:9], 0x0
	s_load_b32 s12, s[8:9], 0x64
	s_mov_b32 s16, s33
	s_waitcnt lgkmcnt(0)
	v_cvt_f32_u32_e32 v1, s11
	s_sub_i32 s15, 0, s11
	s_waitcnt_depctr 0xfff
	v_rcp_iflag_f32_e32 v1, v1
	s_waitcnt_depctr 0xfff
	v_mul_f32_e32 v1, 0x4f7ffffe, v1
	s_delay_alu instid0(VALU_DEP_1) | instskip(NEXT) | instid1(VALU_DEP_1)
	v_cvt_u32_f32_e32 v1, v1
	v_readfirstlane_b32 s14, v1
	s_delay_alu instid0(VALU_DEP_1) | instskip(NEXT) | instid1(SALU_CYCLE_1)
	s_mul_i32 s15, s15, s14
	s_mul_hi_u32 s15, s14, s15
	s_delay_alu instid0(SALU_CYCLE_1) | instskip(NEXT) | instid1(SALU_CYCLE_1)
	s_add_i32 s14, s14, s15
	s_mul_hi_u32 s14, s33, s14
	s_delay_alu instid0(SALU_CYCLE_1) | instskip(SKIP_2) | instid1(SALU_CYCLE_1)
	s_mul_i32 s15, s14, s11
	s_add_i32 s17, s14, 1
	s_sub_i32 s15, s33, s15
	s_sub_i32 s18, s15, s11
	s_cmp_ge_u32 s15, s11
	s_cselect_b32 s14, s17, s14
	s_cselect_b32 s15, s18, s15
	s_add_i32 s17, s14, 1
	s_cmp_ge_u32 s15, s11
	s_cselect_b32 s33, s17, s14
	s_add_i32 s10, s10, -1
	s_mul_i32 s11, s33, s11
	s_delay_alu instid0(SALU_CYCLE_1) | instskip(NEXT) | instid1(SALU_CYCLE_1)
	s_sub_i32 s11, s16, s11
	s_mul_i32 s11, s12, s11
	s_delay_alu instid0(SALU_CYCLE_1)
	s_add_i32 s35, s11, s35
	s_add_u32 s8, s8, -4
	s_addc_u32 s9, s9, -1
	s_cmp_gt_u32 s10, 2
	s_cbranch_scc1 .LBB83_6
.LBB83_7:
	s_set_inst_prefetch_distance 0x2
	s_clause 0x1
	s_load_b32 s34, s[0:1], 0x6c
	s_load_b32 s10, s[0:1], 0x280
	s_add_u32 s11, s0, 0x1b0
	s_addc_u32 s12, s1, 0
	s_mov_b32 s9, 0
	s_waitcnt lgkmcnt(0)
	s_cmp_lt_i32 s10, 2
	s_cbranch_scc1 .LBB83_10
; %bb.8:
	s_add_i32 s8, s10, -1
	s_delay_alu instid0(SALU_CYCLE_1)
	s_lshl_b64 s[14:15], s[8:9], 2
	s_add_i32 s8, s10, 1
	s_add_u32 s10, s14, s11
	s_addc_u32 s11, s15, s12
	s_add_u32 s10, s10, 8
	s_addc_u32 s11, s11, 0
	s_set_inst_prefetch_distance 0x1
	.p2align	6
.LBB83_9:                               ; =>This Inner Loop Header: Depth=1
	s_clause 0x1
	s_load_b32 s12, s[10:11], 0x0
	s_load_b32 s14, s[10:11], 0x64
	s_mov_b32 s17, s7
	s_waitcnt lgkmcnt(0)
	v_cvt_f32_u32_e32 v1, s12
	s_sub_i32 s16, 0, s12
	s_waitcnt_depctr 0xfff
	v_rcp_iflag_f32_e32 v1, v1
	s_waitcnt_depctr 0xfff
	v_mul_f32_e32 v1, 0x4f7ffffe, v1
	s_delay_alu instid0(VALU_DEP_1) | instskip(NEXT) | instid1(VALU_DEP_1)
	v_cvt_u32_f32_e32 v1, v1
	v_readfirstlane_b32 s15, v1
	s_delay_alu instid0(VALU_DEP_1) | instskip(NEXT) | instid1(SALU_CYCLE_1)
	s_mul_i32 s16, s16, s15
	s_mul_hi_u32 s16, s15, s16
	s_delay_alu instid0(SALU_CYCLE_1) | instskip(NEXT) | instid1(SALU_CYCLE_1)
	s_add_i32 s15, s15, s16
	s_mul_hi_u32 s7, s7, s15
	s_delay_alu instid0(SALU_CYCLE_1) | instskip(SKIP_2) | instid1(SALU_CYCLE_1)
	s_mul_i32 s15, s7, s12
	s_add_i32 s16, s7, 1
	s_sub_i32 s15, s17, s15
	s_sub_i32 s18, s15, s12
	s_cmp_ge_u32 s15, s12
	s_cselect_b32 s7, s16, s7
	s_cselect_b32 s15, s18, s15
	s_add_i32 s16, s7, 1
	s_cmp_ge_u32 s15, s12
	s_cselect_b32 s7, s16, s7
	s_add_i32 s8, s8, -1
	s_mul_i32 s12, s7, s12
	s_delay_alu instid0(SALU_CYCLE_1) | instskip(NEXT) | instid1(SALU_CYCLE_1)
	s_sub_i32 s12, s17, s12
	s_mul_i32 s12, s14, s12
	s_delay_alu instid0(SALU_CYCLE_1)
	s_add_i32 s9, s12, s9
	s_add_u32 s10, s10, -4
	s_addc_u32 s11, s11, -1
	s_cmp_gt_u32 s8, 2
	s_cbranch_scc1 .LBB83_9
.LBB83_10:
	s_set_inst_prefetch_distance 0x2
	s_load_b32 s44, s[2:3], 0x6c
	v_cmp_eq_u32_e64 s2, 0, v0
	s_delay_alu instid0(VALU_DEP_1)
	s_and_saveexec_b32 s3, s2
	s_cbranch_execz .LBB83_12
; %bb.11:
	v_mov_b32_e32 v1, 0
	s_delay_alu instid0(VALU_DEP_1)
	v_mov_b32_e32 v2, v1
	ds_store_b64 v1, v[1:2] offset:4096
.LBB83_12:
	s_or_b32 exec_lo, exec_lo, s3
	v_mov_b32_e32 v1, 0
	s_waitcnt lgkmcnt(0)
	s_barrier
	buffer_gl0_inv
	s_barrier
	buffer_gl0_inv
	ds_load_b64 v[1:2], v1 offset:4096
	s_load_b64 s[10:11], s[0:1], 0x1b0
	s_bitcmp1_b32 s31, 0
	s_mov_b32 s71, s28
	s_cselect_b32 s3, -1, 0
	s_waitcnt lgkmcnt(0)
	v_cmp_gt_i64_e32 vcc_lo, 1, v[1:2]
	s_or_b32 s3, s3, vcc_lo
	s_delay_alu instid0(SALU_CYCLE_1)
	s_and_not1_b32 vcc_lo, exec_lo, s3
	s_cbranch_vccnz .LBB83_14
; %bb.13:
	v_not_b32_e32 v1, v1
	v_not_b32_e32 v2, v2
	s_delay_alu instid0(VALU_DEP_2) | instskip(NEXT) | instid1(VALU_DEP_2)
	v_add_co_u32 v1, vcc_lo, v1, s28
	v_add_co_ci_u32_e32 v2, vcc_lo, 0, v2, vcc_lo
	s_delay_alu instid0(VALU_DEP_1) | instskip(NEXT) | instid1(VALU_DEP_1)
	v_lshrrev_b32_e32 v3, 31, v2
	v_add_co_u32 v1, vcc_lo, v1, v3
	v_add_co_ci_u32_e32 v2, vcc_lo, 0, v2, vcc_lo
	s_delay_alu instid0(VALU_DEP_1) | instskip(NEXT) | instid1(VALU_DEP_1)
	v_alignbit_b32 v1, v2, v1, 1
	v_readfirstlane_b32 s3, v1
	s_delay_alu instid0(VALU_DEP_1)
	s_add_i32 s71, s3, 1
.LBB83_14:
	s_clause 0x2
	s_load_b64 s[40:41], s[0:1], 0x0
	s_load_b64 s[36:37], s[0:1], 0xd8
	s_load_b32 s0, s[0:1], 0x21c
	s_and_saveexec_b32 s1, s2
	s_cbranch_execz .LBB83_16
; %bb.15:
	v_dual_mov_b32 v1, 0 :: v_dual_mov_b32 v2, s28
	ds_store_b32 v1, v1 offset:4112
	ds_store_b64 v1, v[1:2] offset:4104
.LBB83_16:
	s_or_b32 exec_lo, exec_lo, s1
	s_waitcnt lgkmcnt(0)
	s_barrier
	buffer_gl0_inv
	s_load_b32 s3, s[4:5], 0xc
	s_mul_i32 s0, s0, s7
	v_mbcnt_lo_u32_b32 v11, -1, 0
	s_add_i32 s0, s0, s9
	v_cmp_gt_u32_e32 vcc_lo, 32, v0
	s_add_u32 s38, s10, s0
	s_addc_u32 s39, s11, 0
	v_cmp_gt_i32_e64 s1, 4, v11
	v_mul_lo_u32 v10, v0, s30
	v_cmp_gt_u32_e64 s0, s28, v0
	v_lshl_or_b32 v20, v11, 2, 0xc00
	v_mov_b32_e32 v21, 0
	s_and_b32 s47, vcc_lo, s1
	v_cmp_gt_u32_e64 s1, 2, v0
	s_mov_b32 s45, 0
	s_mov_b32 s57, 6
	v_lshlrev_b32_e32 v18, 2, v10
	s_mov_b32 s67, 0
	s_mov_b32 s69, 0
	s_mov_b32 s70, 0
	s_waitcnt lgkmcnt(0)
	s_and_b32 s31, s3, 0xffff
	s_bfe_u32 s3, s3, 0xb0005
	s_lshl_b32 s46, s31, 2
	s_add_i32 s49, s31, -1
	v_cvt_f32_u32_e32 v1, s46
	s_add_i32 s7, s49, s28
	s_cmpk_gt_u32 s28, 0xc00
	v_cvt_f32_u32_e32 v2, s31
	s_cselect_b32 s50, -1, 0
	v_rcp_iflag_f32_e32 v1, v1
	s_cmp_gt_u32 s31, 31
	v_lshlrev_b32_e32 v12, 2, v0
	s_cselect_b32 s51, -1, 0
	s_cmp_lt_u32 s13, s6
	v_rcp_iflag_f32_e32 v2, v2
	s_cselect_b32 s6, 12, 18
	v_mov_b32_e32 v22, 0
	s_add_u32 s42, s4, s6
	s_addc_u32 s43, s5, 0
	s_waitcnt_depctr 0xfff
	v_mul_f32_e32 v1, 0x4f7ffffe, v1
	s_add_i32 s4, s3, -1
	s_bfe_u32 s52, s31, 0x30005
	s_cmp_gt_u32 s4, 6
	v_mad_u64_u32 v[5:6], null, s30, v12, s[30:31]
	v_cvt_u32_f32_e32 v1, v1
	s_cselect_b32 s53, -1, 0
	s_and_b32 s54, s3, 0x7f8
	s_cmp_lg_u32 s52, 0
	v_mul_f32_e32 v3, 0x4f7ffffe, v2
	v_readfirstlane_b32 s4, v1
	s_cselect_b32 s55, -1, 0
	s_sub_i32 s3, 0, s46
	v_lshrrev_b32_e32 v1, 3, v0
	v_add_co_u32 v6, s8, s38, v10
	s_mul_i32 s3, s3, s4
	v_add_co_ci_u32_e64 v7, null, s39, 0, s8
	s_mul_hi_u32 s5, s4, s3
	v_and_b32_e32 v13, 0x7c, v1
	s_add_i32 s56, s4, s5
	v_lshlrev_b64 v[1:2], v11, -1
	s_mul_hi_u32 s4, s28, s56
	v_cvt_u32_f32_e32 v2, v3
	s_mul_i32 s4, s4, s46
	v_or_b32_e32 v3, 3, v12
	s_sub_i32 s4, s28, s4
	v_not_b32_e32 v14, v1
	s_sub_i32 s5, s4, s46
	s_cmp_ge_u32 s4, s46
	v_add3_u32 v1, s31, s28, v0
	s_cselect_b32 s4, s5, s4
	v_readfirstlane_b32 s5, v2
	s_sub_i32 s6, s4, s46
	s_cmp_ge_u32 s4, s46
	v_or_b32_e32 v2, 2, v12
	s_cselect_b32 s4, s6, s4
	s_sub_i32 s6, 0, s31
	s_sub_i32 s59, s28, s4
	s_mul_i32 s6, s6, s5
	v_add_nc_u32_e32 v15, s59, v0
	s_mul_hi_u32 s6, s5, s6
	v_subrev_nc_u32_e32 v1, s4, v1
	s_add_i32 s58, s5, s6
	v_mul_lo_u32 v16, s30, v2
	s_mul_hi_u32 s5, s7, s58
	v_mul_lo_u32 v4, v15, s30
	s_mul_i32 s5, s5, s31
	v_mul_lo_u32 v17, s30, v3
	s_sub_i32 s5, s7, s5
	v_mul_lo_u32 v19, s30, v1
	s_sub_i32 s6, s5, s31
	s_cmp_ge_u32 s5, s31
	v_cmp_eq_u32_e64 s3, 0, v11
	s_cselect_b32 s5, s6, s5
	v_cmp_gt_u32_e64 s4, s59, v12
	s_sub_i32 s6, s5, s31
	s_cmp_ge_u32 s5, s31
	s_mul_i32 s48, s30, s31
	s_cselect_b32 s6, s6, s5
	v_cmp_gt_u32_e64 s5, s28, v15
	s_sub_i32 s60, s7, s6
	v_add_co_u32 v8, s6, s38, v4
	s_delay_alu instid0(VALU_DEP_1)
	v_add_co_ci_u32_e64 v9, null, s39, 0, s6
	v_cmp_gt_u32_e64 s6, s60, v0
	s_lshl_b32 s61, s48, 2
                                        ; implicit-def: $sgpr62
                                        ; implicit-def: $sgpr64
                                        ; implicit-def: $sgpr63
                                        ; implicit-def: $sgpr66
                                        ; implicit-def: $sgpr68
                                        ; implicit-def: $sgpr65
	s_branch .LBB83_21
.LBB83_17:                              ;   in Loop: Header=BB83_21 Depth=1
	s_xor_b32 s67, s67, 1
	s_add_i32 s11, s57, -2
	s_cmp_eq_u32 s57, 0
	s_mov_b32 s7, 0
	s_cselect_b32 s10, -1, 0
	s_mov_b32 s57, s11
.LBB83_18:                              ;   in Loop: Header=BB83_21 Depth=1
	s_and_not1_b32 s11, s13, exec_lo
	s_and_b32 s7, s7, exec_lo
	s_and_not1_b32 s14, s14, exec_lo
	s_or_b32 s13, s11, s7
	s_and_not1_b32 s12, s12, exec_lo
	s_or_not1_b32 s11, s10, exec_lo
	s_mov_b32 s71, s20
.LBB83_19:                              ;   in Loop: Header=BB83_21 Depth=1
	s_or_b32 exec_lo, exec_lo, s8
	s_delay_alu instid0(SALU_CYCLE_1)
	s_and_not1_b32 s7, s65, exec_lo
	s_and_b32 s8, s13, exec_lo
	s_and_not1_b32 s10, s66, exec_lo
	s_or_b32 s65, s7, s8
	s_and_not1_b32 s7, s68, exec_lo
	s_and_b32 s8, s14, exec_lo
	s_and_b32 s12, s12, exec_lo
	s_or_b32 s68, s7, s8
	s_or_b32 s66, s10, s12
	s_or_not1_b32 s12, s11, exec_lo
.LBB83_20:                              ;   in Loop: Header=BB83_21 Depth=1
	s_or_b32 exec_lo, exec_lo, s9
	s_delay_alu instid0(SALU_CYCLE_1)
	s_and_b32 s7, exec_lo, s12
	v_mov_b32_e32 v1, s69
	s_or_b32 s45, s7, s45
	s_and_not1_b32 s7, s63, exec_lo
	s_and_b32 s8, s65, exec_lo
	s_and_not1_b32 s9, s62, exec_lo
	s_or_b32 s63, s7, s8
	s_and_not1_b32 s7, s64, exec_lo
	s_and_b32 s8, s68, exec_lo
	s_and_b32 s10, s66, exec_lo
	s_or_b32 s64, s7, s8
	s_or_b32 s62, s9, s10
	s_and_not1_b32 exec_lo, exec_lo, s45
	s_cbranch_execz .LBB83_251
.LBB83_21:                              ; =>This Loop Header: Depth=1
                                        ;     Child Loop BB83_26 Depth 2
                                        ;     Child Loop BB83_41 Depth 2
	;; [unrolled: 1-line block ×16, first 2 shown]
	ds_load_b64 v[1:2], v21 offset:4104
	s_waitcnt lgkmcnt(0)
	v_readfirstlane_b32 s72, v1
	s_delay_alu instid0(VALU_DEP_1)
	s_cmp_lg_u32 s72, 0
	s_cbranch_scc1 .LBB83_48
; %bb.22:                               ;   in Loop: Header=BB83_21 Depth=1
	s_and_b32 vcc_lo, exec_lo, s50
	s_cbranch_vccz .LBB83_34
; %bb.23:                               ;   in Loop: Header=BB83_21 Depth=1
	v_cmp_gt_u32_e32 vcc_lo, 0xc01, v2
	s_mov_b32 s72, 0
	s_mov_b32 s7, 0
	s_cbranch_vccz .LBB83_35
; %bb.24:                               ;   in Loop: Header=BB83_21 Depth=1
	global_load_u16 v1, v21, s[42:43]
	global_load_u8 v4, v[6:7], off
	v_mov_b32_e32 v23, v0
	s_mov_b32 s9, 0
	s_waitcnt vmcnt(1)
	v_add_nc_u32_e32 v2, v0, v1
	v_mul_lo_u32 v3, s30, v1
	s_delay_alu instid0(VALU_DEP_2)
	v_mul_lo_u32 v2, s30, v2
	s_branch .LBB83_26
.LBB83_25:                              ;   in Loop: Header=BB83_26 Depth=2
	s_or_b32 exec_lo, exec_lo, s8
	v_add_nc_u32_e32 v2, v2, v3
	v_mov_b32_e32 v4, v24
	s_and_not1_b32 exec_lo, exec_lo, s9
	s_cbranch_execz .LBB83_136
.LBB83_26:                              ;   Parent Loop BB83_21 Depth=1
                                        ; =>  This Inner Loop Header: Depth=2
	v_dual_mov_b32 v24, 0 :: v_dual_add_nc_u32 v23, v23, v1
	s_waitcnt lgkmcnt(0)
	v_mov_b32_e32 v25, 0
	s_mov_b32 s8, exec_lo
	s_delay_alu instid0(VALU_DEP_2)
	v_cmp_le_u32_e32 vcc_lo, s28, v23
	v_cmpx_gt_u32_e64 s28, v23
	s_cbranch_execz .LBB83_28
; %bb.27:                               ;   in Loop: Header=BB83_26 Depth=2
	global_load_u8 v24, v2, s[38:39]
.LBB83_28:                              ;   in Loop: Header=BB83_26 Depth=2
	s_or_b32 exec_lo, exec_lo, s8
	s_waitcnt vmcnt(0)
	v_bfe_i32 v26, v4, 0, 8
	s_delay_alu instid0(VALU_DEP_1) | instskip(NEXT) | instid1(VALU_DEP_1)
	v_add_nc_u32_e32 v26, 0x80, v26
	v_and_b32_e32 v26, s70, v26
	s_delay_alu instid0(VALU_DEP_1) | instskip(NEXT) | instid1(VALU_DEP_1)
	v_cmp_eq_u32_e64 s7, s69, v26
	s_cmp_lg_u32 s7, 0
	s_cselect_b32 s8, -1, 0
	s_delay_alu instid0(SALU_CYCLE_1) | instskip(NEXT) | instid1(SALU_CYCLE_1)
	s_and_b32 s8, s3, s8
	s_and_saveexec_b32 s10, s8
	s_cbranch_execz .LBB83_32
; %bb.29:                               ;   in Loop: Header=BB83_26 Depth=2
	s_mov_b32 s13, exec_lo
	s_bcnt1_i32_b32 s11, s7
	v_mbcnt_lo_u32_b32 v25, s13, 0
	s_mov_b32 s12, exec_lo
                                        ; implicit-def: $vgpr26
	s_delay_alu instid0(VALU_DEP_1)
	v_cmpx_eq_u32_e32 0, v25
	s_cbranch_execz .LBB83_31
; %bb.30:                               ;   in Loop: Header=BB83_26 Depth=2
	s_bcnt1_i32_b32 s8, s13
	s_delay_alu instid0(SALU_CYCLE_1) | instskip(NEXT) | instid1(SALU_CYCLE_1)
	s_mul_i32 s8, s11, s8
	v_mov_b32_e32 v26, s8
	ds_add_rtn_u32 v26, v21, v26 offset:4112
.LBB83_31:                              ;   in Loop: Header=BB83_26 Depth=2
	s_or_b32 exec_lo, exec_lo, s12
	s_waitcnt lgkmcnt(0)
	v_readfirstlane_b32 s8, v26
	s_delay_alu instid0(VALU_DEP_1)
	v_mad_u32_u24 v25, s11, v25, s8
.LBB83_32:                              ;   in Loop: Header=BB83_26 Depth=2
	s_or_b32 exec_lo, exec_lo, s10
	ds_bpermute_b32 v25, v21, v25
	s_and_b32 s8, exec_lo, vcc_lo
	s_delay_alu instid0(SALU_CYCLE_1)
	s_or_b32 s9, s8, s9
	s_and_saveexec_b32 s8, s7
	s_cbranch_execz .LBB83_25
; %bb.33:                               ;   in Loop: Header=BB83_26 Depth=2
	v_and_b32_e32 v26, s7, v14
	s_waitcnt lgkmcnt(0)
	s_delay_alu instid0(VALU_DEP_1)
	v_bcnt_u32_b32 v25, v26, v25
	ds_store_b8 v25, v4
	s_branch .LBB83_25
.LBB83_34:                              ;   in Loop: Header=BB83_21 Depth=1
	s_mov_b32 s72, -1
	s_mov_b32 s7, 0
.LBB83_35:                              ;   in Loop: Header=BB83_21 Depth=1
	s_and_b32 vcc_lo, exec_lo, s72
	s_cbranch_vccz .LBB83_46
.LBB83_36:                              ;   in Loop: Header=BB83_21 Depth=1
	v_mov_b32_e32 v1, 0
	s_and_saveexec_b32 s7, s0
	s_cbranch_execz .LBB83_38
; %bb.37:                               ;   in Loop: Header=BB83_21 Depth=1
	global_load_u8 v1, v[6:7], off
.LBB83_38:                              ;   in Loop: Header=BB83_21 Depth=1
	s_or_b32 exec_lo, exec_lo, s7
	s_and_saveexec_b32 s8, s0
	s_cbranch_execz .LBB83_43
; %bb.39:                               ;   in Loop: Header=BB83_21 Depth=1
	global_load_u16 v2, v21, s[42:43]
	v_mov_b32_e32 v23, v0
	s_mov_b32 s9, 0
	s_waitcnt vmcnt(0)
	v_add_nc_u32_e32 v3, v0, v2
	v_mul_lo_u32 v4, s30, v2
	s_delay_alu instid0(VALU_DEP_2)
	v_mul_lo_u32 v3, s30, v3
	s_branch .LBB83_41
	.p2align	6
.LBB83_40:                              ;   in Loop: Header=BB83_41 Depth=2
	s_or_b32 exec_lo, exec_lo, s10
	ds_store_b8 v23, v1
	v_add_nc_u32_e32 v3, v3, v4
	s_waitcnt vmcnt(0)
	v_mov_b32_e32 v1, v25
	v_mov_b32_e32 v23, v24
	s_and_b32 s7, exec_lo, vcc_lo
	s_delay_alu instid0(SALU_CYCLE_1) | instskip(NEXT) | instid1(SALU_CYCLE_1)
	s_or_b32 s9, s7, s9
	s_and_not1_b32 exec_lo, exec_lo, s9
	s_cbranch_execz .LBB83_43
.LBB83_41:                              ;   Parent Loop BB83_21 Depth=1
                                        ; =>  This Inner Loop Header: Depth=2
	v_dual_mov_b32 v25, 0 :: v_dual_add_nc_u32 v24, v23, v2
	s_mov_b32 s10, exec_lo
	s_delay_alu instid0(VALU_DEP_1)
	v_cmp_le_u32_e32 vcc_lo, s28, v24
	v_cmpx_gt_u32_e64 s28, v24
	s_cbranch_execz .LBB83_40
; %bb.42:                               ;   in Loop: Header=BB83_41 Depth=2
	global_load_u8 v25, v3, s[38:39]
	s_branch .LBB83_40
.LBB83_43:                              ;   in Loop: Header=BB83_21 Depth=1
	s_or_b32 exec_lo, exec_lo, s8
	s_waitcnt vmcnt(0) lgkmcnt(0)
	s_barrier
	buffer_gl0_inv
	s_and_saveexec_b32 s7, s2
	s_cbranch_execz .LBB83_45
; %bb.44:                               ;   in Loop: Header=BB83_21 Depth=1
	v_mov_b32_e32 v1, s28
	ds_store_b32 v21, v1 offset:4104
.LBB83_45:                              ;   in Loop: Header=BB83_21 Depth=1
	s_or_b32 exec_lo, exec_lo, s7
	s_mov_b32 s7, -1
	s_waitcnt lgkmcnt(0)
	s_barrier
                                        ; implicit-def: $sgpr72
.LBB83_46:                              ;   in Loop: Header=BB83_21 Depth=1
	s_and_b32 vcc_lo, exec_lo, s7
	s_cbranch_vccz .LBB83_48
; %bb.47:                               ;   in Loop: Header=BB83_21 Depth=1
	buffer_gl0_inv
	ds_load_b32 v1, v21 offset:4104
	s_waitcnt lgkmcnt(0)
	v_readfirstlane_b32 s72, v1
.LBB83_48:                              ;   in Loop: Header=BB83_21 Depth=1
	s_delay_alu instid0(VALU_DEP_1)
	s_cmp_lt_i32 s72, 1
	s_cbranch_scc0 .LBB83_52
; %bb.49:                               ;   in Loop: Header=BB83_21 Depth=1
	v_dual_mov_b32 v1, 0 :: v_dual_mov_b32 v2, 0
	v_dual_mov_b32 v3, 0 :: v_dual_mov_b32 v4, 0
	s_mov_b32 s74, 0
	s_and_saveexec_b32 s73, s4
	s_cbranch_execnz .LBB83_53
; %bb.50:                               ;   in Loop: Header=BB83_21 Depth=1
	s_or_b32 exec_lo, exec_lo, s73
	v_mov_b32_e32 v26, 0
	s_and_saveexec_b32 s7, s5
	s_cbranch_execnz .LBB83_56
.LBB83_51:                              ;   in Loop: Header=BB83_21 Depth=1
	s_or_b32 exec_lo, exec_lo, s7
	s_and_saveexec_b32 s11, s5
	s_cbranch_execnz .LBB83_57
	s_branch .LBB83_62
.LBB83_52:                              ;   in Loop: Header=BB83_21 Depth=1
                                        ; implicit-def: $vgpr4
	s_cbranch_execnz .LBB83_63
	s_branch .LBB83_72
.LBB83_53:                              ;   in Loop: Header=BB83_21 Depth=1
	v_mov_b32_e32 v23, v12
	s_and_b32 s75, s57, 0xfe
	s_mov_b32 s76, 0
	s_mov_b32 s77, 0
	s_mov_b32 s78, 0
	s_mov_b32 s79, 0
	s_mov_b32 s80, 0
.LBB83_54:                              ;   Parent Loop BB83_21 Depth=1
                                        ; =>  This Inner Loop Header: Depth=2
	v_add_nc_u32_e32 v1, s76, v18
	v_add_nc_u32_e32 v2, s76, v5
	;; [unrolled: 1-line block ×5, first 2 shown]
	s_clause 0x3
	global_load_i8 v1, v1, s[38:39]
	global_load_i8 v2, v2, s[38:39]
	;; [unrolled: 1-line block ×4, first 2 shown]
	s_add_i32 s76, s76, s61
	v_cmp_le_u32_e32 vcc_lo, s59, v23
	s_waitcnt vmcnt(3)
	v_add_nc_u32_e32 v1, 0x80, v1
	s_waitcnt vmcnt(2)
	v_add_nc_u32_e32 v2, 0x80, v2
	;; [unrolled: 2-line block ×4, first 2 shown]
	v_and_b32_e32 v24, s70, v1
	v_bfe_u32 v1, v1, s75, 2
	v_and_b32_e32 v25, s70, v2
	v_bfe_u32 v2, v2, s75, 2
	;; [unrolled: 2-line block ×3, first 2 shown]
	v_cmp_eq_u32_e64 s7, s69, v24
	v_cmp_eq_u32_e64 s11, 0, v1
	v_and_b32_e32 v27, s70, v4
	v_bfe_u32 v4, v4, s75, 2
	v_cmp_eq_u32_e64 s8, s69, v25
	v_cmp_eq_u32_e64 s12, 0, v2
	;; [unrolled: 1-line block ×4, first 2 shown]
	s_and_b32 s11, s7, s11
	v_cmp_eq_u32_e64 s10, s69, v27
	v_cmp_eq_u32_e64 s14, 0, v4
	;; [unrolled: 1-line block ×5, first 2 shown]
	v_cndmask_b32_e64 v1, 0, 1, s11
	s_and_b32 s11, s8, s12
	v_cmp_eq_u32_e64 s16, 1, v2
	v_cmp_eq_u32_e64 s20, 2, v2
	v_cmp_eq_u32_e64 s24, 3, v2
	v_cndmask_b32_e64 v2, 0, 1, s11
	s_and_b32 s11, s9, s13
	v_cmp_eq_u32_e64 s17, 1, v3
	v_cmp_eq_u32_e64 s21, 2, v3
	v_cmp_eq_u32_e64 s25, 3, v3
	;; [unrolled: 5-line block ×3, first 2 shown]
	v_cndmask_b32_e64 v4, 0, 1, s11
	s_and_b32 s11, s7, s15
	s_delay_alu instid0(SALU_CYCLE_1) | instskip(SKIP_1) | instid1(SALU_CYCLE_1)
	v_cndmask_b32_e64 v24, 0, 1, s11
	s_and_b32 s11, s8, s16
	v_cndmask_b32_e64 v25, 0, 1, s11
	s_and_b32 s11, s9, s17
	s_delay_alu instid0(SALU_CYCLE_1) | instskip(SKIP_1) | instid1(VALU_DEP_2)
	v_cndmask_b32_e64 v26, 0, 1, s11
	s_and_b32 s11, s10, s18
	v_cmp_ne_u32_e64 s12, 0, v25
	v_cndmask_b32_e64 v27, 0, 1, s11
	s_and_b32 s11, s7, s19
	s_and_b32 s7, s7, s23
	v_cndmask_b32_e64 v28, 0, 1, s11
	s_and_b32 s11, s8, s20
	v_cndmask_b32_e64 v32, 0, 1, s7
	;; [unrolled: 2-line block ×7, first 2 shown]
	v_cndmask_b32_e64 v35, 0, 1, s7
	v_cmp_ne_u32_e64 s7, 0, v1
	v_cmp_ne_u32_e64 s11, 0, v24
	;; [unrolled: 1-line block ×11, first 2 shown]
	s_bcnt1_i32_b32 s7, s7
	s_bcnt1_i32_b32 s11, s11
	;; [unrolled: 1-line block ×4, first 2 shown]
	v_cmp_ne_u32_e64 s10, 0, v4
	v_cmp_ne_u32_e64 s14, 0, v27
	;; [unrolled: 1-line block ×4, first 2 shown]
	s_bcnt1_i32_b32 s8, s8
	s_bcnt1_i32_b32 s12, s12
	s_bcnt1_i32_b32 s16, s16
	s_bcnt1_i32_b32 s20, s20
	s_add_i32 s7, s7, s80
	s_add_i32 s11, s11, s79
	s_add_i32 s15, s15, s78
	s_add_i32 s19, s19, s77
	s_bcnt1_i32_b32 s9, s9
	s_bcnt1_i32_b32 s13, s13
	s_bcnt1_i32_b32 s17, s17
	s_bcnt1_i32_b32 s21, s21
	s_add_i32 s7, s7, s8
	s_add_i32 s8, s11, s12
	s_add_i32 s11, s15, s16
	s_add_i32 s12, s19, s20
	s_bcnt1_i32_b32 s10, s10
	s_bcnt1_i32_b32 s14, s14
	s_bcnt1_i32_b32 s18, s18
	s_bcnt1_i32_b32 s22, s22
	s_add_i32 s7, s7, s9
	s_add_i32 s8, s8, s13
	s_add_i32 s9, s11, s17
	s_add_i32 s11, s12, s21
	s_add_i32 s80, s7, s10
	s_add_i32 s79, s8, s14
	;; [unrolled: 1-line block ×4, first 2 shown]
	v_mov_b32_e32 v3, s78
	v_dual_mov_b32 v1, s80 :: v_dual_mov_b32 v2, s79
	v_mov_b32_e32 v4, s77
	s_or_b32 s74, vcc_lo, s74
	s_delay_alu instid0(SALU_CYCLE_1)
	s_and_not1_b32 exec_lo, exec_lo, s74
	s_cbranch_execnz .LBB83_54
; %bb.55:                               ;   in Loop: Header=BB83_21 Depth=1
	s_or_b32 exec_lo, exec_lo, s74
	s_delay_alu instid0(SALU_CYCLE_1)
	s_or_b32 exec_lo, exec_lo, s73
	v_mov_b32_e32 v26, 0
	s_and_saveexec_b32 s7, s5
	s_cbranch_execz .LBB83_51
.LBB83_56:                              ;   in Loop: Header=BB83_21 Depth=1
	global_load_u8 v26, v[8:9], off
	s_or_b32 exec_lo, exec_lo, s7
	s_and_saveexec_b32 s11, s5
	s_cbranch_execz .LBB83_62
.LBB83_57:                              ;   in Loop: Header=BB83_21 Depth=1
	v_mov_b32_e32 v23, v19
	v_mov_b32_e32 v24, v15
	s_and_b32 s13, s57, 0xfe
	s_mov_b32 s12, 0
	s_branch .LBB83_59
.LBB83_58:                              ;   in Loop: Header=BB83_59 Depth=2
	s_or_b32 exec_lo, exec_lo, s8
	s_waitcnt vmcnt(0)
	v_bfe_i32 v26, v26, 0, 8
	s_and_b32 s8, exec_lo, vcc_lo
	v_add_nc_u32_e32 v23, s48, v23
	s_or_b32 s12, s8, s12
	s_delay_alu instid0(VALU_DEP_2) | instskip(NEXT) | instid1(VALU_DEP_1)
	v_add_nc_u32_e32 v26, 0x80, v26
	v_and_b32_e32 v27, s70, v26
	v_bfe_u32 v26, v26, s13, 2
	s_delay_alu instid0(VALU_DEP_2) | instskip(NEXT) | instid1(VALU_DEP_2)
	v_cmp_eq_u32_e32 vcc_lo, s69, v27
	v_cmp_eq_u32_e64 s7, 0, v26
	v_cmp_eq_u32_e64 s8, 1, v26
	;; [unrolled: 1-line block ×4, first 2 shown]
	s_delay_alu instid0(VALU_DEP_4) | instskip(NEXT) | instid1(SALU_CYCLE_1)
	s_and_b32 s7, vcc_lo, s7
	v_cndmask_b32_e64 v26, 0, 1, s7
	s_and_b32 s7, vcc_lo, s8
	s_delay_alu instid0(SALU_CYCLE_1) | instskip(SKIP_1) | instid1(SALU_CYCLE_1)
	v_cndmask_b32_e64 v27, 0, 1, s7
	s_and_b32 s7, vcc_lo, s9
	v_cndmask_b32_e64 v28, 0, 1, s7
	s_and_b32 s7, vcc_lo, s10
	v_cmp_ne_u32_e32 vcc_lo, 0, v26
	v_mov_b32_e32 v26, v25
	v_cndmask_b32_e64 v29, 0, 1, s7
	v_cmp_ne_u32_e64 s7, 0, v27
	v_cmp_ne_u32_e64 s8, 0, v28
	s_bcnt1_i32_b32 s10, vcc_lo
	s_delay_alu instid0(VALU_DEP_3) | instskip(NEXT) | instid1(VALU_DEP_3)
	v_cmp_ne_u32_e64 s9, 0, v29
	s_bcnt1_i32_b32 s7, s7
	s_delay_alu instid0(VALU_DEP_2)
	s_bcnt1_i32_b32 s8, s8
	v_add_nc_u32_e32 v1, s10, v1
	v_add_nc_u32_e32 v2, s7, v2
	s_bcnt1_i32_b32 s9, s9
	v_add_nc_u32_e32 v3, s8, v3
	v_add_nc_u32_e32 v4, s9, v4
	s_and_not1_b32 exec_lo, exec_lo, s12
	s_cbranch_execz .LBB83_61
.LBB83_59:                              ;   Parent Loop BB83_21 Depth=1
                                        ; =>  This Inner Loop Header: Depth=2
	s_delay_alu instid0(VALU_DEP_1) | instskip(SKIP_1) | instid1(VALU_DEP_1)
	v_dual_mov_b32 v25, 0 :: v_dual_add_nc_u32 v24, s31, v24
	s_mov_b32 s8, exec_lo
	v_cmp_le_u32_e32 vcc_lo, s28, v24
	v_cmpx_gt_u32_e64 s28, v24
	s_cbranch_execz .LBB83_58
; %bb.60:                               ;   in Loop: Header=BB83_59 Depth=2
	global_load_u8 v25, v23, s[38:39]
	s_branch .LBB83_58
.LBB83_61:                              ;   in Loop: Header=BB83_21 Depth=1
	s_or_b32 exec_lo, exec_lo, s12
.LBB83_62:                              ;   in Loop: Header=BB83_21 Depth=1
	s_delay_alu instid0(SALU_CYCLE_1)
	s_or_b32 exec_lo, exec_lo, s11
	s_branch .LBB83_72
.LBB83_63:                              ;   in Loop: Header=BB83_21 Depth=1
	s_mul_hi_u32 s7, s72, s56
	v_dual_mov_b32 v1, 0 :: v_dual_mov_b32 v2, 0
	s_mul_i32 s7, s7, s46
	v_dual_mov_b32 v3, 0 :: v_dual_mov_b32 v4, 0
	s_sub_i32 s7, s72, s7
	s_mov_b32 s75, 0
	s_sub_i32 s8, s7, s46
	s_cmp_ge_u32 s7, s46
	s_mov_b32 s74, exec_lo
	s_cselect_b32 s7, s8, s7
	s_delay_alu instid0(SALU_CYCLE_1) | instskip(SKIP_2) | instid1(SALU_CYCLE_1)
	s_sub_i32 s8, s7, s46
	s_cmp_ge_u32 s7, s46
	s_cselect_b32 s7, s8, s7
	s_sub_i32 s73, s72, s7
	s_delay_alu instid0(SALU_CYCLE_1)
	v_cmpx_gt_u32_e64 s73, v12
	s_cbranch_execz .LBB83_67
; %bb.64:                               ;   in Loop: Header=BB83_21 Depth=1
	v_mov_b32_e32 v23, v12
	s_and_b32 s76, s57, 0xfe
	s_mov_b32 s77, 0
	s_mov_b32 s78, 0
	;; [unrolled: 1-line block ×4, first 2 shown]
.LBB83_65:                              ;   Parent Loop BB83_21 Depth=1
                                        ; =>  This Inner Loop Header: Depth=2
	ds_load_b32 v1, v23
	s_waitcnt lgkmcnt(0)
	v_bfe_i32 v2, v1, 0, 8
	v_bfe_i32 v3, v1, 8, 8
	;; [unrolled: 1-line block ×3, first 2 shown]
	v_ashrrev_i32_e32 v1, 24, v1
	s_delay_alu instid0(VALU_DEP_4) | instskip(NEXT) | instid1(VALU_DEP_4)
	v_add_nc_u32_e32 v2, 0x80, v2
	v_add_nc_u32_e32 v3, 0x80, v3
	s_delay_alu instid0(VALU_DEP_4) | instskip(NEXT) | instid1(VALU_DEP_4)
	v_add_nc_u32_e32 v4, 0x80, v4
	v_add_nc_u32_e32 v1, 0x80, v1
	s_delay_alu instid0(VALU_DEP_4)
	v_and_b32_e32 v24, s70, v2
	v_bfe_u32 v2, v2, s76, 2
	v_and_b32_e32 v25, s70, v3
	v_bfe_u32 v3, v3, s76, 2
	s_waitcnt vmcnt(0)
	v_and_b32_e32 v26, s70, v4
	v_bfe_u32 v4, v4, s76, 2
	v_cmp_eq_u32_e64 s7, s69, v24
	v_cmp_eq_u32_e64 s11, 0, v2
	v_and_b32_e32 v27, s70, v1
	v_bfe_u32 v1, v1, s76, 2
	v_cmp_eq_u32_e64 s8, s69, v25
	v_cmp_eq_u32_e64 s12, 0, v3
	v_cmp_eq_u32_e64 s9, s69, v26
	v_cmp_eq_u32_e64 s13, 0, v4
	s_and_b32 s11, s7, s11
	v_cmp_eq_u32_e64 s10, s69, v27
	v_cmp_eq_u32_e64 s14, 0, v1
	;; [unrolled: 1-line block ×5, first 2 shown]
	v_cndmask_b32_e64 v1, 0, 1, s11
	s_and_b32 s11, s8, s12
	v_cmp_eq_u32_e64 s15, 1, v2
	v_cmp_eq_u32_e64 s19, 2, v2
	v_cmp_eq_u32_e64 s23, 3, v2
	v_cndmask_b32_e64 v2, 0, 1, s11
	s_and_b32 s11, s9, s13
	v_cmp_eq_u32_e64 s16, 1, v3
	v_cmp_eq_u32_e64 s20, 2, v3
	v_cmp_eq_u32_e64 s24, 3, v3
	;; [unrolled: 5-line block ×3, first 2 shown]
	v_cndmask_b32_e64 v4, 0, 1, s11
	s_and_b32 s11, s7, s15
	s_delay_alu instid0(SALU_CYCLE_1) | instskip(SKIP_1) | instid1(SALU_CYCLE_1)
	v_cndmask_b32_e64 v24, 0, 1, s11
	s_and_b32 s11, s8, s16
	v_cndmask_b32_e64 v25, 0, 1, s11
	s_and_b32 s11, s9, s17
	s_delay_alu instid0(SALU_CYCLE_1) | instskip(SKIP_1) | instid1(VALU_DEP_2)
	v_cndmask_b32_e64 v26, 0, 1, s11
	s_and_b32 s11, s10, s18
	v_cmp_ne_u32_e64 s12, 0, v25
	v_cndmask_b32_e64 v27, 0, 1, s11
	s_and_b32 s11, s7, s19
	s_and_b32 s7, s7, s23
	v_cndmask_b32_e64 v28, 0, 1, s11
	s_and_b32 s11, s8, s20
	v_cndmask_b32_e64 v32, 0, 1, s7
	;; [unrolled: 2-line block ×7, first 2 shown]
	v_cndmask_b32_e64 v35, 0, 1, s7
	v_cmp_ne_u32_e64 s7, 0, v1
	v_cmp_ne_u32_e64 s11, 0, v24
	;; [unrolled: 1-line block ×6, first 2 shown]
	s_bcnt1_i32_b32 s7, s7
	s_bcnt1_i32_b32 s11, s11
	v_cmp_ne_u32_e64 s14, 0, v27
	v_cmp_ne_u32_e64 s16, 0, v29
	;; [unrolled: 1-line block ×3, first 2 shown]
	s_bcnt1_i32_b32 s8, s8
	s_bcnt1_i32_b32 s12, s12
	s_add_i32 s7, s7, s80
	s_add_i32 s11, s11, s79
	v_cmp_ne_u32_e64 s9, 0, v3
	v_cmp_ne_u32_e64 s17, 0, v30
	;; [unrolled: 1-line block ×3, first 2 shown]
	s_bcnt1_i32_b32 s13, s13
	s_add_i32 s7, s7, s8
	s_add_i32 s8, s11, s12
	s_bcnt1_i32_b32 s15, s15
	s_bcnt1_i32_b32 s19, s19
	v_cmp_ne_u32_e64 s10, 0, v4
	v_cmp_ne_u32_e64 s18, 0, v31
	;; [unrolled: 1-line block ×3, first 2 shown]
	s_bcnt1_i32_b32 s14, s14
	s_add_i32 s8, s8, s13
	s_bcnt1_i32_b32 s16, s16
	s_bcnt1_i32_b32 s20, s20
	s_add_i32 s15, s15, s78
	s_add_i32 s19, s19, s77
	;; [unrolled: 1-line block ×3, first 2 shown]
	s_delay_alu instid0(SALU_CYCLE_1)
	v_dual_mov_b32 v2, s79 :: v_dual_add_nc_u32 v23, s46, v23
	s_bcnt1_i32_b32 s9, s9
	s_bcnt1_i32_b32 s17, s17
	;; [unrolled: 1-line block ×3, first 2 shown]
	s_add_i32 s11, s15, s16
	s_add_i32 s12, s19, s20
	s_bcnt1_i32_b32 s10, s10
	s_bcnt1_i32_b32 s18, s18
	s_bcnt1_i32_b32 s22, s22
	s_add_i32 s7, s7, s9
	s_add_i32 s9, s11, s17
	;; [unrolled: 1-line block ×3, first 2 shown]
	v_cmp_le_u32_e32 vcc_lo, s73, v23
	s_add_i32 s80, s7, s10
	s_add_i32 s78, s9, s18
	;; [unrolled: 1-line block ×3, first 2 shown]
	v_mov_b32_e32 v1, s80
	v_dual_mov_b32 v3, s78 :: v_dual_mov_b32 v4, s77
	s_or_b32 s75, vcc_lo, s75
	s_delay_alu instid0(SALU_CYCLE_1)
	s_and_not1_b32 exec_lo, exec_lo, s75
	s_cbranch_execnz .LBB83_65
; %bb.66:                               ;   in Loop: Header=BB83_21 Depth=1
	s_or_b32 exec_lo, exec_lo, s75
.LBB83_67:                              ;   in Loop: Header=BB83_21 Depth=1
	s_delay_alu instid0(SALU_CYCLE_1) | instskip(SKIP_2) | instid1(VALU_DEP_1)
	s_or_b32 exec_lo, exec_lo, s74
	v_add_nc_u32_e32 v23, s73, v0
	s_mov_b32 s12, exec_lo
	v_cmpx_gt_u32_e64 s72, v23
	s_cbranch_execz .LBB83_71
; %bb.68:                               ;   in Loop: Header=BB83_21 Depth=1
	s_and_b32 s14, s57, 0xfe
	s_mov_b32 s13, 0
.LBB83_69:                              ;   Parent Loop BB83_21 Depth=1
                                        ; =>  This Inner Loop Header: Depth=2
	ds_load_i8 v24, v23
	v_add_nc_u32_e32 v23, s31, v23
	s_delay_alu instid0(VALU_DEP_1) | instskip(SKIP_2) | instid1(VALU_DEP_1)
	v_cmp_le_u32_e32 vcc_lo, s72, v23
	s_waitcnt lgkmcnt(0)
	v_add_nc_u32_e32 v24, 0x80, v24
	v_and_b32_e32 v25, s70, v24
	v_bfe_u32 v24, v24, s14, 2
	s_delay_alu instid0(VALU_DEP_2) | instskip(NEXT) | instid1(VALU_DEP_2)
	v_cmp_eq_u32_e64 s7, s69, v25
	v_cmp_eq_u32_e64 s8, 0, v24
	;; [unrolled: 1-line block ×5, first 2 shown]
	s_delay_alu instid0(VALU_DEP_4) | instskip(NEXT) | instid1(SALU_CYCLE_1)
	s_and_b32 s8, s7, s8
	v_cndmask_b32_e64 v24, 0, 1, s8
	s_and_b32 s8, s7, s9
	s_delay_alu instid0(SALU_CYCLE_1)
	v_cndmask_b32_e64 v25, 0, 1, s8
	s_and_b32 s8, s7, s10
	s_and_b32 s7, s7, s11
	s_waitcnt vmcnt(0)
	v_cndmask_b32_e64 v26, 0, 1, s8
	v_cndmask_b32_e64 v27, 0, 1, s7
	v_cmp_ne_u32_e64 s7, 0, v24
	v_cmp_ne_u32_e64 s8, 0, v25
	s_delay_alu instid0(VALU_DEP_4) | instskip(NEXT) | instid1(VALU_DEP_4)
	v_cmp_ne_u32_e64 s9, 0, v26
	v_cmp_ne_u32_e64 s10, 0, v27
	s_delay_alu instid0(VALU_DEP_4) | instskip(NEXT) | instid1(VALU_DEP_3)
	s_bcnt1_i32_b32 s7, s7
	s_bcnt1_i32_b32 s8, s8
	v_add_nc_u32_e32 v1, s7, v1
	s_bcnt1_i32_b32 s9, s9
	s_bcnt1_i32_b32 s10, s10
	v_add_nc_u32_e32 v2, s8, v2
	v_add_nc_u32_e32 v3, s9, v3
	;; [unrolled: 1-line block ×3, first 2 shown]
	s_or_b32 s13, vcc_lo, s13
	s_delay_alu instid0(SALU_CYCLE_1)
	s_and_not1_b32 exec_lo, exec_lo, s13
	s_cbranch_execnz .LBB83_69
; %bb.70:                               ;   in Loop: Header=BB83_21 Depth=1
	s_or_b32 exec_lo, exec_lo, s13
.LBB83_71:                              ;   in Loop: Header=BB83_21 Depth=1
	s_delay_alu instid0(SALU_CYCLE_1)
	s_or_b32 exec_lo, exec_lo, s12
.LBB83_72:                              ;   in Loop: Header=BB83_21 Depth=1
	s_lshl_b32 s7, s67, 7
	s_and_saveexec_b32 s8, s3
	s_cbranch_execz .LBB83_74
; %bb.73:                               ;   in Loop: Header=BB83_21 Depth=1
	v_or_b32_e32 v23, s7, v13
	s_delay_alu instid0(VALU_DEP_1)
	v_lshlrev_b32_e32 v23, 2, v23
	ds_store_b128 v23, v[1:4] offset:3072
.LBB83_74:                              ;   in Loop: Header=BB83_21 Depth=1
	s_or_b32 exec_lo, exec_lo, s8
	s_waitcnt vmcnt(0) lgkmcnt(0)
	s_barrier
	buffer_gl0_inv
	s_and_saveexec_b32 s8, s47
	s_cbranch_execz .LBB83_84
; %bb.75:                               ;   in Loop: Header=BB83_21 Depth=1
	v_mov_b32_e32 v1, 0
	s_and_not1_b32 vcc_lo, exec_lo, s51
	s_cbranch_vccnz .LBB83_83
; %bb.76:                               ;   in Loop: Header=BB83_21 Depth=1
	v_mov_b32_e32 v1, 0
	s_and_not1_b32 vcc_lo, exec_lo, s53
	s_mov_b32 s9, 0
	s_cbranch_vccnz .LBB83_80
; %bb.77:                               ;   in Loop: Header=BB83_21 Depth=1
	v_lshl_add_u32 v2, s67, 9, v20
	v_mov_b32_e32 v1, 0
	.p2align	6
.LBB83_78:                              ;   Parent Loop BB83_21 Depth=1
                                        ; =>  This Inner Loop Header: Depth=2
	ds_load_2addr_b32 v[3:4], v2 offset1:4
	ds_load_2addr_b32 v[23:24], v2 offset0:8 offset1:12
	ds_load_2addr_b32 v[25:26], v2 offset0:16 offset1:20
	;; [unrolled: 1-line block ×3, first 2 shown]
	v_add_nc_u32_e32 v2, 0x80, v2
	s_add_i32 s9, s9, 8
	s_delay_alu instid0(SALU_CYCLE_1) | instskip(SKIP_3) | instid1(VALU_DEP_1)
	s_cmp_eq_u32 s54, s9
	s_waitcnt lgkmcnt(3)
	v_add3_u32 v1, v3, v1, v4
	s_waitcnt lgkmcnt(2)
	v_add3_u32 v1, v23, v1, v24
	s_waitcnt lgkmcnt(1)
	s_delay_alu instid0(VALU_DEP_1) | instskip(SKIP_1) | instid1(VALU_DEP_1)
	v_add3_u32 v1, v25, v1, v26
	s_waitcnt lgkmcnt(0)
	v_add3_u32 v1, v27, v1, v28
	s_cbranch_scc0 .LBB83_78
; %bb.79:                               ;   in Loop: Header=BB83_21 Depth=1
	s_mov_b32 s9, s54
.LBB83_80:                              ;   in Loop: Header=BB83_21 Depth=1
	s_and_not1_b32 vcc_lo, exec_lo, s55
	s_cbranch_vccnz .LBB83_83
; %bb.81:                               ;   in Loop: Header=BB83_21 Depth=1
	s_lshl_b32 s10, s67, 9
	s_lshl_b32 s9, s9, 4
	s_delay_alu instid0(SALU_CYCLE_1)
	v_add3_u32 v2, s10, s9, v20
	s_mov_b32 s9, s52
.LBB83_82:                              ;   Parent Loop BB83_21 Depth=1
                                        ; =>  This Inner Loop Header: Depth=2
	ds_load_b32 v3, v2
	v_add_nc_u32_e32 v2, 16, v2
	s_add_i32 s9, s9, -1
	s_delay_alu instid0(SALU_CYCLE_1)
	s_cmp_lg_u32 s9, 0
	s_waitcnt lgkmcnt(0)
	v_add_nc_u32_e32 v1, v3, v1
	s_cbranch_scc1 .LBB83_82
.LBB83_83:                              ;   in Loop: Header=BB83_21 Depth=1
	v_add_lshl_u32 v2, s7, v11, 2
	ds_store_b32 v2, v1 offset:3072
.LBB83_84:                              ;   in Loop: Header=BB83_21 Depth=1
	s_or_b32 exec_lo, exec_lo, s8
	s_lshl_b32 s7, s7, 2
	s_waitcnt lgkmcnt(0)
	v_mov_b32_e32 v1, s7
	s_barrier
	buffer_gl0_inv
	s_and_b32 s16, s57, 0xfe
	s_mov_b32 s12, -1
	ds_load_b128 v[1:4], v1 offset:3072
	s_lshl_b32 s10, 3, s16
	s_delay_alu instid0(SALU_CYCLE_1) | instskip(SKIP_4) | instid1(VALU_DEP_3)
	s_not_b32 s17, s10
	s_waitcnt lgkmcnt(0)
	v_readfirstlane_b32 s11, v1
	v_readfirstlane_b32 s19, v2
	;; [unrolled: 1-line block ×3, first 2 shown]
	s_cmp_eq_u32 s11, 1
	s_cselect_b32 s7, -1, 0
	s_cmp_eq_u32 s71, 1
	s_cselect_b32 s8, -1, 0
	s_delay_alu instid0(SALU_CYCLE_1)
	s_and_b32 s13, s7, s8
	v_readfirstlane_b32 s8, v4
	s_and_b32 vcc_lo, exec_lo, s13
	s_cbranch_vccz .LBB83_96
; %bb.85:                               ;   in Loop: Header=BB83_21 Depth=1
	ds_load_b32 v1, v21 offset:4104
	s_waitcnt lgkmcnt(0)
	s_barrier
	buffer_gl0_inv
	v_readfirstlane_b32 s9, v1
	s_and_saveexec_b32 s7, s1
	s_cbranch_execz .LBB83_87
; %bb.86:                               ;   in Loop: Header=BB83_21 Depth=1
	ds_store_b8 v0, v21 offset:3072
.LBB83_87:                              ;   in Loop: Header=BB83_21 Depth=1
	s_or_b32 exec_lo, exec_lo, s7
	s_and_b32 s69, s69, s17
	s_or_b32 s70, s70, s10
	s_cmp_eq_u32 s9, 0
	s_waitcnt lgkmcnt(0)
	s_barrier
	buffer_gl0_inv
	s_cbranch_scc1 .LBB83_97
; %bb.88:                               ;   in Loop: Header=BB83_21 Depth=1
	s_add_i32 s7, s9, s49
                                        ; implicit-def: $vgpr22
	s_delay_alu instid0(SALU_CYCLE_1) | instskip(NEXT) | instid1(SALU_CYCLE_1)
	s_mul_hi_u32 s14, s7, s58
	s_mul_i32 s14, s14, s31
	s_delay_alu instid0(SALU_CYCLE_1) | instskip(NEXT) | instid1(SALU_CYCLE_1)
	s_sub_i32 s14, s7, s14
	s_sub_i32 s18, s14, s31
	s_cmp_ge_u32 s14, s31
	s_cselect_b32 s14, s18, s14
	s_delay_alu instid0(SALU_CYCLE_1) | instskip(SKIP_2) | instid1(SALU_CYCLE_1)
	s_sub_i32 s18, s14, s31
	s_cmp_ge_u32 s14, s31
	s_cselect_b32 s14, s18, s14
	s_sub_i32 s18, s7, s14
	s_mov_b32 s7, 0
	s_mov_b32 s14, exec_lo
	v_cmpx_gt_u32_e64 s18, v0
	s_cbranch_execz .LBB83_99
; %bb.89:                               ;   in Loop: Header=BB83_21 Depth=1
	v_mov_b32_e32 v1, v0
	s_mov_b32 s20, 0
                                        ; implicit-def: $sgpr21
	s_set_inst_prefetch_distance 0x1
	s_branch .LBB83_91
	.p2align	6
.LBB83_90:                              ;   in Loop: Header=BB83_91 Depth=2
	s_or_b32 exec_lo, exec_lo, s7
	s_waitcnt lgkmcnt(0)
	s_barrier
	buffer_gl0_inv
	ds_load_u16 v2, v21 offset:3072
	v_add_nc_u32_e32 v1, s31, v1
	s_waitcnt lgkmcnt(0)
	s_barrier
	buffer_gl0_inv
	v_cmp_le_u32_e32 vcc_lo, s18, v1
	v_and_b32_e32 v3, 0xff, v2
	s_delay_alu instid0(VALU_DEP_1) | instskip(NEXT) | instid1(VALU_DEP_1)
	v_cmp_ne_u16_e64 s7, 0, v3
	s_or_b32 s22, vcc_lo, s7
	s_delay_alu instid0(SALU_CYCLE_1) | instskip(NEXT) | instid1(SALU_CYCLE_1)
	s_and_b32 s22, exec_lo, s22
	s_or_b32 s20, s22, s20
	s_and_not1_b32 s21, s21, exec_lo
	s_and_b32 s7, s7, exec_lo
	s_delay_alu instid0(SALU_CYCLE_1)
	s_or_b32 s21, s21, s7
	s_and_not1_b32 exec_lo, exec_lo, s20
	s_cbranch_execz .LBB83_98
.LBB83_91:                              ;   Parent Loop BB83_21 Depth=1
                                        ; =>  This Inner Loop Header: Depth=2
	s_delay_alu instid0(VALU_DEP_1)
	v_cmp_gt_u32_e32 vcc_lo, s9, v1
	v_mov_b32_e32 v2, 0
	s_and_saveexec_b32 s7, vcc_lo
	s_cbranch_execz .LBB83_93
; %bb.92:                               ;   in Loop: Header=BB83_91 Depth=2
	ds_load_u8 v2, v1
.LBB83_93:                              ;   in Loop: Header=BB83_91 Depth=2
	s_or_b32 exec_lo, exec_lo, s7
	s_and_saveexec_b32 s7, vcc_lo
	s_cbranch_execz .LBB83_90
; %bb.94:                               ;   in Loop: Header=BB83_91 Depth=2
	s_waitcnt lgkmcnt(0)
	v_bfe_i32 v3, v2, 0, 8
	s_delay_alu instid0(VALU_DEP_1) | instskip(NEXT) | instid1(VALU_DEP_1)
	v_add_nc_u32_e32 v3, 0x80, v3
	v_and_b32_e32 v3, s70, v3
	s_delay_alu instid0(VALU_DEP_1)
	v_cmp_eq_u32_e32 vcc_lo, s69, v3
	s_and_b32 exec_lo, exec_lo, vcc_lo
	s_cbranch_execz .LBB83_90
; %bb.95:                               ;   in Loop: Header=BB83_91 Depth=2
	v_lshlrev_b16 v2, 8, v2
	s_delay_alu instid0(VALU_DEP_1)
	v_or_b32_e32 v2, 1, v2
	ds_store_b16 v21, v2 offset:3072
	s_branch .LBB83_90
.LBB83_96:                              ;   in Loop: Header=BB83_21 Depth=1
	s_mov_b32 s7, -1
                                        ; implicit-def: $sgpr9
                                        ; implicit-def: $sgpr18
                                        ; implicit-def: $sgpr14
	s_branch .LBB83_110
.LBB83_97:                              ;   in Loop: Header=BB83_21 Depth=1
	s_mov_b32 s9, -1
	s_mov_b32 s7, 0
                                        ; implicit-def: $sgpr14
                                        ; implicit-def: $vgpr22
	s_mov_b32 s18, s9
	s_cbranch_execnz .LBB83_100
	s_branch .LBB83_110
.LBB83_98:                              ;   in Loop: Header=BB83_21 Depth=1
	s_set_inst_prefetch_distance 0x2
	s_or_b32 exec_lo, exec_lo, s20
	v_lshrrev_b16 v22, 8, v2
	s_and_b32 s7, s21, exec_lo
.LBB83_99:                              ;   in Loop: Header=BB83_21 Depth=1
	s_or_b32 exec_lo, exec_lo, s14
	s_mov_b32 s14, -1
	s_mov_b32 s9, 0
	s_delay_alu instid0(SALU_CYCLE_1)
	s_mov_b32 s18, s9
	s_branch .LBB83_110
.LBB83_100:                             ;   in Loop: Header=BB83_21 Depth=1
	s_mov_b32 s7, 0
                                        ; implicit-def: $vgpr22
	s_and_saveexec_b32 s9, s6
	s_cbranch_execz .LBB83_109
; %bb.101:                              ;   in Loop: Header=BB83_21 Depth=1
	v_dual_mov_b32 v1, v10 :: v_dual_mov_b32 v2, v0
	s_mov_b32 s14, 0
                                        ; implicit-def: $sgpr18
	s_set_inst_prefetch_distance 0x1
	s_branch .LBB83_103
	.p2align	6
.LBB83_102:                             ;   in Loop: Header=BB83_103 Depth=2
	s_or_b32 exec_lo, exec_lo, s7
	s_waitcnt vmcnt(0) lgkmcnt(0)
	s_barrier
	buffer_gl0_inv
	ds_load_u16 v3, v21 offset:3072
	v_add_nc_u32_e32 v2, s31, v2
	v_add_nc_u32_e32 v1, s48, v1
	s_waitcnt lgkmcnt(0)
	s_barrier
	buffer_gl0_inv
	v_cmp_le_u32_e32 vcc_lo, s60, v2
	v_and_b32_e32 v4, 0xff, v3
	s_delay_alu instid0(VALU_DEP_1) | instskip(NEXT) | instid1(VALU_DEP_1)
	v_cmp_ne_u16_e64 s7, 0, v4
	s_or_b32 s20, vcc_lo, s7
	s_delay_alu instid0(SALU_CYCLE_1) | instskip(NEXT) | instid1(SALU_CYCLE_1)
	s_and_b32 s20, exec_lo, s20
	s_or_b32 s14, s20, s14
	s_and_not1_b32 s18, s18, exec_lo
	s_and_b32 s7, s7, exec_lo
	s_delay_alu instid0(SALU_CYCLE_1)
	s_or_b32 s18, s18, s7
	s_and_not1_b32 exec_lo, exec_lo, s14
	s_cbranch_execz .LBB83_108
.LBB83_103:                             ;   Parent Loop BB83_21 Depth=1
                                        ; =>  This Inner Loop Header: Depth=2
	s_delay_alu instid0(VALU_DEP_1)
	v_cmp_gt_u32_e32 vcc_lo, s28, v2
	v_mov_b32_e32 v3, 0
	s_and_saveexec_b32 s7, vcc_lo
	s_cbranch_execz .LBB83_105
; %bb.104:                              ;   in Loop: Header=BB83_103 Depth=2
	global_load_u8 v3, v1, s[38:39]
.LBB83_105:                             ;   in Loop: Header=BB83_103 Depth=2
	s_or_b32 exec_lo, exec_lo, s7
	s_and_saveexec_b32 s7, vcc_lo
	s_cbranch_execz .LBB83_102
; %bb.106:                              ;   in Loop: Header=BB83_103 Depth=2
	s_waitcnt vmcnt(0)
	v_bfe_i32 v4, v3, 0, 8
	s_delay_alu instid0(VALU_DEP_1) | instskip(NEXT) | instid1(VALU_DEP_1)
	v_add_nc_u32_e32 v4, 0x80, v4
	v_and_b32_e32 v4, s70, v4
	s_delay_alu instid0(VALU_DEP_1)
	v_cmp_eq_u32_e32 vcc_lo, s69, v4
	s_and_b32 exec_lo, exec_lo, vcc_lo
	s_cbranch_execz .LBB83_102
; %bb.107:                              ;   in Loop: Header=BB83_103 Depth=2
	v_lshlrev_b16 v3, 8, v3
	s_delay_alu instid0(VALU_DEP_1)
	v_or_b32_e32 v3, 1, v3
	ds_store_b16 v21, v3 offset:3072
	s_branch .LBB83_102
.LBB83_108:                             ;   in Loop: Header=BB83_21 Depth=1
	s_set_inst_prefetch_distance 0x2
	s_or_b32 exec_lo, exec_lo, s14
	v_lshrrev_b16 v22, 8, v3
	s_and_b32 s7, s18, exec_lo
.LBB83_109:                             ;   in Loop: Header=BB83_21 Depth=1
	s_or_b32 exec_lo, exec_lo, s9
	s_mov_b32 s18, -1
	s_mov_b32 s9, 0
	s_mov_b32 s14, 0
.LBB83_110:                             ;   in Loop: Header=BB83_21 Depth=1
	s_and_not1_b32 s20, s65, exec_lo
	s_and_b32 s9, s9, exec_lo
	s_and_b32 s18, s18, exec_lo
	s_or_b32 s65, s20, s9
	s_and_not1_b32 s9, s68, exec_lo
	s_and_not1_b32 s20, s66, exec_lo
	s_and_b32 s14, s14, exec_lo
	s_or_b32 s68, s9, s18
	s_or_b32 s66, s20, s14
	s_and_saveexec_b32 s9, s7
	s_cbranch_execz .LBB83_20
; %bb.111:                              ;   in Loop: Header=BB83_21 Depth=1
	s_xor_b32 s7, s13, -1
	s_mov_b32 s12, 0
	s_and_not1_b32 vcc_lo, exec_lo, s7
	s_mov_b32 s20, 1
	s_cbranch_vccnz .LBB83_122
; %bb.112:                              ;   in Loop: Header=BB83_21 Depth=1
	s_cmp_gt_u32 s71, s11
	s_mov_b32 s12, -1
                                        ; implicit-def: $sgpr7
                                        ; implicit-def: $sgpr13
                                        ; implicit-def: $sgpr14
	s_cbranch_scc1 .LBB83_118
; %bb.113:                              ;   in Loop: Header=BB83_21 Depth=1
	ds_load_b32 v1, v21 offset:4104
	s_waitcnt lgkmcnt(0)
	v_cmp_ne_u32_e32 vcc_lo, 0, v1
	s_cbranch_vccnz .LBB83_117
; %bb.114:                              ;   in Loop: Header=BB83_21 Depth=1
	s_and_saveexec_b32 s7, s2
	s_cbranch_execz .LBB83_116
; %bb.115:                              ;   in Loop: Header=BB83_21 Depth=1
	v_mov_b32_e32 v1, s11
	ds_store_b32 v21, v1 offset:4108
.LBB83_116:                             ;   in Loop: Header=BB83_21 Depth=1
	s_or_b32 exec_lo, exec_lo, s7
	s_waitcnt lgkmcnt(0)
	s_barrier
	buffer_gl0_inv
.LBB83_117:                             ;   in Loop: Header=BB83_21 Depth=1
	s_and_b32 s13, s69, s17
	s_or_b32 s14, s70, s10
	s_mov_b32 s12, 0
	s_mov_b32 s7, 8
.LBB83_118:                             ;   in Loop: Header=BB83_21 Depth=1
	s_and_not1_b32 vcc_lo, exec_lo, s12
	s_cbranch_vccnz .LBB83_120
; %bb.119:                              ;   in Loop: Header=BB83_21 Depth=1
	s_sub_i32 s71, s71, s11
	s_mov_b32 s12, -1
	s_mov_b32 s7, 0
	s_mov_b32 s13, s69
	;; [unrolled: 1-line block ×3, first 2 shown]
.LBB83_120:                             ;   in Loop: Header=BB83_21 Depth=1
	s_delay_alu instid0(SALU_CYCLE_1)
	s_mov_b32 s70, s14
	s_mov_b32 s69, s13
	;; [unrolled: 1-line block ×3, first 2 shown]
	s_and_b32 vcc_lo, exec_lo, s12
	s_mov_b32 s11, -1
	s_cbranch_vccnz .LBB83_123
.LBB83_121:                             ;   in Loop: Header=BB83_21 Depth=1
	s_mov_b32 s23, -1
                                        ; implicit-def: $sgpr12
                                        ; implicit-def: $sgpr14
                                        ; implicit-def: $sgpr13
                                        ; implicit-def: $sgpr71
	s_delay_alu instid0(SALU_CYCLE_1) | instskip(NEXT) | instid1(SALU_CYCLE_1)
	s_and_saveexec_b32 s8, s23
	s_xor_b32 s8, exec_lo, s8
	s_cbranch_execz .LBB83_19
	s_branch .LBB83_249
.LBB83_122:                             ;   in Loop: Header=BB83_21 Depth=1
	s_mov_b32 s7, 1
	s_and_b32 vcc_lo, exec_lo, s12
	s_mov_b32 s11, -1
	s_cbranch_vccz .LBB83_121
.LBB83_123:                             ;   in Loop: Header=BB83_21 Depth=1
	s_cmp_eq_u32 s19, 1
	s_mov_b32 s22, -1
	s_cselect_b32 s7, -1, 0
	s_cmp_eq_u32 s20, 1
	s_cselect_b32 s12, -1, 0
	s_delay_alu instid0(SALU_CYCLE_1) | instskip(NEXT) | instid1(SALU_CYCLE_1)
	s_and_b32 s21, s7, s12
	s_and_b32 vcc_lo, exec_lo, s21
	s_cbranch_vccz .LBB83_135
; %bb.124:                              ;   in Loop: Header=BB83_21 Depth=1
	ds_load_b32 v1, v21 offset:4104
	s_waitcnt lgkmcnt(0)
	s_barrier
	buffer_gl0_inv
	v_readfirstlane_b32 s12, v1
	s_and_saveexec_b32 s7, s1
	s_cbranch_execz .LBB83_126
; %bb.125:                              ;   in Loop: Header=BB83_21 Depth=1
	ds_store_b8 v0, v21 offset:3072
.LBB83_126:                             ;   in Loop: Header=BB83_21 Depth=1
	s_or_b32 exec_lo, exec_lo, s7
	s_lshl_b32 s7, 1, s16
	s_and_b32 s13, s69, s17
	s_or_b32 s70, s70, s10
	s_or_b32 s69, s13, s7
	s_cmp_eq_u32 s12, 0
	s_waitcnt lgkmcnt(0)
	s_barrier
	buffer_gl0_inv
	s_cbranch_scc1 .LBB83_139
; %bb.127:                              ;   in Loop: Header=BB83_21 Depth=1
	s_add_i32 s7, s12, s49
	s_mov_b32 s22, 0
	s_mul_hi_u32 s13, s7, s58
                                        ; implicit-def: $vgpr22
	s_delay_alu instid0(SALU_CYCLE_1) | instskip(NEXT) | instid1(SALU_CYCLE_1)
	s_mul_i32 s13, s13, s31
	s_sub_i32 s13, s7, s13
	s_delay_alu instid0(SALU_CYCLE_1) | instskip(SKIP_2) | instid1(SALU_CYCLE_1)
	s_sub_i32 s14, s13, s31
	s_cmp_ge_u32 s13, s31
	s_cselect_b32 s13, s14, s13
	s_sub_i32 s14, s13, s31
	s_cmp_ge_u32 s13, s31
	s_cselect_b32 s13, s14, s13
	s_delay_alu instid0(SALU_CYCLE_1)
	s_sub_i32 s14, s7, s13
	s_mov_b32 s13, exec_lo
	v_cmpx_gt_u32_e64 s14, v0
	s_cbranch_execz .LBB83_141
; %bb.128:                              ;   in Loop: Header=BB83_21 Depth=1
	v_mov_b32_e32 v1, v0
	s_mov_b32 s18, 0
                                        ; implicit-def: $sgpr22
	s_set_inst_prefetch_distance 0x1
	s_branch .LBB83_130
	.p2align	6
.LBB83_129:                             ;   in Loop: Header=BB83_130 Depth=2
	s_or_b32 exec_lo, exec_lo, s7
	s_waitcnt lgkmcnt(0)
	s_barrier
	buffer_gl0_inv
	ds_load_u16 v2, v21 offset:3072
	v_add_nc_u32_e32 v1, s31, v1
	s_waitcnt lgkmcnt(0)
	s_barrier
	buffer_gl0_inv
	v_cmp_le_u32_e32 vcc_lo, s14, v1
	v_and_b32_e32 v3, 0xff, v2
	s_delay_alu instid0(VALU_DEP_1) | instskip(NEXT) | instid1(VALU_DEP_1)
	v_cmp_ne_u16_e64 s7, 0, v3
	s_or_b32 s23, vcc_lo, s7
	s_delay_alu instid0(SALU_CYCLE_1) | instskip(NEXT) | instid1(SALU_CYCLE_1)
	s_and_b32 s23, exec_lo, s23
	s_or_b32 s18, s23, s18
	s_and_not1_b32 s22, s22, exec_lo
	s_and_b32 s7, s7, exec_lo
	s_delay_alu instid0(SALU_CYCLE_1)
	s_or_b32 s22, s22, s7
	s_and_not1_b32 exec_lo, exec_lo, s18
	s_cbranch_execz .LBB83_140
.LBB83_130:                             ;   Parent Loop BB83_21 Depth=1
                                        ; =>  This Inner Loop Header: Depth=2
	s_delay_alu instid0(VALU_DEP_1)
	v_cmp_gt_u32_e32 vcc_lo, s12, v1
	v_mov_b32_e32 v2, 0
	s_and_saveexec_b32 s7, vcc_lo
	s_cbranch_execz .LBB83_132
; %bb.131:                              ;   in Loop: Header=BB83_130 Depth=2
	ds_load_u8 v2, v1
.LBB83_132:                             ;   in Loop: Header=BB83_130 Depth=2
	s_or_b32 exec_lo, exec_lo, s7
	s_and_saveexec_b32 s7, vcc_lo
	s_cbranch_execz .LBB83_129
; %bb.133:                              ;   in Loop: Header=BB83_130 Depth=2
	s_waitcnt lgkmcnt(0)
	v_bfe_i32 v3, v2, 0, 8
	s_delay_alu instid0(VALU_DEP_1) | instskip(NEXT) | instid1(VALU_DEP_1)
	v_add_nc_u32_e32 v3, 0x80, v3
	v_and_b32_e32 v3, s70, v3
	s_delay_alu instid0(VALU_DEP_1)
	v_cmp_eq_u32_e32 vcc_lo, s69, v3
	s_and_b32 exec_lo, exec_lo, vcc_lo
	s_cbranch_execz .LBB83_129
; %bb.134:                              ;   in Loop: Header=BB83_130 Depth=2
	v_lshlrev_b16 v2, 8, v2
	s_delay_alu instid0(VALU_DEP_1)
	v_or_b32_e32 v2, 1, v2
	ds_store_b16 v21, v2 offset:3072
	s_branch .LBB83_129
.LBB83_135:                             ;   in Loop: Header=BB83_21 Depth=1
                                        ; implicit-def: $sgpr13
                                        ; implicit-def: $sgpr14
                                        ; implicit-def: $sgpr12
	s_branch .LBB83_152
.LBB83_136:                             ;   in Loop: Header=BB83_21 Depth=1
	s_or_b32 exec_lo, exec_lo, s9
	s_waitcnt lgkmcnt(0)
	s_barrier
	buffer_gl0_inv
	s_and_saveexec_b32 s7, s2
	s_cbranch_execz .LBB83_138
; %bb.137:                              ;   in Loop: Header=BB83_21 Depth=1
	ds_load_b32 v1, v21 offset:4112
	s_waitcnt lgkmcnt(0)
	ds_store_b32 v21, v1 offset:4104
.LBB83_138:                             ;   in Loop: Header=BB83_21 Depth=1
	s_or_b32 exec_lo, exec_lo, s7
	s_waitcnt lgkmcnt(0)
	s_mov_b32 s7, -1
	s_barrier
	s_and_b32 vcc_lo, exec_lo, s72
	s_cbranch_vccnz .LBB83_36
	s_branch .LBB83_46
.LBB83_139:                             ;   in Loop: Header=BB83_21 Depth=1
	s_mov_b32 s13, -1
	s_mov_b32 s22, 0
                                        ; implicit-def: $sgpr12
                                        ; implicit-def: $vgpr22
	s_mov_b32 s14, s13
	s_cbranch_execnz .LBB83_142
	s_branch .LBB83_152
.LBB83_140:                             ;   in Loop: Header=BB83_21 Depth=1
	s_set_inst_prefetch_distance 0x2
	s_or_b32 exec_lo, exec_lo, s18
	v_lshrrev_b16 v22, 8, v2
	s_and_b32 s22, s22, exec_lo
.LBB83_141:                             ;   in Loop: Header=BB83_21 Depth=1
	s_or_b32 exec_lo, exec_lo, s13
	s_mov_b32 s12, -1
	s_mov_b32 s13, 0
	s_delay_alu instid0(SALU_CYCLE_1)
	s_mov_b32 s14, s13
	s_branch .LBB83_152
.LBB83_142:                             ;   in Loop: Header=BB83_21 Depth=1
	s_mov_b32 s22, 0
                                        ; implicit-def: $vgpr22
	s_and_saveexec_b32 s12, s6
	s_cbranch_execz .LBB83_151
; %bb.143:                              ;   in Loop: Header=BB83_21 Depth=1
	v_dual_mov_b32 v1, v10 :: v_dual_mov_b32 v2, v0
	s_mov_b32 s13, 0
                                        ; implicit-def: $sgpr14
	s_set_inst_prefetch_distance 0x1
	s_branch .LBB83_145
	.p2align	6
.LBB83_144:                             ;   in Loop: Header=BB83_145 Depth=2
	s_or_b32 exec_lo, exec_lo, s7
	s_waitcnt vmcnt(0) lgkmcnt(0)
	s_barrier
	buffer_gl0_inv
	ds_load_u16 v3, v21 offset:3072
	v_add_nc_u32_e32 v2, s31, v2
	v_add_nc_u32_e32 v1, s48, v1
	s_waitcnt lgkmcnt(0)
	s_barrier
	buffer_gl0_inv
	v_cmp_le_u32_e32 vcc_lo, s60, v2
	v_and_b32_e32 v4, 0xff, v3
	s_delay_alu instid0(VALU_DEP_1) | instskip(NEXT) | instid1(VALU_DEP_1)
	v_cmp_ne_u16_e64 s7, 0, v4
	s_or_b32 s18, vcc_lo, s7
	s_delay_alu instid0(SALU_CYCLE_1) | instskip(NEXT) | instid1(SALU_CYCLE_1)
	s_and_b32 s18, exec_lo, s18
	s_or_b32 s13, s18, s13
	s_and_not1_b32 s14, s14, exec_lo
	s_and_b32 s7, s7, exec_lo
	s_delay_alu instid0(SALU_CYCLE_1)
	s_or_b32 s14, s14, s7
	s_and_not1_b32 exec_lo, exec_lo, s13
	s_cbranch_execz .LBB83_150
.LBB83_145:                             ;   Parent Loop BB83_21 Depth=1
                                        ; =>  This Inner Loop Header: Depth=2
	s_delay_alu instid0(VALU_DEP_1)
	v_cmp_gt_u32_e32 vcc_lo, s28, v2
	v_mov_b32_e32 v3, 0
	s_and_saveexec_b32 s7, vcc_lo
	s_cbranch_execz .LBB83_147
; %bb.146:                              ;   in Loop: Header=BB83_145 Depth=2
	global_load_u8 v3, v1, s[38:39]
.LBB83_147:                             ;   in Loop: Header=BB83_145 Depth=2
	s_or_b32 exec_lo, exec_lo, s7
	s_and_saveexec_b32 s7, vcc_lo
	s_cbranch_execz .LBB83_144
; %bb.148:                              ;   in Loop: Header=BB83_145 Depth=2
	s_waitcnt vmcnt(0)
	v_bfe_i32 v4, v3, 0, 8
	s_delay_alu instid0(VALU_DEP_1) | instskip(NEXT) | instid1(VALU_DEP_1)
	v_add_nc_u32_e32 v4, 0x80, v4
	v_and_b32_e32 v4, s70, v4
	s_delay_alu instid0(VALU_DEP_1)
	v_cmp_eq_u32_e32 vcc_lo, s69, v4
	s_and_b32 exec_lo, exec_lo, vcc_lo
	s_cbranch_execz .LBB83_144
; %bb.149:                              ;   in Loop: Header=BB83_145 Depth=2
	v_lshlrev_b16 v3, 8, v3
	s_delay_alu instid0(VALU_DEP_1)
	v_or_b32_e32 v3, 1, v3
	ds_store_b16 v21, v3 offset:3072
	s_branch .LBB83_144
.LBB83_150:                             ;   in Loop: Header=BB83_21 Depth=1
	s_set_inst_prefetch_distance 0x2
	s_or_b32 exec_lo, exec_lo, s13
	v_lshrrev_b16 v22, 8, v3
	s_and_b32 s22, s14, exec_lo
.LBB83_151:                             ;   in Loop: Header=BB83_21 Depth=1
	s_or_b32 exec_lo, exec_lo, s12
	s_mov_b32 s14, -1
	s_mov_b32 s13, 0
	s_mov_b32 s12, 0
.LBB83_152:                             ;   in Loop: Header=BB83_21 Depth=1
	s_mov_b32 s23, 0
                                        ; implicit-def: $sgpr7
	s_and_saveexec_b32 s18, s22
	s_cbranch_execz .LBB83_248
; %bb.153:                              ;   in Loop: Header=BB83_21 Depth=1
	s_xor_b32 s7, s21, -1
	s_mov_b32 s21, 0
	s_and_not1_b32 vcc_lo, exec_lo, s7
	s_mov_b32 s24, 1
	s_cbranch_vccnz .LBB83_164
; %bb.154:                              ;   in Loop: Header=BB83_21 Depth=1
	s_cmp_gt_u32 s20, s19
	s_mov_b32 s21, -1
                                        ; implicit-def: $sgpr7
                                        ; implicit-def: $sgpr22
                                        ; implicit-def: $sgpr23
	s_cbranch_scc1 .LBB83_160
; %bb.155:                              ;   in Loop: Header=BB83_21 Depth=1
	ds_load_b32 v1, v21 offset:4104
	s_waitcnt lgkmcnt(0)
	v_cmp_ne_u32_e32 vcc_lo, 0, v1
	s_cbranch_vccnz .LBB83_159
; %bb.156:                              ;   in Loop: Header=BB83_21 Depth=1
	s_and_saveexec_b32 s7, s2
	s_cbranch_execz .LBB83_158
; %bb.157:                              ;   in Loop: Header=BB83_21 Depth=1
	v_mov_b32_e32 v1, s19
	ds_store_b32 v21, v1 offset:4108
.LBB83_158:                             ;   in Loop: Header=BB83_21 Depth=1
	s_or_b32 exec_lo, exec_lo, s7
	s_waitcnt lgkmcnt(0)
	s_barrier
	buffer_gl0_inv
.LBB83_159:                             ;   in Loop: Header=BB83_21 Depth=1
	s_lshl_b32 s7, 1, s16
	s_and_b32 s21, s69, s17
	s_or_b32 s23, s70, s10
	s_or_b32 s22, s21, s7
	s_mov_b32 s21, 0
	s_mov_b32 s7, 8
.LBB83_160:                             ;   in Loop: Header=BB83_21 Depth=1
	s_and_not1_b32 vcc_lo, exec_lo, s21
	s_cbranch_vccnz .LBB83_162
; %bb.161:                              ;   in Loop: Header=BB83_21 Depth=1
	s_sub_i32 s20, s20, s19
	s_mov_b32 s21, -1
	s_mov_b32 s7, 0
	s_mov_b32 s22, s69
	s_mov_b32 s23, s70
.LBB83_162:                             ;   in Loop: Header=BB83_21 Depth=1
	s_delay_alu instid0(SALU_CYCLE_1)
	s_mov_b32 s70, s23
	s_mov_b32 s69, s22
	;; [unrolled: 1-line block ×3, first 2 shown]
	s_and_not1_b32 vcc_lo, exec_lo, s21
	s_mov_b32 s26, -1
	s_cbranch_vccz .LBB83_165
.LBB83_163:                             ;   in Loop: Header=BB83_21 Depth=1
                                        ; implicit-def: $sgpr20
                                        ; implicit-def: $sgpr21
                                        ; implicit-def: $sgpr19
	s_branch .LBB83_247
.LBB83_164:                             ;   in Loop: Header=BB83_21 Depth=1
	s_mov_b32 s7, 1
	s_and_not1_b32 vcc_lo, exec_lo, s21
	s_mov_b32 s26, -1
	s_cbranch_vccnz .LBB83_163
.LBB83_165:                             ;   in Loop: Header=BB83_21 Depth=1
	s_cmp_eq_u32 s15, 1
	s_mov_b32 s25, -1
	s_cselect_b32 s7, -1, 0
	s_cmp_eq_u32 s24, 1
	s_cselect_b32 s19, -1, 0
	s_delay_alu instid0(SALU_CYCLE_1) | instskip(NEXT) | instid1(SALU_CYCLE_1)
	s_and_b32 s23, s7, s19
	s_and_b32 vcc_lo, exec_lo, s23
	s_cbranch_vccz .LBB83_177
; %bb.166:                              ;   in Loop: Header=BB83_21 Depth=1
	ds_load_b32 v1, v21 offset:4104
	s_waitcnt lgkmcnt(0)
	s_barrier
	buffer_gl0_inv
	v_readfirstlane_b32 s19, v1
	s_and_saveexec_b32 s7, s1
	s_cbranch_execz .LBB83_168
; %bb.167:                              ;   in Loop: Header=BB83_21 Depth=1
	ds_store_b8 v0, v21 offset:3072
.LBB83_168:                             ;   in Loop: Header=BB83_21 Depth=1
	s_or_b32 exec_lo, exec_lo, s7
	s_lshl_b32 s7, 2, s16
	s_and_b32 s20, s69, s17
	s_or_b32 s70, s70, s10
	s_or_b32 s69, s20, s7
	s_cmp_eq_u32 s19, 0
	s_waitcnt lgkmcnt(0)
	s_barrier
	buffer_gl0_inv
	s_cbranch_scc1 .LBB83_178
; %bb.169:                              ;   in Loop: Header=BB83_21 Depth=1
	s_add_i32 s7, s19, s49
	s_mov_b32 s25, 0
	s_mul_hi_u32 s20, s7, s58
                                        ; implicit-def: $vgpr22
	s_delay_alu instid0(SALU_CYCLE_1) | instskip(NEXT) | instid1(SALU_CYCLE_1)
	s_mul_i32 s20, s20, s31
	s_sub_i32 s20, s7, s20
	s_delay_alu instid0(SALU_CYCLE_1) | instskip(SKIP_2) | instid1(SALU_CYCLE_1)
	s_sub_i32 s21, s20, s31
	s_cmp_ge_u32 s20, s31
	s_cselect_b32 s20, s21, s20
	s_sub_i32 s21, s20, s31
	s_cmp_ge_u32 s20, s31
	s_cselect_b32 s20, s21, s20
	s_delay_alu instid0(SALU_CYCLE_1)
	s_sub_i32 s21, s7, s20
	s_mov_b32 s20, exec_lo
	v_cmpx_gt_u32_e64 s21, v0
	s_cbranch_execz .LBB83_180
; %bb.170:                              ;   in Loop: Header=BB83_21 Depth=1
	v_mov_b32_e32 v1, v0
	s_mov_b32 s22, 0
                                        ; implicit-def: $sgpr25
	s_set_inst_prefetch_distance 0x1
	s_branch .LBB83_172
	.p2align	6
.LBB83_171:                             ;   in Loop: Header=BB83_172 Depth=2
	s_or_b32 exec_lo, exec_lo, s7
	s_waitcnt lgkmcnt(0)
	s_barrier
	buffer_gl0_inv
	ds_load_u16 v2, v21 offset:3072
	v_add_nc_u32_e32 v1, s31, v1
	s_waitcnt lgkmcnt(0)
	s_barrier
	buffer_gl0_inv
	v_cmp_le_u32_e32 vcc_lo, s21, v1
	v_and_b32_e32 v3, 0xff, v2
	s_delay_alu instid0(VALU_DEP_1) | instskip(NEXT) | instid1(VALU_DEP_1)
	v_cmp_ne_u16_e64 s7, 0, v3
	s_or_b32 s26, vcc_lo, s7
	s_delay_alu instid0(SALU_CYCLE_1) | instskip(NEXT) | instid1(SALU_CYCLE_1)
	s_and_b32 s26, exec_lo, s26
	s_or_b32 s22, s26, s22
	s_and_not1_b32 s25, s25, exec_lo
	s_and_b32 s7, s7, exec_lo
	s_delay_alu instid0(SALU_CYCLE_1)
	s_or_b32 s25, s25, s7
	s_and_not1_b32 exec_lo, exec_lo, s22
	s_cbranch_execz .LBB83_179
.LBB83_172:                             ;   Parent Loop BB83_21 Depth=1
                                        ; =>  This Inner Loop Header: Depth=2
	s_delay_alu instid0(VALU_DEP_1)
	v_cmp_gt_u32_e32 vcc_lo, s19, v1
	v_mov_b32_e32 v2, 0
	s_and_saveexec_b32 s7, vcc_lo
	s_cbranch_execz .LBB83_174
; %bb.173:                              ;   in Loop: Header=BB83_172 Depth=2
	ds_load_u8 v2, v1
.LBB83_174:                             ;   in Loop: Header=BB83_172 Depth=2
	s_or_b32 exec_lo, exec_lo, s7
	s_and_saveexec_b32 s7, vcc_lo
	s_cbranch_execz .LBB83_171
; %bb.175:                              ;   in Loop: Header=BB83_172 Depth=2
	s_waitcnt lgkmcnt(0)
	v_bfe_i32 v3, v2, 0, 8
	s_delay_alu instid0(VALU_DEP_1) | instskip(NEXT) | instid1(VALU_DEP_1)
	v_add_nc_u32_e32 v3, 0x80, v3
	v_and_b32_e32 v3, s70, v3
	s_delay_alu instid0(VALU_DEP_1)
	v_cmp_eq_u32_e32 vcc_lo, s69, v3
	s_and_b32 exec_lo, exec_lo, vcc_lo
	s_cbranch_execz .LBB83_171
; %bb.176:                              ;   in Loop: Header=BB83_172 Depth=2
	v_lshlrev_b16 v2, 8, v2
	s_delay_alu instid0(VALU_DEP_1)
	v_or_b32_e32 v2, 1, v2
	ds_store_b16 v21, v2 offset:3072
	s_branch .LBB83_171
.LBB83_177:                             ;   in Loop: Header=BB83_21 Depth=1
                                        ; implicit-def: $sgpr19
                                        ; implicit-def: $sgpr21
                                        ; implicit-def: $sgpr20
	s_branch .LBB83_191
.LBB83_178:                             ;   in Loop: Header=BB83_21 Depth=1
	s_mov_b32 s19, -1
	s_mov_b32 s25, 0
                                        ; implicit-def: $sgpr20
                                        ; implicit-def: $vgpr22
	s_mov_b32 s21, s19
	s_cbranch_execnz .LBB83_181
	s_branch .LBB83_191
.LBB83_179:                             ;   in Loop: Header=BB83_21 Depth=1
	s_set_inst_prefetch_distance 0x2
	s_or_b32 exec_lo, exec_lo, s22
	v_lshrrev_b16 v22, 8, v2
	s_and_b32 s25, s25, exec_lo
.LBB83_180:                             ;   in Loop: Header=BB83_21 Depth=1
	s_or_b32 exec_lo, exec_lo, s20
	s_mov_b32 s20, -1
	s_mov_b32 s19, 0
	s_delay_alu instid0(SALU_CYCLE_1)
	s_mov_b32 s21, s19
	s_branch .LBB83_191
.LBB83_181:                             ;   in Loop: Header=BB83_21 Depth=1
	s_mov_b32 s25, 0
                                        ; implicit-def: $vgpr22
	s_and_saveexec_b32 s19, s6
	s_cbranch_execz .LBB83_190
; %bb.182:                              ;   in Loop: Header=BB83_21 Depth=1
	v_dual_mov_b32 v1, v10 :: v_dual_mov_b32 v2, v0
	s_mov_b32 s20, 0
                                        ; implicit-def: $sgpr21
	s_set_inst_prefetch_distance 0x1
	s_branch .LBB83_184
	.p2align	6
.LBB83_183:                             ;   in Loop: Header=BB83_184 Depth=2
	s_or_b32 exec_lo, exec_lo, s7
	s_waitcnt vmcnt(0) lgkmcnt(0)
	s_barrier
	buffer_gl0_inv
	ds_load_u16 v3, v21 offset:3072
	v_add_nc_u32_e32 v2, s31, v2
	v_add_nc_u32_e32 v1, s48, v1
	s_waitcnt lgkmcnt(0)
	s_barrier
	buffer_gl0_inv
	v_cmp_le_u32_e32 vcc_lo, s60, v2
	v_and_b32_e32 v4, 0xff, v3
	s_delay_alu instid0(VALU_DEP_1) | instskip(NEXT) | instid1(VALU_DEP_1)
	v_cmp_ne_u16_e64 s7, 0, v4
	s_or_b32 s22, vcc_lo, s7
	s_delay_alu instid0(SALU_CYCLE_1) | instskip(NEXT) | instid1(SALU_CYCLE_1)
	s_and_b32 s22, exec_lo, s22
	s_or_b32 s20, s22, s20
	s_and_not1_b32 s21, s21, exec_lo
	s_and_b32 s7, s7, exec_lo
	s_delay_alu instid0(SALU_CYCLE_1)
	s_or_b32 s21, s21, s7
	s_and_not1_b32 exec_lo, exec_lo, s20
	s_cbranch_execz .LBB83_189
.LBB83_184:                             ;   Parent Loop BB83_21 Depth=1
                                        ; =>  This Inner Loop Header: Depth=2
	s_delay_alu instid0(VALU_DEP_1)
	v_cmp_gt_u32_e32 vcc_lo, s28, v2
	v_mov_b32_e32 v3, 0
	s_and_saveexec_b32 s7, vcc_lo
	s_cbranch_execz .LBB83_186
; %bb.185:                              ;   in Loop: Header=BB83_184 Depth=2
	global_load_u8 v3, v1, s[38:39]
.LBB83_186:                             ;   in Loop: Header=BB83_184 Depth=2
	s_or_b32 exec_lo, exec_lo, s7
	s_and_saveexec_b32 s7, vcc_lo
	s_cbranch_execz .LBB83_183
; %bb.187:                              ;   in Loop: Header=BB83_184 Depth=2
	s_waitcnt vmcnt(0)
	v_bfe_i32 v4, v3, 0, 8
	s_delay_alu instid0(VALU_DEP_1) | instskip(NEXT) | instid1(VALU_DEP_1)
	v_add_nc_u32_e32 v4, 0x80, v4
	v_and_b32_e32 v4, s70, v4
	s_delay_alu instid0(VALU_DEP_1)
	v_cmp_eq_u32_e32 vcc_lo, s69, v4
	s_and_b32 exec_lo, exec_lo, vcc_lo
	s_cbranch_execz .LBB83_183
; %bb.188:                              ;   in Loop: Header=BB83_184 Depth=2
	v_lshlrev_b16 v3, 8, v3
	s_delay_alu instid0(VALU_DEP_1)
	v_or_b32_e32 v3, 1, v3
	ds_store_b16 v21, v3 offset:3072
	s_branch .LBB83_183
.LBB83_189:                             ;   in Loop: Header=BB83_21 Depth=1
	s_set_inst_prefetch_distance 0x2
	s_or_b32 exec_lo, exec_lo, s20
	v_lshrrev_b16 v22, 8, v3
	s_and_b32 s25, s21, exec_lo
.LBB83_190:                             ;   in Loop: Header=BB83_21 Depth=1
	s_or_b32 exec_lo, exec_lo, s19
	s_mov_b32 s21, -1
	s_mov_b32 s19, 0
	s_mov_b32 s20, 0
.LBB83_191:                             ;   in Loop: Header=BB83_21 Depth=1
	s_mov_b32 s26, 0
                                        ; implicit-def: $sgpr7
	s_and_saveexec_b32 s22, s25
	s_cbranch_execz .LBB83_246
; %bb.192:                              ;   in Loop: Header=BB83_21 Depth=1
	s_xor_b32 s7, s23, -1
	s_mov_b32 s25, 0
	s_and_not1_b32 vcc_lo, exec_lo, s7
	s_mov_b32 s23, 1
	s_cbranch_vccnz .LBB83_203
; %bb.193:                              ;   in Loop: Header=BB83_21 Depth=1
	s_cmp_gt_u32 s24, s15
	s_mov_b32 s25, -1
                                        ; implicit-def: $sgpr7
                                        ; implicit-def: $sgpr23
                                        ; implicit-def: $sgpr26
	s_cbranch_scc1 .LBB83_199
; %bb.194:                              ;   in Loop: Header=BB83_21 Depth=1
	ds_load_b32 v1, v21 offset:4104
	s_waitcnt lgkmcnt(0)
	v_cmp_ne_u32_e32 vcc_lo, 0, v1
	s_cbranch_vccnz .LBB83_198
; %bb.195:                              ;   in Loop: Header=BB83_21 Depth=1
	s_and_saveexec_b32 s7, s2
	s_cbranch_execz .LBB83_197
; %bb.196:                              ;   in Loop: Header=BB83_21 Depth=1
	v_mov_b32_e32 v1, s15
	ds_store_b32 v21, v1 offset:4108
.LBB83_197:                             ;   in Loop: Header=BB83_21 Depth=1
	s_or_b32 exec_lo, exec_lo, s7
	s_waitcnt lgkmcnt(0)
	s_barrier
	buffer_gl0_inv
.LBB83_198:                             ;   in Loop: Header=BB83_21 Depth=1
	s_lshl_b32 s7, 2, s16
	s_and_b32 s16, s69, s17
	s_or_b32 s26, s70, s10
	s_or_b32 s23, s16, s7
	s_mov_b32 s25, 0
	s_mov_b32 s7, 8
.LBB83_199:                             ;   in Loop: Header=BB83_21 Depth=1
	s_and_not1_b32 vcc_lo, exec_lo, s25
	s_cbranch_vccnz .LBB83_201
; %bb.200:                              ;   in Loop: Header=BB83_21 Depth=1
	s_sub_i32 s24, s24, s15
	s_mov_b32 s25, -1
	s_mov_b32 s7, 0
	s_mov_b32 s23, s69
	;; [unrolled: 1-line block ×3, first 2 shown]
.LBB83_201:                             ;   in Loop: Header=BB83_21 Depth=1
	s_delay_alu instid0(SALU_CYCLE_1)
	s_mov_b32 s70, s26
	s_mov_b32 s69, s23
	;; [unrolled: 1-line block ×3, first 2 shown]
	s_and_not1_b32 vcc_lo, exec_lo, s25
	s_mov_b32 s71, -1
	s_cbranch_vccz .LBB83_204
.LBB83_202:                             ;   in Loop: Header=BB83_21 Depth=1
                                        ; implicit-def: $sgpr16
                                        ; implicit-def: $sgpr24
                                        ; implicit-def: $sgpr17
	s_branch .LBB83_245
.LBB83_203:                             ;   in Loop: Header=BB83_21 Depth=1
	s_mov_b32 s7, 1
	s_and_not1_b32 vcc_lo, exec_lo, s25
	s_mov_b32 s71, -1
	s_cbranch_vccnz .LBB83_202
.LBB83_204:                             ;   in Loop: Header=BB83_21 Depth=1
	s_cmp_eq_u32 s8, 1
	s_mov_b32 s25, -1
	s_cselect_b32 s7, -1, 0
	s_cmp_eq_u32 s23, 1
	s_cselect_b32 s15, -1, 0
	s_delay_alu instid0(SALU_CYCLE_1) | instskip(NEXT) | instid1(SALU_CYCLE_1)
	s_and_b32 s15, s7, s15
	s_and_b32 vcc_lo, exec_lo, s15
	s_cbranch_vccz .LBB83_216
; %bb.205:                              ;   in Loop: Header=BB83_21 Depth=1
	ds_load_b32 v1, v21 offset:4104
	s_waitcnt lgkmcnt(0)
	s_barrier
	buffer_gl0_inv
	v_readfirstlane_b32 s16, v1
	s_and_saveexec_b32 s7, s1
	s_cbranch_execz .LBB83_207
; %bb.206:                              ;   in Loop: Header=BB83_21 Depth=1
	ds_store_b8 v0, v21 offset:3072
.LBB83_207:                             ;   in Loop: Header=BB83_21 Depth=1
	s_or_b32 exec_lo, exec_lo, s7
	s_or_b32 s69, s69, s10
	s_or_b32 s70, s70, s10
	s_cmp_eq_u32 s16, 0
	s_waitcnt lgkmcnt(0)
	s_barrier
	buffer_gl0_inv
	s_cbranch_scc1 .LBB83_217
; %bb.208:                              ;   in Loop: Header=BB83_21 Depth=1
	s_add_i32 s7, s16, s49
	s_mov_b32 s25, 0
	s_mul_hi_u32 s17, s7, s58
                                        ; implicit-def: $vgpr22
	s_delay_alu instid0(SALU_CYCLE_1) | instskip(NEXT) | instid1(SALU_CYCLE_1)
	s_mul_i32 s17, s17, s31
	s_sub_i32 s17, s7, s17
	s_delay_alu instid0(SALU_CYCLE_1) | instskip(SKIP_2) | instid1(SALU_CYCLE_1)
	s_sub_i32 s24, s17, s31
	s_cmp_ge_u32 s17, s31
	s_cselect_b32 s17, s24, s17
	s_sub_i32 s24, s17, s31
	s_cmp_ge_u32 s17, s31
	s_cselect_b32 s17, s24, s17
	s_delay_alu instid0(SALU_CYCLE_1)
	s_sub_i32 s24, s7, s17
	s_mov_b32 s17, exec_lo
	v_cmpx_gt_u32_e64 s24, v0
	s_cbranch_execz .LBB83_219
; %bb.209:                              ;   in Loop: Header=BB83_21 Depth=1
	v_mov_b32_e32 v1, v0
                                        ; implicit-def: $sgpr26
	s_set_inst_prefetch_distance 0x1
	s_branch .LBB83_211
	.p2align	6
.LBB83_210:                             ;   in Loop: Header=BB83_211 Depth=2
	s_or_b32 exec_lo, exec_lo, s7
	s_waitcnt lgkmcnt(0)
	s_barrier
	buffer_gl0_inv
	ds_load_u16 v2, v21 offset:3072
	v_add_nc_u32_e32 v1, s31, v1
	s_waitcnt lgkmcnt(0)
	s_barrier
	buffer_gl0_inv
	v_cmp_le_u32_e32 vcc_lo, s24, v1
	v_and_b32_e32 v3, 0xff, v2
	s_delay_alu instid0(VALU_DEP_1) | instskip(NEXT) | instid1(VALU_DEP_1)
	v_cmp_ne_u16_e64 s7, 0, v3
	s_or_b32 s71, vcc_lo, s7
	s_delay_alu instid0(SALU_CYCLE_1) | instskip(NEXT) | instid1(SALU_CYCLE_1)
	s_and_b32 s71, exec_lo, s71
	s_or_b32 s25, s71, s25
	s_and_not1_b32 s26, s26, exec_lo
	s_and_b32 s7, s7, exec_lo
	s_delay_alu instid0(SALU_CYCLE_1)
	s_or_b32 s26, s26, s7
	s_and_not1_b32 exec_lo, exec_lo, s25
	s_cbranch_execz .LBB83_218
.LBB83_211:                             ;   Parent Loop BB83_21 Depth=1
                                        ; =>  This Inner Loop Header: Depth=2
	s_delay_alu instid0(VALU_DEP_1)
	v_cmp_gt_u32_e32 vcc_lo, s16, v1
	v_mov_b32_e32 v2, 0
	s_and_saveexec_b32 s7, vcc_lo
	s_cbranch_execz .LBB83_213
; %bb.212:                              ;   in Loop: Header=BB83_211 Depth=2
	ds_load_u8 v2, v1
.LBB83_213:                             ;   in Loop: Header=BB83_211 Depth=2
	s_or_b32 exec_lo, exec_lo, s7
	s_and_saveexec_b32 s7, vcc_lo
	s_cbranch_execz .LBB83_210
; %bb.214:                              ;   in Loop: Header=BB83_211 Depth=2
	s_waitcnt lgkmcnt(0)
	v_bfe_i32 v3, v2, 0, 8
	s_delay_alu instid0(VALU_DEP_1) | instskip(NEXT) | instid1(VALU_DEP_1)
	v_add_nc_u32_e32 v3, 0x80, v3
	v_and_b32_e32 v3, s70, v3
	s_delay_alu instid0(VALU_DEP_1)
	v_cmp_eq_u32_e32 vcc_lo, s69, v3
	s_and_b32 exec_lo, exec_lo, vcc_lo
	s_cbranch_execz .LBB83_210
; %bb.215:                              ;   in Loop: Header=BB83_211 Depth=2
	v_lshlrev_b16 v2, 8, v2
	s_delay_alu instid0(VALU_DEP_1)
	v_or_b32_e32 v2, 1, v2
	ds_store_b16 v21, v2 offset:3072
	s_branch .LBB83_210
.LBB83_216:                             ;   in Loop: Header=BB83_21 Depth=1
                                        ; implicit-def: $sgpr16
                                        ; implicit-def: $sgpr24
                                        ; implicit-def: $sgpr17
	s_branch .LBB83_230
.LBB83_217:                             ;   in Loop: Header=BB83_21 Depth=1
	s_mov_b32 s16, -1
	s_mov_b32 s25, 0
                                        ; implicit-def: $sgpr17
                                        ; implicit-def: $vgpr22
	s_mov_b32 s24, s16
	s_cbranch_execnz .LBB83_220
	s_branch .LBB83_230
.LBB83_218:                             ;   in Loop: Header=BB83_21 Depth=1
	s_set_inst_prefetch_distance 0x2
	s_or_b32 exec_lo, exec_lo, s25
	v_lshrrev_b16 v22, 8, v2
	s_and_b32 s25, s26, exec_lo
.LBB83_219:                             ;   in Loop: Header=BB83_21 Depth=1
	s_or_b32 exec_lo, exec_lo, s17
	s_mov_b32 s17, -1
	s_mov_b32 s16, 0
	s_delay_alu instid0(SALU_CYCLE_1)
	s_mov_b32 s24, s16
	s_branch .LBB83_230
.LBB83_220:                             ;   in Loop: Header=BB83_21 Depth=1
	s_mov_b32 s25, 0
                                        ; implicit-def: $vgpr22
	s_and_saveexec_b32 s16, s6
	s_cbranch_execz .LBB83_229
; %bb.221:                              ;   in Loop: Header=BB83_21 Depth=1
	v_dual_mov_b32 v1, v10 :: v_dual_mov_b32 v2, v0
	s_mov_b32 s17, 0
                                        ; implicit-def: $sgpr24
	s_set_inst_prefetch_distance 0x1
	s_branch .LBB83_223
	.p2align	6
.LBB83_222:                             ;   in Loop: Header=BB83_223 Depth=2
	s_or_b32 exec_lo, exec_lo, s7
	s_waitcnt vmcnt(0) lgkmcnt(0)
	s_barrier
	buffer_gl0_inv
	ds_load_u16 v3, v21 offset:3072
	v_add_nc_u32_e32 v2, s31, v2
	v_add_nc_u32_e32 v1, s48, v1
	s_waitcnt lgkmcnt(0)
	s_barrier
	buffer_gl0_inv
	v_cmp_le_u32_e32 vcc_lo, s60, v2
	v_and_b32_e32 v4, 0xff, v3
	s_delay_alu instid0(VALU_DEP_1) | instskip(NEXT) | instid1(VALU_DEP_1)
	v_cmp_ne_u16_e64 s7, 0, v4
	s_or_b32 s25, vcc_lo, s7
	s_delay_alu instid0(SALU_CYCLE_1) | instskip(NEXT) | instid1(SALU_CYCLE_1)
	s_and_b32 s25, exec_lo, s25
	s_or_b32 s17, s25, s17
	s_and_not1_b32 s24, s24, exec_lo
	s_and_b32 s7, s7, exec_lo
	s_delay_alu instid0(SALU_CYCLE_1)
	s_or_b32 s24, s24, s7
	s_and_not1_b32 exec_lo, exec_lo, s17
	s_cbranch_execz .LBB83_228
.LBB83_223:                             ;   Parent Loop BB83_21 Depth=1
                                        ; =>  This Inner Loop Header: Depth=2
	s_delay_alu instid0(VALU_DEP_1)
	v_cmp_gt_u32_e32 vcc_lo, s28, v2
	v_mov_b32_e32 v3, 0
	s_and_saveexec_b32 s7, vcc_lo
	s_cbranch_execz .LBB83_225
; %bb.224:                              ;   in Loop: Header=BB83_223 Depth=2
	global_load_u8 v3, v1, s[38:39]
.LBB83_225:                             ;   in Loop: Header=BB83_223 Depth=2
	s_or_b32 exec_lo, exec_lo, s7
	s_and_saveexec_b32 s7, vcc_lo
	s_cbranch_execz .LBB83_222
; %bb.226:                              ;   in Loop: Header=BB83_223 Depth=2
	s_waitcnt vmcnt(0)
	v_bfe_i32 v4, v3, 0, 8
	s_delay_alu instid0(VALU_DEP_1) | instskip(NEXT) | instid1(VALU_DEP_1)
	v_add_nc_u32_e32 v4, 0x80, v4
	v_and_b32_e32 v4, s70, v4
	s_delay_alu instid0(VALU_DEP_1)
	v_cmp_eq_u32_e32 vcc_lo, s69, v4
	s_and_b32 exec_lo, exec_lo, vcc_lo
	s_cbranch_execz .LBB83_222
; %bb.227:                              ;   in Loop: Header=BB83_223 Depth=2
	v_lshlrev_b16 v3, 8, v3
	s_delay_alu instid0(VALU_DEP_1)
	v_or_b32_e32 v3, 1, v3
	ds_store_b16 v21, v3 offset:3072
	s_branch .LBB83_222
.LBB83_228:                             ;   in Loop: Header=BB83_21 Depth=1
	s_set_inst_prefetch_distance 0x2
	s_or_b32 exec_lo, exec_lo, s17
	v_lshrrev_b16 v22, 8, v3
	s_and_b32 s25, s24, exec_lo
.LBB83_229:                             ;   in Loop: Header=BB83_21 Depth=1
	s_or_b32 exec_lo, exec_lo, s16
	s_mov_b32 s24, -1
	s_mov_b32 s16, 0
	s_mov_b32 s17, 0
.LBB83_230:                             ;   in Loop: Header=BB83_21 Depth=1
	s_mov_b32 s71, 0
                                        ; implicit-def: $sgpr7
	s_and_saveexec_b32 s26, s25
	s_cbranch_execz .LBB83_244
; %bb.231:                              ;   in Loop: Header=BB83_21 Depth=1
	s_xor_b32 s7, s15, -1
	s_delay_alu instid0(SALU_CYCLE_1)
	s_and_not1_b32 vcc_lo, exec_lo, s7
	s_mov_b32 s7, 1
	s_cbranch_vccnz .LBB83_238
; %bb.232:                              ;   in Loop: Header=BB83_21 Depth=1
	s_cmp_gt_u32 s23, s8
	s_cbranch_scc1 .LBB83_239
; %bb.233:                              ;   in Loop: Header=BB83_21 Depth=1
	ds_load_b32 v1, v21 offset:4104
	s_waitcnt lgkmcnt(0)
	v_cmp_ne_u32_e32 vcc_lo, 0, v1
	s_cbranch_vccnz .LBB83_237
; %bb.234:                              ;   in Loop: Header=BB83_21 Depth=1
	s_and_saveexec_b32 s7, s2
	s_cbranch_execz .LBB83_236
; %bb.235:                              ;   in Loop: Header=BB83_21 Depth=1
	v_mov_b32_e32 v1, s8
	ds_store_b32 v21, v1 offset:4108
.LBB83_236:                             ;   in Loop: Header=BB83_21 Depth=1
	s_or_b32 exec_lo, exec_lo, s7
	s_waitcnt lgkmcnt(0)
	s_barrier
	buffer_gl0_inv
.LBB83_237:                             ;   in Loop: Header=BB83_21 Depth=1
	s_or_b32 s15, s69, s10
	s_or_b32 s10, s70, s10
	s_mov_b32 s25, 0
	s_mov_b32 s7, 8
	s_branch .LBB83_240
.LBB83_238:                             ;   in Loop: Header=BB83_21 Depth=1
	s_mov_b32 s23, 1
	s_branch .LBB83_243
.LBB83_239:                             ;   in Loop: Header=BB83_21 Depth=1
	s_mov_b32 s25, -1
                                        ; implicit-def: $sgpr7
                                        ; implicit-def: $sgpr15
                                        ; implicit-def: $sgpr10
.LBB83_240:                             ;   in Loop: Header=BB83_21 Depth=1
	s_delay_alu instid0(SALU_CYCLE_1)
	s_and_not1_b32 vcc_lo, exec_lo, s25
	s_cbranch_vccnz .LBB83_242
; %bb.241:                              ;   in Loop: Header=BB83_21 Depth=1
	s_sub_i32 s23, s23, s8
	s_mov_b32 s7, 8
	s_mov_b32 s15, s69
	;; [unrolled: 1-line block ×3, first 2 shown]
.LBB83_242:                             ;   in Loop: Header=BB83_21 Depth=1
	s_mov_b32 s69, s15
	s_mov_b32 s70, s10
.LBB83_243:                             ;   in Loop: Header=BB83_21 Depth=1
	s_mov_b32 s71, exec_lo
.LBB83_244:                             ;   in Loop: Header=BB83_21 Depth=1
	s_or_b32 exec_lo, exec_lo, s26
.LBB83_245:                             ;   in Loop: Header=BB83_21 Depth=1
	s_delay_alu instid0(SALU_CYCLE_1)
	s_and_not1_b32 s8, s19, exec_lo
	s_and_b32 s10, s16, exec_lo
	s_and_not1_b32 s15, s20, exec_lo
	s_or_b32 s19, s8, s10
	s_and_not1_b32 s8, s21, exec_lo
	s_and_b32 s10, s24, exec_lo
	s_and_b32 s16, s17, exec_lo
	s_or_b32 s21, s8, s10
	s_or_b32 s20, s15, s16
	s_and_b32 s26, s71, exec_lo
	s_mov_b32 s24, s23
.LBB83_246:                             ;   in Loop: Header=BB83_21 Depth=1
	s_or_b32 exec_lo, exec_lo, s22
.LBB83_247:                             ;   in Loop: Header=BB83_21 Depth=1
	s_delay_alu instid0(SALU_CYCLE_1)
	s_and_not1_b32 s8, s13, exec_lo
	s_and_b32 s10, s19, exec_lo
	s_and_not1_b32 s12, s12, exec_lo
	s_or_b32 s13, s8, s10
	s_and_not1_b32 s8, s14, exec_lo
	s_and_b32 s10, s21, exec_lo
	s_and_b32 s15, s20, exec_lo
	s_or_b32 s14, s8, s10
	s_or_b32 s12, s12, s15
	s_and_b32 s23, s26, exec_lo
	s_mov_b32 s20, s24
.LBB83_248:                             ;   in Loop: Header=BB83_21 Depth=1
	s_or_b32 exec_lo, exec_lo, s18
                                        ; implicit-def: $sgpr71
	s_and_saveexec_b32 s8, s23
	s_delay_alu instid0(SALU_CYCLE_1)
	s_xor_b32 s8, exec_lo, s8
	s_cbranch_execz .LBB83_19
.LBB83_249:                             ;   in Loop: Header=BB83_21 Depth=1
	s_and_b32 s7, s7, -9
	s_delay_alu instid0(SALU_CYCLE_1)
	s_cmp_eq_u32 s7, 0
	s_cbranch_scc1 .LBB83_17
; %bb.250:                              ;   in Loop: Header=BB83_21 Depth=1
	s_mov_b32 s7, -1
	s_mov_b32 s10, -1
                                        ; implicit-def: $sgpr70
                                        ; implicit-def: $sgpr20
                                        ; implicit-def: $sgpr57
                                        ; implicit-def: $sgpr67
	s_branch .LBB83_18
.LBB83_251:
	s_or_b32 exec_lo, exec_lo, s45
	s_xor_b32 s4, s64, -1
	s_xor_b32 s1, s62, -1
	;; [unrolled: 1-line block ×3, first 2 shown]
	s_mov_b32 s2, 0
	s_and_saveexec_b32 s5, s1
	s_delay_alu instid0(SALU_CYCLE_1)
	s_xor_b32 s1, exec_lo, s5
	s_cbranch_execz .LBB83_265
; %bb.252:
	s_and_saveexec_b32 s2, s4
	s_delay_alu instid0(SALU_CYCLE_1)
	s_xor_b32 s2, exec_lo, s2
	s_cbranch_execz .LBB83_263
; %bb.253:
	s_and_saveexec_b32 s4, s3
	s_delay_alu instid0(SALU_CYCLE_1)
	s_xor_b32 s3, exec_lo, s4
; %bb.254:
	v_xor_b32_e32 v22, 0xffffff80, v1
; %bb.255:
	s_or_b32 exec_lo, exec_lo, s3
	s_mul_i32 s3, s34, s29
	s_delay_alu instid0(SALU_CYCLE_1) | instskip(NEXT) | instid1(SALU_CYCLE_1)
	s_add_i32 s3, s3, s27
	v_mov_b32_e32 v1, s3
	global_store_b8 v1, v22, s[40:41]
	s_and_saveexec_b32 s3, s0
	s_cbranch_execz .LBB83_262
; %bb.256:
	v_and_b32_e32 v2, 0xff, v22
	s_mov_b32 s0, 0
                                        ; implicit-def: $sgpr4
                                        ; implicit-def: $sgpr6
                                        ; implicit-def: $sgpr5
	s_set_inst_prefetch_distance 0x1
	s_branch .LBB83_258
	.p2align	6
.LBB83_257:                             ;   in Loop: Header=BB83_258 Depth=1
	s_or_b32 exec_lo, exec_lo, s7
	s_delay_alu instid0(SALU_CYCLE_1) | instskip(NEXT) | instid1(SALU_CYCLE_1)
	s_and_b32 s7, exec_lo, s6
	s_or_b32 s0, s7, s0
	s_and_not1_b32 s4, s4, exec_lo
	s_and_b32 s7, s5, exec_lo
	s_delay_alu instid0(SALU_CYCLE_1)
	s_or_b32 s4, s4, s7
	s_and_not1_b32 exec_lo, exec_lo, s0
	s_cbranch_execz .LBB83_260
.LBB83_258:                             ; =>This Inner Loop Header: Depth=1
	global_load_u8 v3, v10, s[38:39]
	v_mov_b32_e32 v1, v0
	s_or_b32 s5, s5, exec_lo
	s_or_b32 s6, s6, exec_lo
	s_mov_b32 s7, exec_lo
                                        ; implicit-def: $vgpr0
	s_waitcnt vmcnt(0)
	v_cmpx_ne_u16_e64 v3, v2
	s_cbranch_execz .LBB83_257
; %bb.259:                              ;   in Loop: Header=BB83_258 Depth=1
	v_add_nc_u32_e32 v0, s31, v1
	s_and_not1_b32 s6, s6, exec_lo
	v_add_nc_u32_e32 v10, s48, v10
	s_and_not1_b32 s5, s5, exec_lo
	s_delay_alu instid0(VALU_DEP_2) | instskip(SKIP_1) | instid1(SALU_CYCLE_1)
	v_cmp_le_u32_e32 vcc_lo, s28, v0
	s_and_b32 s8, vcc_lo, exec_lo
	s_or_b32 s6, s6, s8
	s_branch .LBB83_257
.LBB83_260:
	s_set_inst_prefetch_distance 0x2
	s_or_b32 exec_lo, exec_lo, s0
	s_and_saveexec_b32 s0, s4
	s_delay_alu instid0(SALU_CYCLE_1)
	s_xor_b32 s0, exec_lo, s0
	s_cbranch_execz .LBB83_262
; %bb.261:
	s_mul_i32 s0, s44, s33
	s_mov_b32 s5, 0
	s_add_i32 s4, s0, s35
	v_mov_b32_e32 v2, 0
	s_lshl_b64 s[4:5], s[4:5], 3
	s_delay_alu instid0(SALU_CYCLE_1)
	s_add_u32 s4, s36, s4
	s_addc_u32 s5, s37, s5
	global_store_b64 v2, v[1:2], s[4:5]
.LBB83_262:
	s_or_b32 exec_lo, exec_lo, s3
.LBB83_263:
	s_or_saveexec_b32 s0, s2
	s_mov_b32 s2, 0
	s_xor_b32 exec_lo, exec_lo, s0
	s_cbranch_execnz .LBB83_271
.LBB83_264:
	s_or_b32 exec_lo, exec_lo, s0
	s_delay_alu instid0(SALU_CYCLE_1)
	s_and_b32 s2, s2, exec_lo
.LBB83_265:
	s_and_not1_saveexec_b32 s0, s1
	s_cbranch_execnz .LBB83_269
; %bb.266:
	s_or_b32 exec_lo, exec_lo, s0
	s_and_saveexec_b32 s0, s2
.LBB83_267:
	; divergent unreachable
.LBB83_268:
	s_nop 0
	s_sendmsg sendmsg(MSG_DEALLOC_VGPRS)
	s_endpgm
.LBB83_269:
	s_cbranch_execnz .LBB83_273
; %bb.270:
	s_or_b32 s2, s2, exec_lo
	s_or_b32 exec_lo, exec_lo, s0
	s_and_saveexec_b32 s0, s2
	s_cbranch_execnz .LBB83_267
	s_branch .LBB83_268
.LBB83_271:
	s_cbranch_execnz .LBB83_275
; %bb.272:
	s_mov_b32 s2, exec_lo
	s_branch .LBB83_264
.LBB83_273:
	s_trap 2
	s_sendmsg_rtn_b32 s0, sendmsg(MSG_RTN_GET_DOORBELL)
	s_mov_b32 ttmp2, m0
	s_waitcnt lgkmcnt(0)
	s_and_b32 s0, s0, 0x3ff
	s_delay_alu instid0(SALU_CYCLE_1) | instskip(NEXT) | instid1(SALU_CYCLE_1)
	s_bitset1_b32 s0, 10
	s_mov_b32 m0, s0
	s_sendmsg sendmsg(MSG_INTERRUPT)
	s_mov_b32 m0, ttmp2
.LBB83_274:                             ; =>This Inner Loop Header: Depth=1
	s_sethalt 5
	s_branch .LBB83_274
.LBB83_275:
	s_trap 2
	s_sendmsg_rtn_b32 s0, sendmsg(MSG_RTN_GET_DOORBELL)
	s_mov_b32 ttmp2, m0
	s_waitcnt lgkmcnt(0)
	s_and_b32 s0, s0, 0x3ff
	s_delay_alu instid0(SALU_CYCLE_1) | instskip(NEXT) | instid1(SALU_CYCLE_1)
	s_bitset1_b32 s0, 10
	s_mov_b32 m0, s0
	s_sendmsg sendmsg(MSG_INTERRUPT)
	s_mov_b32 m0, ttmp2
.LBB83_276:                             ; =>This Inner Loop Header: Depth=1
	s_sethalt 5
	s_branch .LBB83_276
	.section	.rodata,"a",@progbits
	.p2align	6, 0x0
	.amdhsa_kernel _ZN2at6native12_GLOBAL__N_112gatherMedianIajLin1EEEvNS_4cuda6detail10TensorInfoIT_T0_EENS5_IlS7_EENS5_IKS6_S7_EES7_S7_S7_b
		.amdhsa_group_segment_fixed_size 4120
		.amdhsa_private_segment_fixed_size 0
		.amdhsa_kernarg_size 920
		.amdhsa_user_sgpr_count 13
		.amdhsa_user_sgpr_dispatch_ptr 0
		.amdhsa_user_sgpr_queue_ptr 0
		.amdhsa_user_sgpr_kernarg_segment_ptr 1
		.amdhsa_user_sgpr_dispatch_id 0
		.amdhsa_user_sgpr_private_segment_size 0
		.amdhsa_wavefront_size32 1
		.amdhsa_uses_dynamic_stack 0
		.amdhsa_enable_private_segment 0
		.amdhsa_system_sgpr_workgroup_id_x 1
		.amdhsa_system_sgpr_workgroup_id_y 1
		.amdhsa_system_sgpr_workgroup_id_z 1
		.amdhsa_system_sgpr_workgroup_info 0
		.amdhsa_system_vgpr_workitem_id 0
		.amdhsa_next_free_vgpr 36
		.amdhsa_next_free_sgpr 81
		.amdhsa_reserve_vcc 1
		.amdhsa_float_round_mode_32 0
		.amdhsa_float_round_mode_16_64 0
		.amdhsa_float_denorm_mode_32 3
		.amdhsa_float_denorm_mode_16_64 3
		.amdhsa_dx10_clamp 1
		.amdhsa_ieee_mode 1
		.amdhsa_fp16_overflow 0
		.amdhsa_workgroup_processor_mode 1
		.amdhsa_memory_ordered 1
		.amdhsa_forward_progress 0
		.amdhsa_shared_vgpr_count 0
		.amdhsa_exception_fp_ieee_invalid_op 0
		.amdhsa_exception_fp_denorm_src 0
		.amdhsa_exception_fp_ieee_div_zero 0
		.amdhsa_exception_fp_ieee_overflow 0
		.amdhsa_exception_fp_ieee_underflow 0
		.amdhsa_exception_fp_ieee_inexact 0
		.amdhsa_exception_int_div_zero 0
	.end_amdhsa_kernel
	.section	.text._ZN2at6native12_GLOBAL__N_112gatherMedianIajLin1EEEvNS_4cuda6detail10TensorInfoIT_T0_EENS5_IlS7_EENS5_IKS6_S7_EES7_S7_S7_b,"axG",@progbits,_ZN2at6native12_GLOBAL__N_112gatherMedianIajLin1EEEvNS_4cuda6detail10TensorInfoIT_T0_EENS5_IlS7_EENS5_IKS6_S7_EES7_S7_S7_b,comdat
.Lfunc_end83:
	.size	_ZN2at6native12_GLOBAL__N_112gatherMedianIajLin1EEEvNS_4cuda6detail10TensorInfoIT_T0_EENS5_IlS7_EENS5_IKS6_S7_EES7_S7_S7_b, .Lfunc_end83-_ZN2at6native12_GLOBAL__N_112gatherMedianIajLin1EEEvNS_4cuda6detail10TensorInfoIT_T0_EENS5_IlS7_EENS5_IKS6_S7_EES7_S7_S7_b
                                        ; -- End function
	.section	.AMDGPU.csdata,"",@progbits
; Kernel info:
; codeLenInByte = 10124
; NumSgprs: 83
; NumVgprs: 36
; ScratchSize: 0
; MemoryBound: 0
; FloatMode: 240
; IeeeMode: 1
; LDSByteSize: 4120 bytes/workgroup (compile time only)
; SGPRBlocks: 10
; VGPRBlocks: 4
; NumSGPRsForWavesPerEU: 83
; NumVGPRsForWavesPerEU: 36
; Occupancy: 16
; WaveLimiterHint : 1
; COMPUTE_PGM_RSRC2:SCRATCH_EN: 0
; COMPUTE_PGM_RSRC2:USER_SGPR: 13
; COMPUTE_PGM_RSRC2:TRAP_HANDLER: 0
; COMPUTE_PGM_RSRC2:TGID_X_EN: 1
; COMPUTE_PGM_RSRC2:TGID_Y_EN: 1
; COMPUTE_PGM_RSRC2:TGID_Z_EN: 1
; COMPUTE_PGM_RSRC2:TIDIG_COMP_CNT: 0
	.section	.text._ZN2at6native12_GLOBAL__N_112gatherMedianIamLi1EEEvNS_4cuda6detail10TensorInfoIT_T0_EENS5_IlS7_EENS5_IKS6_S7_EES7_S7_S7_b,"axG",@progbits,_ZN2at6native12_GLOBAL__N_112gatherMedianIamLi1EEEvNS_4cuda6detail10TensorInfoIT_T0_EENS5_IlS7_EENS5_IKS6_S7_EES7_S7_S7_b,comdat
	.globl	_ZN2at6native12_GLOBAL__N_112gatherMedianIamLi1EEEvNS_4cuda6detail10TensorInfoIT_T0_EENS5_IlS7_EENS5_IKS6_S7_EES7_S7_S7_b ; -- Begin function _ZN2at6native12_GLOBAL__N_112gatherMedianIamLi1EEEvNS_4cuda6detail10TensorInfoIT_T0_EENS5_IlS7_EENS5_IKS6_S7_EES7_S7_S7_b
	.p2align	8
	.type	_ZN2at6native12_GLOBAL__N_112gatherMedianIamLi1EEEvNS_4cuda6detail10TensorInfoIT_T0_EENS5_IlS7_EENS5_IKS6_S7_EES7_S7_S7_b,@function
_ZN2at6native12_GLOBAL__N_112gatherMedianIamLi1EEEvNS_4cuda6detail10TensorInfoIT_T0_EENS5_IlS7_EENS5_IKS6_S7_EES7_S7_S7_b: ; @_ZN2at6native12_GLOBAL__N_112gatherMedianIamLi1EEEvNS_4cuda6detail10TensorInfoIT_T0_EENS5_IlS7_EENS5_IKS6_S7_EES7_S7_S7_b
; %bb.0:
	s_clause 0x1
	s_load_b64 s[6:7], s[0:1], 0x500
	s_load_b128 s[24:27], s[0:1], 0x4e0
	s_add_u32 s4, s0, 0x500
	s_addc_u32 s5, s1, 0
	s_mov_b32 s29, 0
	s_waitcnt lgkmcnt(0)
	s_mul_i32 s2, s7, s15
	s_delay_alu instid0(SALU_CYCLE_1) | instskip(NEXT) | instid1(SALU_CYCLE_1)
	s_add_i32 s2, s2, s14
	s_mul_i32 s2, s2, s6
	s_delay_alu instid0(SALU_CYCLE_1) | instskip(NEXT) | instid1(SALU_CYCLE_1)
	s_add_i32 s28, s2, s13
	v_cmp_ge_u64_e64 s2, s[28:29], s[26:27]
	s_delay_alu instid0(VALU_DEP_1)
	s_and_b32 vcc_lo, exec_lo, s2
	s_cbranch_vccnz .LBB84_294
; %bb.1:
	s_load_b64 s[34:35], s[0:1], 0x4f0
	v_cmp_eq_u32_e64 s2, 0, v0
	s_delay_alu instid0(VALU_DEP_1)
	s_and_saveexec_b32 s3, s2
	s_cbranch_execz .LBB84_3
; %bb.2:
	v_mov_b32_e32 v1, 0
	s_delay_alu instid0(VALU_DEP_1)
	v_mov_b32_e32 v2, v1
	ds_store_b64 v1, v[1:2] offset:5136
.LBB84_3:
	s_or_b32 exec_lo, exec_lo, s3
	v_mov_b32_e32 v1, 0
	s_waitcnt lgkmcnt(0)
	s_barrier
	buffer_gl0_inv
	s_barrier
	buffer_gl0_inv
	ds_load_b64 v[1:2], v1 offset:5136
	s_clause 0x2
	s_load_b32 s3, s[0:1], 0x4f8
	s_load_b64 s[10:11], s[0:1], 0x410
	s_load_b64 s[8:9], s[0:1], 0x340
	s_mov_b64 s[40:41], s[24:25]
	s_waitcnt lgkmcnt(0)
	v_readfirstlane_b32 s14, v1
	v_readfirstlane_b32 s15, v2
	s_bitcmp1_b32 s3, 0
	s_cselect_b32 s3, -1, 0
	s_delay_alu instid0(VALU_DEP_1) | instskip(NEXT) | instid1(VALU_DEP_1)
	v_cmp_lt_i64_e64 s7, s[14:15], 1
	s_or_b32 s3, s3, s7
	s_delay_alu instid0(SALU_CYCLE_1)
	s_and_not1_b32 vcc_lo, exec_lo, s3
	s_cbranch_vccnz .LBB84_5
; %bb.4:
	s_not_b64 s[14:15], s[14:15]
	s_delay_alu instid0(SALU_CYCLE_1) | instskip(SKIP_1) | instid1(SALU_CYCLE_1)
	s_add_u32 s14, s14, s24
	s_addc_u32 s15, s15, s25
	s_lshr_b64 s[14:15], s[14:15], 1
	s_delay_alu instid0(SALU_CYCLE_1)
	s_add_u32 s40, s14, 1
	s_addc_u32 s41, s15, 0
.LBB84_5:
	s_clause 0x3
	s_load_b64 s[30:31], s[0:1], 0x270
	s_load_b64 s[26:27], s[0:1], 0x1a0
	;; [unrolled: 1-line block ×4, first 2 shown]
	s_and_saveexec_b32 s0, s2
	s_cbranch_execz .LBB84_7
; %bb.6:
	v_dual_mov_b32 v1, 0 :: v_dual_mov_b32 v4, s25
	s_delay_alu instid0(VALU_DEP_1)
	v_dual_mov_b32 v3, s24 :: v_dual_mov_b32 v2, v1
	ds_store_b32 v1, v1 offset:5144
	ds_store_b128 v1, v[1:4] offset:5120
.LBB84_7:
	s_or_b32 exec_lo, exec_lo, s0
	v_mad_u64_u32 v[2:3], null, v0, s34, 0
	v_dual_mov_b32 v13, 0 :: v_dual_lshlrev_b32 v14, 2, v0
	s_waitcnt lgkmcnt(0)
	s_barrier
	buffer_gl0_inv
	s_load_b32 s7, s[4:5], 0xc
	v_mad_u64_u32 v[4:5], null, v0, s35, v[3:4]
	v_or_b32_e32 v9, 3, v14
	v_or_b32_e32 v12, 2, v14
	v_mbcnt_lo_u32_b32 v27, -1, 0
	v_mad_u64_u32 v[20:21], null, s34, v14, s[34:35]
	s_delay_alu instid0(VALU_DEP_4) | instskip(NEXT) | instid1(VALU_DEP_4)
	v_mad_u64_u32 v[16:17], null, s34, v9, 0
	v_mad_u64_u32 v[18:19], null, s34, v12, 0
	v_mov_b32_e32 v3, v4
	v_lshlrev_b64 v[4:5], v27, -1
	s_mul_i32 s0, s11, s28
	s_mul_hi_u32 s1, s10, s28
	s_mul_i32 s3, s10, s28
	v_lshrrev_b32_e32 v6, 3, v0
	s_delay_alu instid0(VALU_DEP_4)
	v_mov_b32_e32 v5, v19
	v_not_b32_e32 v29, v4
	v_mov_b32_e32 v4, v17
	s_add_i32 s1, s1, s0
	s_add_u32 s42, s8, s3
	v_cmp_gt_u32_e32 vcc_lo, 32, v0
	v_cmp_gt_i32_e64 s3, 4, v27
	v_dual_mov_b32 v1, v13 :: v_dual_and_b32 v28, 0x7c, v6
	v_mov_b32_e32 v6, v21
	v_mad_u64_u32 v[7:8], null, s35, v9, v[4:5]
	s_addc_u32 s43, s9, s1
	s_waitcnt lgkmcnt(0)
	s_and_b32 s29, s7, 0xffff
	s_and_b32 s65, vcc_lo, s3
	s_bfe_u32 s8, s7, 0xb0005
	s_add_u32 s68, s29, -1
	s_addc_u32 s69, 0, -1
	s_add_u32 s70, s68, s24
	s_addc_u32 s47, s69, s25
	s_cmp_lt_u32 s13, s6
	v_mad_u64_u32 v[8:9], null, s35, v12, v[5:6]
	v_mad_u64_u32 v[4:5], null, s35, v14, v[6:7]
	s_cselect_b32 s6, 12, 18
	v_add_co_u32 v10, vcc_lo, s42, v2
	s_add_u32 s48, s4, s6
	s_addc_u32 s49, s5, 0
	s_add_i32 s4, s8, -1
	s_bfe_u32 s71, s29, 0x30005
	s_cmp_gt_u32 s4, 6
	v_cmp_gt_u64_e64 s0, s[24:25], v[0:1]
	v_cmp_lt_u64_e64 s66, 0xc00, s[24:25]
	v_lshlrev_b64 v[21:22], 2, v[2:3]
	v_cmp_eq_u32_e64 s1, 0, v27
	v_cmp_gt_u32_e64 s3, 2, v0
	v_add_co_ci_u32_e32 v11, vcc_lo, s43, v3, vcc_lo
	v_dual_mov_b32 v15, v13 :: v_dual_mov_b32 v30, v4
	v_cmp_gt_u16_e64 s67, s7, 31
	s_cselect_b32 s72, -1, 0
	s_and_b32 s73, s8, 0x7f8
	v_dual_mov_b32 v17, v7 :: v_dual_mov_b32 v32, 0
	v_mov_b32_e32 v19, v8
	v_lshl_or_b32 v31, v27, 3, 0xc00
	s_cmp_lg_u32 s71, 0
	s_mul_i32 s4, s35, s29
	s_mul_hi_u32 s5, s34, s29
	s_mov_b32 s45, 0
	s_mov_b32 s75, 6
	s_cselect_b32 s74, -1, 0
	s_lshl_b64 s[50:51], s[34:35], 2
	s_add_i32 s33, s5, s4
	s_mul_i32 s64, s34, s29
	s_mov_b32 s76, 0
	s_mov_b32 s82, 0
	;; [unrolled: 1-line block ×4, first 2 shown]
                                        ; implicit-def: $sgpr77
                                        ; implicit-def: $sgpr79
                                        ; implicit-def: $sgpr78
                                        ; implicit-def: $sgpr81
                                        ; implicit-def: $sgpr83
                                        ; implicit-def: $sgpr80
	s_branch .LBB84_12
.LBB84_8:                               ;   in Loop: Header=BB84_12 Depth=1
	s_xor_b32 s82, s82, 1
	s_add_i32 s7, s75, -2
	s_cmp_eq_u32 s75, 0
	s_mov_b32 s5, 0
	s_cselect_b32 s6, -1, 0
	s_mov_b32 s75, s7
.LBB84_9:                               ;   in Loop: Header=BB84_12 Depth=1
	s_and_not1_b32 s7, s13, exec_lo
	s_and_b32 s5, s5, exec_lo
	s_and_not1_b32 s19, s19, exec_lo
	s_or_b32 s13, s7, s5
	s_and_not1_b32 s12, s12, exec_lo
	s_or_not1_b32 s15, s6, exec_lo
.LBB84_10:                              ;   in Loop: Header=BB84_12 Depth=1
	s_or_b32 exec_lo, exec_lo, s4
	s_delay_alu instid0(SALU_CYCLE_1)
	s_and_not1_b32 s4, s80, exec_lo
	s_and_b32 s5, s13, exec_lo
	s_and_not1_b32 s6, s81, exec_lo
	s_or_b32 s80, s4, s5
	s_and_not1_b32 s4, s83, exec_lo
	s_and_b32 s5, s19, exec_lo
	s_and_b32 s7, s12, exec_lo
	s_or_b32 s83, s4, s5
	s_or_b32 s81, s6, s7
	s_or_not1_b32 s19, s15, exec_lo
.LBB84_11:                              ;   in Loop: Header=BB84_12 Depth=1
	s_or_b32 exec_lo, exec_lo, s14
	s_delay_alu instid0(SALU_CYCLE_1)
	s_and_b32 s4, exec_lo, s19
	v_mov_b32_e32 v2, s84
	s_or_b32 s76, s4, s76
	s_and_not1_b32 s4, s78, exec_lo
	s_and_b32 s5, s80, exec_lo
	s_and_not1_b32 s6, s77, exec_lo
	s_or_b32 s78, s4, s5
	s_and_not1_b32 s4, s79, exec_lo
	s_and_b32 s5, s83, exec_lo
	s_and_b32 s7, s81, exec_lo
	s_or_b32 s79, s4, s5
	s_or_b32 s77, s6, s7
	s_and_not1_b32 exec_lo, exec_lo, s76
	s_cbranch_execz .LBB84_277
.LBB84_12:                              ; =>This Loop Header: Depth=1
                                        ;     Child Loop BB84_17 Depth 2
                                        ;     Child Loop BB84_35 Depth 2
	;; [unrolled: 1-line block ×16, first 2 shown]
	ds_load_b128 v[2:5], v13 offset:5120
	s_waitcnt lgkmcnt(0)
	v_readfirstlane_b32 s53, v3
	v_readfirstlane_b32 s52, v2
	s_delay_alu instid0(VALU_DEP_1)
	s_cmp_lg_u64 s[52:53], 0
	s_cbranch_scc1 .LBB84_42
; %bb.13:                               ;   in Loop: Header=BB84_12 Depth=1
	s_and_b32 vcc_lo, exec_lo, s66
	s_cbranch_vccz .LBB84_25
; %bb.14:                               ;   in Loop: Header=BB84_12 Depth=1
	v_cmp_gt_u64_e32 vcc_lo, 0xc01, v[4:5]
	s_mov_b32 s6, 0
	s_mov_b32 s4, 0
	s_cbranch_vccz .LBB84_26
; %bb.15:                               ;   in Loop: Header=BB84_12 Depth=1
	global_load_u16 v6, v13, s[48:49]
	global_load_u8 v7, v[10:11], off
	s_mov_b32 s8, 0
	s_waitcnt vmcnt(1)
	v_readfirstlane_b32 s4, v6
	v_and_b32_e32 v6, 0xffff, v6
	s_delay_alu instid0(VALU_DEP_2) | instskip(NEXT) | instid1(SALU_CYCLE_1)
	s_and_b32 s4, 0xffff, s4
	v_add_nc_u32_e32 v8, s4, v0
	s_mul_i32 s5, s35, s4
	s_mul_hi_u32 s7, s34, s4
	s_mul_i32 s9, s34, s4
	s_add_i32 s7, s7, s5
	v_mad_u64_u32 v[2:3], null, s34, v8, s[42:43]
	s_delay_alu instid0(VALU_DEP_1) | instskip(NEXT) | instid1(VALU_DEP_1)
	v_mad_u64_u32 v[4:5], null, s35, v8, v[3:4]
	v_mov_b32_e32 v3, v4
	v_dual_mov_b32 v5, v1 :: v_dual_mov_b32 v4, v0
	s_branch .LBB84_17
.LBB84_16:                              ;   in Loop: Header=BB84_17 Depth=2
	s_or_b32 exec_lo, exec_lo, s5
	v_add_co_u32 v2, vcc_lo, v2, s9
	v_add_co_ci_u32_e32 v3, vcc_lo, s7, v3, vcc_lo
	v_mov_b32_e32 v7, v8
	s_and_not1_b32 exec_lo, exec_lo, s8
	s_cbranch_execz .LBB84_27
.LBB84_17:                              ;   Parent Loop BB84_12 Depth=1
                                        ; =>  This Inner Loop Header: Depth=2
	s_delay_alu instid0(VALU_DEP_1) | instskip(NEXT) | instid1(VALU_DEP_2)
	v_add_co_u32 v4, vcc_lo, v4, v6
	v_add_co_ci_u32_e32 v5, vcc_lo, 0, v5, vcc_lo
	s_waitcnt lgkmcnt(0)
	v_dual_mov_b32 v9, 0 :: v_dual_mov_b32 v8, 0
	s_mov_b32 s5, exec_lo
	s_delay_alu instid0(VALU_DEP_2)
	v_cmp_le_u64_e32 vcc_lo, s[24:25], v[4:5]
	v_cmpx_gt_u64_e64 s[24:25], v[4:5]
	s_cbranch_execz .LBB84_19
; %bb.18:                               ;   in Loop: Header=BB84_17 Depth=2
	global_load_u8 v8, v[2:3], off
.LBB84_19:                              ;   in Loop: Header=BB84_17 Depth=2
	s_or_b32 exec_lo, exec_lo, s5
	s_waitcnt vmcnt(0)
	v_bfe_i32 v12, v7, 0, 8
	s_delay_alu instid0(VALU_DEP_1) | instskip(NEXT) | instid1(VALU_DEP_1)
	v_add_nc_u32_e32 v12, 0x80, v12
	v_and_b32_e32 v12, s85, v12
	s_delay_alu instid0(VALU_DEP_1) | instskip(NEXT) | instid1(VALU_DEP_1)
	v_cmp_eq_u32_e64 s4, s84, v12
	s_cmp_lg_u32 s4, 0
	s_cselect_b32 s5, -1, 0
	s_delay_alu instid0(SALU_CYCLE_1) | instskip(NEXT) | instid1(SALU_CYCLE_1)
	s_and_b32 s5, s1, s5
	s_and_saveexec_b32 s10, s5
	s_cbranch_execz .LBB84_23
; %bb.20:                               ;   in Loop: Header=BB84_17 Depth=2
	s_mov_b32 s13, exec_lo
	s_bcnt1_i32_b32 s11, s4
	v_mbcnt_lo_u32_b32 v9, s13, 0
	s_mov_b32 s12, exec_lo
                                        ; implicit-def: $vgpr12
	s_delay_alu instid0(VALU_DEP_1)
	v_cmpx_eq_u32_e32 0, v9
	s_cbranch_execz .LBB84_22
; %bb.21:                               ;   in Loop: Header=BB84_17 Depth=2
	s_bcnt1_i32_b32 s5, s13
	s_delay_alu instid0(SALU_CYCLE_1) | instskip(NEXT) | instid1(SALU_CYCLE_1)
	s_mul_i32 s5, s11, s5
	v_mov_b32_e32 v12, s5
	ds_add_rtn_u32 v12, v13, v12 offset:5144
.LBB84_22:                              ;   in Loop: Header=BB84_17 Depth=2
	s_or_b32 exec_lo, exec_lo, s12
	s_waitcnt lgkmcnt(0)
	v_readfirstlane_b32 s5, v12
	s_delay_alu instid0(VALU_DEP_1)
	v_mad_u32_u24 v9, s11, v9, s5
.LBB84_23:                              ;   in Loop: Header=BB84_17 Depth=2
	s_or_b32 exec_lo, exec_lo, s10
	ds_bpermute_b32 v9, v13, v9
	s_and_b32 s5, exec_lo, vcc_lo
	s_delay_alu instid0(SALU_CYCLE_1)
	s_or_b32 s8, s5, s8
	s_and_saveexec_b32 s5, s4
	s_cbranch_execz .LBB84_16
; %bb.24:                               ;   in Loop: Header=BB84_17 Depth=2
	v_and_b32_e32 v12, s4, v29
	s_waitcnt lgkmcnt(0)
	s_delay_alu instid0(VALU_DEP_1)
	v_bcnt_u32_b32 v9, v12, v9
	ds_store_b8 v9, v7
	s_branch .LBB84_16
.LBB84_25:                              ;   in Loop: Header=BB84_12 Depth=1
	s_mov_b32 s4, 0
                                        ; implicit-def: $sgpr52_sgpr53
	s_cbranch_execnz .LBB84_30
	s_branch .LBB84_40
.LBB84_26:                              ;   in Loop: Header=BB84_12 Depth=1
	s_mov_b64 s[52:53], 0
	s_and_b32 vcc_lo, exec_lo, s6
	s_cbranch_vccnz .LBB84_30
	s_branch .LBB84_40
.LBB84_27:                              ;   in Loop: Header=BB84_12 Depth=1
	s_or_b32 exec_lo, exec_lo, s8
	s_waitcnt lgkmcnt(0)
	s_barrier
	buffer_gl0_inv
	s_and_saveexec_b32 s4, s2
	s_cbranch_execz .LBB84_29
; %bb.28:                               ;   in Loop: Header=BB84_12 Depth=1
	ds_load_b32 v2, v13 offset:5144
	s_waitcnt lgkmcnt(0)
	v_ashrrev_i32_e32 v3, 31, v2
	ds_store_b64 v13, v[2:3] offset:5120
.LBB84_29:                              ;   in Loop: Header=BB84_12 Depth=1
	s_or_b32 exec_lo, exec_lo, s4
	s_waitcnt lgkmcnt(0)
	s_mov_b32 s4, -1
	s_barrier
	s_mov_b64 s[52:53], 0
	s_and_b32 vcc_lo, exec_lo, s6
	s_cbranch_vccz .LBB84_40
.LBB84_30:                              ;   in Loop: Header=BB84_12 Depth=1
	v_mov_b32_e32 v6, 0
	s_and_saveexec_b32 s4, s0
	s_cbranch_execz .LBB84_32
; %bb.31:                               ;   in Loop: Header=BB84_12 Depth=1
	global_load_u8 v6, v[10:11], off
.LBB84_32:                              ;   in Loop: Header=BB84_12 Depth=1
	s_or_b32 exec_lo, exec_lo, s4
	s_and_saveexec_b32 s5, s0
	s_cbranch_execz .LBB84_37
; %bb.33:                               ;   in Loop: Header=BB84_12 Depth=1
	global_load_u16 v8, v13, s[48:49]
	s_mov_b32 s9, 0
	s_waitcnt vmcnt(0)
	v_readfirstlane_b32 s4, v8
	v_and_b32_e32 v8, 0xffff, v8
	s_delay_alu instid0(VALU_DEP_2) | instskip(NEXT) | instid1(SALU_CYCLE_1)
	s_and_b32 s6, 0xffff, s4
	v_add_nc_u32_e32 v7, s6, v0
	s_mul_i32 s4, s35, s6
	s_mul_hi_u32 s7, s34, s6
	s_mul_i32 s8, s34, s6
	s_add_i32 s7, s7, s4
	v_mad_u64_u32 v[2:3], null, s34, v7, s[42:43]
	s_delay_alu instid0(VALU_DEP_1) | instskip(SKIP_1) | instid1(VALU_DEP_2)
	v_mad_u64_u32 v[4:5], null, s35, v7, v[3:4]
	v_mov_b32_e32 v7, v0
	v_mov_b32_e32 v3, v4
	v_dual_mov_b32 v5, v1 :: v_dual_mov_b32 v4, v0
	s_branch .LBB84_35
	.p2align	6
.LBB84_34:                              ;   in Loop: Header=BB84_35 Depth=2
	s_or_b32 exec_lo, exec_lo, s10
	s_delay_alu instid0(SALU_CYCLE_1)
	s_and_b32 s4, exec_lo, vcc_lo
	v_add_co_u32 v2, vcc_lo, v2, s8
	ds_store_b8 v7, v6
	s_waitcnt vmcnt(0)
	v_dual_mov_b32 v6, v9 :: v_dual_add_nc_u32 v7, s6, v7
	v_add_co_ci_u32_e32 v3, vcc_lo, s7, v3, vcc_lo
	s_or_b32 s9, s4, s9
	s_delay_alu instid0(SALU_CYCLE_1)
	s_and_not1_b32 exec_lo, exec_lo, s9
	s_cbranch_execz .LBB84_37
.LBB84_35:                              ;   Parent Loop BB84_12 Depth=1
                                        ; =>  This Inner Loop Header: Depth=2
	s_delay_alu instid0(VALU_DEP_1) | instskip(NEXT) | instid1(VALU_DEP_2)
	v_add_co_u32 v4, vcc_lo, v4, v8
	v_add_co_ci_u32_e32 v5, vcc_lo, 0, v5, vcc_lo
	v_mov_b32_e32 v9, 0
	s_mov_b32 s10, exec_lo
	s_delay_alu instid0(VALU_DEP_2)
	v_cmp_le_u64_e32 vcc_lo, s[24:25], v[4:5]
	v_cmpx_gt_u64_e64 s[24:25], v[4:5]
	s_cbranch_execz .LBB84_34
; %bb.36:                               ;   in Loop: Header=BB84_35 Depth=2
	global_load_u8 v9, v[2:3], off
	s_branch .LBB84_34
.LBB84_37:                              ;   in Loop: Header=BB84_12 Depth=1
	s_or_b32 exec_lo, exec_lo, s5
	s_waitcnt vmcnt(0) lgkmcnt(0)
	s_barrier
	buffer_gl0_inv
	s_and_saveexec_b32 s4, s2
	s_cbranch_execz .LBB84_39
; %bb.38:                               ;   in Loop: Header=BB84_12 Depth=1
	v_dual_mov_b32 v2, s24 :: v_dual_mov_b32 v3, s25
	ds_store_b64 v13, v[2:3] offset:5120
.LBB84_39:                              ;   in Loop: Header=BB84_12 Depth=1
	s_or_b32 exec_lo, exec_lo, s4
	s_mov_b32 s4, -1
	s_waitcnt lgkmcnt(0)
	s_barrier
                                        ; implicit-def: $sgpr52_sgpr53
.LBB84_40:                              ;   in Loop: Header=BB84_12 Depth=1
	s_and_b32 vcc_lo, exec_lo, s4
	s_cbranch_vccz .LBB84_42
; %bb.41:                               ;   in Loop: Header=BB84_12 Depth=1
	buffer_gl0_inv
	ds_load_b64 v[2:3], v13 offset:5120
	s_waitcnt lgkmcnt(0)
	v_readfirstlane_b32 s52, v2
.LBB84_42:                              ;   in Loop: Header=BB84_12 Depth=1
	s_delay_alu instid0(VALU_DEP_1)
	s_cmp_lt_i32 s52, 1
	s_cbranch_scc0 .LBB84_57
; %bb.43:                               ;   in Loop: Header=BB84_12 Depth=1
	global_load_u16 v2, v13, s[48:49]
	s_mov_b32 s5, s25
	s_waitcnt vmcnt(0)
	v_readfirstlane_b32 s4, v2
	s_delay_alu instid0(VALU_DEP_1)
	s_and_b32 s44, s4, 0xffff
	s_mov_b32 s4, s45
	s_lshl_b32 s46, s44, 2
	s_cmp_lg_u64 s[4:5], 0
	s_cbranch_scc0 .LBB84_77
; %bb.44:                               ;   in Loop: Header=BB84_12 Depth=1
	v_cvt_f32_u32_e32 v2, s46
	s_sub_u32 s6, 0, s46
	s_subb_u32 s7, 0, 0
	s_delay_alu instid0(VALU_DEP_1) | instskip(NEXT) | instid1(VALU_DEP_1)
	v_fmac_f32_e64 v2, 0, 0x4f800000
	v_rcp_f32_e32 v2, v2
	s_waitcnt_depctr 0xfff
	v_mul_f32_e32 v2, 0x5f7ffffc, v2
	s_delay_alu instid0(VALU_DEP_1) | instskip(NEXT) | instid1(VALU_DEP_1)
	v_mul_f32_e32 v3, 0x2f800000, v2
	v_trunc_f32_e32 v3, v3
	s_delay_alu instid0(VALU_DEP_1) | instskip(SKIP_1) | instid1(VALU_DEP_2)
	v_fmac_f32_e32 v2, 0xcf800000, v3
	v_cvt_u32_f32_e32 v3, v3
	v_cvt_u32_f32_e32 v2, v2
	s_delay_alu instid0(VALU_DEP_2) | instskip(NEXT) | instid1(VALU_DEP_2)
	v_readfirstlane_b32 s4, v3
	v_readfirstlane_b32 s5, v2
	s_delay_alu instid0(VALU_DEP_2) | instskip(NEXT) | instid1(VALU_DEP_1)
	s_mul_i32 s8, s6, s4
	s_mul_hi_u32 s10, s6, s5
	s_mul_i32 s9, s7, s5
	s_add_i32 s8, s10, s8
	s_mul_i32 s11, s6, s5
	s_add_i32 s8, s8, s9
	s_mul_hi_u32 s10, s5, s11
	s_mul_hi_u32 s12, s4, s11
	s_mul_i32 s9, s4, s11
	s_mul_hi_u32 s11, s5, s8
	s_mul_i32 s5, s5, s8
	s_mul_hi_u32 s13, s4, s8
	s_add_u32 s5, s10, s5
	s_addc_u32 s10, 0, s11
	s_add_u32 s5, s5, s9
	s_mul_i32 s8, s4, s8
	s_addc_u32 s5, s10, s12
	s_addc_u32 s9, s13, 0
	s_add_u32 s5, s5, s8
	s_addc_u32 s8, 0, s9
	v_add_co_u32 v2, s5, v2, s5
	s_delay_alu instid0(VALU_DEP_1) | instskip(SKIP_1) | instid1(VALU_DEP_1)
	s_cmp_lg_u32 s5, 0
	s_addc_u32 s4, s4, s8
	v_readfirstlane_b32 s5, v2
	s_mul_i32 s8, s6, s4
	s_delay_alu instid0(VALU_DEP_1)
	s_mul_hi_u32 s9, s6, s5
	s_mul_i32 s7, s7, s5
	s_add_i32 s8, s9, s8
	s_mul_i32 s6, s6, s5
	s_add_i32 s8, s8, s7
	s_mul_hi_u32 s9, s4, s6
	s_mul_i32 s10, s4, s6
	s_mul_hi_u32 s6, s5, s6
	s_mul_hi_u32 s11, s5, s8
	s_mul_i32 s5, s5, s8
	s_mul_hi_u32 s7, s4, s8
	s_add_u32 s5, s6, s5
	s_addc_u32 s6, 0, s11
	s_add_u32 s5, s5, s10
	s_mul_i32 s8, s4, s8
	s_addc_u32 s5, s6, s9
	s_addc_u32 s6, s7, 0
	s_add_u32 s5, s5, s8
	s_addc_u32 s6, 0, s6
	v_add_co_u32 v2, s5, v2, s5
	s_delay_alu instid0(VALU_DEP_1) | instskip(SKIP_1) | instid1(VALU_DEP_1)
	s_cmp_lg_u32 s5, 0
	s_addc_u32 s4, s4, s6
	v_readfirstlane_b32 s5, v2
	s_mul_i32 s7, s24, s4
	s_mul_hi_u32 s6, s24, s4
	s_mul_hi_u32 s8, s25, s4
	s_mul_i32 s4, s25, s4
	s_mul_hi_u32 s9, s24, s5
	s_mul_hi_u32 s10, s25, s5
	s_mul_i32 s5, s25, s5
	s_add_u32 s7, s9, s7
	s_addc_u32 s6, 0, s6
	s_add_u32 s5, s7, s5
	s_addc_u32 s5, s6, s10
	s_addc_u32 s6, s8, 0
	s_add_u32 s4, s5, s4
	s_addc_u32 s5, 0, s6
	s_mul_hi_u32 s6, s46, s4
	s_mul_i32 s4, s46, s4
	s_mul_i32 s5, s46, s5
	v_sub_co_u32 v2, s4, s24, s4
	s_add_i32 s6, s6, s5
	s_cmp_lg_u32 s4, 0
	s_delay_alu instid0(VALU_DEP_1) | instskip(SKIP_2) | instid1(VALU_DEP_1)
	v_sub_co_u32 v3, s4, v2, s46
	s_subb_u32 s5, s25, s6
	s_cmp_lg_u32 s4, 0
	v_cmp_le_u32_e32 vcc_lo, s46, v3
	v_sub_co_u32 v4, s4, v3, s46
	s_subb_u32 s6, s5, 0
	s_cmp_lg_u32 s4, 0
	v_cndmask_b32_e64 v5, 0, -1, vcc_lo
	s_subb_u32 s4, s6, 0
	s_cmp_eq_u32 s6, 0
	v_mov_b32_e32 v7, s4
	s_cselect_b32 vcc_lo, -1, 0
	s_cmp_eq_u32 s5, 0
	v_cndmask_b32_e32 v5, -1, v5, vcc_lo
	v_cmp_le_u32_e32 vcc_lo, s46, v2
	s_cselect_b32 s4, -1, 0
	v_cndmask_b32_e64 v6, 0, -1, vcc_lo
	s_delay_alu instid0(VALU_DEP_3) | instskip(NEXT) | instid1(VALU_DEP_2)
	v_cmp_ne_u32_e32 vcc_lo, 0, v5
	v_cndmask_b32_e64 v5, -1, v6, s4
	v_cndmask_b32_e32 v6, s6, v7, vcc_lo
	v_cndmask_b32_e32 v4, v3, v4, vcc_lo
	s_delay_alu instid0(VALU_DEP_3) | instskip(NEXT) | instid1(VALU_DEP_3)
	v_cmp_ne_u32_e32 vcc_lo, 0, v5
	v_cndmask_b32_e32 v3, s5, v6, vcc_lo
	s_delay_alu instid0(VALU_DEP_3)
	v_cndmask_b32_e32 v2, v2, v4, vcc_lo
	s_cbranch_execnz .LBB84_46
.LBB84_45:                              ;   in Loop: Header=BB84_12 Depth=1
	v_cvt_f32_u32_e32 v2, s46
	s_sub_i32 s4, 0, s46
	s_delay_alu instid0(VALU_DEP_1) | instskip(SKIP_2) | instid1(VALU_DEP_1)
	v_rcp_iflag_f32_e32 v2, v2
	s_waitcnt_depctr 0xfff
	v_mul_f32_e32 v2, 0x4f7ffffe, v2
	v_cvt_u32_f32_e32 v2, v2
	s_delay_alu instid0(VALU_DEP_1) | instskip(NEXT) | instid1(VALU_DEP_1)
	v_mul_lo_u32 v3, s4, v2
	v_mul_hi_u32 v3, v2, v3
	s_delay_alu instid0(VALU_DEP_1) | instskip(NEXT) | instid1(VALU_DEP_1)
	v_add_nc_u32_e32 v2, v2, v3
	v_mul_hi_u32 v2, s24, v2
	s_delay_alu instid0(VALU_DEP_1) | instskip(NEXT) | instid1(VALU_DEP_1)
	v_mul_lo_u32 v2, v2, s46
	v_sub_nc_u32_e32 v2, s24, v2
	s_delay_alu instid0(VALU_DEP_1) | instskip(SKIP_1) | instid1(VALU_DEP_2)
	v_subrev_nc_u32_e32 v3, s46, v2
	v_cmp_le_u32_e32 vcc_lo, s46, v2
	v_cndmask_b32_e32 v2, v2, v3, vcc_lo
	s_delay_alu instid0(VALU_DEP_1) | instskip(SKIP_1) | instid1(VALU_DEP_2)
	v_subrev_nc_u32_e32 v3, s46, v2
	v_cmp_le_u32_e32 vcc_lo, s46, v2
	v_cndmask_b32_e32 v12, v2, v3, vcc_lo
	s_delay_alu instid0(VALU_DEP_1)
	v_dual_mov_b32 v2, v12 :: v_dual_mov_b32 v3, v13
.LBB84_46:                              ;   in Loop: Header=BB84_12 Depth=1
	s_delay_alu instid0(VALU_DEP_1) | instskip(NEXT) | instid1(VALU_DEP_2)
	v_sub_co_u32 v23, vcc_lo, s24, v2
	v_sub_co_ci_u32_e32 v24, vcc_lo, s25, v3, vcc_lo
	v_mov_b32_e32 v2, 0
	v_mov_b32_e32 v3, 0
	s_mov_b64 s[54:55], 0
	s_mov_b32 s53, exec_lo
	s_delay_alu instid0(VALU_DEP_1)
	v_dual_mov_b32 v5, v3 :: v_dual_mov_b32 v4, v2
	v_dual_mov_b32 v7, v3 :: v_dual_mov_b32 v6, v2
	;; [unrolled: 1-line block ×3, first 2 shown]
	v_cmpx_gt_u64_e64 v[23:24], v[14:15]
	s_cbranch_execz .LBB84_50
; %bb.47:                               ;   in Loop: Header=BB84_12 Depth=1
	v_dual_mov_b32 v26, v15 :: v_dual_mov_b32 v25, v14
	s_mul_i32 s4, s51, s44
	s_mul_hi_u32 s5, s50, s44
	s_and_b32 s86, s75, 0xfe
	s_add_i32 s87, s5, s4
	s_mul_i32 s88, s50, s44
	s_mov_b32 s89, 0
	s_mov_b64 s[56:57], s[42:43]
	s_mov_b64 s[58:59], 0
	s_mov_b64 s[60:61], 0
	s_mov_b64 s[62:63], 0
.LBB84_48:                              ;   Parent Loop BB84_12 Depth=1
                                        ; =>  This Inner Loop Header: Depth=2
	v_add_co_u32 v2, vcc_lo, s56, v21
	v_add_co_ci_u32_e32 v3, vcc_lo, s57, v22, vcc_lo
	v_add_co_u32 v4, vcc_lo, s56, v20
	v_add_co_ci_u32_e32 v5, vcc_lo, s57, v30, vcc_lo
	;; [unrolled: 2-line block ×4, first 2 shown]
	s_clause 0x3
	global_load_i8 v2, v[2:3], off
	global_load_i8 v3, v[4:5], off
	;; [unrolled: 1-line block ×4, first 2 shown]
	v_add_co_u32 v25, vcc_lo, v25, s46
	v_add_co_ci_u32_e32 v26, vcc_lo, 0, v26, vcc_lo
	s_delay_alu instid0(VALU_DEP_1)
	v_cmp_ge_u64_e32 vcc_lo, v[25:26], v[23:24]
	s_waitcnt vmcnt(3)
	v_add_nc_u32_e32 v2, 0x80, v2
	s_waitcnt vmcnt(2)
	v_add_nc_u32_e32 v3, 0x80, v3
	;; [unrolled: 2-line block ×4, first 2 shown]
	v_and_b32_e32 v6, s85, v2
	v_bfe_u32 v2, v2, s86, 2
	v_and_b32_e32 v7, s85, v3
	v_bfe_u32 v3, v3, s86, 2
	;; [unrolled: 2-line block ×3, first 2 shown]
	v_cmp_eq_u32_e64 s4, s84, v6
	v_cmp_eq_u32_e64 s8, 0, v2
	v_and_b32_e32 v9, s85, v5
	v_bfe_u32 v5, v5, s86, 2
	v_cmp_eq_u32_e64 s5, s84, v7
	v_cmp_eq_u32_e64 s9, 0, v3
	;; [unrolled: 1-line block ×4, first 2 shown]
	s_and_b32 s8, s4, s8
	v_cmp_eq_u32_e64 s7, s84, v9
	v_cmp_eq_u32_e64 s11, 0, v5
	;; [unrolled: 1-line block ×5, first 2 shown]
	v_cndmask_b32_e64 v2, 0, 1, s8
	s_and_b32 s8, s5, s9
	v_cmp_eq_u32_e64 s13, 1, v3
	v_cmp_eq_u32_e64 s17, 2, v3
	v_cmp_eq_u32_e64 s21, 3, v3
	v_cndmask_b32_e64 v3, 0, 1, s8
	s_and_b32 s8, s6, s10
	v_cmp_eq_u32_e64 s14, 1, v4
	v_cmp_eq_u32_e64 s18, 2, v4
	v_cmp_eq_u32_e64 s22, 3, v4
	;; [unrolled: 5-line block ×3, first 2 shown]
	v_cndmask_b32_e64 v5, 0, 1, s8
	v_cmp_ne_u32_e64 s8, 0, v2
	v_cmp_ne_u32_e64 s9, 0, v3
	v_cmp_ne_u32_e64 s10, 0, v4
	s_delay_alu instid0(VALU_DEP_4) | instskip(NEXT) | instid1(VALU_DEP_4)
	v_cmp_ne_u32_e64 s11, 0, v5
	s_bcnt1_i32_b32 s8, s8
	s_delay_alu instid0(VALU_DEP_3) | instskip(NEXT) | instid1(VALU_DEP_2)
	s_bcnt1_i32_b32 s9, s9
	s_bcnt1_i32_b32 s10, s10
	s_add_i32 s8, s9, s8
	s_bcnt1_i32_b32 s11, s11
	s_add_i32 s8, s8, s10
	s_delay_alu instid0(SALU_CYCLE_1) | instskip(NEXT) | instid1(SALU_CYCLE_1)
	s_add_i32 s8, s8, s11
	s_add_u32 s62, s62, s8
	s_addc_u32 s63, s63, 0
	s_and_b32 s8, s4, s12
	v_mov_b32_e32 v2, s62
	v_cndmask_b32_e64 v4, 0, 1, s8
	s_and_b32 s8, s5, s13
	v_mov_b32_e32 v3, s63
	v_cndmask_b32_e64 v5, 0, 1, s8
	s_and_b32 s8, s6, s14
	s_delay_alu instid0(SALU_CYCLE_1) | instskip(SKIP_1) | instid1(VALU_DEP_2)
	v_cndmask_b32_e64 v6, 0, 1, s8
	s_and_b32 s8, s7, s15
	v_cmp_ne_u32_e64 s9, 0, v5
	v_cndmask_b32_e64 v7, 0, 1, s8
	v_cmp_ne_u32_e64 s8, 0, v4
	v_cmp_ne_u32_e64 s10, 0, v6
	s_delay_alu instid0(VALU_DEP_4) | instskip(NEXT) | instid1(VALU_DEP_3)
	s_bcnt1_i32_b32 s9, s9
	v_cmp_ne_u32_e64 s11, 0, v7
	s_delay_alu instid0(VALU_DEP_3) | instskip(NEXT) | instid1(VALU_DEP_2)
	s_bcnt1_i32_b32 s8, s8
	s_bcnt1_i32_b32 s10, s10
	s_add_i32 s8, s9, s8
	s_delay_alu instid0(VALU_DEP_1) | instskip(SKIP_1) | instid1(SALU_CYCLE_1)
	s_bcnt1_i32_b32 s11, s11
	s_add_i32 s8, s8, s10
	s_add_i32 s8, s8, s11
	s_delay_alu instid0(SALU_CYCLE_1) | instskip(SKIP_2) | instid1(SALU_CYCLE_1)
	s_add_u32 s60, s60, s8
	s_addc_u32 s61, s61, 0
	s_and_b32 s8, s4, s16
	v_cndmask_b32_e64 v4, 0, 1, s8
	s_and_b32 s8, s5, s17
	s_delay_alu instid0(SALU_CYCLE_1) | instskip(SKIP_1) | instid1(SALU_CYCLE_1)
	v_cndmask_b32_e64 v5, 0, 1, s8
	s_and_b32 s8, s6, s18
	v_cndmask_b32_e64 v6, 0, 1, s8
	s_and_b32 s8, s7, s19
	s_delay_alu instid0(VALU_DEP_2) | instskip(SKIP_3) | instid1(VALU_DEP_4)
	v_cmp_ne_u32_e64 s9, 0, v5
	v_cndmask_b32_e64 v7, 0, 1, s8
	v_cmp_ne_u32_e64 s8, 0, v4
	v_cmp_ne_u32_e64 s10, 0, v6
	s_bcnt1_i32_b32 s9, s9
	s_delay_alu instid0(VALU_DEP_3) | instskip(NEXT) | instid1(VALU_DEP_3)
	v_cmp_ne_u32_e64 s11, 0, v7
	s_bcnt1_i32_b32 s8, s8
	s_delay_alu instid0(VALU_DEP_2) | instskip(SKIP_1) | instid1(VALU_DEP_1)
	s_bcnt1_i32_b32 s10, s10
	s_add_i32 s8, s9, s8
	s_bcnt1_i32_b32 s11, s11
	s_add_i32 s8, s8, s10
	s_delay_alu instid0(SALU_CYCLE_1) | instskip(NEXT) | instid1(SALU_CYCLE_1)
	s_add_i32 s8, s8, s11
	s_add_u32 s58, s58, s8
	s_addc_u32 s59, s59, 0
	s_and_b32 s4, s4, s20
	s_delay_alu instid0(SALU_CYCLE_1) | instskip(SKIP_1) | instid1(SALU_CYCLE_1)
	v_cndmask_b32_e64 v4, 0, 1, s4
	s_and_b32 s4, s5, s21
	v_cndmask_b32_e64 v5, 0, 1, s4
	s_and_b32 s4, s6, s22
	s_delay_alu instid0(SALU_CYCLE_1) | instskip(SKIP_1) | instid1(VALU_DEP_2)
	v_cndmask_b32_e64 v6, 0, 1, s4
	s_and_b32 s4, s7, s23
	v_cmp_ne_u32_e64 s5, 0, v5
	v_cndmask_b32_e64 v7, 0, 1, s4
	v_cmp_ne_u32_e64 s4, 0, v4
	v_cmp_ne_u32_e64 s6, 0, v6
	v_mov_b32_e32 v4, s60
	s_bcnt1_i32_b32 s5, s5
	v_cmp_ne_u32_e64 s7, 0, v7
	v_mov_b32_e32 v6, s58
	s_bcnt1_i32_b32 s4, s4
	s_bcnt1_i32_b32 s6, s6
	s_add_i32 s4, s5, s4
	s_bcnt1_i32_b32 s5, s7
	s_add_i32 s4, s4, s6
	v_mov_b32_e32 v5, s61
	s_add_i32 s4, s4, s5
	v_mov_b32_e32 v7, s59
	s_add_u32 s54, s54, s4
	s_addc_u32 s55, s55, 0
	s_delay_alu instid0(SALU_CYCLE_1) | instskip(SKIP_3) | instid1(SALU_CYCLE_1)
	v_dual_mov_b32 v8, s54 :: v_dual_mov_b32 v9, s55
	s_add_u32 s56, s56, s88
	s_addc_u32 s57, s57, s87
	s_or_b32 s89, vcc_lo, s89
	s_and_not1_b32 exec_lo, exec_lo, s89
	s_cbranch_execnz .LBB84_48
; %bb.49:                               ;   in Loop: Header=BB84_12 Depth=1
	s_or_b32 exec_lo, exec_lo, s89
.LBB84_50:                              ;   in Loop: Header=BB84_12 Depth=1
	s_delay_alu instid0(SALU_CYCLE_1) | instskip(SKIP_3) | instid1(VALU_DEP_2)
	s_or_b32 exec_lo, exec_lo, s53
	v_add_co_u32 v23, vcc_lo, v23, v0
	v_add_co_ci_u32_e32 v24, vcc_lo, 0, v24, vcc_lo
	v_mov_b32_e32 v25, 0
	v_cmp_gt_u64_e32 vcc_lo, s[24:25], v[23:24]
	s_and_saveexec_b32 s4, vcc_lo
	s_cbranch_execz .LBB84_52
; %bb.51:                               ;   in Loop: Header=BB84_12 Depth=1
	v_mad_u64_u32 v[25:26], null, v23, s34, s[42:43]
	v_mul_lo_u32 v12, v23, s35
	v_mul_lo_u32 v33, v24, s34
	s_delay_alu instid0(VALU_DEP_1)
	v_add3_u32 v26, v33, v26, v12
	global_load_u8 v25, v[25:26], off
.LBB84_52:                              ;   in Loop: Header=BB84_12 Depth=1
	s_or_b32 exec_lo, exec_lo, s4
	s_and_saveexec_b32 s8, vcc_lo
	s_cbranch_execz .LBB84_59
; %bb.53:                               ;   in Loop: Header=BB84_12 Depth=1
	s_and_b32 s10, s75, 0xfe
	s_mov_b32 s9, 0
	s_branch .LBB84_55
.LBB84_54:                              ;   in Loop: Header=BB84_55 Depth=2
	s_or_b32 exec_lo, exec_lo, s5
	s_waitcnt vmcnt(0)
	v_bfe_i32 v25, v25, 0, 8
	s_and_b32 s6, exec_lo, vcc_lo
	s_delay_alu instid0(SALU_CYCLE_1) | instskip(NEXT) | instid1(VALU_DEP_1)
	s_or_b32 s9, s6, s9
	v_add_nc_u32_e32 v25, 0x80, v25
	s_delay_alu instid0(VALU_DEP_1) | instskip(SKIP_1) | instid1(VALU_DEP_2)
	v_and_b32_e32 v26, s85, v25
	v_bfe_u32 v25, v25, s10, 2
	v_cmp_eq_u32_e64 s4, s84, v26
	s_delay_alu instid0(VALU_DEP_2) | instskip(SKIP_2) | instid1(VALU_DEP_3)
	v_cmp_eq_u32_e64 s5, 0, v25
	v_cmp_eq_u32_e32 vcc_lo, 1, v25
	v_cmp_eq_u32_e64 s6, 2, v25
	s_and_b32 s5, s4, s5
	s_delay_alu instid0(SALU_CYCLE_1) | instskip(SKIP_4) | instid1(SALU_CYCLE_1)
	v_cndmask_b32_e64 v26, 0, 1, s5
	s_and_b32 s5, s4, vcc_lo
	v_cmp_eq_u32_e32 vcc_lo, 3, v25
	v_cndmask_b32_e64 v33, 0, 1, s5
	s_and_b32 s5, s4, s6
	v_cndmask_b32_e64 v34, 0, 1, s5
	v_cmp_ne_u32_e64 s5, 0, v26
	s_delay_alu instid0(VALU_DEP_3) | instskip(SKIP_1) | instid1(SALU_CYCLE_1)
	v_cmp_ne_u32_e64 s6, 0, v33
	s_and_b32 s4, s4, vcc_lo
	v_cndmask_b32_e64 v25, 0, 1, s4
	s_delay_alu instid0(VALU_DEP_3)
	s_bcnt1_i32_b32 s4, s5
	v_cmp_ne_u32_e64 s7, 0, v34
	v_add_co_u32 v2, vcc_lo, v2, s4
	s_bcnt1_i32_b32 s5, s6
	v_add_co_ci_u32_e32 v3, vcc_lo, 0, v3, vcc_lo
	v_add_co_u32 v4, vcc_lo, v4, s5
	v_add_co_ci_u32_e32 v5, vcc_lo, 0, v5, vcc_lo
	s_bcnt1_i32_b32 s6, s7
	v_cmp_ne_u32_e32 vcc_lo, 0, v25
	v_mov_b32_e32 v25, v12
	v_add_co_u32 v6, s4, v6, s6
	s_delay_alu instid0(VALU_DEP_1) | instskip(SKIP_1) | instid1(SALU_CYCLE_1)
	v_add_co_ci_u32_e64 v7, s4, 0, v7, s4
	s_bcnt1_i32_b32 s4, vcc_lo
	v_add_co_u32 v8, vcc_lo, v8, s4
	v_add_co_ci_u32_e32 v9, vcc_lo, 0, v9, vcc_lo
	s_and_not1_b32 exec_lo, exec_lo, s9
	s_cbranch_execz .LBB84_58
.LBB84_55:                              ;   Parent Loop BB84_12 Depth=1
                                        ; =>  This Inner Loop Header: Depth=2
	v_add_co_u32 v23, vcc_lo, v23, s44
	v_add_co_ci_u32_e32 v24, vcc_lo, 0, v24, vcc_lo
	v_mov_b32_e32 v12, 0
	s_mov_b32 s5, exec_lo
	s_delay_alu instid0(VALU_DEP_2)
	v_cmp_le_u64_e32 vcc_lo, s[24:25], v[23:24]
	v_cmpx_gt_u64_e64 s[24:25], v[23:24]
	s_cbranch_execz .LBB84_54
; %bb.56:                               ;   in Loop: Header=BB84_55 Depth=2
	v_mad_u64_u32 v[33:34], null, v23, s34, s[42:43]
	v_mul_lo_u32 v12, v23, s35
	v_mul_lo_u32 v26, v24, s34
	s_delay_alu instid0(VALU_DEP_1)
	v_add3_u32 v34, v26, v34, v12
	global_load_u8 v12, v[33:34], off
	s_branch .LBB84_54
.LBB84_57:                              ;   in Loop: Header=BB84_12 Depth=1
                                        ; implicit-def: $vgpr8_vgpr9
                                        ; implicit-def: $vgpr4_vgpr5
	s_cbranch_execnz .LBB84_60
	s_branch .LBB84_69
.LBB84_58:                              ;   in Loop: Header=BB84_12 Depth=1
	s_or_b32 exec_lo, exec_lo, s9
.LBB84_59:                              ;   in Loop: Header=BB84_12 Depth=1
	s_delay_alu instid0(SALU_CYCLE_1)
	s_or_b32 exec_lo, exec_lo, s8
	s_branch .LBB84_69
.LBB84_60:                              ;   in Loop: Header=BB84_12 Depth=1
	global_load_u16 v12, v13, s[48:49]
	s_mov_b64 s[54:55], 0
	s_mov_b32 s53, exec_lo
	s_waitcnt vmcnt(0)
	v_readfirstlane_b32 s4, v12
	s_delay_alu instid0(VALU_DEP_1) | instskip(NEXT) | instid1(SALU_CYCLE_1)
	s_and_b32 s4, 0xffff, s4
	s_lshl_b32 s46, s4, 2
	s_delay_alu instid0(SALU_CYCLE_1) | instskip(SKIP_1) | instid1(VALU_DEP_1)
	v_cvt_f32_u32_e32 v2, s46
	s_sub_i32 s5, 0, s46
	v_rcp_iflag_f32_e32 v2, v2
	s_waitcnt_depctr 0xfff
	v_mul_f32_e32 v2, 0x4f7ffffe, v2
	s_delay_alu instid0(VALU_DEP_1) | instskip(NEXT) | instid1(VALU_DEP_1)
	v_cvt_u32_f32_e32 v2, v2
	v_readfirstlane_b32 s4, v2
	v_mov_b32_e32 v2, 0
	v_mov_b32_e32 v3, 0
	s_delay_alu instid0(VALU_DEP_3) | instskip(NEXT) | instid1(VALU_DEP_1)
	s_mul_i32 s5, s5, s4
	v_dual_mov_b32 v5, v3 :: v_dual_mov_b32 v4, v2
	s_mul_hi_u32 s5, s4, s5
	v_dual_mov_b32 v7, v3 :: v_dual_mov_b32 v6, v2
	s_add_i32 s4, s4, s5
	v_dual_mov_b32 v9, v3 :: v_dual_mov_b32 v8, v2
	s_mul_hi_u32 s4, s52, s4
	s_delay_alu instid0(SALU_CYCLE_1) | instskip(NEXT) | instid1(SALU_CYCLE_1)
	s_mul_i32 s4, s4, s46
	s_sub_i32 s4, s52, s4
	s_delay_alu instid0(SALU_CYCLE_1) | instskip(SKIP_2) | instid1(SALU_CYCLE_1)
	s_sub_i32 s5, s4, s46
	s_cmp_ge_u32 s4, s46
	s_cselect_b32 s4, s5, s4
	s_sub_i32 s5, s4, s46
	s_cmp_ge_u32 s4, s46
	s_cselect_b32 s4, s5, s4
	s_delay_alu instid0(SALU_CYCLE_1) | instskip(NEXT) | instid1(SALU_CYCLE_1)
	s_sub_i32 s44, s52, s4
	v_cmpx_gt_u32_e64 s44, v14
	s_cbranch_execz .LBB84_64
; %bb.61:                               ;   in Loop: Header=BB84_12 Depth=1
	v_dual_mov_b32 v25, v14 :: v_dual_mov_b32 v24, v15
	v_mov_b32_e32 v23, v14
	s_and_b32 s63, s75, 0xfe
	s_mov_b32 s62, 0
	s_mov_b64 s[56:57], 0
	s_mov_b64 s[58:59], 0
	;; [unrolled: 1-line block ×3, first 2 shown]
.LBB84_62:                              ;   Parent Loop BB84_12 Depth=1
                                        ; =>  This Inner Loop Header: Depth=2
	ds_load_b32 v2, v25
	v_add_co_u32 v23, vcc_lo, v23, s46
	v_add_co_ci_u32_e32 v24, vcc_lo, 0, v24, vcc_lo
	s_delay_alu instid0(VALU_DEP_1)
	v_cmp_le_u64_e32 vcc_lo, s[44:45], v[23:24]
	s_waitcnt lgkmcnt(0)
	v_bfe_i32 v3, v2, 0, 8
	v_bfe_i32 v4, v2, 8, 8
	v_bfe_i32 v5, v2, 16, 8
	v_ashrrev_i32_e32 v2, 24, v2
	s_delay_alu instid0(VALU_DEP_4) | instskip(NEXT) | instid1(VALU_DEP_4)
	v_add_nc_u32_e32 v3, 0x80, v3
	v_add_nc_u32_e32 v4, 0x80, v4
	s_delay_alu instid0(VALU_DEP_4) | instskip(NEXT) | instid1(VALU_DEP_4)
	v_add_nc_u32_e32 v5, 0x80, v5
	v_add_nc_u32_e32 v2, 0x80, v2
	s_delay_alu instid0(VALU_DEP_4)
	v_and_b32_e32 v6, s85, v3
	v_bfe_u32 v3, v3, s63, 2
	v_and_b32_e32 v7, s85, v4
	v_bfe_u32 v4, v4, s63, 2
	;; [unrolled: 2-line block ×3, first 2 shown]
	v_cmp_eq_u32_e64 s4, s84, v6
	v_cmp_eq_u32_e64 s8, 0, v3
	v_and_b32_e32 v9, s85, v2
	v_bfe_u32 v2, v2, s63, 2
	v_cmp_eq_u32_e64 s5, s84, v7
	v_cmp_eq_u32_e64 s9, 0, v4
	;; [unrolled: 1-line block ×4, first 2 shown]
	s_and_b32 s8, s4, s8
	v_cmp_eq_u32_e64 s7, s84, v9
	v_cmp_eq_u32_e64 s11, 0, v2
	;; [unrolled: 1-line block ×5, first 2 shown]
	v_cndmask_b32_e64 v2, 0, 1, s8
	s_and_b32 s8, s5, s9
	v_cmp_eq_u32_e64 s12, 1, v3
	v_cmp_eq_u32_e64 s16, 2, v3
	v_cmp_eq_u32_e64 s20, 3, v3
	v_cndmask_b32_e64 v3, 0, 1, s8
	s_and_b32 s8, s6, s10
	v_cmp_eq_u32_e64 s13, 1, v4
	v_cmp_eq_u32_e64 s17, 2, v4
	v_cmp_eq_u32_e64 s21, 3, v4
	;; [unrolled: 5-line block ×3, first 2 shown]
	v_cndmask_b32_e64 v5, 0, 1, s8
	v_cmp_ne_u32_e64 s8, 0, v2
	v_cmp_ne_u32_e64 s9, 0, v3
	;; [unrolled: 1-line block ×3, first 2 shown]
	s_delay_alu instid0(VALU_DEP_4) | instskip(NEXT) | instid1(VALU_DEP_4)
	v_cmp_ne_u32_e64 s11, 0, v5
	s_bcnt1_i32_b32 s8, s8
	s_delay_alu instid0(VALU_DEP_3) | instskip(NEXT) | instid1(VALU_DEP_2)
	s_bcnt1_i32_b32 s9, s9
	s_bcnt1_i32_b32 s10, s10
	s_add_i32 s8, s9, s8
	s_bcnt1_i32_b32 s11, s11
	s_add_i32 s8, s8, s10
	s_delay_alu instid0(SALU_CYCLE_1) | instskip(NEXT) | instid1(SALU_CYCLE_1)
	s_add_i32 s8, s8, s11
	s_add_u32 s60, s60, s8
	s_addc_u32 s61, s61, 0
	s_and_b32 s8, s4, s12
	v_add_nc_u32_e32 v25, s46, v25
	v_cndmask_b32_e64 v2, 0, 1, s8
	s_and_b32 s8, s5, s13
	s_delay_alu instid0(SALU_CYCLE_1) | instskip(SKIP_1) | instid1(SALU_CYCLE_1)
	v_cndmask_b32_e64 v3, 0, 1, s8
	s_and_b32 s8, s6, s14
	v_cndmask_b32_e64 v4, 0, 1, s8
	s_and_b32 s8, s7, s15
	s_delay_alu instid0(VALU_DEP_2) | instskip(SKIP_3) | instid1(VALU_DEP_4)
	v_cmp_ne_u32_e64 s9, 0, v3
	v_cndmask_b32_e64 v5, 0, 1, s8
	v_cmp_ne_u32_e64 s8, 0, v2
	v_cmp_ne_u32_e64 s10, 0, v4
	s_bcnt1_i32_b32 s9, s9
	s_delay_alu instid0(VALU_DEP_3) | instskip(NEXT) | instid1(VALU_DEP_3)
	v_cmp_ne_u32_e64 s11, 0, v5
	s_bcnt1_i32_b32 s8, s8
	s_delay_alu instid0(VALU_DEP_2) | instskip(SKIP_1) | instid1(VALU_DEP_1)
	s_bcnt1_i32_b32 s10, s10
	s_add_i32 s8, s9, s8
	s_bcnt1_i32_b32 s11, s11
	s_add_i32 s8, s8, s10
	s_delay_alu instid0(SALU_CYCLE_1) | instskip(NEXT) | instid1(SALU_CYCLE_1)
	s_add_i32 s8, s8, s11
	s_add_u32 s58, s58, s8
	s_addc_u32 s59, s59, 0
	s_and_b32 s8, s4, s16
	s_delay_alu instid0(SALU_CYCLE_1) | instskip(SKIP_1) | instid1(SALU_CYCLE_1)
	v_cndmask_b32_e64 v2, 0, 1, s8
	s_and_b32 s8, s5, s17
	v_cndmask_b32_e64 v3, 0, 1, s8
	s_and_b32 s8, s6, s18
	s_delay_alu instid0(SALU_CYCLE_1) | instskip(SKIP_1) | instid1(VALU_DEP_2)
	v_cndmask_b32_e64 v4, 0, 1, s8
	s_and_b32 s8, s7, s19
	v_cmp_ne_u32_e64 s9, 0, v3
	v_cndmask_b32_e64 v5, 0, 1, s8
	v_cmp_ne_u32_e64 s8, 0, v2
	v_cmp_ne_u32_e64 s10, 0, v4
	s_delay_alu instid0(VALU_DEP_4) | instskip(NEXT) | instid1(VALU_DEP_3)
	s_bcnt1_i32_b32 s9, s9
	v_cmp_ne_u32_e64 s11, 0, v5
	s_delay_alu instid0(VALU_DEP_3) | instskip(NEXT) | instid1(VALU_DEP_2)
	s_bcnt1_i32_b32 s8, s8
	s_bcnt1_i32_b32 s10, s10
	s_add_i32 s8, s9, s8
	s_delay_alu instid0(VALU_DEP_1) | instskip(SKIP_1) | instid1(SALU_CYCLE_1)
	s_bcnt1_i32_b32 s11, s11
	s_add_i32 s8, s8, s10
	s_add_i32 s8, s8, s11
	s_delay_alu instid0(SALU_CYCLE_1)
	s_add_u32 s56, s56, s8
	s_addc_u32 s57, s57, 0
	s_and_b32 s4, s4, s20
	v_mov_b32_e32 v6, s56
	v_cndmask_b32_e64 v2, 0, 1, s4
	s_and_b32 s4, s5, s21
	v_mov_b32_e32 v7, s57
	v_cndmask_b32_e64 v3, 0, 1, s4
	s_and_b32 s4, s6, s22
	s_delay_alu instid0(SALU_CYCLE_1) | instskip(SKIP_1) | instid1(VALU_DEP_2)
	v_cndmask_b32_e64 v4, 0, 1, s4
	s_and_b32 s4, s7, s23
	v_cmp_ne_u32_e64 s5, 0, v3
	v_cndmask_b32_e64 v5, 0, 1, s4
	v_cmp_ne_u32_e64 s4, 0, v2
	v_mov_b32_e32 v2, s60
	v_cmp_ne_u32_e64 s6, 0, v4
	s_bcnt1_i32_b32 s5, s5
	v_cmp_ne_u32_e64 s7, 0, v5
	s_bcnt1_i32_b32 s4, s4
	v_mov_b32_e32 v4, s58
	s_bcnt1_i32_b32 s6, s6
	s_add_i32 s4, s5, s4
	s_bcnt1_i32_b32 s5, s7
	s_add_i32 s4, s4, s6
	v_mov_b32_e32 v3, s61
	s_add_i32 s4, s4, s5
	v_mov_b32_e32 v5, s59
	s_add_u32 s54, s54, s4
	s_addc_u32 s55, s55, 0
	s_delay_alu instid0(SALU_CYCLE_1) | instskip(SKIP_1) | instid1(SALU_CYCLE_1)
	v_dual_mov_b32 v8, s54 :: v_dual_mov_b32 v9, s55
	s_or_b32 s62, vcc_lo, s62
	s_and_not1_b32 exec_lo, exec_lo, s62
	s_cbranch_execnz .LBB84_62
; %bb.63:                               ;   in Loop: Header=BB84_12 Depth=1
	s_or_b32 exec_lo, exec_lo, s62
.LBB84_64:                              ;   in Loop: Header=BB84_12 Depth=1
	s_delay_alu instid0(SALU_CYCLE_1) | instskip(SKIP_3) | instid1(VALU_DEP_1)
	s_or_b32 exec_lo, exec_lo, s53
	v_and_b32_e32 v25, 0xffff, v12
	v_add_nc_u32_e32 v12, s44, v0
	s_mov_b32 s9, exec_lo
	v_cmpx_gt_u32_e64 s52, v12
	s_cbranch_execz .LBB84_68
; %bb.65:                               ;   in Loop: Header=BB84_12 Depth=1
	v_mov_b32_e32 v24, v13
	v_dual_mov_b32 v23, v12 :: v_dual_add_nc_u32 v26, s44, v0
	s_mov_b32 s11, 0
	s_and_b32 s10, s52, 0x7fffffff
	s_and_b32 s13, s75, 0xfe
	s_mov_b32 s12, s11
.LBB84_66:                              ;   Parent Loop BB84_12 Depth=1
                                        ; =>  This Inner Loop Header: Depth=2
	ds_load_i8 v12, v26
	v_add_co_u32 v23, vcc_lo, v23, v25
	v_add_co_ci_u32_e32 v24, vcc_lo, 0, v24, vcc_lo
	v_add_nc_u32_e32 v26, v26, v25
	s_delay_alu instid0(VALU_DEP_2) | instskip(SKIP_2) | instid1(VALU_DEP_1)
	v_cmp_le_u64_e32 vcc_lo, s[10:11], v[23:24]
	s_waitcnt lgkmcnt(0)
	v_add_nc_u32_e32 v12, 0x80, v12
	v_and_b32_e32 v33, s85, v12
	v_bfe_u32 v12, v12, s13, 2
	s_delay_alu instid0(VALU_DEP_2) | instskip(NEXT) | instid1(VALU_DEP_2)
	v_cmp_eq_u32_e64 s4, s84, v33
	v_cmp_eq_u32_e64 s5, 0, v12
	;; [unrolled: 1-line block ×5, first 2 shown]
	s_delay_alu instid0(VALU_DEP_4) | instskip(NEXT) | instid1(SALU_CYCLE_1)
	s_and_b32 s5, s4, s5
	v_cndmask_b32_e64 v12, 0, 1, s5
	s_and_b32 s5, s4, s6
	s_delay_alu instid0(SALU_CYCLE_1)
	v_cndmask_b32_e64 v33, 0, 1, s5
	s_and_b32 s5, s4, s7
	s_and_b32 s4, s4, s8
	v_cndmask_b32_e64 v34, 0, 1, s5
	v_cndmask_b32_e64 v35, 0, 1, s4
	v_cmp_ne_u32_e64 s4, 0, v12
	v_cmp_ne_u32_e64 s5, 0, v33
	s_delay_alu instid0(VALU_DEP_4) | instskip(NEXT) | instid1(VALU_DEP_4)
	v_cmp_ne_u32_e64 s6, 0, v34
	v_cmp_ne_u32_e64 s7, 0, v35
	s_delay_alu instid0(VALU_DEP_4) | instskip(NEXT) | instid1(VALU_DEP_3)
	s_bcnt1_i32_b32 s4, s4
	s_bcnt1_i32_b32 s5, s5
	v_add_co_u32 v2, s4, v2, s4
	s_delay_alu instid0(VALU_DEP_1)
	v_add_co_ci_u32_e64 v3, s4, 0, v3, s4
	v_add_co_u32 v4, s4, v4, s5
	s_bcnt1_i32_b32 s6, s6
	v_add_co_ci_u32_e64 v5, s4, 0, v5, s4
	v_add_co_u32 v6, s4, v6, s6
	s_bcnt1_i32_b32 s7, s7
	v_add_co_ci_u32_e64 v7, s4, 0, v7, s4
	v_add_co_u32 v8, s4, v8, s7
	s_delay_alu instid0(VALU_DEP_1) | instskip(SKIP_1) | instid1(SALU_CYCLE_1)
	v_add_co_ci_u32_e64 v9, s4, 0, v9, s4
	s_or_b32 s12, vcc_lo, s12
	s_and_not1_b32 exec_lo, exec_lo, s12
	s_cbranch_execnz .LBB84_66
; %bb.67:                               ;   in Loop: Header=BB84_12 Depth=1
	s_or_b32 exec_lo, exec_lo, s12
.LBB84_68:                              ;   in Loop: Header=BB84_12 Depth=1
	s_delay_alu instid0(SALU_CYCLE_1)
	s_or_b32 exec_lo, exec_lo, s9
.LBB84_69:                              ;   in Loop: Header=BB84_12 Depth=1
	s_lshl_b32 s4, s82, 7
	s_and_saveexec_b32 s5, s1
	s_cbranch_execz .LBB84_71
; %bb.70:                               ;   in Loop: Header=BB84_12 Depth=1
	v_or_b32_e32 v12, s4, v28
	s_delay_alu instid0(VALU_DEP_1)
	v_lshlrev_b32_e32 v12, 3, v12
	ds_store_b128 v12, v[2:5] offset:3072
	ds_store_b128 v12, v[6:9] offset:3088
.LBB84_71:                              ;   in Loop: Header=BB84_12 Depth=1
	s_or_b32 exec_lo, exec_lo, s5
	s_waitcnt vmcnt(0) lgkmcnt(0)
	s_barrier
	buffer_gl0_inv
	s_and_saveexec_b32 s5, s65
	s_cbranch_execz .LBB84_82
; %bb.72:                               ;   in Loop: Header=BB84_12 Depth=1
	v_mov_b32_e32 v2, 0
	v_mov_b32_e32 v3, 0
	s_and_not1_b32 vcc_lo, exec_lo, s67
	s_cbranch_vccnz .LBB84_81
; %bb.73:                               ;   in Loop: Header=BB84_12 Depth=1
	v_mov_b32_e32 v2, 0
	v_mov_b32_e32 v3, 0
	s_and_not1_b32 vcc_lo, exec_lo, s72
	s_cbranch_vccnz .LBB84_78
; %bb.74:                               ;   in Loop: Header=BB84_12 Depth=1
	v_lshl_add_u32 v4, s82, 10, v31
	s_mov_b32 s6, 0
	s_set_inst_prefetch_distance 0x1
	.p2align	6
.LBB84_75:                              ;   Parent Loop BB84_12 Depth=1
                                        ; =>  This Inner Loop Header: Depth=2
	ds_load_2addr_b64 v[5:8], v4 offset1:4
	ds_load_2addr_b64 v[23:26], v4 offset0:8 offset1:12
	ds_load_2addr_b64 v[33:36], v4 offset0:16 offset1:20
	s_add_i32 s6, s6, 8
	s_delay_alu instid0(SALU_CYCLE_1) | instskip(SKIP_3) | instid1(VALU_DEP_2)
	s_cmp_eq_u32 s73, s6
	s_waitcnt lgkmcnt(2)
	v_add_co_u32 v2, vcc_lo, v5, v2
	v_add_co_ci_u32_e32 v3, vcc_lo, v6, v3, vcc_lo
	v_add_co_u32 v2, vcc_lo, v7, v2
	s_delay_alu instid0(VALU_DEP_2)
	v_add_co_ci_u32_e32 v3, vcc_lo, v8, v3, vcc_lo
	ds_load_2addr_b64 v[5:8], v4 offset0:24 offset1:28
	s_waitcnt lgkmcnt(2)
	v_add_co_u32 v2, vcc_lo, v23, v2
	v_add_co_ci_u32_e32 v3, vcc_lo, v24, v3, vcc_lo
	v_add_nc_u32_e32 v4, 0x100, v4
	s_delay_alu instid0(VALU_DEP_3) | instskip(NEXT) | instid1(VALU_DEP_3)
	v_add_co_u32 v2, vcc_lo, v25, v2
	v_add_co_ci_u32_e32 v3, vcc_lo, v26, v3, vcc_lo
	s_waitcnt lgkmcnt(1)
	s_delay_alu instid0(VALU_DEP_2) | instskip(NEXT) | instid1(VALU_DEP_2)
	v_add_co_u32 v2, vcc_lo, v33, v2
	v_add_co_ci_u32_e32 v3, vcc_lo, v34, v3, vcc_lo
	s_delay_alu instid0(VALU_DEP_2) | instskip(NEXT) | instid1(VALU_DEP_2)
	v_add_co_u32 v2, vcc_lo, v35, v2
	v_add_co_ci_u32_e32 v3, vcc_lo, v36, v3, vcc_lo
	s_waitcnt lgkmcnt(0)
	s_delay_alu instid0(VALU_DEP_2) | instskip(NEXT) | instid1(VALU_DEP_2)
	v_add_co_u32 v2, vcc_lo, v5, v2
	v_add_co_ci_u32_e32 v3, vcc_lo, v6, v3, vcc_lo
	s_delay_alu instid0(VALU_DEP_2) | instskip(NEXT) | instid1(VALU_DEP_2)
	v_add_co_u32 v2, vcc_lo, v7, v2
	v_add_co_ci_u32_e32 v3, vcc_lo, v8, v3, vcc_lo
	s_cbranch_scc0 .LBB84_75
; %bb.76:                               ;   in Loop: Header=BB84_12 Depth=1
	s_set_inst_prefetch_distance 0x2
	s_mov_b32 s6, s73
	s_and_not1_b32 vcc_lo, exec_lo, s74
	s_cbranch_vccz .LBB84_79
	s_branch .LBB84_81
.LBB84_77:                              ;   in Loop: Header=BB84_12 Depth=1
                                        ; implicit-def: $vgpr2_vgpr3
	s_branch .LBB84_45
.LBB84_78:                              ;   in Loop: Header=BB84_12 Depth=1
	s_mov_b32 s6, 0
	s_and_not1_b32 vcc_lo, exec_lo, s74
	s_cbranch_vccnz .LBB84_81
.LBB84_79:                              ;   in Loop: Header=BB84_12 Depth=1
	s_lshl_b32 s7, s82, 10
	s_lshl_b32 s6, s6, 5
	s_delay_alu instid0(SALU_CYCLE_1)
	v_add3_u32 v4, s7, s6, v31
	s_mov_b32 s6, s71
.LBB84_80:                              ;   Parent Loop BB84_12 Depth=1
                                        ; =>  This Inner Loop Header: Depth=2
	ds_load_b64 v[5:6], v4
	v_add_nc_u32_e32 v4, 32, v4
	s_add_i32 s6, s6, -1
	s_delay_alu instid0(SALU_CYCLE_1)
	s_cmp_lg_u32 s6, 0
	s_waitcnt lgkmcnt(0)
	v_add_co_u32 v2, vcc_lo, v5, v2
	v_add_co_ci_u32_e32 v3, vcc_lo, v6, v3, vcc_lo
	s_cbranch_scc1 .LBB84_80
.LBB84_81:                              ;   in Loop: Header=BB84_12 Depth=1
	v_add_lshl_u32 v4, s4, v27, 3
	ds_store_b64 v4, v[2:3] offset:3072
.LBB84_82:                              ;   in Loop: Header=BB84_12 Depth=1
	s_or_b32 exec_lo, exec_lo, s5
	s_lshl_b32 s4, s4, 3
	s_waitcnt lgkmcnt(0)
	v_mov_b32_e32 v6, s4
	s_barrier
	buffer_gl0_inv
	s_and_b32 s17, s75, 0xfe
	s_mov_b32 s19, -1
	ds_load_b128 v[2:5], v6 offset:3072
	ds_load_b128 v[6:9], v6 offset:3088
	s_lshl_b32 s16, 3, s17
	s_delay_alu instid0(SALU_CYCLE_1)
	s_not_b32 s18, s16
	s_waitcnt lgkmcnt(1)
	v_readfirstlane_b32 s13, v3
	v_readfirstlane_b32 s12, v2
	;; [unrolled: 1-line block ×4, first 2 shown]
	s_waitcnt lgkmcnt(0)
	v_readfirstlane_b32 s8, v6
	v_readfirstlane_b32 s9, v7
	s_cmp_eq_u64 s[12:13], 1
	v_readfirstlane_b32 s6, v8
	s_cselect_b32 s4, -1, 0
	s_cmp_eq_u64 s[40:41], 1
	v_readfirstlane_b32 s7, v9
	s_cselect_b32 s5, -1, 0
	s_delay_alu instid0(SALU_CYCLE_1) | instskip(NEXT) | instid1(SALU_CYCLE_1)
	s_and_b32 s20, s4, s5
	s_and_b32 vcc_lo, exec_lo, s20
	s_cbranch_vccz .LBB84_97
; %bb.83:                               ;   in Loop: Header=BB84_12 Depth=1
	ds_load_b64 v[2:3], v13 offset:5120
	s_waitcnt lgkmcnt(0)
	s_barrier
	buffer_gl0_inv
	v_readfirstlane_b32 s14, v2
	v_readfirstlane_b32 s15, v3
	s_and_saveexec_b32 s4, s3
	s_cbranch_execz .LBB84_85
; %bb.84:                               ;   in Loop: Header=BB84_12 Depth=1
	ds_store_b8 v0, v13 offset:3072
.LBB84_85:                              ;   in Loop: Header=BB84_12 Depth=1
	s_or_b32 exec_lo, exec_lo, s4
	s_and_b32 s84, s84, s18
	s_or_b32 s85, s85, s16
	s_cmp_eq_u64 s[14:15], 0
	s_waitcnt lgkmcnt(0)
	s_barrier
	buffer_gl0_inv
	s_cbranch_scc1 .LBB84_98
; %bb.86:                               ;   in Loop: Header=BB84_12 Depth=1
	s_add_u32 s21, s68, s14
	s_addc_u32 s5, s69, s15
	s_mov_b32 s4, s45
	s_delay_alu instid0(SALU_CYCLE_1)
	s_cmp_lg_u64 s[4:5], 0
	s_cbranch_scc0 .LBB84_143
; %bb.87:                               ;   in Loop: Header=BB84_12 Depth=1
	v_cvt_f32_u32_e32 v2, s29
	s_sub_u32 s23, 0, s29
	s_subb_u32 s44, 0, 0
	s_delay_alu instid0(VALU_DEP_1) | instskip(NEXT) | instid1(VALU_DEP_1)
	v_fmac_f32_e64 v2, 0, 0x4f800000
	v_rcp_f32_e32 v2, v2
	s_waitcnt_depctr 0xfff
	v_mul_f32_e32 v2, 0x5f7ffffc, v2
	s_delay_alu instid0(VALU_DEP_1) | instskip(NEXT) | instid1(VALU_DEP_1)
	v_mul_f32_e32 v3, 0x2f800000, v2
	v_trunc_f32_e32 v3, v3
	s_delay_alu instid0(VALU_DEP_1) | instskip(SKIP_1) | instid1(VALU_DEP_2)
	v_fmac_f32_e32 v2, 0xcf800000, v3
	v_cvt_u32_f32_e32 v3, v3
	v_cvt_u32_f32_e32 v2, v2
	s_delay_alu instid0(VALU_DEP_2) | instskip(NEXT) | instid1(VALU_DEP_2)
	v_readfirstlane_b32 s4, v3
	v_readfirstlane_b32 s22, v2
	s_delay_alu instid0(VALU_DEP_2) | instskip(NEXT) | instid1(VALU_DEP_1)
	s_mul_i32 s46, s23, s4
	s_mul_hi_u32 s53, s23, s22
	s_mul_i32 s52, s44, s22
	s_add_i32 s46, s53, s46
	s_mul_i32 s54, s23, s22
	s_add_i32 s46, s46, s52
	s_mul_hi_u32 s53, s22, s54
	s_mul_hi_u32 s55, s4, s54
	s_mul_i32 s52, s4, s54
	s_mul_hi_u32 s54, s22, s46
	s_mul_i32 s22, s22, s46
	s_mul_hi_u32 s56, s4, s46
	s_add_u32 s22, s53, s22
	s_addc_u32 s53, 0, s54
	s_add_u32 s22, s22, s52
	s_mul_i32 s46, s4, s46
	s_addc_u32 s22, s53, s55
	s_addc_u32 s52, s56, 0
	s_add_u32 s22, s22, s46
	s_addc_u32 s46, 0, s52
	v_add_co_u32 v2, s22, v2, s22
	s_delay_alu instid0(VALU_DEP_1) | instskip(SKIP_1) | instid1(VALU_DEP_1)
	s_cmp_lg_u32 s22, 0
	s_addc_u32 s4, s4, s46
	v_readfirstlane_b32 s22, v2
	s_mul_i32 s46, s23, s4
	s_delay_alu instid0(VALU_DEP_1)
	s_mul_hi_u32 s52, s23, s22
	s_mul_i32 s44, s44, s22
	s_add_i32 s46, s52, s46
	s_mul_i32 s23, s23, s22
	s_add_i32 s46, s46, s44
	s_mul_hi_u32 s52, s4, s23
	s_mul_i32 s53, s4, s23
	s_mul_hi_u32 s23, s22, s23
	s_mul_hi_u32 s54, s22, s46
	s_mul_i32 s22, s22, s46
	s_mul_hi_u32 s44, s4, s46
	s_add_u32 s22, s23, s22
	s_addc_u32 s23, 0, s54
	s_add_u32 s22, s22, s53
	s_mul_i32 s46, s4, s46
	s_addc_u32 s22, s23, s52
	s_addc_u32 s23, s44, 0
	s_add_u32 s22, s22, s46
	s_addc_u32 s23, 0, s23
	v_add_co_u32 v2, s22, v2, s22
	s_delay_alu instid0(VALU_DEP_1) | instskip(SKIP_1) | instid1(VALU_DEP_1)
	s_cmp_lg_u32 s22, 0
	s_addc_u32 s4, s4, s23
	v_readfirstlane_b32 s22, v2
	s_mul_i32 s44, s21, s4
	s_mul_hi_u32 s23, s21, s4
	s_mul_hi_u32 s46, s5, s4
	s_mul_i32 s4, s5, s4
	s_mul_hi_u32 s52, s21, s22
	s_mul_hi_u32 s53, s5, s22
	s_mul_i32 s22, s5, s22
	s_add_u32 s44, s52, s44
	s_addc_u32 s23, 0, s23
	s_add_u32 s22, s44, s22
	s_addc_u32 s22, s23, s53
	s_addc_u32 s23, s46, 0
	s_add_u32 s4, s22, s4
	s_addc_u32 s22, 0, s23
	s_mul_hi_u32 s23, s29, s4
	s_mul_i32 s4, s29, s4
	s_mul_i32 s22, s29, s22
	v_sub_co_u32 v2, s4, s21, s4
	s_add_i32 s23, s23, s22
	s_cmp_lg_u32 s4, 0
	s_delay_alu instid0(VALU_DEP_1) | instskip(SKIP_2) | instid1(VALU_DEP_1)
	v_sub_co_u32 v3, s4, v2, s29
	s_subb_u32 s22, s5, s23
	s_cmp_lg_u32 s4, 0
	v_cmp_le_u32_e32 vcc_lo, s29, v3
	v_sub_co_u32 v4, s4, v3, s29
	s_subb_u32 s23, s22, 0
	s_cmp_lg_u32 s4, 0
	v_cndmask_b32_e64 v5, 0, -1, vcc_lo
	s_subb_u32 s4, s23, 0
	s_cmp_eq_u32 s23, 0
	v_mov_b32_e32 v7, s4
	s_cselect_b32 vcc_lo, -1, 0
	s_cmp_eq_u32 s22, 0
	v_cndmask_b32_e32 v5, -1, v5, vcc_lo
	v_cmp_le_u32_e32 vcc_lo, s29, v2
	s_cselect_b32 s4, -1, 0
	v_cndmask_b32_e64 v6, 0, -1, vcc_lo
	s_delay_alu instid0(VALU_DEP_3) | instskip(NEXT) | instid1(VALU_DEP_2)
	v_cmp_ne_u32_e32 vcc_lo, 0, v5
	v_cndmask_b32_e64 v5, -1, v6, s4
	v_cndmask_b32_e32 v6, s23, v7, vcc_lo
	v_cndmask_b32_e32 v4, v3, v4, vcc_lo
	s_delay_alu instid0(VALU_DEP_3) | instskip(NEXT) | instid1(VALU_DEP_3)
	v_cmp_ne_u32_e32 vcc_lo, 0, v5
	v_cndmask_b32_e32 v3, s22, v6, vcc_lo
	s_delay_alu instid0(VALU_DEP_3)
	v_cndmask_b32_e32 v2, v2, v4, vcc_lo
	s_cbranch_execnz .LBB84_89
.LBB84_88:                              ;   in Loop: Header=BB84_12 Depth=1
	v_cvt_f32_u32_e32 v2, s29
	s_sub_i32 s4, 0, s29
	s_delay_alu instid0(VALU_DEP_1) | instskip(SKIP_2) | instid1(VALU_DEP_1)
	v_rcp_iflag_f32_e32 v2, v2
	s_waitcnt_depctr 0xfff
	v_mul_f32_e32 v2, 0x4f7ffffe, v2
	v_cvt_u32_f32_e32 v2, v2
	s_delay_alu instid0(VALU_DEP_1) | instskip(NEXT) | instid1(VALU_DEP_1)
	v_mul_lo_u32 v3, s4, v2
	v_mul_hi_u32 v3, v2, v3
	s_delay_alu instid0(VALU_DEP_1) | instskip(NEXT) | instid1(VALU_DEP_1)
	v_add_nc_u32_e32 v2, v2, v3
	v_mul_hi_u32 v2, s21, v2
	s_delay_alu instid0(VALU_DEP_1) | instskip(NEXT) | instid1(VALU_DEP_1)
	v_mul_lo_u32 v2, v2, s29
	v_sub_nc_u32_e32 v2, s21, v2
	s_delay_alu instid0(VALU_DEP_1) | instskip(SKIP_1) | instid1(VALU_DEP_2)
	v_subrev_nc_u32_e32 v3, s29, v2
	v_cmp_le_u32_e32 vcc_lo, s29, v2
	v_cndmask_b32_e32 v2, v2, v3, vcc_lo
	s_delay_alu instid0(VALU_DEP_1) | instskip(SKIP_1) | instid1(VALU_DEP_2)
	v_subrev_nc_u32_e32 v3, s29, v2
	v_cmp_le_u32_e32 vcc_lo, s29, v2
	v_cndmask_b32_e32 v12, v2, v3, vcc_lo
	s_delay_alu instid0(VALU_DEP_1)
	v_dual_mov_b32 v2, v12 :: v_dual_mov_b32 v3, v13
.LBB84_89:                              ;   in Loop: Header=BB84_12 Depth=1
	s_delay_alu instid0(VALU_DEP_1) | instskip(NEXT) | instid1(VALU_DEP_2)
	v_sub_co_u32 v2, vcc_lo, s21, v2
	v_sub_co_ci_u32_e32 v3, vcc_lo, s5, v3, vcc_lo
	s_mov_b32 s4, 0
	s_mov_b32 s5, exec_lo
                                        ; implicit-def: $vgpr32
	s_delay_alu instid0(VALU_DEP_1)
	v_cmpx_gt_u64_e64 v[2:3], v[0:1]
	s_cbranch_execz .LBB84_100
; %bb.90:                               ;   in Loop: Header=BB84_12 Depth=1
	v_dual_mov_b32 v6, v0 :: v_dual_mov_b32 v5, v1
	v_mov_b32_e32 v4, v0
	s_mov_b32 s21, 0
                                        ; implicit-def: $sgpr22
	s_set_inst_prefetch_distance 0x1
	s_branch .LBB84_92
	.p2align	6
.LBB84_91:                              ;   in Loop: Header=BB84_92 Depth=2
	s_or_b32 exec_lo, exec_lo, s4
	s_waitcnt lgkmcnt(0)
	s_barrier
	buffer_gl0_inv
	ds_load_u16 v7, v13 offset:3072
	v_add_co_u32 v4, vcc_lo, v4, s29
	v_add_co_ci_u32_e32 v5, vcc_lo, 0, v5, vcc_lo
	v_add_nc_u32_e32 v6, s29, v6
	s_waitcnt lgkmcnt(0)
	s_barrier
	s_delay_alu instid0(VALU_DEP_2) | instskip(SKIP_2) | instid1(VALU_DEP_1)
	v_cmp_ge_u64_e32 vcc_lo, v[4:5], v[2:3]
	buffer_gl0_inv
	v_and_b32_e32 v8, 0xff, v7
	v_cmp_ne_u16_e64 s4, 0, v8
	s_delay_alu instid0(VALU_DEP_1) | instskip(NEXT) | instid1(SALU_CYCLE_1)
	s_or_b32 s23, vcc_lo, s4
	s_and_b32 s23, exec_lo, s23
	s_delay_alu instid0(SALU_CYCLE_1) | instskip(SKIP_2) | instid1(SALU_CYCLE_1)
	s_or_b32 s21, s23, s21
	s_and_not1_b32 s22, s22, exec_lo
	s_and_b32 s4, s4, exec_lo
	s_or_b32 s22, s22, s4
	s_and_not1_b32 exec_lo, exec_lo, s21
	s_cbranch_execz .LBB84_99
.LBB84_92:                              ;   Parent Loop BB84_12 Depth=1
                                        ; =>  This Inner Loop Header: Depth=2
	s_delay_alu instid0(VALU_DEP_1)
	v_cmp_gt_u64_e32 vcc_lo, s[14:15], v[4:5]
	v_mov_b32_e32 v7, 0
	s_and_saveexec_b32 s4, vcc_lo
	s_cbranch_execz .LBB84_94
; %bb.93:                               ;   in Loop: Header=BB84_92 Depth=2
	ds_load_u8 v7, v6
.LBB84_94:                              ;   in Loop: Header=BB84_92 Depth=2
	s_or_b32 exec_lo, exec_lo, s4
	s_and_saveexec_b32 s4, vcc_lo
	s_cbranch_execz .LBB84_91
; %bb.95:                               ;   in Loop: Header=BB84_92 Depth=2
	s_waitcnt lgkmcnt(0)
	v_bfe_i32 v8, v7, 0, 8
	s_delay_alu instid0(VALU_DEP_1) | instskip(NEXT) | instid1(VALU_DEP_1)
	v_add_nc_u32_e32 v8, 0x80, v8
	v_and_b32_e32 v8, s85, v8
	s_delay_alu instid0(VALU_DEP_1)
	v_cmp_eq_u32_e32 vcc_lo, s84, v8
	s_and_b32 exec_lo, exec_lo, vcc_lo
	s_cbranch_execz .LBB84_91
; %bb.96:                               ;   in Loop: Header=BB84_92 Depth=2
	v_lshlrev_b16 v7, 8, v7
	s_delay_alu instid0(VALU_DEP_1)
	v_or_b32_e32 v7, 1, v7
	ds_store_b16 v13, v7 offset:3072
	s_branch .LBB84_91
.LBB84_97:                              ;   in Loop: Header=BB84_12 Depth=1
	s_mov_b32 s4, -1
                                        ; implicit-def: $sgpr5
                                        ; implicit-def: $sgpr15
                                        ; implicit-def: $sgpr14
	s_branch .LBB84_114
.LBB84_98:                              ;   in Loop: Header=BB84_12 Depth=1
	s_mov_b32 s5, -1
	s_mov_b32 s4, 0
                                        ; implicit-def: $sgpr14
                                        ; implicit-def: $vgpr32
	s_mov_b32 s15, s5
	s_cbranch_execnz .LBB84_101
	s_branch .LBB84_114
.LBB84_99:                              ;   in Loop: Header=BB84_12 Depth=1
	s_set_inst_prefetch_distance 0x2
	s_or_b32 exec_lo, exec_lo, s21
	v_lshrrev_b16 v32, 8, v7
	s_and_b32 s4, s22, exec_lo
.LBB84_100:                             ;   in Loop: Header=BB84_12 Depth=1
	s_or_b32 exec_lo, exec_lo, s5
	s_mov_b32 s14, -1
	s_mov_b32 s5, 0
	s_delay_alu instid0(SALU_CYCLE_1)
	s_mov_b32 s15, s5
	s_branch .LBB84_114
.LBB84_101:                             ;   in Loop: Header=BB84_12 Depth=1
	s_mov_b32 s46, s45
	s_delay_alu instid0(SALU_CYCLE_1)
	s_cmp_lg_u64 s[46:47], 0
	s_cbranch_scc0 .LBB84_144
; %bb.102:                              ;   in Loop: Header=BB84_12 Depth=1
	v_cvt_f32_u32_e32 v2, s29
	s_sub_u32 s14, 0, s29
	s_subb_u32 s15, 0, 0
	s_delay_alu instid0(VALU_DEP_1) | instskip(NEXT) | instid1(VALU_DEP_1)
	v_fmac_f32_e64 v2, 0, 0x4f800000
	v_rcp_f32_e32 v2, v2
	s_waitcnt_depctr 0xfff
	v_mul_f32_e32 v2, 0x5f7ffffc, v2
	s_delay_alu instid0(VALU_DEP_1) | instskip(NEXT) | instid1(VALU_DEP_1)
	v_mul_f32_e32 v3, 0x2f800000, v2
	v_trunc_f32_e32 v3, v3
	s_delay_alu instid0(VALU_DEP_1) | instskip(SKIP_1) | instid1(VALU_DEP_2)
	v_fmac_f32_e32 v2, 0xcf800000, v3
	v_cvt_u32_f32_e32 v3, v3
	v_cvt_u32_f32_e32 v2, v2
	s_delay_alu instid0(VALU_DEP_2) | instskip(NEXT) | instid1(VALU_DEP_2)
	v_readfirstlane_b32 s4, v3
	v_readfirstlane_b32 s5, v2
	s_delay_alu instid0(VALU_DEP_2) | instskip(NEXT) | instid1(VALU_DEP_1)
	s_mul_i32 s21, s14, s4
	s_mul_hi_u32 s23, s14, s5
	s_mul_i32 s22, s15, s5
	s_add_i32 s21, s23, s21
	s_mul_i32 s44, s14, s5
	s_add_i32 s21, s21, s22
	s_mul_hi_u32 s23, s5, s44
	s_mul_hi_u32 s46, s4, s44
	s_mul_i32 s22, s4, s44
	s_mul_hi_u32 s44, s5, s21
	s_mul_i32 s5, s5, s21
	s_mul_hi_u32 s52, s4, s21
	s_add_u32 s5, s23, s5
	s_addc_u32 s23, 0, s44
	s_add_u32 s5, s5, s22
	s_mul_i32 s21, s4, s21
	s_addc_u32 s5, s23, s46
	s_addc_u32 s22, s52, 0
	s_add_u32 s5, s5, s21
	s_addc_u32 s21, 0, s22
	v_add_co_u32 v2, s5, v2, s5
	s_delay_alu instid0(VALU_DEP_1) | instskip(SKIP_1) | instid1(VALU_DEP_1)
	s_cmp_lg_u32 s5, 0
	s_addc_u32 s4, s4, s21
	v_readfirstlane_b32 s5, v2
	s_mul_i32 s21, s14, s4
	s_delay_alu instid0(VALU_DEP_1)
	s_mul_hi_u32 s22, s14, s5
	s_mul_i32 s15, s15, s5
	s_add_i32 s21, s22, s21
	s_mul_i32 s14, s14, s5
	s_add_i32 s21, s21, s15
	s_mul_hi_u32 s22, s4, s14
	s_mul_i32 s23, s4, s14
	s_mul_hi_u32 s14, s5, s14
	s_mul_hi_u32 s44, s5, s21
	s_mul_i32 s5, s5, s21
	s_mul_hi_u32 s15, s4, s21
	s_add_u32 s5, s14, s5
	s_addc_u32 s14, 0, s44
	s_add_u32 s5, s5, s23
	s_mul_i32 s21, s4, s21
	s_addc_u32 s5, s14, s22
	s_addc_u32 s14, s15, 0
	s_add_u32 s5, s5, s21
	s_addc_u32 s14, 0, s14
	v_add_co_u32 v2, s5, v2, s5
	s_delay_alu instid0(VALU_DEP_1) | instskip(SKIP_1) | instid1(VALU_DEP_1)
	s_cmp_lg_u32 s5, 0
	s_addc_u32 s4, s4, s14
	v_readfirstlane_b32 s5, v2
	s_mul_i32 s15, s70, s4
	s_mul_hi_u32 s14, s70, s4
	s_mul_hi_u32 s21, s47, s4
	s_mul_i32 s4, s47, s4
	s_mul_hi_u32 s22, s70, s5
	s_mul_hi_u32 s23, s47, s5
	s_mul_i32 s5, s47, s5
	s_add_u32 s15, s22, s15
	s_addc_u32 s14, 0, s14
	s_add_u32 s5, s15, s5
	s_addc_u32 s5, s14, s23
	s_addc_u32 s14, s21, 0
	s_add_u32 s4, s5, s4
	s_addc_u32 s5, 0, s14
	s_mul_hi_u32 s14, s29, s4
	s_mul_i32 s4, s29, s4
	s_mul_i32 s5, s29, s5
	v_sub_co_u32 v2, s4, s70, s4
	s_add_i32 s14, s14, s5
	s_cmp_lg_u32 s4, 0
	s_delay_alu instid0(VALU_DEP_1) | instskip(SKIP_2) | instid1(VALU_DEP_1)
	v_sub_co_u32 v3, s4, v2, s29
	s_subb_u32 s5, s47, s14
	s_cmp_lg_u32 s4, 0
	v_cmp_le_u32_e32 vcc_lo, s29, v3
	v_sub_co_u32 v4, s4, v3, s29
	s_subb_u32 s14, s5, 0
	s_cmp_lg_u32 s4, 0
	v_cndmask_b32_e64 v5, 0, -1, vcc_lo
	s_subb_u32 s4, s14, 0
	s_cmp_eq_u32 s14, 0
	v_mov_b32_e32 v7, s4
	s_cselect_b32 vcc_lo, -1, 0
	s_cmp_eq_u32 s5, 0
	v_cndmask_b32_e32 v5, -1, v5, vcc_lo
	v_cmp_le_u32_e32 vcc_lo, s29, v2
	s_cselect_b32 s4, -1, 0
	v_cndmask_b32_e64 v6, 0, -1, vcc_lo
	s_delay_alu instid0(VALU_DEP_3) | instskip(NEXT) | instid1(VALU_DEP_2)
	v_cmp_ne_u32_e32 vcc_lo, 0, v5
	v_cndmask_b32_e64 v5, -1, v6, s4
	v_cndmask_b32_e32 v6, s14, v7, vcc_lo
	v_cndmask_b32_e32 v4, v3, v4, vcc_lo
	s_delay_alu instid0(VALU_DEP_3) | instskip(NEXT) | instid1(VALU_DEP_3)
	v_cmp_ne_u32_e32 vcc_lo, 0, v5
	v_cndmask_b32_e32 v3, s5, v6, vcc_lo
	s_delay_alu instid0(VALU_DEP_3)
	v_cndmask_b32_e32 v2, v2, v4, vcc_lo
	s_cbranch_execnz .LBB84_104
.LBB84_103:                             ;   in Loop: Header=BB84_12 Depth=1
	v_cvt_f32_u32_e32 v2, s29
	s_sub_i32 s4, 0, s29
	s_delay_alu instid0(VALU_DEP_1) | instskip(SKIP_2) | instid1(VALU_DEP_1)
	v_rcp_iflag_f32_e32 v2, v2
	s_waitcnt_depctr 0xfff
	v_mul_f32_e32 v2, 0x4f7ffffe, v2
	v_cvt_u32_f32_e32 v2, v2
	s_delay_alu instid0(VALU_DEP_1) | instskip(NEXT) | instid1(VALU_DEP_1)
	v_mul_lo_u32 v3, s4, v2
	v_mul_hi_u32 v3, v2, v3
	s_delay_alu instid0(VALU_DEP_1) | instskip(NEXT) | instid1(VALU_DEP_1)
	v_add_nc_u32_e32 v2, v2, v3
	v_mul_hi_u32 v2, s70, v2
	s_delay_alu instid0(VALU_DEP_1) | instskip(NEXT) | instid1(VALU_DEP_1)
	v_mul_lo_u32 v2, v2, s29
	v_sub_nc_u32_e32 v2, s70, v2
	s_delay_alu instid0(VALU_DEP_1) | instskip(SKIP_1) | instid1(VALU_DEP_2)
	v_subrev_nc_u32_e32 v3, s29, v2
	v_cmp_le_u32_e32 vcc_lo, s29, v2
	v_cndmask_b32_e32 v2, v2, v3, vcc_lo
	s_delay_alu instid0(VALU_DEP_1) | instskip(SKIP_1) | instid1(VALU_DEP_2)
	v_subrev_nc_u32_e32 v3, s29, v2
	v_cmp_le_u32_e32 vcc_lo, s29, v2
	v_cndmask_b32_e32 v12, v2, v3, vcc_lo
	s_delay_alu instid0(VALU_DEP_1)
	v_dual_mov_b32 v2, v12 :: v_dual_mov_b32 v3, v13
.LBB84_104:                             ;   in Loop: Header=BB84_12 Depth=1
	s_delay_alu instid0(VALU_DEP_1) | instskip(NEXT) | instid1(VALU_DEP_2)
	v_sub_co_u32 v2, vcc_lo, s70, v2
	v_sub_co_ci_u32_e32 v3, vcc_lo, s47, v3, vcc_lo
	s_mov_b32 s4, 0
	s_mov_b32 s5, exec_lo
                                        ; implicit-def: $vgpr32
	s_delay_alu instid0(VALU_DEP_1)
	v_cmpx_gt_u64_e64 v[2:3], v[0:1]
	s_cbranch_execz .LBB84_113
; %bb.105:                              ;   in Loop: Header=BB84_12 Depth=1
	v_dual_mov_b32 v4, v10 :: v_dual_mov_b32 v5, v11
	v_dual_mov_b32 v7, v1 :: v_dual_mov_b32 v6, v0
	s_mov_b32 s14, 0
                                        ; implicit-def: $sgpr15
	s_set_inst_prefetch_distance 0x1
	s_branch .LBB84_107
	.p2align	6
.LBB84_106:                             ;   in Loop: Header=BB84_107 Depth=2
	s_or_b32 exec_lo, exec_lo, s4
	s_waitcnt vmcnt(0) lgkmcnt(0)
	s_barrier
	buffer_gl0_inv
	ds_load_u16 v8, v13 offset:3072
	v_add_co_u32 v6, vcc_lo, v6, s29
	v_add_co_ci_u32_e32 v7, vcc_lo, 0, v7, vcc_lo
	s_waitcnt lgkmcnt(0)
	s_barrier
	buffer_gl0_inv
	v_cmp_ge_u64_e32 vcc_lo, v[6:7], v[2:3]
	v_and_b32_e32 v9, 0xff, v8
	s_delay_alu instid0(VALU_DEP_1) | instskip(NEXT) | instid1(VALU_DEP_1)
	v_cmp_ne_u16_e64 s4, 0, v9
	s_or_b32 s21, vcc_lo, s4
	v_add_co_u32 v4, vcc_lo, v4, s64
	s_and_b32 s21, exec_lo, s21
	v_add_co_ci_u32_e32 v5, vcc_lo, s33, v5, vcc_lo
	s_or_b32 s14, s21, s14
	s_and_not1_b32 s15, s15, exec_lo
	s_and_b32 s4, s4, exec_lo
	s_delay_alu instid0(SALU_CYCLE_1)
	s_or_b32 s15, s15, s4
	s_and_not1_b32 exec_lo, exec_lo, s14
	s_cbranch_execz .LBB84_112
.LBB84_107:                             ;   Parent Loop BB84_12 Depth=1
                                        ; =>  This Inner Loop Header: Depth=2
	s_delay_alu instid0(VALU_DEP_1)
	v_cmp_gt_u64_e32 vcc_lo, s[24:25], v[6:7]
	v_mov_b32_e32 v8, 0
	s_and_saveexec_b32 s4, vcc_lo
	s_cbranch_execz .LBB84_109
; %bb.108:                              ;   in Loop: Header=BB84_107 Depth=2
	global_load_u8 v8, v[4:5], off
.LBB84_109:                             ;   in Loop: Header=BB84_107 Depth=2
	s_or_b32 exec_lo, exec_lo, s4
	s_and_saveexec_b32 s4, vcc_lo
	s_cbranch_execz .LBB84_106
; %bb.110:                              ;   in Loop: Header=BB84_107 Depth=2
	s_waitcnt vmcnt(0)
	v_bfe_i32 v9, v8, 0, 8
	s_delay_alu instid0(VALU_DEP_1) | instskip(NEXT) | instid1(VALU_DEP_1)
	v_add_nc_u32_e32 v9, 0x80, v9
	v_and_b32_e32 v9, s85, v9
	s_delay_alu instid0(VALU_DEP_1)
	v_cmp_eq_u32_e32 vcc_lo, s84, v9
	s_and_b32 exec_lo, exec_lo, vcc_lo
	s_cbranch_execz .LBB84_106
; %bb.111:                              ;   in Loop: Header=BB84_107 Depth=2
	v_lshlrev_b16 v8, 8, v8
	s_delay_alu instid0(VALU_DEP_1)
	v_or_b32_e32 v8, 1, v8
	ds_store_b16 v13, v8 offset:3072
	s_branch .LBB84_106
.LBB84_112:                             ;   in Loop: Header=BB84_12 Depth=1
	s_set_inst_prefetch_distance 0x2
	s_or_b32 exec_lo, exec_lo, s14
	v_lshrrev_b16 v32, 8, v8
	s_and_b32 s4, s15, exec_lo
.LBB84_113:                             ;   in Loop: Header=BB84_12 Depth=1
	s_or_b32 exec_lo, exec_lo, s5
	s_mov_b32 s15, -1
	s_mov_b32 s5, 0
	s_mov_b32 s14, 0
.LBB84_114:                             ;   in Loop: Header=BB84_12 Depth=1
	s_and_not1_b32 s21, s80, exec_lo
	s_and_b32 s5, s5, exec_lo
	s_and_b32 s15, s15, exec_lo
	s_or_b32 s80, s21, s5
	s_and_not1_b32 s5, s83, exec_lo
	s_and_not1_b32 s21, s81, exec_lo
	s_and_b32 s14, s14, exec_lo
	s_or_b32 s83, s5, s15
	s_or_b32 s81, s21, s14
	s_and_saveexec_b32 s14, s4
	s_cbranch_execz .LBB84_11
; %bb.115:                              ;   in Loop: Header=BB84_12 Depth=1
	s_xor_b32 s4, s20, -1
	s_mov_b32 s44, 1
	s_and_not1_b32 vcc_lo, exec_lo, s4
	s_cbranch_vccnz .LBB84_126
; %bb.116:                              ;   in Loop: Header=BB84_12 Depth=1
	v_cmp_gt_u64_e64 s4, s[40:41], s[12:13]
                                        ; implicit-def: $sgpr44
                                        ; implicit-def: $sgpr5
                                        ; implicit-def: $sgpr15
	s_delay_alu instid0(VALU_DEP_1)
	s_and_b32 vcc_lo, exec_lo, s4
	s_mov_b32 s4, -1
	s_cbranch_vccnz .LBB84_122
; %bb.117:                              ;   in Loop: Header=BB84_12 Depth=1
	ds_load_b64 v[2:3], v13 offset:5120
	s_waitcnt lgkmcnt(0)
	v_cmp_ne_u64_e32 vcc_lo, 0, v[2:3]
	s_cbranch_vccnz .LBB84_121
; %bb.118:                              ;   in Loop: Header=BB84_12 Depth=1
	s_and_saveexec_b32 s4, s2
	s_cbranch_execz .LBB84_120
; %bb.119:                              ;   in Loop: Header=BB84_12 Depth=1
	v_dual_mov_b32 v2, s12 :: v_dual_mov_b32 v3, s13
	ds_store_b64 v13, v[2:3] offset:5128
.LBB84_120:                             ;   in Loop: Header=BB84_12 Depth=1
	s_or_b32 exec_lo, exec_lo, s4
	s_waitcnt lgkmcnt(0)
	s_barrier
	buffer_gl0_inv
.LBB84_121:                             ;   in Loop: Header=BB84_12 Depth=1
	s_and_b32 s5, s84, s18
	s_or_b32 s15, s85, s16
	s_mov_b32 s4, 0
	s_mov_b32 s44, 8
.LBB84_122:                             ;   in Loop: Header=BB84_12 Depth=1
	s_and_not1_b32 vcc_lo, exec_lo, s4
	s_cbranch_vccnz .LBB84_124
; %bb.123:                              ;   in Loop: Header=BB84_12 Depth=1
	s_sub_u32 s40, s40, s12
	s_subb_u32 s41, s41, s13
	s_mov_b32 s4, -1
	s_mov_b32 s44, 0
	s_mov_b32 s5, s84
	;; [unrolled: 1-line block ×3, first 2 shown]
.LBB84_124:                             ;   in Loop: Header=BB84_12 Depth=1
	s_delay_alu instid0(SALU_CYCLE_1)
	s_mov_b32 s85, s15
	s_mov_b32 s84, s5
	s_and_b32 vcc_lo, exec_lo, s4
	s_mov_b32 s15, -1
	s_cbranch_vccnz .LBB84_127
.LBB84_125:                             ;   in Loop: Header=BB84_12 Depth=1
	s_mov_b32 s5, -1
                                        ; implicit-def: $sgpr12
                                        ; implicit-def: $sgpr19
                                        ; implicit-def: $sgpr13
	s_delay_alu instid0(SALU_CYCLE_1) | instskip(NEXT) | instid1(SALU_CYCLE_1)
	s_and_saveexec_b32 s4, s5
	s_xor_b32 s4, exec_lo, s4
	s_cbranch_execz .LBB84_10
	s_branch .LBB84_273
.LBB84_126:                             ;   in Loop: Header=BB84_12 Depth=1
	s_mov_b64 s[40:41], 1
	s_mov_b32 s15, -1
	s_branch .LBB84_125
.LBB84_127:                             ;   in Loop: Header=BB84_12 Depth=1
	s_cmp_eq_u64 s[10:11], 1
	s_cselect_b32 s4, -1, 0
	s_cmp_eq_u64 s[40:41], 1
	s_cselect_b32 s5, -1, 0
	s_delay_alu instid0(SALU_CYCLE_1)
	s_and_b32 s21, s4, s5
	s_mov_b32 s4, -1
	s_and_b32 vcc_lo, exec_lo, s21
	s_cbranch_vccz .LBB84_142
; %bb.128:                              ;   in Loop: Header=BB84_12 Depth=1
	ds_load_b64 v[2:3], v13 offset:5120
	s_waitcnt lgkmcnt(0)
	s_barrier
	buffer_gl0_inv
	v_readfirstlane_b32 s12, v2
	v_readfirstlane_b32 s13, v3
	s_and_saveexec_b32 s4, s3
	s_cbranch_execz .LBB84_130
; %bb.129:                              ;   in Loop: Header=BB84_12 Depth=1
	ds_store_b8 v0, v13 offset:3072
.LBB84_130:                             ;   in Loop: Header=BB84_12 Depth=1
	s_or_b32 exec_lo, exec_lo, s4
	s_lshl_b32 s4, 1, s17
	s_and_b32 s5, s84, s18
	s_or_b32 s85, s85, s16
	s_or_b32 s84, s5, s4
	s_cmp_eq_u64 s[12:13], 0
	s_waitcnt lgkmcnt(0)
	s_barrier
	buffer_gl0_inv
	s_cbranch_scc1 .LBB84_145
; %bb.131:                              ;   in Loop: Header=BB84_12 Depth=1
	s_add_u32 s19, s68, s12
	s_addc_u32 s5, s69, s13
	s_mov_b32 s4, s45
	s_delay_alu instid0(SALU_CYCLE_1)
	s_cmp_lg_u64 s[4:5], 0
	s_cbranch_scc0 .LBB84_190
; %bb.132:                              ;   in Loop: Header=BB84_12 Depth=1
	v_cvt_f32_u32_e32 v2, s29
	s_sub_u32 s22, 0, s29
	s_subb_u32 s23, 0, 0
	s_delay_alu instid0(VALU_DEP_1) | instskip(NEXT) | instid1(VALU_DEP_1)
	v_fmac_f32_e64 v2, 0, 0x4f800000
	v_rcp_f32_e32 v2, v2
	s_waitcnt_depctr 0xfff
	v_mul_f32_e32 v2, 0x5f7ffffc, v2
	s_delay_alu instid0(VALU_DEP_1) | instskip(NEXT) | instid1(VALU_DEP_1)
	v_mul_f32_e32 v3, 0x2f800000, v2
	v_trunc_f32_e32 v3, v3
	s_delay_alu instid0(VALU_DEP_1) | instskip(SKIP_1) | instid1(VALU_DEP_2)
	v_fmac_f32_e32 v2, 0xcf800000, v3
	v_cvt_u32_f32_e32 v3, v3
	v_cvt_u32_f32_e32 v2, v2
	s_delay_alu instid0(VALU_DEP_2) | instskip(NEXT) | instid1(VALU_DEP_2)
	v_readfirstlane_b32 s4, v3
	v_readfirstlane_b32 s20, v2
	s_delay_alu instid0(VALU_DEP_2) | instskip(NEXT) | instid1(VALU_DEP_1)
	s_mul_i32 s44, s22, s4
	s_mul_hi_u32 s52, s22, s20
	s_mul_i32 s46, s23, s20
	s_add_i32 s44, s52, s44
	s_mul_i32 s53, s22, s20
	s_add_i32 s44, s44, s46
	s_mul_hi_u32 s52, s20, s53
	s_mul_hi_u32 s54, s4, s53
	s_mul_i32 s46, s4, s53
	s_mul_hi_u32 s53, s20, s44
	s_mul_i32 s20, s20, s44
	s_mul_hi_u32 s55, s4, s44
	s_add_u32 s20, s52, s20
	s_addc_u32 s52, 0, s53
	s_add_u32 s20, s20, s46
	s_mul_i32 s44, s4, s44
	s_addc_u32 s20, s52, s54
	s_addc_u32 s46, s55, 0
	s_add_u32 s20, s20, s44
	s_addc_u32 s44, 0, s46
	v_add_co_u32 v2, s20, v2, s20
	s_delay_alu instid0(VALU_DEP_1) | instskip(SKIP_1) | instid1(VALU_DEP_1)
	s_cmp_lg_u32 s20, 0
	s_addc_u32 s4, s4, s44
	v_readfirstlane_b32 s20, v2
	s_mul_i32 s44, s22, s4
	s_delay_alu instid0(VALU_DEP_1)
	s_mul_hi_u32 s46, s22, s20
	s_mul_i32 s23, s23, s20
	s_add_i32 s44, s46, s44
	s_mul_i32 s22, s22, s20
	s_add_i32 s44, s44, s23
	s_mul_hi_u32 s46, s4, s22
	s_mul_i32 s52, s4, s22
	s_mul_hi_u32 s22, s20, s22
	s_mul_hi_u32 s53, s20, s44
	s_mul_i32 s20, s20, s44
	s_mul_hi_u32 s23, s4, s44
	s_add_u32 s20, s22, s20
	s_addc_u32 s22, 0, s53
	s_add_u32 s20, s20, s52
	s_mul_i32 s44, s4, s44
	s_addc_u32 s20, s22, s46
	s_addc_u32 s22, s23, 0
	s_add_u32 s20, s20, s44
	s_addc_u32 s22, 0, s22
	v_add_co_u32 v2, s20, v2, s20
	s_delay_alu instid0(VALU_DEP_1) | instskip(SKIP_1) | instid1(VALU_DEP_1)
	s_cmp_lg_u32 s20, 0
	s_addc_u32 s4, s4, s22
	v_readfirstlane_b32 s20, v2
	s_mul_i32 s23, s19, s4
	s_mul_hi_u32 s22, s19, s4
	s_mul_hi_u32 s44, s5, s4
	s_mul_i32 s4, s5, s4
	s_mul_hi_u32 s46, s19, s20
	s_mul_hi_u32 s52, s5, s20
	s_mul_i32 s20, s5, s20
	s_add_u32 s23, s46, s23
	s_addc_u32 s22, 0, s22
	s_add_u32 s20, s23, s20
	s_addc_u32 s20, s22, s52
	s_addc_u32 s22, s44, 0
	s_add_u32 s4, s20, s4
	s_addc_u32 s20, 0, s22
	s_mul_hi_u32 s22, s29, s4
	s_mul_i32 s4, s29, s4
	s_mul_i32 s20, s29, s20
	v_sub_co_u32 v2, s4, s19, s4
	s_add_i32 s22, s22, s20
	s_cmp_lg_u32 s4, 0
	s_delay_alu instid0(VALU_DEP_1) | instskip(SKIP_2) | instid1(VALU_DEP_1)
	v_sub_co_u32 v3, s4, v2, s29
	s_subb_u32 s20, s5, s22
	s_cmp_lg_u32 s4, 0
	v_cmp_le_u32_e32 vcc_lo, s29, v3
	v_sub_co_u32 v4, s4, v3, s29
	s_subb_u32 s22, s20, 0
	s_cmp_lg_u32 s4, 0
	v_cndmask_b32_e64 v5, 0, -1, vcc_lo
	s_subb_u32 s4, s22, 0
	s_cmp_eq_u32 s22, 0
	v_mov_b32_e32 v7, s4
	s_cselect_b32 vcc_lo, -1, 0
	s_cmp_eq_u32 s20, 0
	v_cndmask_b32_e32 v5, -1, v5, vcc_lo
	v_cmp_le_u32_e32 vcc_lo, s29, v2
	s_cselect_b32 s4, -1, 0
	v_cndmask_b32_e64 v6, 0, -1, vcc_lo
	s_delay_alu instid0(VALU_DEP_3) | instskip(NEXT) | instid1(VALU_DEP_2)
	v_cmp_ne_u32_e32 vcc_lo, 0, v5
	v_cndmask_b32_e64 v5, -1, v6, s4
	v_cndmask_b32_e32 v6, s22, v7, vcc_lo
	v_cndmask_b32_e32 v4, v3, v4, vcc_lo
	s_delay_alu instid0(VALU_DEP_3) | instskip(NEXT) | instid1(VALU_DEP_3)
	v_cmp_ne_u32_e32 vcc_lo, 0, v5
	v_cndmask_b32_e32 v3, s20, v6, vcc_lo
	s_delay_alu instid0(VALU_DEP_3)
	v_cndmask_b32_e32 v2, v2, v4, vcc_lo
	s_cbranch_execnz .LBB84_134
.LBB84_133:                             ;   in Loop: Header=BB84_12 Depth=1
	v_cvt_f32_u32_e32 v2, s29
	s_sub_i32 s4, 0, s29
	s_delay_alu instid0(VALU_DEP_1) | instskip(SKIP_2) | instid1(VALU_DEP_1)
	v_rcp_iflag_f32_e32 v2, v2
	s_waitcnt_depctr 0xfff
	v_mul_f32_e32 v2, 0x4f7ffffe, v2
	v_cvt_u32_f32_e32 v2, v2
	s_delay_alu instid0(VALU_DEP_1) | instskip(NEXT) | instid1(VALU_DEP_1)
	v_mul_lo_u32 v3, s4, v2
	v_mul_hi_u32 v3, v2, v3
	s_delay_alu instid0(VALU_DEP_1) | instskip(NEXT) | instid1(VALU_DEP_1)
	v_add_nc_u32_e32 v2, v2, v3
	v_mul_hi_u32 v2, s19, v2
	s_delay_alu instid0(VALU_DEP_1) | instskip(NEXT) | instid1(VALU_DEP_1)
	v_mul_lo_u32 v2, v2, s29
	v_sub_nc_u32_e32 v2, s19, v2
	s_delay_alu instid0(VALU_DEP_1) | instskip(SKIP_1) | instid1(VALU_DEP_2)
	v_subrev_nc_u32_e32 v3, s29, v2
	v_cmp_le_u32_e32 vcc_lo, s29, v2
	v_cndmask_b32_e32 v2, v2, v3, vcc_lo
	s_delay_alu instid0(VALU_DEP_1) | instskip(SKIP_1) | instid1(VALU_DEP_2)
	v_subrev_nc_u32_e32 v3, s29, v2
	v_cmp_le_u32_e32 vcc_lo, s29, v2
	v_cndmask_b32_e32 v12, v2, v3, vcc_lo
	s_delay_alu instid0(VALU_DEP_1)
	v_dual_mov_b32 v2, v12 :: v_dual_mov_b32 v3, v13
.LBB84_134:                             ;   in Loop: Header=BB84_12 Depth=1
	s_delay_alu instid0(VALU_DEP_1) | instskip(NEXT) | instid1(VALU_DEP_2)
	v_sub_co_u32 v2, vcc_lo, s19, v2
	v_sub_co_ci_u32_e32 v3, vcc_lo, s5, v3, vcc_lo
	s_mov_b32 s4, 0
	s_mov_b32 s5, exec_lo
                                        ; implicit-def: $vgpr32
	s_delay_alu instid0(VALU_DEP_1)
	v_cmpx_gt_u64_e64 v[2:3], v[0:1]
	s_cbranch_execz .LBB84_147
; %bb.135:                              ;   in Loop: Header=BB84_12 Depth=1
	v_dual_mov_b32 v6, v0 :: v_dual_mov_b32 v5, v1
	v_mov_b32_e32 v4, v0
	s_mov_b32 s19, 0
                                        ; implicit-def: $sgpr20
	s_set_inst_prefetch_distance 0x1
	s_branch .LBB84_137
	.p2align	6
.LBB84_136:                             ;   in Loop: Header=BB84_137 Depth=2
	s_or_b32 exec_lo, exec_lo, s4
	s_waitcnt lgkmcnt(0)
	s_barrier
	buffer_gl0_inv
	ds_load_u16 v7, v13 offset:3072
	v_add_co_u32 v4, vcc_lo, v4, s29
	v_add_co_ci_u32_e32 v5, vcc_lo, 0, v5, vcc_lo
	v_add_nc_u32_e32 v6, s29, v6
	s_waitcnt lgkmcnt(0)
	s_barrier
	s_delay_alu instid0(VALU_DEP_2) | instskip(SKIP_2) | instid1(VALU_DEP_1)
	v_cmp_ge_u64_e32 vcc_lo, v[4:5], v[2:3]
	buffer_gl0_inv
	v_and_b32_e32 v8, 0xff, v7
	v_cmp_ne_u16_e64 s4, 0, v8
	s_delay_alu instid0(VALU_DEP_1) | instskip(NEXT) | instid1(SALU_CYCLE_1)
	s_or_b32 s22, vcc_lo, s4
	s_and_b32 s22, exec_lo, s22
	s_delay_alu instid0(SALU_CYCLE_1) | instskip(SKIP_2) | instid1(SALU_CYCLE_1)
	s_or_b32 s19, s22, s19
	s_and_not1_b32 s20, s20, exec_lo
	s_and_b32 s4, s4, exec_lo
	s_or_b32 s20, s20, s4
	s_and_not1_b32 exec_lo, exec_lo, s19
	s_cbranch_execz .LBB84_146
.LBB84_137:                             ;   Parent Loop BB84_12 Depth=1
                                        ; =>  This Inner Loop Header: Depth=2
	s_delay_alu instid0(VALU_DEP_1)
	v_cmp_gt_u64_e32 vcc_lo, s[12:13], v[4:5]
	v_mov_b32_e32 v7, 0
	s_and_saveexec_b32 s4, vcc_lo
	s_cbranch_execz .LBB84_139
; %bb.138:                              ;   in Loop: Header=BB84_137 Depth=2
	ds_load_u8 v7, v6
.LBB84_139:                             ;   in Loop: Header=BB84_137 Depth=2
	s_or_b32 exec_lo, exec_lo, s4
	s_and_saveexec_b32 s4, vcc_lo
	s_cbranch_execz .LBB84_136
; %bb.140:                              ;   in Loop: Header=BB84_137 Depth=2
	s_waitcnt lgkmcnt(0)
	v_bfe_i32 v8, v7, 0, 8
	s_delay_alu instid0(VALU_DEP_1) | instskip(NEXT) | instid1(VALU_DEP_1)
	v_add_nc_u32_e32 v8, 0x80, v8
	v_and_b32_e32 v8, s85, v8
	s_delay_alu instid0(VALU_DEP_1)
	v_cmp_eq_u32_e32 vcc_lo, s84, v8
	s_and_b32 exec_lo, exec_lo, vcc_lo
	s_cbranch_execz .LBB84_136
; %bb.141:                              ;   in Loop: Header=BB84_137 Depth=2
	v_lshlrev_b16 v7, 8, v7
	s_delay_alu instid0(VALU_DEP_1)
	v_or_b32_e32 v7, 1, v7
	ds_store_b16 v13, v7 offset:3072
	s_branch .LBB84_136
.LBB84_142:                             ;   in Loop: Header=BB84_12 Depth=1
                                        ; implicit-def: $sgpr13
                                        ; implicit-def: $sgpr19
                                        ; implicit-def: $sgpr12
	s_branch .LBB84_161
.LBB84_143:                             ;   in Loop: Header=BB84_12 Depth=1
                                        ; implicit-def: $vgpr2_vgpr3
	s_branch .LBB84_88
.LBB84_144:                             ;   in Loop: Header=BB84_12 Depth=1
                                        ; implicit-def: $vgpr2_vgpr3
	s_branch .LBB84_103
.LBB84_145:                             ;   in Loop: Header=BB84_12 Depth=1
	s_mov_b32 s13, -1
	s_mov_b32 s4, 0
                                        ; implicit-def: $sgpr12
                                        ; implicit-def: $vgpr32
	s_mov_b32 s19, s13
	s_cbranch_execnz .LBB84_148
	s_branch .LBB84_161
.LBB84_146:                             ;   in Loop: Header=BB84_12 Depth=1
	s_set_inst_prefetch_distance 0x2
	s_or_b32 exec_lo, exec_lo, s19
	v_lshrrev_b16 v32, 8, v7
	s_and_b32 s4, s20, exec_lo
.LBB84_147:                             ;   in Loop: Header=BB84_12 Depth=1
	s_or_b32 exec_lo, exec_lo, s5
	s_mov_b32 s12, -1
	s_mov_b32 s13, 0
	s_delay_alu instid0(SALU_CYCLE_1)
	s_mov_b32 s19, s13
	s_branch .LBB84_161
.LBB84_148:                             ;   in Loop: Header=BB84_12 Depth=1
	s_mov_b32 s46, s45
	s_delay_alu instid0(SALU_CYCLE_1)
	s_cmp_lg_u64 s[46:47], 0
	s_cbranch_scc0 .LBB84_191
; %bb.149:                              ;   in Loop: Header=BB84_12 Depth=1
	v_cvt_f32_u32_e32 v2, s29
	s_sub_u32 s12, 0, s29
	s_subb_u32 s13, 0, 0
	s_delay_alu instid0(VALU_DEP_1) | instskip(NEXT) | instid1(VALU_DEP_1)
	v_fmac_f32_e64 v2, 0, 0x4f800000
	v_rcp_f32_e32 v2, v2
	s_waitcnt_depctr 0xfff
	v_mul_f32_e32 v2, 0x5f7ffffc, v2
	s_delay_alu instid0(VALU_DEP_1) | instskip(NEXT) | instid1(VALU_DEP_1)
	v_mul_f32_e32 v3, 0x2f800000, v2
	v_trunc_f32_e32 v3, v3
	s_delay_alu instid0(VALU_DEP_1) | instskip(SKIP_1) | instid1(VALU_DEP_2)
	v_fmac_f32_e32 v2, 0xcf800000, v3
	v_cvt_u32_f32_e32 v3, v3
	v_cvt_u32_f32_e32 v2, v2
	s_delay_alu instid0(VALU_DEP_2) | instskip(NEXT) | instid1(VALU_DEP_2)
	v_readfirstlane_b32 s4, v3
	v_readfirstlane_b32 s5, v2
	s_delay_alu instid0(VALU_DEP_2) | instskip(NEXT) | instid1(VALU_DEP_1)
	s_mul_i32 s19, s12, s4
	s_mul_hi_u32 s22, s12, s5
	s_mul_i32 s20, s13, s5
	s_add_i32 s19, s22, s19
	s_mul_i32 s23, s12, s5
	s_add_i32 s19, s19, s20
	s_mul_hi_u32 s22, s5, s23
	s_mul_hi_u32 s44, s4, s23
	s_mul_i32 s20, s4, s23
	s_mul_hi_u32 s23, s5, s19
	s_mul_i32 s5, s5, s19
	s_mul_hi_u32 s46, s4, s19
	s_add_u32 s5, s22, s5
	s_addc_u32 s22, 0, s23
	s_add_u32 s5, s5, s20
	s_mul_i32 s19, s4, s19
	s_addc_u32 s5, s22, s44
	s_addc_u32 s20, s46, 0
	s_add_u32 s5, s5, s19
	s_addc_u32 s19, 0, s20
	v_add_co_u32 v2, s5, v2, s5
	s_delay_alu instid0(VALU_DEP_1) | instskip(SKIP_1) | instid1(VALU_DEP_1)
	s_cmp_lg_u32 s5, 0
	s_addc_u32 s4, s4, s19
	v_readfirstlane_b32 s5, v2
	s_mul_i32 s19, s12, s4
	s_delay_alu instid0(VALU_DEP_1)
	s_mul_hi_u32 s20, s12, s5
	s_mul_i32 s13, s13, s5
	s_add_i32 s19, s20, s19
	s_mul_i32 s12, s12, s5
	s_add_i32 s19, s19, s13
	s_mul_hi_u32 s20, s4, s12
	s_mul_i32 s22, s4, s12
	s_mul_hi_u32 s12, s5, s12
	s_mul_hi_u32 s23, s5, s19
	s_mul_i32 s5, s5, s19
	s_mul_hi_u32 s13, s4, s19
	s_add_u32 s5, s12, s5
	s_addc_u32 s12, 0, s23
	s_add_u32 s5, s5, s22
	s_mul_i32 s19, s4, s19
	s_addc_u32 s5, s12, s20
	s_addc_u32 s12, s13, 0
	s_add_u32 s5, s5, s19
	s_addc_u32 s12, 0, s12
	v_add_co_u32 v2, s5, v2, s5
	s_delay_alu instid0(VALU_DEP_1) | instskip(SKIP_1) | instid1(VALU_DEP_1)
	s_cmp_lg_u32 s5, 0
	s_addc_u32 s4, s4, s12
	v_readfirstlane_b32 s5, v2
	s_mul_i32 s13, s70, s4
	s_mul_hi_u32 s12, s70, s4
	s_mul_hi_u32 s19, s47, s4
	s_mul_i32 s4, s47, s4
	s_mul_hi_u32 s20, s70, s5
	s_mul_hi_u32 s22, s47, s5
	s_mul_i32 s5, s47, s5
	s_add_u32 s13, s20, s13
	s_addc_u32 s12, 0, s12
	s_add_u32 s5, s13, s5
	s_addc_u32 s5, s12, s22
	s_addc_u32 s12, s19, 0
	s_add_u32 s4, s5, s4
	s_addc_u32 s5, 0, s12
	s_mul_hi_u32 s12, s29, s4
	s_mul_i32 s4, s29, s4
	s_mul_i32 s5, s29, s5
	v_sub_co_u32 v2, s4, s70, s4
	s_add_i32 s12, s12, s5
	s_cmp_lg_u32 s4, 0
	s_delay_alu instid0(VALU_DEP_1) | instskip(SKIP_2) | instid1(VALU_DEP_1)
	v_sub_co_u32 v3, s4, v2, s29
	s_subb_u32 s5, s47, s12
	s_cmp_lg_u32 s4, 0
	v_cmp_le_u32_e32 vcc_lo, s29, v3
	v_sub_co_u32 v4, s4, v3, s29
	s_subb_u32 s12, s5, 0
	s_cmp_lg_u32 s4, 0
	v_cndmask_b32_e64 v5, 0, -1, vcc_lo
	s_subb_u32 s4, s12, 0
	s_cmp_eq_u32 s12, 0
	v_mov_b32_e32 v7, s4
	s_cselect_b32 vcc_lo, -1, 0
	s_cmp_eq_u32 s5, 0
	v_cndmask_b32_e32 v5, -1, v5, vcc_lo
	v_cmp_le_u32_e32 vcc_lo, s29, v2
	s_cselect_b32 s4, -1, 0
	v_cndmask_b32_e64 v6, 0, -1, vcc_lo
	s_delay_alu instid0(VALU_DEP_3) | instskip(NEXT) | instid1(VALU_DEP_2)
	v_cmp_ne_u32_e32 vcc_lo, 0, v5
	v_cndmask_b32_e64 v5, -1, v6, s4
	v_cndmask_b32_e32 v6, s12, v7, vcc_lo
	v_cndmask_b32_e32 v4, v3, v4, vcc_lo
	s_delay_alu instid0(VALU_DEP_3) | instskip(NEXT) | instid1(VALU_DEP_3)
	v_cmp_ne_u32_e32 vcc_lo, 0, v5
	v_cndmask_b32_e32 v3, s5, v6, vcc_lo
	s_delay_alu instid0(VALU_DEP_3)
	v_cndmask_b32_e32 v2, v2, v4, vcc_lo
	s_cbranch_execnz .LBB84_151
.LBB84_150:                             ;   in Loop: Header=BB84_12 Depth=1
	v_cvt_f32_u32_e32 v2, s29
	s_sub_i32 s4, 0, s29
	s_delay_alu instid0(VALU_DEP_1) | instskip(SKIP_2) | instid1(VALU_DEP_1)
	v_rcp_iflag_f32_e32 v2, v2
	s_waitcnt_depctr 0xfff
	v_mul_f32_e32 v2, 0x4f7ffffe, v2
	v_cvt_u32_f32_e32 v2, v2
	s_delay_alu instid0(VALU_DEP_1) | instskip(NEXT) | instid1(VALU_DEP_1)
	v_mul_lo_u32 v3, s4, v2
	v_mul_hi_u32 v3, v2, v3
	s_delay_alu instid0(VALU_DEP_1) | instskip(NEXT) | instid1(VALU_DEP_1)
	v_add_nc_u32_e32 v2, v2, v3
	v_mul_hi_u32 v2, s70, v2
	s_delay_alu instid0(VALU_DEP_1) | instskip(NEXT) | instid1(VALU_DEP_1)
	v_mul_lo_u32 v2, v2, s29
	v_sub_nc_u32_e32 v2, s70, v2
	s_delay_alu instid0(VALU_DEP_1) | instskip(SKIP_1) | instid1(VALU_DEP_2)
	v_subrev_nc_u32_e32 v3, s29, v2
	v_cmp_le_u32_e32 vcc_lo, s29, v2
	v_cndmask_b32_e32 v2, v2, v3, vcc_lo
	s_delay_alu instid0(VALU_DEP_1) | instskip(SKIP_1) | instid1(VALU_DEP_2)
	v_subrev_nc_u32_e32 v3, s29, v2
	v_cmp_le_u32_e32 vcc_lo, s29, v2
	v_cndmask_b32_e32 v12, v2, v3, vcc_lo
	s_delay_alu instid0(VALU_DEP_1)
	v_dual_mov_b32 v2, v12 :: v_dual_mov_b32 v3, v13
.LBB84_151:                             ;   in Loop: Header=BB84_12 Depth=1
	s_delay_alu instid0(VALU_DEP_1) | instskip(NEXT) | instid1(VALU_DEP_2)
	v_sub_co_u32 v2, vcc_lo, s70, v2
	v_sub_co_ci_u32_e32 v3, vcc_lo, s47, v3, vcc_lo
	s_mov_b32 s4, 0
	s_mov_b32 s5, exec_lo
                                        ; implicit-def: $vgpr32
	s_delay_alu instid0(VALU_DEP_1)
	v_cmpx_gt_u64_e64 v[2:3], v[0:1]
	s_cbranch_execz .LBB84_160
; %bb.152:                              ;   in Loop: Header=BB84_12 Depth=1
	v_dual_mov_b32 v4, v10 :: v_dual_mov_b32 v5, v11
	v_dual_mov_b32 v7, v1 :: v_dual_mov_b32 v6, v0
	s_mov_b32 s12, 0
                                        ; implicit-def: $sgpr13
	s_set_inst_prefetch_distance 0x1
	s_branch .LBB84_154
	.p2align	6
.LBB84_153:                             ;   in Loop: Header=BB84_154 Depth=2
	s_or_b32 exec_lo, exec_lo, s4
	s_waitcnt vmcnt(0) lgkmcnt(0)
	s_barrier
	buffer_gl0_inv
	ds_load_u16 v8, v13 offset:3072
	v_add_co_u32 v6, vcc_lo, v6, s29
	v_add_co_ci_u32_e32 v7, vcc_lo, 0, v7, vcc_lo
	s_waitcnt lgkmcnt(0)
	s_barrier
	buffer_gl0_inv
	v_cmp_ge_u64_e32 vcc_lo, v[6:7], v[2:3]
	v_and_b32_e32 v9, 0xff, v8
	s_delay_alu instid0(VALU_DEP_1) | instskip(NEXT) | instid1(VALU_DEP_1)
	v_cmp_ne_u16_e64 s4, 0, v9
	s_or_b32 s19, vcc_lo, s4
	v_add_co_u32 v4, vcc_lo, v4, s64
	s_and_b32 s19, exec_lo, s19
	v_add_co_ci_u32_e32 v5, vcc_lo, s33, v5, vcc_lo
	s_or_b32 s12, s19, s12
	s_and_not1_b32 s13, s13, exec_lo
	s_and_b32 s4, s4, exec_lo
	s_delay_alu instid0(SALU_CYCLE_1)
	s_or_b32 s13, s13, s4
	s_and_not1_b32 exec_lo, exec_lo, s12
	s_cbranch_execz .LBB84_159
.LBB84_154:                             ;   Parent Loop BB84_12 Depth=1
                                        ; =>  This Inner Loop Header: Depth=2
	s_delay_alu instid0(VALU_DEP_1)
	v_cmp_gt_u64_e32 vcc_lo, s[24:25], v[6:7]
	v_mov_b32_e32 v8, 0
	s_and_saveexec_b32 s4, vcc_lo
	s_cbranch_execz .LBB84_156
; %bb.155:                              ;   in Loop: Header=BB84_154 Depth=2
	global_load_u8 v8, v[4:5], off
.LBB84_156:                             ;   in Loop: Header=BB84_154 Depth=2
	s_or_b32 exec_lo, exec_lo, s4
	s_and_saveexec_b32 s4, vcc_lo
	s_cbranch_execz .LBB84_153
; %bb.157:                              ;   in Loop: Header=BB84_154 Depth=2
	s_waitcnt vmcnt(0)
	v_bfe_i32 v9, v8, 0, 8
	s_delay_alu instid0(VALU_DEP_1) | instskip(NEXT) | instid1(VALU_DEP_1)
	v_add_nc_u32_e32 v9, 0x80, v9
	v_and_b32_e32 v9, s85, v9
	s_delay_alu instid0(VALU_DEP_1)
	v_cmp_eq_u32_e32 vcc_lo, s84, v9
	s_and_b32 exec_lo, exec_lo, vcc_lo
	s_cbranch_execz .LBB84_153
; %bb.158:                              ;   in Loop: Header=BB84_154 Depth=2
	v_lshlrev_b16 v8, 8, v8
	s_delay_alu instid0(VALU_DEP_1)
	v_or_b32_e32 v8, 1, v8
	ds_store_b16 v13, v8 offset:3072
	s_branch .LBB84_153
.LBB84_159:                             ;   in Loop: Header=BB84_12 Depth=1
	s_set_inst_prefetch_distance 0x2
	s_or_b32 exec_lo, exec_lo, s12
	v_lshrrev_b16 v32, 8, v8
	s_and_b32 s4, s13, exec_lo
.LBB84_160:                             ;   in Loop: Header=BB84_12 Depth=1
	s_or_b32 exec_lo, exec_lo, s5
	s_mov_b32 s19, -1
	s_mov_b32 s13, 0
	s_mov_b32 s12, 0
.LBB84_161:                             ;   in Loop: Header=BB84_12 Depth=1
	s_mov_b32 s5, 0
                                        ; implicit-def: $sgpr44
	s_and_saveexec_b32 s20, s4
	s_cbranch_execz .LBB84_272
; %bb.162:                              ;   in Loop: Header=BB84_12 Depth=1
	s_xor_b32 s4, s21, -1
	s_mov_b32 s44, 1
	s_and_not1_b32 vcc_lo, exec_lo, s4
	s_cbranch_vccnz .LBB84_173
; %bb.163:                              ;   in Loop: Header=BB84_12 Depth=1
	v_cmp_gt_u64_e64 s4, s[40:41], s[10:11]
                                        ; implicit-def: $sgpr44
                                        ; implicit-def: $sgpr5
                                        ; implicit-def: $sgpr21
	s_delay_alu instid0(VALU_DEP_1)
	s_and_b32 vcc_lo, exec_lo, s4
	s_mov_b32 s4, -1
	s_cbranch_vccnz .LBB84_169
; %bb.164:                              ;   in Loop: Header=BB84_12 Depth=1
	ds_load_b64 v[2:3], v13 offset:5120
	s_waitcnt lgkmcnt(0)
	v_cmp_ne_u64_e32 vcc_lo, 0, v[2:3]
	s_cbranch_vccnz .LBB84_168
; %bb.165:                              ;   in Loop: Header=BB84_12 Depth=1
	s_and_saveexec_b32 s4, s2
	s_cbranch_execz .LBB84_167
; %bb.166:                              ;   in Loop: Header=BB84_12 Depth=1
	v_dual_mov_b32 v2, s10 :: v_dual_mov_b32 v3, s11
	ds_store_b64 v13, v[2:3] offset:5128
.LBB84_167:                             ;   in Loop: Header=BB84_12 Depth=1
	s_or_b32 exec_lo, exec_lo, s4
	s_waitcnt lgkmcnt(0)
	s_barrier
	buffer_gl0_inv
.LBB84_168:                             ;   in Loop: Header=BB84_12 Depth=1
	s_lshl_b32 s4, 1, s17
	s_and_b32 s5, s84, s18
	s_or_b32 s21, s85, s16
	s_or_b32 s5, s5, s4
	s_mov_b32 s4, 0
	s_mov_b32 s44, 8
.LBB84_169:                             ;   in Loop: Header=BB84_12 Depth=1
	s_and_not1_b32 vcc_lo, exec_lo, s4
	s_cbranch_vccnz .LBB84_171
; %bb.170:                              ;   in Loop: Header=BB84_12 Depth=1
	s_sub_u32 s40, s40, s10
	s_subb_u32 s41, s41, s11
	s_mov_b32 s4, -1
	s_mov_b32 s44, 0
	s_mov_b32 s5, s84
	;; [unrolled: 1-line block ×3, first 2 shown]
.LBB84_171:                             ;   in Loop: Header=BB84_12 Depth=1
	s_delay_alu instid0(SALU_CYCLE_1)
	s_mov_b32 s85, s21
	s_mov_b32 s84, s5
	s_and_not1_b32 vcc_lo, exec_lo, s4
	s_mov_b32 s5, -1
	s_cbranch_vccz .LBB84_174
.LBB84_172:                             ;   in Loop: Header=BB84_12 Depth=1
                                        ; implicit-def: $sgpr11
                                        ; implicit-def: $sgpr21
                                        ; implicit-def: $sgpr10
	s_branch .LBB84_271
.LBB84_173:                             ;   in Loop: Header=BB84_12 Depth=1
	s_mov_b64 s[40:41], 1
	s_mov_b32 s5, -1
	s_cbranch_execnz .LBB84_172
.LBB84_174:                             ;   in Loop: Header=BB84_12 Depth=1
	s_cmp_eq_u64 s[8:9], 1
	s_cselect_b32 s4, -1, 0
	s_cmp_eq_u64 s[40:41], 1
	s_cselect_b32 s5, -1, 0
	s_delay_alu instid0(SALU_CYCLE_1)
	s_and_b32 s23, s4, s5
	s_mov_b32 s4, -1
	s_and_b32 vcc_lo, exec_lo, s23
	s_cbranch_vccz .LBB84_189
; %bb.175:                              ;   in Loop: Header=BB84_12 Depth=1
	ds_load_b64 v[2:3], v13 offset:5120
	s_waitcnt lgkmcnt(0)
	s_barrier
	buffer_gl0_inv
	v_readfirstlane_b32 s10, v2
	v_readfirstlane_b32 s11, v3
	s_and_saveexec_b32 s4, s3
	s_cbranch_execz .LBB84_177
; %bb.176:                              ;   in Loop: Header=BB84_12 Depth=1
	ds_store_b8 v0, v13 offset:3072
.LBB84_177:                             ;   in Loop: Header=BB84_12 Depth=1
	s_or_b32 exec_lo, exec_lo, s4
	s_lshl_b32 s4, 2, s17
	s_and_b32 s5, s84, s18
	s_or_b32 s85, s85, s16
	s_or_b32 s84, s5, s4
	s_cmp_eq_u64 s[10:11], 0
	s_waitcnt lgkmcnt(0)
	s_barrier
	buffer_gl0_inv
	s_cbranch_scc1 .LBB84_192
; %bb.178:                              ;   in Loop: Header=BB84_12 Depth=1
	s_add_u32 s21, s68, s10
	s_addc_u32 s5, s69, s11
	s_mov_b32 s4, s45
	s_delay_alu instid0(SALU_CYCLE_1)
	s_cmp_lg_u64 s[4:5], 0
	s_cbranch_scc0 .LBB84_237
; %bb.179:                              ;   in Loop: Header=BB84_12 Depth=1
	v_cvt_f32_u32_e32 v2, s29
	s_sub_u32 s44, 0, s29
	s_subb_u32 s46, 0, 0
	s_delay_alu instid0(VALU_DEP_1) | instskip(NEXT) | instid1(VALU_DEP_1)
	v_fmac_f32_e64 v2, 0, 0x4f800000
	v_rcp_f32_e32 v2, v2
	s_waitcnt_depctr 0xfff
	v_mul_f32_e32 v2, 0x5f7ffffc, v2
	s_delay_alu instid0(VALU_DEP_1) | instskip(NEXT) | instid1(VALU_DEP_1)
	v_mul_f32_e32 v3, 0x2f800000, v2
	v_trunc_f32_e32 v3, v3
	s_delay_alu instid0(VALU_DEP_1) | instskip(SKIP_1) | instid1(VALU_DEP_2)
	v_fmac_f32_e32 v2, 0xcf800000, v3
	v_cvt_u32_f32_e32 v3, v3
	v_cvt_u32_f32_e32 v2, v2
	s_delay_alu instid0(VALU_DEP_2) | instskip(NEXT) | instid1(VALU_DEP_2)
	v_readfirstlane_b32 s4, v3
	v_readfirstlane_b32 s22, v2
	s_delay_alu instid0(VALU_DEP_2) | instskip(NEXT) | instid1(VALU_DEP_1)
	s_mul_i32 s52, s44, s4
	s_mul_hi_u32 s54, s44, s22
	s_mul_i32 s53, s46, s22
	s_add_i32 s52, s54, s52
	s_mul_i32 s55, s44, s22
	s_add_i32 s52, s52, s53
	s_mul_hi_u32 s54, s22, s55
	s_mul_hi_u32 s56, s4, s55
	s_mul_i32 s53, s4, s55
	s_mul_hi_u32 s55, s22, s52
	s_mul_i32 s22, s22, s52
	s_mul_hi_u32 s57, s4, s52
	s_add_u32 s22, s54, s22
	s_addc_u32 s54, 0, s55
	s_add_u32 s22, s22, s53
	s_mul_i32 s52, s4, s52
	s_addc_u32 s22, s54, s56
	s_addc_u32 s53, s57, 0
	s_add_u32 s22, s22, s52
	s_addc_u32 s52, 0, s53
	v_add_co_u32 v2, s22, v2, s22
	s_delay_alu instid0(VALU_DEP_1) | instskip(SKIP_1) | instid1(VALU_DEP_1)
	s_cmp_lg_u32 s22, 0
	s_addc_u32 s4, s4, s52
	v_readfirstlane_b32 s22, v2
	s_mul_i32 s52, s44, s4
	s_delay_alu instid0(VALU_DEP_1)
	s_mul_hi_u32 s53, s44, s22
	s_mul_i32 s46, s46, s22
	s_add_i32 s52, s53, s52
	s_mul_i32 s44, s44, s22
	s_add_i32 s52, s52, s46
	s_mul_hi_u32 s53, s4, s44
	s_mul_i32 s54, s4, s44
	s_mul_hi_u32 s44, s22, s44
	s_mul_hi_u32 s55, s22, s52
	s_mul_i32 s22, s22, s52
	s_mul_hi_u32 s46, s4, s52
	s_add_u32 s22, s44, s22
	s_addc_u32 s44, 0, s55
	s_add_u32 s22, s22, s54
	s_mul_i32 s52, s4, s52
	s_addc_u32 s22, s44, s53
	s_addc_u32 s44, s46, 0
	s_add_u32 s22, s22, s52
	s_addc_u32 s44, 0, s44
	v_add_co_u32 v2, s22, v2, s22
	s_delay_alu instid0(VALU_DEP_1) | instskip(SKIP_1) | instid1(VALU_DEP_1)
	s_cmp_lg_u32 s22, 0
	s_addc_u32 s4, s4, s44
	v_readfirstlane_b32 s22, v2
	s_mul_i32 s46, s21, s4
	s_mul_hi_u32 s44, s21, s4
	s_mul_hi_u32 s52, s5, s4
	s_mul_i32 s4, s5, s4
	s_mul_hi_u32 s53, s21, s22
	s_mul_hi_u32 s54, s5, s22
	s_mul_i32 s22, s5, s22
	s_add_u32 s46, s53, s46
	s_addc_u32 s44, 0, s44
	s_add_u32 s22, s46, s22
	s_addc_u32 s22, s44, s54
	s_addc_u32 s44, s52, 0
	s_add_u32 s4, s22, s4
	s_addc_u32 s22, 0, s44
	s_mul_hi_u32 s44, s29, s4
	s_mul_i32 s4, s29, s4
	s_mul_i32 s22, s29, s22
	v_sub_co_u32 v2, s4, s21, s4
	s_add_i32 s44, s44, s22
	s_cmp_lg_u32 s4, 0
	s_delay_alu instid0(VALU_DEP_1) | instskip(SKIP_2) | instid1(VALU_DEP_1)
	v_sub_co_u32 v3, s4, v2, s29
	s_subb_u32 s22, s5, s44
	s_cmp_lg_u32 s4, 0
	v_cmp_le_u32_e32 vcc_lo, s29, v3
	v_sub_co_u32 v4, s4, v3, s29
	s_subb_u32 s44, s22, 0
	s_cmp_lg_u32 s4, 0
	v_cndmask_b32_e64 v5, 0, -1, vcc_lo
	s_subb_u32 s4, s44, 0
	s_cmp_eq_u32 s44, 0
	v_mov_b32_e32 v7, s4
	s_cselect_b32 vcc_lo, -1, 0
	s_cmp_eq_u32 s22, 0
	v_cndmask_b32_e32 v5, -1, v5, vcc_lo
	v_cmp_le_u32_e32 vcc_lo, s29, v2
	s_cselect_b32 s4, -1, 0
	v_cndmask_b32_e64 v6, 0, -1, vcc_lo
	s_delay_alu instid0(VALU_DEP_3) | instskip(NEXT) | instid1(VALU_DEP_2)
	v_cmp_ne_u32_e32 vcc_lo, 0, v5
	v_cndmask_b32_e64 v5, -1, v6, s4
	v_cndmask_b32_e32 v6, s44, v7, vcc_lo
	v_cndmask_b32_e32 v4, v3, v4, vcc_lo
	s_delay_alu instid0(VALU_DEP_3) | instskip(NEXT) | instid1(VALU_DEP_3)
	v_cmp_ne_u32_e32 vcc_lo, 0, v5
	v_cndmask_b32_e32 v3, s22, v6, vcc_lo
	s_delay_alu instid0(VALU_DEP_3)
	v_cndmask_b32_e32 v2, v2, v4, vcc_lo
	s_cbranch_execnz .LBB84_181
.LBB84_180:                             ;   in Loop: Header=BB84_12 Depth=1
	v_cvt_f32_u32_e32 v2, s29
	s_sub_i32 s4, 0, s29
	s_delay_alu instid0(VALU_DEP_1) | instskip(SKIP_2) | instid1(VALU_DEP_1)
	v_rcp_iflag_f32_e32 v2, v2
	s_waitcnt_depctr 0xfff
	v_mul_f32_e32 v2, 0x4f7ffffe, v2
	v_cvt_u32_f32_e32 v2, v2
	s_delay_alu instid0(VALU_DEP_1) | instskip(NEXT) | instid1(VALU_DEP_1)
	v_mul_lo_u32 v3, s4, v2
	v_mul_hi_u32 v3, v2, v3
	s_delay_alu instid0(VALU_DEP_1) | instskip(NEXT) | instid1(VALU_DEP_1)
	v_add_nc_u32_e32 v2, v2, v3
	v_mul_hi_u32 v2, s21, v2
	s_delay_alu instid0(VALU_DEP_1) | instskip(NEXT) | instid1(VALU_DEP_1)
	v_mul_lo_u32 v2, v2, s29
	v_sub_nc_u32_e32 v2, s21, v2
	s_delay_alu instid0(VALU_DEP_1) | instskip(SKIP_1) | instid1(VALU_DEP_2)
	v_subrev_nc_u32_e32 v3, s29, v2
	v_cmp_le_u32_e32 vcc_lo, s29, v2
	v_cndmask_b32_e32 v2, v2, v3, vcc_lo
	s_delay_alu instid0(VALU_DEP_1) | instskip(SKIP_1) | instid1(VALU_DEP_2)
	v_subrev_nc_u32_e32 v3, s29, v2
	v_cmp_le_u32_e32 vcc_lo, s29, v2
	v_cndmask_b32_e32 v12, v2, v3, vcc_lo
	s_delay_alu instid0(VALU_DEP_1)
	v_dual_mov_b32 v2, v12 :: v_dual_mov_b32 v3, v13
.LBB84_181:                             ;   in Loop: Header=BB84_12 Depth=1
	s_delay_alu instid0(VALU_DEP_1) | instskip(NEXT) | instid1(VALU_DEP_2)
	v_sub_co_u32 v2, vcc_lo, s21, v2
	v_sub_co_ci_u32_e32 v3, vcc_lo, s5, v3, vcc_lo
	s_mov_b32 s4, 0
	s_mov_b32 s5, exec_lo
                                        ; implicit-def: $vgpr32
	s_delay_alu instid0(VALU_DEP_1)
	v_cmpx_gt_u64_e64 v[2:3], v[0:1]
	s_cbranch_execz .LBB84_194
; %bb.182:                              ;   in Loop: Header=BB84_12 Depth=1
	v_dual_mov_b32 v6, v0 :: v_dual_mov_b32 v5, v1
	v_mov_b32_e32 v4, v0
	s_mov_b32 s21, 0
                                        ; implicit-def: $sgpr22
	s_set_inst_prefetch_distance 0x1
	s_branch .LBB84_184
	.p2align	6
.LBB84_183:                             ;   in Loop: Header=BB84_184 Depth=2
	s_or_b32 exec_lo, exec_lo, s4
	s_waitcnt lgkmcnt(0)
	s_barrier
	buffer_gl0_inv
	ds_load_u16 v7, v13 offset:3072
	v_add_co_u32 v4, vcc_lo, v4, s29
	v_add_co_ci_u32_e32 v5, vcc_lo, 0, v5, vcc_lo
	v_add_nc_u32_e32 v6, s29, v6
	s_waitcnt lgkmcnt(0)
	s_barrier
	s_delay_alu instid0(VALU_DEP_2) | instskip(SKIP_2) | instid1(VALU_DEP_1)
	v_cmp_ge_u64_e32 vcc_lo, v[4:5], v[2:3]
	buffer_gl0_inv
	v_and_b32_e32 v8, 0xff, v7
	v_cmp_ne_u16_e64 s4, 0, v8
	s_delay_alu instid0(VALU_DEP_1) | instskip(NEXT) | instid1(SALU_CYCLE_1)
	s_or_b32 s44, vcc_lo, s4
	s_and_b32 s44, exec_lo, s44
	s_delay_alu instid0(SALU_CYCLE_1) | instskip(SKIP_2) | instid1(SALU_CYCLE_1)
	s_or_b32 s21, s44, s21
	s_and_not1_b32 s22, s22, exec_lo
	s_and_b32 s4, s4, exec_lo
	s_or_b32 s22, s22, s4
	s_and_not1_b32 exec_lo, exec_lo, s21
	s_cbranch_execz .LBB84_193
.LBB84_184:                             ;   Parent Loop BB84_12 Depth=1
                                        ; =>  This Inner Loop Header: Depth=2
	s_delay_alu instid0(VALU_DEP_1)
	v_cmp_gt_u64_e32 vcc_lo, s[10:11], v[4:5]
	v_mov_b32_e32 v7, 0
	s_and_saveexec_b32 s4, vcc_lo
	s_cbranch_execz .LBB84_186
; %bb.185:                              ;   in Loop: Header=BB84_184 Depth=2
	ds_load_u8 v7, v6
.LBB84_186:                             ;   in Loop: Header=BB84_184 Depth=2
	s_or_b32 exec_lo, exec_lo, s4
	s_and_saveexec_b32 s4, vcc_lo
	s_cbranch_execz .LBB84_183
; %bb.187:                              ;   in Loop: Header=BB84_184 Depth=2
	s_waitcnt lgkmcnt(0)
	v_bfe_i32 v8, v7, 0, 8
	s_delay_alu instid0(VALU_DEP_1) | instskip(NEXT) | instid1(VALU_DEP_1)
	v_add_nc_u32_e32 v8, 0x80, v8
	v_and_b32_e32 v8, s85, v8
	s_delay_alu instid0(VALU_DEP_1)
	v_cmp_eq_u32_e32 vcc_lo, s84, v8
	s_and_b32 exec_lo, exec_lo, vcc_lo
	s_cbranch_execz .LBB84_183
; %bb.188:                              ;   in Loop: Header=BB84_184 Depth=2
	v_lshlrev_b16 v7, 8, v7
	s_delay_alu instid0(VALU_DEP_1)
	v_or_b32_e32 v7, 1, v7
	ds_store_b16 v13, v7 offset:3072
	s_branch .LBB84_183
.LBB84_189:                             ;   in Loop: Header=BB84_12 Depth=1
                                        ; implicit-def: $sgpr10
                                        ; implicit-def: $sgpr21
                                        ; implicit-def: $sgpr11
	s_branch .LBB84_208
.LBB84_190:                             ;   in Loop: Header=BB84_12 Depth=1
                                        ; implicit-def: $vgpr2_vgpr3
	s_branch .LBB84_133
.LBB84_191:                             ;   in Loop: Header=BB84_12 Depth=1
                                        ; implicit-def: $vgpr2_vgpr3
	s_branch .LBB84_150
.LBB84_192:                             ;   in Loop: Header=BB84_12 Depth=1
	s_mov_b32 s10, -1
	s_mov_b32 s4, 0
                                        ; implicit-def: $sgpr11
                                        ; implicit-def: $vgpr32
	s_mov_b32 s21, s10
	s_cbranch_execnz .LBB84_195
	s_branch .LBB84_208
.LBB84_193:                             ;   in Loop: Header=BB84_12 Depth=1
	s_set_inst_prefetch_distance 0x2
	s_or_b32 exec_lo, exec_lo, s21
	v_lshrrev_b16 v32, 8, v7
	s_and_b32 s4, s22, exec_lo
.LBB84_194:                             ;   in Loop: Header=BB84_12 Depth=1
	s_or_b32 exec_lo, exec_lo, s5
	s_mov_b32 s11, -1
	s_mov_b32 s10, 0
	s_delay_alu instid0(SALU_CYCLE_1)
	s_mov_b32 s21, s10
	s_branch .LBB84_208
.LBB84_195:                             ;   in Loop: Header=BB84_12 Depth=1
	s_mov_b32 s46, s45
	s_delay_alu instid0(SALU_CYCLE_1)
	s_cmp_lg_u64 s[46:47], 0
	s_cbranch_scc0 .LBB84_238
; %bb.196:                              ;   in Loop: Header=BB84_12 Depth=1
	v_cvt_f32_u32_e32 v2, s29
	s_sub_u32 s10, 0, s29
	s_subb_u32 s11, 0, 0
	s_delay_alu instid0(VALU_DEP_1) | instskip(NEXT) | instid1(VALU_DEP_1)
	v_fmac_f32_e64 v2, 0, 0x4f800000
	v_rcp_f32_e32 v2, v2
	s_waitcnt_depctr 0xfff
	v_mul_f32_e32 v2, 0x5f7ffffc, v2
	s_delay_alu instid0(VALU_DEP_1) | instskip(NEXT) | instid1(VALU_DEP_1)
	v_mul_f32_e32 v3, 0x2f800000, v2
	v_trunc_f32_e32 v3, v3
	s_delay_alu instid0(VALU_DEP_1) | instskip(SKIP_1) | instid1(VALU_DEP_2)
	v_fmac_f32_e32 v2, 0xcf800000, v3
	v_cvt_u32_f32_e32 v3, v3
	v_cvt_u32_f32_e32 v2, v2
	s_delay_alu instid0(VALU_DEP_2) | instskip(NEXT) | instid1(VALU_DEP_2)
	v_readfirstlane_b32 s4, v3
	v_readfirstlane_b32 s5, v2
	s_delay_alu instid0(VALU_DEP_2) | instskip(NEXT) | instid1(VALU_DEP_1)
	s_mul_i32 s21, s10, s4
	s_mul_hi_u32 s44, s10, s5
	s_mul_i32 s22, s11, s5
	s_add_i32 s21, s44, s21
	s_mul_i32 s46, s10, s5
	s_add_i32 s21, s21, s22
	s_mul_hi_u32 s44, s5, s46
	s_mul_hi_u32 s52, s4, s46
	s_mul_i32 s22, s4, s46
	s_mul_hi_u32 s46, s5, s21
	s_mul_i32 s5, s5, s21
	s_mul_hi_u32 s53, s4, s21
	s_add_u32 s5, s44, s5
	s_addc_u32 s44, 0, s46
	s_add_u32 s5, s5, s22
	s_mul_i32 s21, s4, s21
	s_addc_u32 s5, s44, s52
	s_addc_u32 s22, s53, 0
	s_add_u32 s5, s5, s21
	s_addc_u32 s21, 0, s22
	v_add_co_u32 v2, s5, v2, s5
	s_delay_alu instid0(VALU_DEP_1) | instskip(SKIP_1) | instid1(VALU_DEP_1)
	s_cmp_lg_u32 s5, 0
	s_addc_u32 s4, s4, s21
	v_readfirstlane_b32 s5, v2
	s_mul_i32 s21, s10, s4
	s_delay_alu instid0(VALU_DEP_1)
	s_mul_hi_u32 s22, s10, s5
	s_mul_i32 s11, s11, s5
	s_add_i32 s21, s22, s21
	s_mul_i32 s10, s10, s5
	s_add_i32 s21, s21, s11
	s_mul_hi_u32 s22, s4, s10
	s_mul_i32 s44, s4, s10
	s_mul_hi_u32 s10, s5, s10
	s_mul_hi_u32 s46, s5, s21
	s_mul_i32 s5, s5, s21
	s_mul_hi_u32 s11, s4, s21
	s_add_u32 s5, s10, s5
	s_addc_u32 s10, 0, s46
	s_add_u32 s5, s5, s44
	s_mul_i32 s21, s4, s21
	s_addc_u32 s5, s10, s22
	s_addc_u32 s10, s11, 0
	s_add_u32 s5, s5, s21
	s_addc_u32 s10, 0, s10
	v_add_co_u32 v2, s5, v2, s5
	s_delay_alu instid0(VALU_DEP_1) | instskip(SKIP_1) | instid1(VALU_DEP_1)
	s_cmp_lg_u32 s5, 0
	s_addc_u32 s4, s4, s10
	v_readfirstlane_b32 s5, v2
	s_mul_i32 s11, s70, s4
	s_mul_hi_u32 s10, s70, s4
	s_mul_hi_u32 s21, s47, s4
	s_mul_i32 s4, s47, s4
	s_mul_hi_u32 s22, s70, s5
	s_mul_hi_u32 s44, s47, s5
	s_mul_i32 s5, s47, s5
	s_add_u32 s11, s22, s11
	s_addc_u32 s10, 0, s10
	s_add_u32 s5, s11, s5
	s_addc_u32 s5, s10, s44
	s_addc_u32 s10, s21, 0
	s_add_u32 s4, s5, s4
	s_addc_u32 s5, 0, s10
	s_mul_hi_u32 s10, s29, s4
	s_mul_i32 s4, s29, s4
	s_mul_i32 s5, s29, s5
	v_sub_co_u32 v2, s4, s70, s4
	s_add_i32 s10, s10, s5
	s_cmp_lg_u32 s4, 0
	s_delay_alu instid0(VALU_DEP_1) | instskip(SKIP_2) | instid1(VALU_DEP_1)
	v_sub_co_u32 v3, s4, v2, s29
	s_subb_u32 s5, s47, s10
	s_cmp_lg_u32 s4, 0
	v_cmp_le_u32_e32 vcc_lo, s29, v3
	v_sub_co_u32 v4, s4, v3, s29
	s_subb_u32 s10, s5, 0
	s_cmp_lg_u32 s4, 0
	v_cndmask_b32_e64 v5, 0, -1, vcc_lo
	s_subb_u32 s4, s10, 0
	s_cmp_eq_u32 s10, 0
	v_mov_b32_e32 v7, s4
	s_cselect_b32 vcc_lo, -1, 0
	s_cmp_eq_u32 s5, 0
	v_cndmask_b32_e32 v5, -1, v5, vcc_lo
	v_cmp_le_u32_e32 vcc_lo, s29, v2
	s_cselect_b32 s4, -1, 0
	v_cndmask_b32_e64 v6, 0, -1, vcc_lo
	s_delay_alu instid0(VALU_DEP_3) | instskip(NEXT) | instid1(VALU_DEP_2)
	v_cmp_ne_u32_e32 vcc_lo, 0, v5
	v_cndmask_b32_e64 v5, -1, v6, s4
	v_cndmask_b32_e32 v6, s10, v7, vcc_lo
	v_cndmask_b32_e32 v4, v3, v4, vcc_lo
	s_delay_alu instid0(VALU_DEP_3) | instskip(NEXT) | instid1(VALU_DEP_3)
	v_cmp_ne_u32_e32 vcc_lo, 0, v5
	v_cndmask_b32_e32 v3, s5, v6, vcc_lo
	s_delay_alu instid0(VALU_DEP_3)
	v_cndmask_b32_e32 v2, v2, v4, vcc_lo
	s_cbranch_execnz .LBB84_198
.LBB84_197:                             ;   in Loop: Header=BB84_12 Depth=1
	v_cvt_f32_u32_e32 v2, s29
	s_sub_i32 s4, 0, s29
	s_delay_alu instid0(VALU_DEP_1) | instskip(SKIP_2) | instid1(VALU_DEP_1)
	v_rcp_iflag_f32_e32 v2, v2
	s_waitcnt_depctr 0xfff
	v_mul_f32_e32 v2, 0x4f7ffffe, v2
	v_cvt_u32_f32_e32 v2, v2
	s_delay_alu instid0(VALU_DEP_1) | instskip(NEXT) | instid1(VALU_DEP_1)
	v_mul_lo_u32 v3, s4, v2
	v_mul_hi_u32 v3, v2, v3
	s_delay_alu instid0(VALU_DEP_1) | instskip(NEXT) | instid1(VALU_DEP_1)
	v_add_nc_u32_e32 v2, v2, v3
	v_mul_hi_u32 v2, s70, v2
	s_delay_alu instid0(VALU_DEP_1) | instskip(NEXT) | instid1(VALU_DEP_1)
	v_mul_lo_u32 v2, v2, s29
	v_sub_nc_u32_e32 v2, s70, v2
	s_delay_alu instid0(VALU_DEP_1) | instskip(SKIP_1) | instid1(VALU_DEP_2)
	v_subrev_nc_u32_e32 v3, s29, v2
	v_cmp_le_u32_e32 vcc_lo, s29, v2
	v_cndmask_b32_e32 v2, v2, v3, vcc_lo
	s_delay_alu instid0(VALU_DEP_1) | instskip(SKIP_1) | instid1(VALU_DEP_2)
	v_subrev_nc_u32_e32 v3, s29, v2
	v_cmp_le_u32_e32 vcc_lo, s29, v2
	v_cndmask_b32_e32 v12, v2, v3, vcc_lo
	s_delay_alu instid0(VALU_DEP_1)
	v_dual_mov_b32 v2, v12 :: v_dual_mov_b32 v3, v13
.LBB84_198:                             ;   in Loop: Header=BB84_12 Depth=1
	s_delay_alu instid0(VALU_DEP_1) | instskip(NEXT) | instid1(VALU_DEP_2)
	v_sub_co_u32 v2, vcc_lo, s70, v2
	v_sub_co_ci_u32_e32 v3, vcc_lo, s47, v3, vcc_lo
	s_mov_b32 s4, 0
	s_mov_b32 s5, exec_lo
                                        ; implicit-def: $vgpr32
	s_delay_alu instid0(VALU_DEP_1)
	v_cmpx_gt_u64_e64 v[2:3], v[0:1]
	s_cbranch_execz .LBB84_207
; %bb.199:                              ;   in Loop: Header=BB84_12 Depth=1
	v_dual_mov_b32 v4, v10 :: v_dual_mov_b32 v5, v11
	v_dual_mov_b32 v7, v1 :: v_dual_mov_b32 v6, v0
	s_mov_b32 s10, 0
                                        ; implicit-def: $sgpr11
	s_set_inst_prefetch_distance 0x1
	s_branch .LBB84_201
	.p2align	6
.LBB84_200:                             ;   in Loop: Header=BB84_201 Depth=2
	s_or_b32 exec_lo, exec_lo, s4
	s_waitcnt vmcnt(0) lgkmcnt(0)
	s_barrier
	buffer_gl0_inv
	ds_load_u16 v8, v13 offset:3072
	v_add_co_u32 v6, vcc_lo, v6, s29
	v_add_co_ci_u32_e32 v7, vcc_lo, 0, v7, vcc_lo
	s_waitcnt lgkmcnt(0)
	s_barrier
	buffer_gl0_inv
	v_cmp_ge_u64_e32 vcc_lo, v[6:7], v[2:3]
	v_and_b32_e32 v9, 0xff, v8
	s_delay_alu instid0(VALU_DEP_1) | instskip(NEXT) | instid1(VALU_DEP_1)
	v_cmp_ne_u16_e64 s4, 0, v9
	s_or_b32 s21, vcc_lo, s4
	v_add_co_u32 v4, vcc_lo, v4, s64
	s_and_b32 s21, exec_lo, s21
	v_add_co_ci_u32_e32 v5, vcc_lo, s33, v5, vcc_lo
	s_or_b32 s10, s21, s10
	s_and_not1_b32 s11, s11, exec_lo
	s_and_b32 s4, s4, exec_lo
	s_delay_alu instid0(SALU_CYCLE_1)
	s_or_b32 s11, s11, s4
	s_and_not1_b32 exec_lo, exec_lo, s10
	s_cbranch_execz .LBB84_206
.LBB84_201:                             ;   Parent Loop BB84_12 Depth=1
                                        ; =>  This Inner Loop Header: Depth=2
	s_delay_alu instid0(VALU_DEP_1)
	v_cmp_gt_u64_e32 vcc_lo, s[24:25], v[6:7]
	v_mov_b32_e32 v8, 0
	s_and_saveexec_b32 s4, vcc_lo
	s_cbranch_execz .LBB84_203
; %bb.202:                              ;   in Loop: Header=BB84_201 Depth=2
	global_load_u8 v8, v[4:5], off
.LBB84_203:                             ;   in Loop: Header=BB84_201 Depth=2
	s_or_b32 exec_lo, exec_lo, s4
	s_and_saveexec_b32 s4, vcc_lo
	s_cbranch_execz .LBB84_200
; %bb.204:                              ;   in Loop: Header=BB84_201 Depth=2
	s_waitcnt vmcnt(0)
	v_bfe_i32 v9, v8, 0, 8
	s_delay_alu instid0(VALU_DEP_1) | instskip(NEXT) | instid1(VALU_DEP_1)
	v_add_nc_u32_e32 v9, 0x80, v9
	v_and_b32_e32 v9, s85, v9
	s_delay_alu instid0(VALU_DEP_1)
	v_cmp_eq_u32_e32 vcc_lo, s84, v9
	s_and_b32 exec_lo, exec_lo, vcc_lo
	s_cbranch_execz .LBB84_200
; %bb.205:                              ;   in Loop: Header=BB84_201 Depth=2
	v_lshlrev_b16 v8, 8, v8
	s_delay_alu instid0(VALU_DEP_1)
	v_or_b32_e32 v8, 1, v8
	ds_store_b16 v13, v8 offset:3072
	s_branch .LBB84_200
.LBB84_206:                             ;   in Loop: Header=BB84_12 Depth=1
	s_set_inst_prefetch_distance 0x2
	s_or_b32 exec_lo, exec_lo, s10
	v_lshrrev_b16 v32, 8, v8
	s_and_b32 s4, s11, exec_lo
.LBB84_207:                             ;   in Loop: Header=BB84_12 Depth=1
	s_or_b32 exec_lo, exec_lo, s5
	s_mov_b32 s21, -1
	s_mov_b32 s10, 0
	s_mov_b32 s11, 0
.LBB84_208:                             ;   in Loop: Header=BB84_12 Depth=1
	s_mov_b32 s5, 0
                                        ; implicit-def: $sgpr44
	s_and_saveexec_b32 s22, s4
	s_cbranch_execz .LBB84_270
; %bb.209:                              ;   in Loop: Header=BB84_12 Depth=1
	s_xor_b32 s4, s23, -1
	s_mov_b32 s44, 1
	s_and_not1_b32 vcc_lo, exec_lo, s4
	s_cbranch_vccnz .LBB84_220
; %bb.210:                              ;   in Loop: Header=BB84_12 Depth=1
	v_cmp_gt_u64_e64 s4, s[40:41], s[8:9]
                                        ; implicit-def: $sgpr44
                                        ; implicit-def: $sgpr5
                                        ; implicit-def: $sgpr23
	s_delay_alu instid0(VALU_DEP_1)
	s_and_b32 vcc_lo, exec_lo, s4
	s_mov_b32 s4, -1
	s_cbranch_vccnz .LBB84_216
; %bb.211:                              ;   in Loop: Header=BB84_12 Depth=1
	ds_load_b64 v[2:3], v13 offset:5120
	s_waitcnt lgkmcnt(0)
	v_cmp_ne_u64_e32 vcc_lo, 0, v[2:3]
	s_cbranch_vccnz .LBB84_215
; %bb.212:                              ;   in Loop: Header=BB84_12 Depth=1
	s_and_saveexec_b32 s4, s2
	s_cbranch_execz .LBB84_214
; %bb.213:                              ;   in Loop: Header=BB84_12 Depth=1
	v_dual_mov_b32 v2, s8 :: v_dual_mov_b32 v3, s9
	ds_store_b64 v13, v[2:3] offset:5128
.LBB84_214:                             ;   in Loop: Header=BB84_12 Depth=1
	s_or_b32 exec_lo, exec_lo, s4
	s_waitcnt lgkmcnt(0)
	s_barrier
	buffer_gl0_inv
.LBB84_215:                             ;   in Loop: Header=BB84_12 Depth=1
	s_lshl_b32 s4, 2, s17
	s_and_b32 s5, s84, s18
	s_or_b32 s23, s85, s16
	s_or_b32 s5, s5, s4
	s_mov_b32 s4, 0
	s_mov_b32 s44, 8
.LBB84_216:                             ;   in Loop: Header=BB84_12 Depth=1
	s_and_not1_b32 vcc_lo, exec_lo, s4
	s_cbranch_vccnz .LBB84_218
; %bb.217:                              ;   in Loop: Header=BB84_12 Depth=1
	s_sub_u32 s40, s40, s8
	s_subb_u32 s41, s41, s9
	s_mov_b32 s4, -1
	s_mov_b32 s44, 0
	s_mov_b32 s5, s84
	;; [unrolled: 1-line block ×3, first 2 shown]
.LBB84_218:                             ;   in Loop: Header=BB84_12 Depth=1
	s_delay_alu instid0(SALU_CYCLE_1)
	s_mov_b32 s85, s23
	s_mov_b32 s84, s5
	s_and_not1_b32 vcc_lo, exec_lo, s4
	s_mov_b32 s52, -1
	s_cbranch_vccz .LBB84_221
.LBB84_219:                             ;   in Loop: Header=BB84_12 Depth=1
                                        ; implicit-def: $sgpr8
                                        ; implicit-def: $sgpr18
                                        ; implicit-def: $sgpr9
	s_branch .LBB84_269
.LBB84_220:                             ;   in Loop: Header=BB84_12 Depth=1
	s_mov_b64 s[40:41], 1
	s_mov_b32 s52, -1
	s_cbranch_execnz .LBB84_219
.LBB84_221:                             ;   in Loop: Header=BB84_12 Depth=1
	s_cmp_eq_u64 s[6:7], 1
	s_mov_b32 s23, -1
	s_cselect_b32 s4, -1, 0
	s_cmp_eq_u64 s[40:41], 1
	s_cselect_b32 s5, -1, 0
	s_delay_alu instid0(SALU_CYCLE_1) | instskip(NEXT) | instid1(SALU_CYCLE_1)
	s_and_b32 s17, s4, s5
	s_and_b32 vcc_lo, exec_lo, s17
	s_cbranch_vccz .LBB84_236
; %bb.222:                              ;   in Loop: Header=BB84_12 Depth=1
	ds_load_b64 v[2:3], v13 offset:5120
	s_waitcnt lgkmcnt(0)
	s_barrier
	buffer_gl0_inv
	v_readfirstlane_b32 s8, v2
	v_readfirstlane_b32 s9, v3
	s_and_saveexec_b32 s4, s3
	s_cbranch_execz .LBB84_224
; %bb.223:                              ;   in Loop: Header=BB84_12 Depth=1
	ds_store_b8 v0, v13 offset:3072
.LBB84_224:                             ;   in Loop: Header=BB84_12 Depth=1
	s_or_b32 exec_lo, exec_lo, s4
	s_or_b32 s84, s84, s16
	s_or_b32 s85, s85, s16
	s_cmp_eq_u64 s[8:9], 0
	s_waitcnt lgkmcnt(0)
	s_barrier
	buffer_gl0_inv
	s_cbranch_scc1 .LBB84_239
; %bb.225:                              ;   in Loop: Header=BB84_12 Depth=1
	s_add_u32 s18, s68, s8
	s_addc_u32 s5, s69, s9
	s_mov_b32 s4, s45
	s_delay_alu instid0(SALU_CYCLE_1)
	s_cmp_lg_u64 s[4:5], 0
	s_cbranch_scc0 .LBB84_275
; %bb.226:                              ;   in Loop: Header=BB84_12 Depth=1
	v_cvt_f32_u32_e32 v2, s29
	s_sub_u32 s44, 0, s29
	s_subb_u32 s46, 0, 0
	s_delay_alu instid0(VALU_DEP_1) | instskip(NEXT) | instid1(VALU_DEP_1)
	v_fmac_f32_e64 v2, 0, 0x4f800000
	v_rcp_f32_e32 v2, v2
	s_waitcnt_depctr 0xfff
	v_mul_f32_e32 v2, 0x5f7ffffc, v2
	s_delay_alu instid0(VALU_DEP_1) | instskip(NEXT) | instid1(VALU_DEP_1)
	v_mul_f32_e32 v3, 0x2f800000, v2
	v_trunc_f32_e32 v3, v3
	s_delay_alu instid0(VALU_DEP_1) | instskip(SKIP_1) | instid1(VALU_DEP_2)
	v_fmac_f32_e32 v2, 0xcf800000, v3
	v_cvt_u32_f32_e32 v3, v3
	v_cvt_u32_f32_e32 v2, v2
	s_delay_alu instid0(VALU_DEP_2) | instskip(NEXT) | instid1(VALU_DEP_2)
	v_readfirstlane_b32 s4, v3
	v_readfirstlane_b32 s23, v2
	s_delay_alu instid0(VALU_DEP_2) | instskip(NEXT) | instid1(VALU_DEP_1)
	s_mul_i32 s52, s44, s4
	s_mul_hi_u32 s54, s44, s23
	s_mul_i32 s53, s46, s23
	s_add_i32 s52, s54, s52
	s_mul_i32 s55, s44, s23
	s_add_i32 s52, s52, s53
	s_mul_hi_u32 s54, s23, s55
	s_mul_hi_u32 s56, s4, s55
	s_mul_i32 s53, s4, s55
	s_mul_hi_u32 s55, s23, s52
	s_mul_i32 s23, s23, s52
	s_mul_hi_u32 s57, s4, s52
	s_add_u32 s23, s54, s23
	s_addc_u32 s54, 0, s55
	s_add_u32 s23, s23, s53
	s_mul_i32 s52, s4, s52
	s_addc_u32 s23, s54, s56
	s_addc_u32 s53, s57, 0
	s_add_u32 s23, s23, s52
	s_addc_u32 s52, 0, s53
	v_add_co_u32 v2, s23, v2, s23
	s_delay_alu instid0(VALU_DEP_1) | instskip(SKIP_1) | instid1(VALU_DEP_1)
	s_cmp_lg_u32 s23, 0
	s_addc_u32 s4, s4, s52
	v_readfirstlane_b32 s23, v2
	s_mul_i32 s52, s44, s4
	s_delay_alu instid0(VALU_DEP_1)
	s_mul_hi_u32 s53, s44, s23
	s_mul_i32 s46, s46, s23
	s_add_i32 s52, s53, s52
	s_mul_i32 s44, s44, s23
	s_add_i32 s52, s52, s46
	s_mul_hi_u32 s53, s4, s44
	s_mul_i32 s54, s4, s44
	s_mul_hi_u32 s44, s23, s44
	s_mul_hi_u32 s55, s23, s52
	s_mul_i32 s23, s23, s52
	s_mul_hi_u32 s46, s4, s52
	s_add_u32 s23, s44, s23
	s_addc_u32 s44, 0, s55
	s_add_u32 s23, s23, s54
	s_mul_i32 s52, s4, s52
	s_addc_u32 s23, s44, s53
	s_addc_u32 s44, s46, 0
	s_add_u32 s23, s23, s52
	s_addc_u32 s44, 0, s44
	v_add_co_u32 v2, s23, v2, s23
	s_delay_alu instid0(VALU_DEP_1) | instskip(SKIP_1) | instid1(VALU_DEP_1)
	s_cmp_lg_u32 s23, 0
	s_addc_u32 s4, s4, s44
	v_readfirstlane_b32 s23, v2
	s_mul_i32 s46, s18, s4
	s_mul_hi_u32 s44, s18, s4
	s_mul_hi_u32 s52, s5, s4
	s_mul_i32 s4, s5, s4
	s_mul_hi_u32 s53, s18, s23
	s_mul_hi_u32 s54, s5, s23
	s_mul_i32 s23, s5, s23
	s_add_u32 s46, s53, s46
	s_addc_u32 s44, 0, s44
	s_add_u32 s23, s46, s23
	s_addc_u32 s23, s44, s54
	s_addc_u32 s44, s52, 0
	s_add_u32 s4, s23, s4
	s_addc_u32 s23, 0, s44
	s_mul_hi_u32 s44, s29, s4
	s_mul_i32 s4, s29, s4
	s_mul_i32 s23, s29, s23
	v_sub_co_u32 v2, s4, s18, s4
	s_add_i32 s44, s44, s23
	s_cmp_lg_u32 s4, 0
	s_delay_alu instid0(VALU_DEP_1) | instskip(SKIP_2) | instid1(VALU_DEP_1)
	v_sub_co_u32 v3, s4, v2, s29
	s_subb_u32 s23, s5, s44
	s_cmp_lg_u32 s4, 0
	v_cmp_le_u32_e32 vcc_lo, s29, v3
	v_sub_co_u32 v4, s4, v3, s29
	s_subb_u32 s44, s23, 0
	s_cmp_lg_u32 s4, 0
	v_cndmask_b32_e64 v5, 0, -1, vcc_lo
	s_subb_u32 s4, s44, 0
	s_cmp_eq_u32 s44, 0
	v_mov_b32_e32 v7, s4
	s_cselect_b32 vcc_lo, -1, 0
	s_cmp_eq_u32 s23, 0
	v_cndmask_b32_e32 v5, -1, v5, vcc_lo
	v_cmp_le_u32_e32 vcc_lo, s29, v2
	s_cselect_b32 s4, -1, 0
	v_cndmask_b32_e64 v6, 0, -1, vcc_lo
	s_delay_alu instid0(VALU_DEP_3) | instskip(NEXT) | instid1(VALU_DEP_2)
	v_cmp_ne_u32_e32 vcc_lo, 0, v5
	v_cndmask_b32_e64 v5, -1, v6, s4
	v_cndmask_b32_e32 v6, s44, v7, vcc_lo
	v_cndmask_b32_e32 v4, v3, v4, vcc_lo
	s_delay_alu instid0(VALU_DEP_3) | instskip(NEXT) | instid1(VALU_DEP_3)
	v_cmp_ne_u32_e32 vcc_lo, 0, v5
	v_cndmask_b32_e32 v3, s23, v6, vcc_lo
	s_delay_alu instid0(VALU_DEP_3)
	v_cndmask_b32_e32 v2, v2, v4, vcc_lo
	s_cbranch_execnz .LBB84_228
.LBB84_227:                             ;   in Loop: Header=BB84_12 Depth=1
	v_cvt_f32_u32_e32 v2, s29
	s_sub_i32 s4, 0, s29
	s_delay_alu instid0(VALU_DEP_1) | instskip(SKIP_2) | instid1(VALU_DEP_1)
	v_rcp_iflag_f32_e32 v2, v2
	s_waitcnt_depctr 0xfff
	v_mul_f32_e32 v2, 0x4f7ffffe, v2
	v_cvt_u32_f32_e32 v2, v2
	s_delay_alu instid0(VALU_DEP_1) | instskip(NEXT) | instid1(VALU_DEP_1)
	v_mul_lo_u32 v3, s4, v2
	v_mul_hi_u32 v3, v2, v3
	s_delay_alu instid0(VALU_DEP_1) | instskip(NEXT) | instid1(VALU_DEP_1)
	v_add_nc_u32_e32 v2, v2, v3
	v_mul_hi_u32 v2, s18, v2
	s_delay_alu instid0(VALU_DEP_1) | instskip(NEXT) | instid1(VALU_DEP_1)
	v_mul_lo_u32 v2, v2, s29
	v_sub_nc_u32_e32 v2, s18, v2
	s_delay_alu instid0(VALU_DEP_1) | instskip(SKIP_1) | instid1(VALU_DEP_2)
	v_subrev_nc_u32_e32 v3, s29, v2
	v_cmp_le_u32_e32 vcc_lo, s29, v2
	v_cndmask_b32_e32 v2, v2, v3, vcc_lo
	s_delay_alu instid0(VALU_DEP_1) | instskip(SKIP_1) | instid1(VALU_DEP_2)
	v_subrev_nc_u32_e32 v3, s29, v2
	v_cmp_le_u32_e32 vcc_lo, s29, v2
	v_cndmask_b32_e32 v12, v2, v3, vcc_lo
	s_delay_alu instid0(VALU_DEP_1)
	v_dual_mov_b32 v2, v12 :: v_dual_mov_b32 v3, v13
.LBB84_228:                             ;   in Loop: Header=BB84_12 Depth=1
	s_delay_alu instid0(VALU_DEP_1) | instskip(NEXT) | instid1(VALU_DEP_2)
	v_sub_co_u32 v2, vcc_lo, s18, v2
	v_sub_co_ci_u32_e32 v3, vcc_lo, s5, v3, vcc_lo
	s_mov_b32 s23, 0
	s_mov_b32 s5, exec_lo
                                        ; implicit-def: $vgpr32
	s_delay_alu instid0(VALU_DEP_1)
	v_cmpx_gt_u64_e64 v[2:3], v[0:1]
	s_cbranch_execz .LBB84_241
; %bb.229:                              ;   in Loop: Header=BB84_12 Depth=1
	v_dual_mov_b32 v6, v0 :: v_dual_mov_b32 v5, v1
	v_mov_b32_e32 v4, v0
	s_mov_b32 s18, 0
                                        ; implicit-def: $sgpr23
	s_set_inst_prefetch_distance 0x1
	s_branch .LBB84_231
	.p2align	6
.LBB84_230:                             ;   in Loop: Header=BB84_231 Depth=2
	s_or_b32 exec_lo, exec_lo, s4
	s_waitcnt lgkmcnt(0)
	s_barrier
	buffer_gl0_inv
	ds_load_u16 v7, v13 offset:3072
	v_add_co_u32 v4, vcc_lo, v4, s29
	v_add_co_ci_u32_e32 v5, vcc_lo, 0, v5, vcc_lo
	v_add_nc_u32_e32 v6, s29, v6
	s_waitcnt lgkmcnt(0)
	s_barrier
	s_delay_alu instid0(VALU_DEP_2) | instskip(SKIP_2) | instid1(VALU_DEP_1)
	v_cmp_ge_u64_e32 vcc_lo, v[4:5], v[2:3]
	buffer_gl0_inv
	v_and_b32_e32 v8, 0xff, v7
	v_cmp_ne_u16_e64 s4, 0, v8
	s_delay_alu instid0(VALU_DEP_1) | instskip(NEXT) | instid1(SALU_CYCLE_1)
	s_or_b32 s44, vcc_lo, s4
	s_and_b32 s44, exec_lo, s44
	s_delay_alu instid0(SALU_CYCLE_1) | instskip(SKIP_2) | instid1(SALU_CYCLE_1)
	s_or_b32 s18, s44, s18
	s_and_not1_b32 s23, s23, exec_lo
	s_and_b32 s4, s4, exec_lo
	s_or_b32 s23, s23, s4
	s_and_not1_b32 exec_lo, exec_lo, s18
	s_cbranch_execz .LBB84_240
.LBB84_231:                             ;   Parent Loop BB84_12 Depth=1
                                        ; =>  This Inner Loop Header: Depth=2
	s_delay_alu instid0(VALU_DEP_1)
	v_cmp_gt_u64_e32 vcc_lo, s[8:9], v[4:5]
	v_mov_b32_e32 v7, 0
	s_and_saveexec_b32 s4, vcc_lo
	s_cbranch_execz .LBB84_233
; %bb.232:                              ;   in Loop: Header=BB84_231 Depth=2
	ds_load_u8 v7, v6
.LBB84_233:                             ;   in Loop: Header=BB84_231 Depth=2
	s_or_b32 exec_lo, exec_lo, s4
	s_and_saveexec_b32 s4, vcc_lo
	s_cbranch_execz .LBB84_230
; %bb.234:                              ;   in Loop: Header=BB84_231 Depth=2
	s_waitcnt lgkmcnt(0)
	v_bfe_i32 v8, v7, 0, 8
	s_delay_alu instid0(VALU_DEP_1) | instskip(NEXT) | instid1(VALU_DEP_1)
	v_add_nc_u32_e32 v8, 0x80, v8
	v_and_b32_e32 v8, s85, v8
	s_delay_alu instid0(VALU_DEP_1)
	v_cmp_eq_u32_e32 vcc_lo, s84, v8
	s_and_b32 exec_lo, exec_lo, vcc_lo
	s_cbranch_execz .LBB84_230
; %bb.235:                              ;   in Loop: Header=BB84_231 Depth=2
	v_lshlrev_b16 v7, 8, v7
	s_delay_alu instid0(VALU_DEP_1)
	v_or_b32_e32 v7, 1, v7
	ds_store_b16 v13, v7 offset:3072
	s_branch .LBB84_230
.LBB84_236:                             ;   in Loop: Header=BB84_12 Depth=1
                                        ; implicit-def: $sgpr8
                                        ; implicit-def: $sgpr18
                                        ; implicit-def: $sgpr9
	s_branch .LBB84_255
.LBB84_237:                             ;   in Loop: Header=BB84_12 Depth=1
                                        ; implicit-def: $vgpr2_vgpr3
	s_branch .LBB84_180
.LBB84_238:                             ;   in Loop: Header=BB84_12 Depth=1
                                        ; implicit-def: $vgpr2_vgpr3
	s_branch .LBB84_197
.LBB84_239:                             ;   in Loop: Header=BB84_12 Depth=1
	s_mov_b32 s8, -1
	s_mov_b32 s23, 0
                                        ; implicit-def: $sgpr9
                                        ; implicit-def: $vgpr32
	s_mov_b32 s18, s8
	s_cbranch_execnz .LBB84_242
	s_branch .LBB84_255
.LBB84_240:                             ;   in Loop: Header=BB84_12 Depth=1
	s_set_inst_prefetch_distance 0x2
	s_or_b32 exec_lo, exec_lo, s18
	v_lshrrev_b16 v32, 8, v7
	s_and_b32 s23, s23, exec_lo
.LBB84_241:                             ;   in Loop: Header=BB84_12 Depth=1
	s_or_b32 exec_lo, exec_lo, s5
	s_mov_b32 s9, -1
	s_mov_b32 s8, 0
	s_delay_alu instid0(SALU_CYCLE_1)
	s_mov_b32 s18, s8
	s_branch .LBB84_255
.LBB84_242:                             ;   in Loop: Header=BB84_12 Depth=1
	s_mov_b32 s46, s45
	s_delay_alu instid0(SALU_CYCLE_1)
	s_cmp_lg_u64 s[46:47], 0
	s_cbranch_scc0 .LBB84_276
; %bb.243:                              ;   in Loop: Header=BB84_12 Depth=1
	v_cvt_f32_u32_e32 v2, s29
	s_sub_u32 s8, 0, s29
	s_subb_u32 s9, 0, 0
	s_delay_alu instid0(VALU_DEP_1) | instskip(NEXT) | instid1(VALU_DEP_1)
	v_fmac_f32_e64 v2, 0, 0x4f800000
	v_rcp_f32_e32 v2, v2
	s_waitcnt_depctr 0xfff
	v_mul_f32_e32 v2, 0x5f7ffffc, v2
	s_delay_alu instid0(VALU_DEP_1) | instskip(NEXT) | instid1(VALU_DEP_1)
	v_mul_f32_e32 v3, 0x2f800000, v2
	v_trunc_f32_e32 v3, v3
	s_delay_alu instid0(VALU_DEP_1) | instskip(SKIP_1) | instid1(VALU_DEP_2)
	v_fmac_f32_e32 v2, 0xcf800000, v3
	v_cvt_u32_f32_e32 v3, v3
	v_cvt_u32_f32_e32 v2, v2
	s_delay_alu instid0(VALU_DEP_2) | instskip(NEXT) | instid1(VALU_DEP_2)
	v_readfirstlane_b32 s4, v3
	v_readfirstlane_b32 s5, v2
	s_delay_alu instid0(VALU_DEP_2) | instskip(NEXT) | instid1(VALU_DEP_1)
	s_mul_i32 s18, s8, s4
	s_mul_hi_u32 s44, s8, s5
	s_mul_i32 s23, s9, s5
	s_add_i32 s18, s44, s18
	s_mul_i32 s46, s8, s5
	s_add_i32 s18, s18, s23
	s_mul_hi_u32 s44, s5, s46
	s_mul_hi_u32 s52, s4, s46
	s_mul_i32 s23, s4, s46
	s_mul_hi_u32 s46, s5, s18
	s_mul_i32 s5, s5, s18
	s_mul_hi_u32 s53, s4, s18
	s_add_u32 s5, s44, s5
	s_addc_u32 s44, 0, s46
	s_add_u32 s5, s5, s23
	s_mul_i32 s18, s4, s18
	s_addc_u32 s5, s44, s52
	s_addc_u32 s23, s53, 0
	s_add_u32 s5, s5, s18
	s_addc_u32 s18, 0, s23
	v_add_co_u32 v2, s5, v2, s5
	s_delay_alu instid0(VALU_DEP_1) | instskip(SKIP_1) | instid1(VALU_DEP_1)
	s_cmp_lg_u32 s5, 0
	s_addc_u32 s4, s4, s18
	v_readfirstlane_b32 s5, v2
	s_mul_i32 s18, s8, s4
	s_delay_alu instid0(VALU_DEP_1)
	s_mul_hi_u32 s23, s8, s5
	s_mul_i32 s9, s9, s5
	s_add_i32 s18, s23, s18
	s_mul_i32 s8, s8, s5
	s_add_i32 s18, s18, s9
	s_mul_hi_u32 s23, s4, s8
	s_mul_i32 s44, s4, s8
	s_mul_hi_u32 s8, s5, s8
	s_mul_hi_u32 s46, s5, s18
	s_mul_i32 s5, s5, s18
	s_mul_hi_u32 s9, s4, s18
	s_add_u32 s5, s8, s5
	s_addc_u32 s8, 0, s46
	s_add_u32 s5, s5, s44
	s_mul_i32 s18, s4, s18
	s_addc_u32 s5, s8, s23
	s_addc_u32 s8, s9, 0
	s_add_u32 s5, s5, s18
	s_addc_u32 s8, 0, s8
	v_add_co_u32 v2, s5, v2, s5
	s_delay_alu instid0(VALU_DEP_1) | instskip(SKIP_1) | instid1(VALU_DEP_1)
	s_cmp_lg_u32 s5, 0
	s_addc_u32 s4, s4, s8
	v_readfirstlane_b32 s5, v2
	s_mul_i32 s9, s70, s4
	s_mul_hi_u32 s8, s70, s4
	s_mul_hi_u32 s18, s47, s4
	s_mul_i32 s4, s47, s4
	s_mul_hi_u32 s23, s70, s5
	s_mul_hi_u32 s44, s47, s5
	s_mul_i32 s5, s47, s5
	s_add_u32 s9, s23, s9
	s_addc_u32 s8, 0, s8
	s_add_u32 s5, s9, s5
	s_addc_u32 s5, s8, s44
	s_addc_u32 s8, s18, 0
	s_add_u32 s4, s5, s4
	s_addc_u32 s5, 0, s8
	s_mul_hi_u32 s8, s29, s4
	s_mul_i32 s4, s29, s4
	s_mul_i32 s5, s29, s5
	v_sub_co_u32 v2, s4, s70, s4
	s_add_i32 s8, s8, s5
	s_cmp_lg_u32 s4, 0
	s_delay_alu instid0(VALU_DEP_1) | instskip(SKIP_2) | instid1(VALU_DEP_1)
	v_sub_co_u32 v3, s4, v2, s29
	s_subb_u32 s5, s47, s8
	s_cmp_lg_u32 s4, 0
	v_cmp_le_u32_e32 vcc_lo, s29, v3
	v_sub_co_u32 v4, s4, v3, s29
	s_subb_u32 s8, s5, 0
	s_cmp_lg_u32 s4, 0
	v_cndmask_b32_e64 v5, 0, -1, vcc_lo
	s_subb_u32 s4, s8, 0
	s_cmp_eq_u32 s8, 0
	v_mov_b32_e32 v7, s4
	s_cselect_b32 vcc_lo, -1, 0
	s_cmp_eq_u32 s5, 0
	v_cndmask_b32_e32 v5, -1, v5, vcc_lo
	v_cmp_le_u32_e32 vcc_lo, s29, v2
	s_cselect_b32 s4, -1, 0
	v_cndmask_b32_e64 v6, 0, -1, vcc_lo
	s_delay_alu instid0(VALU_DEP_3) | instskip(NEXT) | instid1(VALU_DEP_2)
	v_cmp_ne_u32_e32 vcc_lo, 0, v5
	v_cndmask_b32_e64 v5, -1, v6, s4
	v_cndmask_b32_e32 v6, s8, v7, vcc_lo
	v_cndmask_b32_e32 v4, v3, v4, vcc_lo
	s_delay_alu instid0(VALU_DEP_3) | instskip(NEXT) | instid1(VALU_DEP_3)
	v_cmp_ne_u32_e32 vcc_lo, 0, v5
	v_cndmask_b32_e32 v3, s5, v6, vcc_lo
	s_delay_alu instid0(VALU_DEP_3)
	v_cndmask_b32_e32 v2, v2, v4, vcc_lo
	s_cbranch_execnz .LBB84_245
.LBB84_244:                             ;   in Loop: Header=BB84_12 Depth=1
	v_cvt_f32_u32_e32 v2, s29
	s_sub_i32 s4, 0, s29
	s_delay_alu instid0(VALU_DEP_1) | instskip(SKIP_2) | instid1(VALU_DEP_1)
	v_rcp_iflag_f32_e32 v2, v2
	s_waitcnt_depctr 0xfff
	v_mul_f32_e32 v2, 0x4f7ffffe, v2
	v_cvt_u32_f32_e32 v2, v2
	s_delay_alu instid0(VALU_DEP_1) | instskip(NEXT) | instid1(VALU_DEP_1)
	v_mul_lo_u32 v3, s4, v2
	v_mul_hi_u32 v3, v2, v3
	s_delay_alu instid0(VALU_DEP_1) | instskip(NEXT) | instid1(VALU_DEP_1)
	v_add_nc_u32_e32 v2, v2, v3
	v_mul_hi_u32 v2, s70, v2
	s_delay_alu instid0(VALU_DEP_1) | instskip(NEXT) | instid1(VALU_DEP_1)
	v_mul_lo_u32 v2, v2, s29
	v_sub_nc_u32_e32 v2, s70, v2
	s_delay_alu instid0(VALU_DEP_1) | instskip(SKIP_1) | instid1(VALU_DEP_2)
	v_subrev_nc_u32_e32 v3, s29, v2
	v_cmp_le_u32_e32 vcc_lo, s29, v2
	v_cndmask_b32_e32 v2, v2, v3, vcc_lo
	s_delay_alu instid0(VALU_DEP_1) | instskip(SKIP_1) | instid1(VALU_DEP_2)
	v_subrev_nc_u32_e32 v3, s29, v2
	v_cmp_le_u32_e32 vcc_lo, s29, v2
	v_cndmask_b32_e32 v12, v2, v3, vcc_lo
	s_delay_alu instid0(VALU_DEP_1)
	v_dual_mov_b32 v2, v12 :: v_dual_mov_b32 v3, v13
.LBB84_245:                             ;   in Loop: Header=BB84_12 Depth=1
	s_delay_alu instid0(VALU_DEP_1) | instskip(NEXT) | instid1(VALU_DEP_2)
	v_sub_co_u32 v2, vcc_lo, s70, v2
	v_sub_co_ci_u32_e32 v3, vcc_lo, s47, v3, vcc_lo
	s_mov_b32 s23, 0
	s_mov_b32 s5, exec_lo
                                        ; implicit-def: $vgpr32
	s_delay_alu instid0(VALU_DEP_1)
	v_cmpx_gt_u64_e64 v[2:3], v[0:1]
	s_cbranch_execz .LBB84_254
; %bb.246:                              ;   in Loop: Header=BB84_12 Depth=1
	v_dual_mov_b32 v4, v10 :: v_dual_mov_b32 v5, v11
	v_dual_mov_b32 v7, v1 :: v_dual_mov_b32 v6, v0
	s_mov_b32 s8, 0
                                        ; implicit-def: $sgpr9
	s_set_inst_prefetch_distance 0x1
	s_branch .LBB84_248
	.p2align	6
.LBB84_247:                             ;   in Loop: Header=BB84_248 Depth=2
	s_or_b32 exec_lo, exec_lo, s4
	s_waitcnt vmcnt(0) lgkmcnt(0)
	s_barrier
	buffer_gl0_inv
	ds_load_u16 v8, v13 offset:3072
	v_add_co_u32 v6, vcc_lo, v6, s29
	v_add_co_ci_u32_e32 v7, vcc_lo, 0, v7, vcc_lo
	s_waitcnt lgkmcnt(0)
	s_barrier
	buffer_gl0_inv
	v_cmp_ge_u64_e32 vcc_lo, v[6:7], v[2:3]
	v_and_b32_e32 v9, 0xff, v8
	s_delay_alu instid0(VALU_DEP_1) | instskip(NEXT) | instid1(VALU_DEP_1)
	v_cmp_ne_u16_e64 s4, 0, v9
	s_or_b32 s18, vcc_lo, s4
	v_add_co_u32 v4, vcc_lo, v4, s64
	s_and_b32 s18, exec_lo, s18
	v_add_co_ci_u32_e32 v5, vcc_lo, s33, v5, vcc_lo
	s_or_b32 s8, s18, s8
	s_and_not1_b32 s9, s9, exec_lo
	s_and_b32 s4, s4, exec_lo
	s_delay_alu instid0(SALU_CYCLE_1)
	s_or_b32 s9, s9, s4
	s_and_not1_b32 exec_lo, exec_lo, s8
	s_cbranch_execz .LBB84_253
.LBB84_248:                             ;   Parent Loop BB84_12 Depth=1
                                        ; =>  This Inner Loop Header: Depth=2
	s_delay_alu instid0(VALU_DEP_1)
	v_cmp_gt_u64_e32 vcc_lo, s[24:25], v[6:7]
	v_mov_b32_e32 v8, 0
	s_and_saveexec_b32 s4, vcc_lo
	s_cbranch_execz .LBB84_250
; %bb.249:                              ;   in Loop: Header=BB84_248 Depth=2
	global_load_u8 v8, v[4:5], off
.LBB84_250:                             ;   in Loop: Header=BB84_248 Depth=2
	s_or_b32 exec_lo, exec_lo, s4
	s_and_saveexec_b32 s4, vcc_lo
	s_cbranch_execz .LBB84_247
; %bb.251:                              ;   in Loop: Header=BB84_248 Depth=2
	s_waitcnt vmcnt(0)
	v_bfe_i32 v9, v8, 0, 8
	s_delay_alu instid0(VALU_DEP_1) | instskip(NEXT) | instid1(VALU_DEP_1)
	v_add_nc_u32_e32 v9, 0x80, v9
	v_and_b32_e32 v9, s85, v9
	s_delay_alu instid0(VALU_DEP_1)
	v_cmp_eq_u32_e32 vcc_lo, s84, v9
	s_and_b32 exec_lo, exec_lo, vcc_lo
	s_cbranch_execz .LBB84_247
; %bb.252:                              ;   in Loop: Header=BB84_248 Depth=2
	v_lshlrev_b16 v8, 8, v8
	s_delay_alu instid0(VALU_DEP_1)
	v_or_b32_e32 v8, 1, v8
	ds_store_b16 v13, v8 offset:3072
	s_branch .LBB84_247
.LBB84_253:                             ;   in Loop: Header=BB84_12 Depth=1
	s_set_inst_prefetch_distance 0x2
	s_or_b32 exec_lo, exec_lo, s8
	v_lshrrev_b16 v32, 8, v8
	s_and_b32 s23, s9, exec_lo
.LBB84_254:                             ;   in Loop: Header=BB84_12 Depth=1
	s_or_b32 exec_lo, exec_lo, s5
	s_mov_b32 s18, -1
	s_mov_b32 s8, 0
	s_mov_b32 s9, 0
.LBB84_255:                             ;   in Loop: Header=BB84_12 Depth=1
	s_mov_b32 s52, 0
                                        ; implicit-def: $sgpr44
                                        ; implicit-def: $sgpr4_sgpr5
	s_and_saveexec_b32 s46, s23
	s_cbranch_execz .LBB84_268
; %bb.256:                              ;   in Loop: Header=BB84_12 Depth=1
	s_xor_b32 s17, s17, -1
	s_mov_b64 s[4:5], 1
	s_and_not1_b32 vcc_lo, exec_lo, s17
	s_mov_b32 s44, 1
	s_cbranch_vccnz .LBB84_267
; %bb.257:                              ;   in Loop: Header=BB84_12 Depth=1
	v_cmp_gt_u64_e64 s4, s[40:41], s[6:7]
	s_delay_alu instid0(VALU_DEP_1)
	s_and_b32 vcc_lo, exec_lo, s4
	s_cbranch_vccnz .LBB84_263
; %bb.258:                              ;   in Loop: Header=BB84_12 Depth=1
	ds_load_b64 v[2:3], v13 offset:5120
	s_waitcnt lgkmcnt(0)
	v_cmp_ne_u64_e32 vcc_lo, 0, v[2:3]
	s_cbranch_vccnz .LBB84_262
; %bb.259:                              ;   in Loop: Header=BB84_12 Depth=1
	s_and_saveexec_b32 s4, s2
	s_cbranch_execz .LBB84_261
; %bb.260:                              ;   in Loop: Header=BB84_12 Depth=1
	v_dual_mov_b32 v2, s6 :: v_dual_mov_b32 v3, s7
	ds_store_b64 v13, v[2:3] offset:5128
.LBB84_261:                             ;   in Loop: Header=BB84_12 Depth=1
	s_or_b32 exec_lo, exec_lo, s4
	s_waitcnt lgkmcnt(0)
	s_barrier
	buffer_gl0_inv
.LBB84_262:                             ;   in Loop: Header=BB84_12 Depth=1
	s_or_b32 s17, s84, s16
	s_or_b32 s16, s85, s16
	s_mov_b32 s4, 0
	s_mov_b32 s44, 8
	s_branch .LBB84_264
.LBB84_263:                             ;   in Loop: Header=BB84_12 Depth=1
	s_mov_b32 s4, -1
                                        ; implicit-def: $sgpr44
                                        ; implicit-def: $sgpr17
                                        ; implicit-def: $sgpr16
.LBB84_264:                             ;   in Loop: Header=BB84_12 Depth=1
	s_delay_alu instid0(SALU_CYCLE_1)
	s_and_not1_b32 vcc_lo, exec_lo, s4
	s_cbranch_vccnz .LBB84_266
; %bb.265:                              ;   in Loop: Header=BB84_12 Depth=1
	s_sub_u32 s40, s40, s6
	s_subb_u32 s41, s41, s7
	s_mov_b32 s44, 8
	s_mov_b32 s17, s84
	;; [unrolled: 1-line block ×3, first 2 shown]
.LBB84_266:                             ;   in Loop: Header=BB84_12 Depth=1
	s_mov_b64 s[4:5], s[40:41]
	s_mov_b32 s84, s17
	s_mov_b32 s85, s16
.LBB84_267:                             ;   in Loop: Header=BB84_12 Depth=1
	s_mov_b32 s52, exec_lo
.LBB84_268:                             ;   in Loop: Header=BB84_12 Depth=1
	s_or_b32 exec_lo, exec_lo, s46
	s_mov_b64 s[40:41], s[4:5]
.LBB84_269:                             ;   in Loop: Header=BB84_12 Depth=1
	s_and_not1_b32 s4, s10, exec_lo
	s_and_b32 s5, s8, exec_lo
	s_and_not1_b32 s6, s11, exec_lo
	s_or_b32 s10, s4, s5
	s_and_not1_b32 s4, s21, exec_lo
	s_and_b32 s5, s18, exec_lo
	s_and_b32 s7, s9, exec_lo
	s_or_b32 s21, s4, s5
	s_or_b32 s11, s6, s7
	s_and_b32 s5, s52, exec_lo
.LBB84_270:                             ;   in Loop: Header=BB84_12 Depth=1
	s_or_b32 exec_lo, exec_lo, s22
.LBB84_271:                             ;   in Loop: Header=BB84_12 Depth=1
	s_delay_alu instid0(SALU_CYCLE_1)
	s_and_not1_b32 s4, s13, exec_lo
	s_and_b32 s6, s10, exec_lo
	s_and_not1_b32 s7, s12, exec_lo
	s_or_b32 s13, s4, s6
	s_and_not1_b32 s4, s19, exec_lo
	s_and_b32 s6, s21, exec_lo
	s_and_b32 s8, s11, exec_lo
	s_or_b32 s19, s4, s6
	s_or_b32 s12, s7, s8
	s_and_b32 s5, s5, exec_lo
.LBB84_272:                             ;   in Loop: Header=BB84_12 Depth=1
	s_or_b32 exec_lo, exec_lo, s20
	s_and_saveexec_b32 s4, s5
	s_delay_alu instid0(SALU_CYCLE_1)
	s_xor_b32 s4, exec_lo, s4
	s_cbranch_execz .LBB84_10
.LBB84_273:                             ;   in Loop: Header=BB84_12 Depth=1
	s_and_b32 s5, s44, -9
	s_delay_alu instid0(SALU_CYCLE_1)
	s_cmp_eq_u32 s5, 0
	s_cbranch_scc1 .LBB84_8
; %bb.274:                              ;   in Loop: Header=BB84_12 Depth=1
	s_mov_b32 s5, -1
	s_mov_b32 s6, -1
                                        ; implicit-def: $sgpr85
                                        ; implicit-def: $sgpr40_sgpr41
                                        ; implicit-def: $sgpr75
                                        ; implicit-def: $sgpr82
	s_branch .LBB84_9
.LBB84_275:                             ;   in Loop: Header=BB84_12 Depth=1
                                        ; implicit-def: $vgpr2_vgpr3
	s_branch .LBB84_227
.LBB84_276:                             ;   in Loop: Header=BB84_12 Depth=1
                                        ; implicit-def: $vgpr2_vgpr3
	s_branch .LBB84_244
.LBB84_277:
	s_or_b32 exec_lo, exec_lo, s76
	s_xor_b32 s4, s79, -1
	s_xor_b32 s1, s77, -1
	;; [unrolled: 1-line block ×3, first 2 shown]
	s_mov_b32 s2, 0
	s_and_saveexec_b32 s5, s1
	s_delay_alu instid0(SALU_CYCLE_1)
	s_xor_b32 s1, exec_lo, s5
	s_cbranch_execz .LBB84_291
; %bb.278:
	s_and_saveexec_b32 s2, s4
	s_delay_alu instid0(SALU_CYCLE_1)
	s_xor_b32 s2, exec_lo, s2
	s_cbranch_execz .LBB84_289
; %bb.279:
	s_and_saveexec_b32 s4, s3
	s_delay_alu instid0(SALU_CYCLE_1)
	s_xor_b32 s3, exec_lo, s4
; %bb.280:
	v_xor_b32_e32 v32, 0xffffff80, v2
; %bb.281:
	s_or_b32 exec_lo, exec_lo, s3
	s_mul_i32 s3, s39, s28
	s_mul_hi_u32 s4, s38, s28
	s_mul_i32 s5, s38, s28
	v_mov_b32_e32 v2, 0
	s_add_i32 s3, s4, s3
	s_add_u32 s4, s36, s5
	s_addc_u32 s5, s37, s3
	global_store_b8 v2, v32, s[4:5]
	s_and_saveexec_b32 s3, s0
	s_cbranch_execz .LBB84_288
; %bb.282:
	v_and_b32_e32 v4, 0xff, v32
	s_mov_b32 s4, 0
                                        ; implicit-def: $sgpr5
                                        ; implicit-def: $sgpr7
                                        ; implicit-def: $sgpr6
	s_set_inst_prefetch_distance 0x1
	s_branch .LBB84_284
	.p2align	6
.LBB84_283:                             ;   in Loop: Header=BB84_284 Depth=1
	s_or_b32 exec_lo, exec_lo, s8
	s_delay_alu instid0(SALU_CYCLE_1) | instskip(NEXT) | instid1(SALU_CYCLE_1)
	s_and_b32 s0, exec_lo, s7
	s_or_b32 s4, s0, s4
	s_and_not1_b32 s0, s5, exec_lo
	s_and_b32 s5, s6, exec_lo
	s_delay_alu instid0(SALU_CYCLE_1)
	s_or_b32 s5, s0, s5
	s_and_not1_b32 exec_lo, exec_lo, s4
	s_cbranch_execz .LBB84_286
.LBB84_284:                             ; =>This Inner Loop Header: Depth=1
	global_load_u8 v5, v[10:11], off
	v_dual_mov_b32 v3, v1 :: v_dual_mov_b32 v2, v0
	s_or_b32 s6, s6, exec_lo
	s_or_b32 s7, s7, exec_lo
	s_mov_b32 s8, exec_lo
                                        ; implicit-def: $vgpr0_vgpr1
	s_waitcnt vmcnt(0)
	v_cmpx_ne_u16_e64 v5, v4
	s_cbranch_execz .LBB84_283
; %bb.285:                              ;   in Loop: Header=BB84_284 Depth=1
	v_add_co_u32 v0, vcc_lo, v2, s29
	v_add_co_ci_u32_e32 v1, vcc_lo, 0, v3, vcc_lo
	v_add_co_u32 v10, s0, v10, s64
	s_delay_alu instid0(VALU_DEP_1) | instskip(NEXT) | instid1(VALU_DEP_3)
	v_add_co_ci_u32_e64 v11, s0, s33, v11, s0
	v_cmp_le_u64_e32 vcc_lo, s[24:25], v[0:1]
	s_and_not1_b32 s0, s7, exec_lo
	s_and_not1_b32 s6, s6, exec_lo
	s_and_b32 s7, vcc_lo, exec_lo
	s_delay_alu instid0(SALU_CYCLE_1)
	s_or_b32 s7, s0, s7
	s_branch .LBB84_283
.LBB84_286:
	s_set_inst_prefetch_distance 0x2
	s_or_b32 exec_lo, exec_lo, s4
	s_and_saveexec_b32 s0, s5
	s_delay_alu instid0(SALU_CYCLE_1)
	s_xor_b32 s0, exec_lo, s0
	s_cbranch_execz .LBB84_288
; %bb.287:
	s_mul_i32 s0, s31, s28
	s_mul_hi_u32 s5, s30, s28
	s_mul_i32 s4, s30, s28
	s_add_i32 s5, s5, s0
	v_mov_b32_e32 v0, 0
	s_lshl_b64 s[4:5], s[4:5], 3
	s_delay_alu instid0(SALU_CYCLE_1)
	s_add_u32 s4, s26, s4
	s_addc_u32 s5, s27, s5
	global_store_b64 v0, v[2:3], s[4:5]
.LBB84_288:
	s_or_b32 exec_lo, exec_lo, s3
.LBB84_289:
	s_or_saveexec_b32 s0, s2
	s_mov_b32 s2, 0
	s_xor_b32 exec_lo, exec_lo, s0
	s_cbranch_execnz .LBB84_297
.LBB84_290:
	s_or_b32 exec_lo, exec_lo, s0
	s_delay_alu instid0(SALU_CYCLE_1)
	s_and_b32 s2, s2, exec_lo
.LBB84_291:
	s_and_not1_saveexec_b32 s0, s1
	s_cbranch_execnz .LBB84_295
; %bb.292:
	s_or_b32 exec_lo, exec_lo, s0
	s_and_saveexec_b32 s0, s2
.LBB84_293:
	; divergent unreachable
.LBB84_294:
	s_nop 0
	s_sendmsg sendmsg(MSG_DEALLOC_VGPRS)
	s_endpgm
.LBB84_295:
	s_cbranch_execnz .LBB84_299
; %bb.296:
	s_or_b32 s2, s2, exec_lo
	s_or_b32 exec_lo, exec_lo, s0
	s_and_saveexec_b32 s0, s2
	s_cbranch_execnz .LBB84_293
	s_branch .LBB84_294
.LBB84_297:
	s_cbranch_execnz .LBB84_301
; %bb.298:
	s_mov_b32 s2, exec_lo
	s_branch .LBB84_290
.LBB84_299:
	s_trap 2
	s_sendmsg_rtn_b32 s0, sendmsg(MSG_RTN_GET_DOORBELL)
	s_mov_b32 ttmp2, m0
	s_waitcnt lgkmcnt(0)
	s_and_b32 s0, s0, 0x3ff
	s_delay_alu instid0(SALU_CYCLE_1) | instskip(NEXT) | instid1(SALU_CYCLE_1)
	s_bitset1_b32 s0, 10
	s_mov_b32 m0, s0
	s_sendmsg sendmsg(MSG_INTERRUPT)
	s_mov_b32 m0, ttmp2
.LBB84_300:                             ; =>This Inner Loop Header: Depth=1
	s_sethalt 5
	s_branch .LBB84_300
.LBB84_301:
	s_trap 2
	s_sendmsg_rtn_b32 s0, sendmsg(MSG_RTN_GET_DOORBELL)
	s_mov_b32 ttmp2, m0
	s_waitcnt lgkmcnt(0)
	s_and_b32 s0, s0, 0x3ff
	s_delay_alu instid0(SALU_CYCLE_1) | instskip(NEXT) | instid1(SALU_CYCLE_1)
	s_bitset1_b32 s0, 10
	s_mov_b32 m0, s0
	s_sendmsg sendmsg(MSG_INTERRUPT)
	s_mov_b32 m0, ttmp2
.LBB84_302:                             ; =>This Inner Loop Header: Depth=1
	s_sethalt 5
	s_branch .LBB84_302
	.section	.rodata,"a",@progbits
	.p2align	6, 0x0
	.amdhsa_kernel _ZN2at6native12_GLOBAL__N_112gatherMedianIamLi1EEEvNS_4cuda6detail10TensorInfoIT_T0_EENS5_IlS7_EENS5_IKS6_S7_EES7_S7_S7_b
		.amdhsa_group_segment_fixed_size 5152
		.amdhsa_private_segment_fixed_size 0
		.amdhsa_kernarg_size 1536
		.amdhsa_user_sgpr_count 13
		.amdhsa_user_sgpr_dispatch_ptr 0
		.amdhsa_user_sgpr_queue_ptr 0
		.amdhsa_user_sgpr_kernarg_segment_ptr 1
		.amdhsa_user_sgpr_dispatch_id 0
		.amdhsa_user_sgpr_private_segment_size 0
		.amdhsa_wavefront_size32 1
		.amdhsa_uses_dynamic_stack 0
		.amdhsa_enable_private_segment 0
		.amdhsa_system_sgpr_workgroup_id_x 1
		.amdhsa_system_sgpr_workgroup_id_y 1
		.amdhsa_system_sgpr_workgroup_id_z 1
		.amdhsa_system_sgpr_workgroup_info 0
		.amdhsa_system_vgpr_workitem_id 0
		.amdhsa_next_free_vgpr 37
		.amdhsa_next_free_sgpr 90
		.amdhsa_reserve_vcc 1
		.amdhsa_float_round_mode_32 0
		.amdhsa_float_round_mode_16_64 0
		.amdhsa_float_denorm_mode_32 3
		.amdhsa_float_denorm_mode_16_64 3
		.amdhsa_dx10_clamp 1
		.amdhsa_ieee_mode 1
		.amdhsa_fp16_overflow 0
		.amdhsa_workgroup_processor_mode 1
		.amdhsa_memory_ordered 1
		.amdhsa_forward_progress 0
		.amdhsa_shared_vgpr_count 0
		.amdhsa_exception_fp_ieee_invalid_op 0
		.amdhsa_exception_fp_denorm_src 0
		.amdhsa_exception_fp_ieee_div_zero 0
		.amdhsa_exception_fp_ieee_overflow 0
		.amdhsa_exception_fp_ieee_underflow 0
		.amdhsa_exception_fp_ieee_inexact 0
		.amdhsa_exception_int_div_zero 0
	.end_amdhsa_kernel
	.section	.text._ZN2at6native12_GLOBAL__N_112gatherMedianIamLi1EEEvNS_4cuda6detail10TensorInfoIT_T0_EENS5_IlS7_EENS5_IKS6_S7_EES7_S7_S7_b,"axG",@progbits,_ZN2at6native12_GLOBAL__N_112gatherMedianIamLi1EEEvNS_4cuda6detail10TensorInfoIT_T0_EENS5_IlS7_EENS5_IKS6_S7_EES7_S7_S7_b,comdat
.Lfunc_end84:
	.size	_ZN2at6native12_GLOBAL__N_112gatherMedianIamLi1EEEvNS_4cuda6detail10TensorInfoIT_T0_EENS5_IlS7_EENS5_IKS6_S7_EES7_S7_S7_b, .Lfunc_end84-_ZN2at6native12_GLOBAL__N_112gatherMedianIamLi1EEEvNS_4cuda6detail10TensorInfoIT_T0_EENS5_IlS7_EENS5_IKS6_S7_EES7_S7_S7_b
                                        ; -- End function
	.section	.AMDGPU.csdata,"",@progbits
; Kernel info:
; codeLenInByte = 16528
; NumSgprs: 92
; NumVgprs: 37
; ScratchSize: 0
; MemoryBound: 0
; FloatMode: 240
; IeeeMode: 1
; LDSByteSize: 5152 bytes/workgroup (compile time only)
; SGPRBlocks: 11
; VGPRBlocks: 4
; NumSGPRsForWavesPerEU: 92
; NumVGPRsForWavesPerEU: 37
; Occupancy: 16
; WaveLimiterHint : 1
; COMPUTE_PGM_RSRC2:SCRATCH_EN: 0
; COMPUTE_PGM_RSRC2:USER_SGPR: 13
; COMPUTE_PGM_RSRC2:TRAP_HANDLER: 0
; COMPUTE_PGM_RSRC2:TGID_X_EN: 1
; COMPUTE_PGM_RSRC2:TGID_Y_EN: 1
; COMPUTE_PGM_RSRC2:TGID_Z_EN: 1
; COMPUTE_PGM_RSRC2:TIDIG_COMP_CNT: 0
	.section	.text._ZN2at6native12_GLOBAL__N_112gatherMedianIamLi2EEEvNS_4cuda6detail10TensorInfoIT_T0_EENS5_IlS7_EENS5_IKS6_S7_EES7_S7_S7_b,"axG",@progbits,_ZN2at6native12_GLOBAL__N_112gatherMedianIamLi2EEEvNS_4cuda6detail10TensorInfoIT_T0_EENS5_IlS7_EENS5_IKS6_S7_EES7_S7_S7_b,comdat
	.globl	_ZN2at6native12_GLOBAL__N_112gatherMedianIamLi2EEEvNS_4cuda6detail10TensorInfoIT_T0_EENS5_IlS7_EENS5_IKS6_S7_EES7_S7_S7_b ; -- Begin function _ZN2at6native12_GLOBAL__N_112gatherMedianIamLi2EEEvNS_4cuda6detail10TensorInfoIT_T0_EENS5_IlS7_EENS5_IKS6_S7_EES7_S7_S7_b
	.p2align	8
	.type	_ZN2at6native12_GLOBAL__N_112gatherMedianIamLi2EEEvNS_4cuda6detail10TensorInfoIT_T0_EENS5_IlS7_EENS5_IKS6_S7_EES7_S7_S7_b,@function
_ZN2at6native12_GLOBAL__N_112gatherMedianIamLi2EEEvNS_4cuda6detail10TensorInfoIT_T0_EENS5_IlS7_EENS5_IKS6_S7_EES7_S7_S7_b: ; @_ZN2at6native12_GLOBAL__N_112gatherMedianIamLi2EEEvNS_4cuda6detail10TensorInfoIT_T0_EENS5_IlS7_EENS5_IKS6_S7_EES7_S7_S7_b
; %bb.0:
	s_clause 0x1
	s_load_b64 s[8:9], s[0:1], 0x500
	s_load_b128 s[24:27], s[0:1], 0x4e0
	s_add_u32 s10, s0, 0x500
	s_addc_u32 s11, s1, 0
	s_mov_b32 s35, 0
	s_waitcnt lgkmcnt(0)
	s_mul_i32 s2, s9, s15
	s_delay_alu instid0(SALU_CYCLE_1) | instskip(NEXT) | instid1(SALU_CYCLE_1)
	s_add_i32 s2, s2, s14
	s_mul_i32 s2, s2, s8
	s_delay_alu instid0(SALU_CYCLE_1) | instskip(NEXT) | instid1(SALU_CYCLE_1)
	s_add_i32 s34, s2, s13
	v_cmp_ge_u64_e64 s2, s[34:35], s[26:27]
	s_delay_alu instid0(VALU_DEP_1)
	s_and_b32 vcc_lo, exec_lo, s2
	s_cbranch_vccnz .LBB85_300
; %bb.1:
	s_clause 0x2
	s_load_b64 s[44:45], s[0:1], 0x10
	s_load_b64 s[14:15], s[0:1], 0x350
	;; [unrolled: 1-line block ×3, first 2 shown]
	s_mov_b64 s[40:41], 0
	s_mov_b64 s[46:47], 0
	s_waitcnt lgkmcnt(0)
	v_cmp_lt_u64_e64 s2, s[34:35], s[44:45]
	s_delay_alu instid0(VALU_DEP_1)
	s_and_b32 vcc_lo, exec_lo, s2
	s_cbranch_vccz .LBB85_289
; %bb.2:
	s_load_b64 s[42:43], s[0:1], 0x4f0
	v_cmp_lt_u64_e64 s2, s[34:35], s[26:27]
	s_delay_alu instid0(VALU_DEP_1)
	s_and_b32 vcc_lo, exec_lo, s2
	s_cbranch_vccz .LBB85_290
.LBB85_3:
	v_cmp_lt_u64_e64 s2, s[34:35], s[14:15]
	s_mov_b64 s[16:17], 0
	s_delay_alu instid0(VALU_DEP_1)
	s_and_b32 vcc_lo, exec_lo, s2
	s_cbranch_vccz .LBB85_291
.LBB85_4:
	v_cmp_eq_u32_e64 s2, 0, v0
	s_delay_alu instid0(VALU_DEP_1)
	s_and_saveexec_b32 s3, s2
	s_cbranch_execz .LBB85_6
.LBB85_5:
	v_mov_b32_e32 v1, 0
	s_waitcnt_depctr 0xfff
	v_mov_b32_e32 v2, v1
	ds_store_b64 v1, v[1:2] offset:5136
.LBB85_6:
	s_or_b32 exec_lo, exec_lo, s3
	v_mov_b32_e32 v1, 0
	s_waitcnt lgkmcnt(0)
	s_barrier
	buffer_gl0_inv
	s_barrier
	buffer_gl0_inv
	ds_load_b64 v[1:2], v1 offset:5136
	s_clause 0x1
	s_load_b32 s3, s[0:1], 0x4f8
	s_load_b64 s[18:19], s[0:1], 0x340
	s_mov_b64 s[54:55], s[24:25]
	s_waitcnt lgkmcnt(0)
	v_readfirstlane_b32 s4, v1
	v_readfirstlane_b32 s5, v2
	s_bitcmp1_b32 s3, 0
	s_cselect_b32 s3, -1, 0
	s_delay_alu instid0(VALU_DEP_1) | instskip(NEXT) | instid1(VALU_DEP_1)
	v_cmp_lt_i64_e64 s6, s[4:5], 1
	s_or_b32 s3, s3, s6
	s_delay_alu instid0(SALU_CYCLE_1)
	s_and_not1_b32 vcc_lo, exec_lo, s3
	s_cbranch_vccnz .LBB85_8
; %bb.7:
	s_not_b64 s[4:5], s[4:5]
	s_delay_alu instid0(SALU_CYCLE_1) | instskip(SKIP_1) | instid1(SALU_CYCLE_1)
	s_add_u32 s4, s4, s24
	s_addc_u32 s5, s5, s25
	s_lshr_b64 s[4:5], s[4:5], 1
	s_delay_alu instid0(SALU_CYCLE_1)
	s_add_u32 s54, s4, 1
	s_addc_u32 s55, s5, 0
.LBB85_8:
	s_clause 0x2
	s_load_b64 s[48:49], s[0:1], 0x1a0
	s_load_b64 s[52:53], s[0:1], 0x0
	s_load_b128 s[4:7], s[0:1], 0x410
	s_and_saveexec_b32 s3, s2
	s_cbranch_execz .LBB85_10
; %bb.9:
	v_dual_mov_b32 v1, 0 :: v_dual_mov_b32 v4, s25
	s_delay_alu instid0(VALU_DEP_1)
	v_dual_mov_b32 v3, s24 :: v_dual_mov_b32 v2, v1
	ds_store_b32 v1, v1 offset:5144
	ds_store_b128 v1, v[1:4] offset:5120
.LBB85_10:
	s_or_b32 exec_lo, exec_lo, s3
	s_mul_i32 s3, s16, s15
	s_mul_hi_u32 s9, s16, s14
	s_mul_i32 s12, s16, s14
	s_add_i32 s9, s9, s3
	s_sub_u32 s3, s34, s12
	s_subb_u32 s9, 0, s9
	s_waitcnt lgkmcnt(0)
	s_mul_i32 s7, s3, s7
	s_mul_hi_u32 s12, s3, s6
	s_mul_i32 s9, s9, s6
	s_add_i32 s7, s12, s7
	s_mul_i32 s3, s3, s6
	s_mul_i32 s5, s16, s5
	s_mul_hi_u32 s6, s16, s4
	s_mul_i32 s4, s16, s4
	s_add_i32 s7, s7, s9
	s_add_i32 s6, s6, s5
	s_add_u32 s4, s18, s4
	s_addc_u32 s5, s19, s6
	s_add_u32 s50, s4, s3
	s_barrier
	buffer_gl0_inv
	s_load_b32 s4, s[10:11], 0xc
	s_addc_u32 s51, s5, s7
	v_mbcnt_lo_u32_b32 v20, -1, 0
	v_mad_u64_u32 v[10:11], null, v0, s42, s[50:51]
	v_mov_b32_e32 v13, 0
	v_cmp_gt_u32_e32 vcc_lo, 32, v0
	s_delay_alu instid0(VALU_DEP_4)
	v_cmp_gt_i32_e64 s3, 4, v20
	s_clause 0x1
	s_load_b128 s[28:31], s[0:1], 0x270
	s_load_b128 s[36:39], s[0:1], 0xd0
	v_cmp_lt_u64_e64 s41, 0xc00, s[24:25]
	v_lshlrev_b32_e32 v14, 2, v0
	v_mov_b32_e32 v2, v11
	s_and_b32 s35, vcc_lo, s3
	v_mov_b32_e32 v1, v13
	v_cmp_eq_u32_e64 s1, 0, v20
	v_cmp_gt_u32_e64 s3, 2, v0
	v_mad_u64_u32 v[3:4], null, v0, s43, v[2:3]
	v_lshrrev_b32_e32 v4, 3, v0
	v_cmp_gt_u64_e64 s0, s[24:25], v[0:1]
	s_waitcnt lgkmcnt(0)
	s_and_b32 s33, s4, 0xffff
	s_bfe_u32 s5, s4, 0xb0005
	s_add_u32 s47, s33, -1
	s_addc_u32 s72, 0, -1
	s_add_u32 s73, s47, s24
	s_addc_u32 s59, s72, s25
	s_cmp_lt_u32 s13, s8
	v_dual_mov_b32 v11, v3 :: v_dual_mov_b32 v24, 0
	s_cselect_b32 s6, 12, 18
	v_lshlrev_b64 v[2:3], v20, -1
	s_add_u32 s60, s10, s6
	s_addc_u32 s61, s11, 0
	s_add_i32 s6, s5, -1
	s_bfe_u32 s74, s33, 0x30005
	s_cmp_gt_u32 s6, 6
	v_mov_b32_e32 v15, v13
	v_and_b32_e32 v21, 0x7c, v4
	v_not_b32_e32 v22, v2
	v_cmp_gt_u16_e64 s75, s4, 31
	s_cselect_b32 s76, -1, 0
	s_and_b32 s77, s5, 0x7f8
	v_lshl_or_b32 v23, v20, 3, 0xc00
	s_cmp_lg_u32 s74, 0
	s_mov_b32 s57, 0
	s_mov_b32 s82, 6
	s_cselect_b32 s78, -1, 0
	s_mov_b32 s79, 0
	s_mov_b32 s86, 0
	;; [unrolled: 1-line block ×4, first 2 shown]
                                        ; implicit-def: $sgpr80
                                        ; implicit-def: $sgpr83
                                        ; implicit-def: $sgpr81
                                        ; implicit-def: $sgpr85
                                        ; implicit-def: $sgpr87
                                        ; implicit-def: $sgpr84
	s_branch .LBB85_15
.LBB85_11:                              ;   in Loop: Header=BB85_15 Depth=1
	s_xor_b32 s86, s86, 1
	s_add_i32 s7, s82, -2
	s_cmp_eq_u32 s82, 0
	s_mov_b32 s5, 0
	s_cselect_b32 s6, -1, 0
	s_mov_b32 s82, s7
.LBB85_12:                              ;   in Loop: Header=BB85_15 Depth=1
	s_and_not1_b32 s7, s13, exec_lo
	s_and_b32 s5, s5, exec_lo
	s_and_not1_b32 s19, s19, exec_lo
	s_or_b32 s13, s7, s5
	s_and_not1_b32 s12, s12, exec_lo
	s_or_not1_b32 s15, s6, exec_lo
.LBB85_13:                              ;   in Loop: Header=BB85_15 Depth=1
	s_or_b32 exec_lo, exec_lo, s4
	s_delay_alu instid0(SALU_CYCLE_1)
	s_and_not1_b32 s4, s84, exec_lo
	s_and_b32 s5, s13, exec_lo
	s_and_not1_b32 s6, s85, exec_lo
	s_or_b32 s84, s4, s5
	s_and_not1_b32 s4, s87, exec_lo
	s_and_b32 s5, s19, exec_lo
	s_and_b32 s7, s12, exec_lo
	s_or_b32 s87, s4, s5
	s_or_b32 s85, s6, s7
	s_or_not1_b32 s19, s15, exec_lo
.LBB85_14:                              ;   in Loop: Header=BB85_15 Depth=1
	s_or_b32 exec_lo, exec_lo, s14
	s_delay_alu instid0(SALU_CYCLE_1)
	s_and_b32 s4, exec_lo, s19
	v_mov_b32_e32 v2, s88
	s_or_b32 s79, s4, s79
	s_and_not1_b32 s4, s81, exec_lo
	s_and_b32 s5, s84, exec_lo
	s_and_not1_b32 s6, s80, exec_lo
	s_or_b32 s81, s4, s5
	s_and_not1_b32 s4, s83, exec_lo
	s_and_b32 s5, s87, exec_lo
	s_and_b32 s7, s85, exec_lo
	s_or_b32 s83, s4, s5
	s_or_b32 s80, s6, s7
	s_and_not1_b32 exec_lo, exec_lo, s79
	s_cbranch_execz .LBB85_280
.LBB85_15:                              ; =>This Loop Header: Depth=1
                                        ;     Child Loop BB85_20 Depth 2
                                        ;     Child Loop BB85_38 Depth 2
	;; [unrolled: 1-line block ×16, first 2 shown]
	ds_load_b128 v[2:5], v13 offset:5120
	s_waitcnt lgkmcnt(0)
	v_readfirstlane_b32 s63, v3
	v_readfirstlane_b32 s62, v2
	s_delay_alu instid0(VALU_DEP_1)
	s_cmp_lg_u64 s[62:63], 0
	s_cbranch_scc1 .LBB85_45
; %bb.16:                               ;   in Loop: Header=BB85_15 Depth=1
	s_and_b32 vcc_lo, exec_lo, s41
	s_cbranch_vccz .LBB85_28
; %bb.17:                               ;   in Loop: Header=BB85_15 Depth=1
	v_cmp_gt_u64_e32 vcc_lo, 0xc01, v[4:5]
	s_mov_b32 s6, 0
	s_mov_b32 s4, 0
	s_cbranch_vccz .LBB85_29
; %bb.18:                               ;   in Loop: Header=BB85_15 Depth=1
	global_load_u16 v2, v13, s[60:61]
	global_load_u8 v5, v[10:11], off
	s_mov_b32 s7, 0
	s_waitcnt vmcnt(1)
	v_dual_mov_b32 v3, v1 :: v_dual_and_b32 v4, 0xffff, v2
	v_mov_b32_e32 v2, v0
	s_branch .LBB85_20
.LBB85_19:                              ;   in Loop: Header=BB85_20 Depth=2
	s_or_b32 exec_lo, exec_lo, s5
	v_mov_b32_e32 v5, v6
	s_and_not1_b32 exec_lo, exec_lo, s7
	s_cbranch_execz .LBB85_30
.LBB85_20:                              ;   Parent Loop BB85_15 Depth=1
                                        ; =>  This Inner Loop Header: Depth=2
	s_delay_alu instid0(VALU_DEP_1) | instskip(NEXT) | instid1(VALU_DEP_3)
	v_add_co_u32 v2, vcc_lo, v2, v4
	v_add_co_ci_u32_e32 v3, vcc_lo, 0, v3, vcc_lo
	s_waitcnt lgkmcnt(0)
	v_dual_mov_b32 v7, 0 :: v_dual_mov_b32 v6, 0
	s_mov_b32 s5, exec_lo
	s_delay_alu instid0(VALU_DEP_2)
	v_cmp_le_u64_e32 vcc_lo, s[24:25], v[2:3]
	v_cmpx_gt_u64_e64 s[24:25], v[2:3]
	s_cbranch_execz .LBB85_22
; %bb.21:                               ;   in Loop: Header=BB85_20 Depth=2
	v_mad_u64_u32 v[8:9], null, v2, s42, s[50:51]
	v_mul_lo_u32 v6, v2, s43
	v_mul_lo_u32 v12, v3, s42
	s_delay_alu instid0(VALU_DEP_1)
	v_add3_u32 v9, v12, v9, v6
	global_load_u8 v6, v[8:9], off
.LBB85_22:                              ;   in Loop: Header=BB85_20 Depth=2
	s_or_b32 exec_lo, exec_lo, s5
	s_waitcnt vmcnt(0)
	v_bfe_i32 v8, v5, 0, 8
	s_delay_alu instid0(VALU_DEP_1) | instskip(NEXT) | instid1(VALU_DEP_1)
	v_add_nc_u32_e32 v8, 0x80, v8
	v_and_b32_e32 v8, s89, v8
	s_delay_alu instid0(VALU_DEP_1) | instskip(NEXT) | instid1(VALU_DEP_1)
	v_cmp_eq_u32_e64 s4, s88, v8
	s_cmp_lg_u32 s4, 0
	s_cselect_b32 s5, -1, 0
	s_delay_alu instid0(SALU_CYCLE_1) | instskip(NEXT) | instid1(SALU_CYCLE_1)
	s_and_b32 s5, s1, s5
	s_and_saveexec_b32 s8, s5
	s_cbranch_execz .LBB85_26
; %bb.23:                               ;   in Loop: Header=BB85_20 Depth=2
	s_mov_b32 s11, exec_lo
	s_bcnt1_i32_b32 s9, s4
	v_mbcnt_lo_u32_b32 v7, s11, 0
	s_mov_b32 s10, exec_lo
                                        ; implicit-def: $vgpr8
	s_delay_alu instid0(VALU_DEP_1)
	v_cmpx_eq_u32_e32 0, v7
	s_cbranch_execz .LBB85_25
; %bb.24:                               ;   in Loop: Header=BB85_20 Depth=2
	s_bcnt1_i32_b32 s5, s11
	s_delay_alu instid0(SALU_CYCLE_1) | instskip(NEXT) | instid1(SALU_CYCLE_1)
	s_mul_i32 s5, s9, s5
	v_mov_b32_e32 v8, s5
	ds_add_rtn_u32 v8, v13, v8 offset:5144
.LBB85_25:                              ;   in Loop: Header=BB85_20 Depth=2
	s_or_b32 exec_lo, exec_lo, s10
	s_waitcnt lgkmcnt(0)
	v_readfirstlane_b32 s5, v8
	s_delay_alu instid0(VALU_DEP_1)
	v_mad_u32_u24 v7, s9, v7, s5
.LBB85_26:                              ;   in Loop: Header=BB85_20 Depth=2
	s_or_b32 exec_lo, exec_lo, s8
	ds_bpermute_b32 v7, v13, v7
	s_and_b32 s5, exec_lo, vcc_lo
	s_delay_alu instid0(SALU_CYCLE_1)
	s_or_b32 s7, s5, s7
	s_and_saveexec_b32 s5, s4
	s_cbranch_execz .LBB85_19
; %bb.27:                               ;   in Loop: Header=BB85_20 Depth=2
	v_and_b32_e32 v8, s4, v22
	s_waitcnt lgkmcnt(0)
	s_delay_alu instid0(VALU_DEP_1)
	v_bcnt_u32_b32 v7, v8, v7
	ds_store_b8 v7, v5
	s_branch .LBB85_19
.LBB85_28:                              ;   in Loop: Header=BB85_15 Depth=1
	s_mov_b32 s4, 0
                                        ; implicit-def: $sgpr62_sgpr63
	s_cbranch_execnz .LBB85_33
	s_branch .LBB85_43
.LBB85_29:                              ;   in Loop: Header=BB85_15 Depth=1
	s_mov_b64 s[62:63], 0
	s_and_b32 vcc_lo, exec_lo, s6
	s_cbranch_vccnz .LBB85_33
	s_branch .LBB85_43
.LBB85_30:                              ;   in Loop: Header=BB85_15 Depth=1
	s_or_b32 exec_lo, exec_lo, s7
	s_waitcnt lgkmcnt(0)
	s_barrier
	buffer_gl0_inv
	s_and_saveexec_b32 s4, s2
	s_cbranch_execz .LBB85_32
; %bb.31:                               ;   in Loop: Header=BB85_15 Depth=1
	ds_load_b32 v2, v13 offset:5144
	s_waitcnt lgkmcnt(0)
	v_ashrrev_i32_e32 v3, 31, v2
	ds_store_b64 v13, v[2:3] offset:5120
.LBB85_32:                              ;   in Loop: Header=BB85_15 Depth=1
	s_or_b32 exec_lo, exec_lo, s4
	s_waitcnt lgkmcnt(0)
	s_mov_b32 s4, -1
	s_barrier
	s_mov_b64 s[62:63], 0
	s_and_b32 vcc_lo, exec_lo, s6
	s_cbranch_vccz .LBB85_43
.LBB85_33:                              ;   in Loop: Header=BB85_15 Depth=1
	v_mov_b32_e32 v4, 0
	s_and_saveexec_b32 s4, s0
	s_cbranch_execz .LBB85_35
; %bb.34:                               ;   in Loop: Header=BB85_15 Depth=1
	global_load_u8 v4, v[10:11], off
.LBB85_35:                              ;   in Loop: Header=BB85_15 Depth=1
	s_or_b32 exec_lo, exec_lo, s4
	s_and_saveexec_b32 s5, s0
	s_cbranch_execz .LBB85_40
; %bb.36:                               ;   in Loop: Header=BB85_15 Depth=1
	global_load_u16 v2, v13, s[60:61]
	v_mov_b32_e32 v5, v0
	s_mov_b32 s6, 0
	s_waitcnt vmcnt(0)
	v_dual_mov_b32 v3, v1 :: v_dual_and_b32 v6, 0xffff, v2
	v_mov_b32_e32 v2, v0
	s_set_inst_prefetch_distance 0x1
	s_branch .LBB85_38
	.p2align	6
.LBB85_37:                              ;   in Loop: Header=BB85_38 Depth=2
	s_or_b32 exec_lo, exec_lo, s7
	ds_store_b8 v5, v4
	s_waitcnt vmcnt(0)
	v_dual_mov_b32 v4, v7 :: v_dual_add_nc_u32 v5, v5, v6
	s_and_b32 s4, exec_lo, vcc_lo
	s_delay_alu instid0(SALU_CYCLE_1) | instskip(NEXT) | instid1(SALU_CYCLE_1)
	s_or_b32 s6, s4, s6
	s_and_not1_b32 exec_lo, exec_lo, s6
	s_cbranch_execz .LBB85_40
.LBB85_38:                              ;   Parent Loop BB85_15 Depth=1
                                        ; =>  This Inner Loop Header: Depth=2
	s_delay_alu instid0(VALU_DEP_1) | instskip(SKIP_3) | instid1(VALU_DEP_2)
	v_add_co_u32 v2, vcc_lo, v2, v6
	v_add_co_ci_u32_e32 v3, vcc_lo, 0, v3, vcc_lo
	v_mov_b32_e32 v7, 0
	s_mov_b32 s7, exec_lo
	v_cmp_le_u64_e32 vcc_lo, s[24:25], v[2:3]
	v_cmpx_gt_u64_e64 s[24:25], v[2:3]
	s_cbranch_execz .LBB85_37
; %bb.39:                               ;   in Loop: Header=BB85_38 Depth=2
	v_mad_u64_u32 v[7:8], null, v2, s42, s[50:51]
	v_mul_lo_u32 v9, v2, s43
	v_mul_lo_u32 v12, v3, s42
	s_delay_alu instid0(VALU_DEP_1)
	v_add3_u32 v8, v12, v8, v9
	global_load_u8 v7, v[7:8], off
	s_branch .LBB85_37
.LBB85_40:                              ;   in Loop: Header=BB85_15 Depth=1
	s_set_inst_prefetch_distance 0x2
	s_or_b32 exec_lo, exec_lo, s5
	s_waitcnt vmcnt(0) lgkmcnt(0)
	s_barrier
	buffer_gl0_inv
	s_and_saveexec_b32 s4, s2
	s_cbranch_execz .LBB85_42
; %bb.41:                               ;   in Loop: Header=BB85_15 Depth=1
	v_dual_mov_b32 v2, s24 :: v_dual_mov_b32 v3, s25
	ds_store_b64 v13, v[2:3] offset:5120
.LBB85_42:                              ;   in Loop: Header=BB85_15 Depth=1
	s_or_b32 exec_lo, exec_lo, s4
	s_mov_b32 s4, -1
	s_waitcnt lgkmcnt(0)
	s_barrier
                                        ; implicit-def: $sgpr62_sgpr63
.LBB85_43:                              ;   in Loop: Header=BB85_15 Depth=1
	s_and_b32 vcc_lo, exec_lo, s4
	s_cbranch_vccz .LBB85_45
; %bb.44:                               ;   in Loop: Header=BB85_15 Depth=1
	buffer_gl0_inv
	ds_load_b64 v[2:3], v13 offset:5120
	s_waitcnt lgkmcnt(0)
	v_readfirstlane_b32 s62, v2
.LBB85_45:                              ;   in Loop: Header=BB85_15 Depth=1
	s_delay_alu instid0(VALU_DEP_1)
	s_cmp_lt_i32 s62, 1
	s_cbranch_scc0 .LBB85_60
; %bb.46:                               ;   in Loop: Header=BB85_15 Depth=1
	global_load_u16 v25, v13, s[60:61]
	s_mov_b32 s5, s25
	s_waitcnt vmcnt(0)
	v_readfirstlane_b32 s4, v25
	s_delay_alu instid0(VALU_DEP_1)
	s_and_b32 s6, 0xffff, s4
	s_mov_b32 s4, s57
	s_lshl_b32 s56, s6, 2
	s_cmp_lg_u64 s[4:5], 0
	s_cbranch_scc0 .LBB85_80
; %bb.47:                               ;   in Loop: Header=BB85_15 Depth=1
	v_cvt_f32_u32_e32 v2, s56
	s_sub_u32 s6, 0, s56
	s_subb_u32 s7, 0, 0
	s_delay_alu instid0(VALU_DEP_1) | instskip(NEXT) | instid1(VALU_DEP_1)
	v_fmac_f32_e64 v2, 0, 0x4f800000
	v_rcp_f32_e32 v2, v2
	s_waitcnt_depctr 0xfff
	v_mul_f32_e32 v2, 0x5f7ffffc, v2
	s_delay_alu instid0(VALU_DEP_1) | instskip(NEXT) | instid1(VALU_DEP_1)
	v_mul_f32_e32 v3, 0x2f800000, v2
	v_trunc_f32_e32 v3, v3
	s_delay_alu instid0(VALU_DEP_1) | instskip(SKIP_1) | instid1(VALU_DEP_2)
	v_fmac_f32_e32 v2, 0xcf800000, v3
	v_cvt_u32_f32_e32 v3, v3
	v_cvt_u32_f32_e32 v2, v2
	s_delay_alu instid0(VALU_DEP_2) | instskip(NEXT) | instid1(VALU_DEP_2)
	v_readfirstlane_b32 s4, v3
	v_readfirstlane_b32 s5, v2
	s_delay_alu instid0(VALU_DEP_2) | instskip(NEXT) | instid1(VALU_DEP_1)
	s_mul_i32 s8, s6, s4
	s_mul_hi_u32 s10, s6, s5
	s_mul_i32 s9, s7, s5
	s_add_i32 s8, s10, s8
	s_mul_i32 s11, s6, s5
	s_add_i32 s8, s8, s9
	s_mul_hi_u32 s10, s5, s11
	s_mul_hi_u32 s12, s4, s11
	s_mul_i32 s9, s4, s11
	s_mul_hi_u32 s11, s5, s8
	s_mul_i32 s5, s5, s8
	s_mul_hi_u32 s13, s4, s8
	s_add_u32 s5, s10, s5
	s_addc_u32 s10, 0, s11
	s_add_u32 s5, s5, s9
	s_mul_i32 s8, s4, s8
	s_addc_u32 s5, s10, s12
	s_addc_u32 s9, s13, 0
	s_add_u32 s5, s5, s8
	s_addc_u32 s8, 0, s9
	v_add_co_u32 v2, s5, v2, s5
	s_delay_alu instid0(VALU_DEP_1) | instskip(SKIP_1) | instid1(VALU_DEP_1)
	s_cmp_lg_u32 s5, 0
	s_addc_u32 s4, s4, s8
	v_readfirstlane_b32 s5, v2
	s_mul_i32 s8, s6, s4
	s_delay_alu instid0(VALU_DEP_1)
	s_mul_hi_u32 s9, s6, s5
	s_mul_i32 s7, s7, s5
	s_add_i32 s8, s9, s8
	s_mul_i32 s6, s6, s5
	s_add_i32 s8, s8, s7
	s_mul_hi_u32 s9, s4, s6
	s_mul_i32 s10, s4, s6
	s_mul_hi_u32 s6, s5, s6
	s_mul_hi_u32 s11, s5, s8
	s_mul_i32 s5, s5, s8
	s_mul_hi_u32 s7, s4, s8
	s_add_u32 s5, s6, s5
	s_addc_u32 s6, 0, s11
	s_add_u32 s5, s5, s10
	s_mul_i32 s8, s4, s8
	s_addc_u32 s5, s6, s9
	s_addc_u32 s6, s7, 0
	s_add_u32 s5, s5, s8
	s_addc_u32 s6, 0, s6
	v_add_co_u32 v2, s5, v2, s5
	s_delay_alu instid0(VALU_DEP_1) | instskip(SKIP_1) | instid1(VALU_DEP_1)
	s_cmp_lg_u32 s5, 0
	s_addc_u32 s4, s4, s6
	v_readfirstlane_b32 s5, v2
	s_mul_i32 s7, s24, s4
	s_mul_hi_u32 s6, s24, s4
	s_mul_hi_u32 s8, s25, s4
	s_mul_i32 s4, s25, s4
	s_mul_hi_u32 s9, s24, s5
	s_mul_hi_u32 s10, s25, s5
	s_mul_i32 s5, s25, s5
	s_add_u32 s7, s9, s7
	s_addc_u32 s6, 0, s6
	s_add_u32 s5, s7, s5
	s_addc_u32 s5, s6, s10
	s_addc_u32 s6, s8, 0
	s_add_u32 s4, s5, s4
	s_addc_u32 s5, 0, s6
	s_mul_hi_u32 s6, s56, s4
	s_mul_i32 s4, s56, s4
	s_mul_i32 s5, s56, s5
	v_sub_co_u32 v2, s4, s24, s4
	s_add_i32 s6, s6, s5
	s_cmp_lg_u32 s4, 0
	s_delay_alu instid0(VALU_DEP_1) | instskip(SKIP_2) | instid1(VALU_DEP_1)
	v_sub_co_u32 v3, s4, v2, s56
	s_subb_u32 s5, s25, s6
	s_cmp_lg_u32 s4, 0
	v_cmp_le_u32_e32 vcc_lo, s56, v3
	v_sub_co_u32 v4, s4, v3, s56
	s_subb_u32 s6, s5, 0
	s_cmp_lg_u32 s4, 0
	v_cndmask_b32_e64 v5, 0, -1, vcc_lo
	s_subb_u32 s4, s6, 0
	s_cmp_eq_u32 s6, 0
	v_mov_b32_e32 v7, s4
	s_cselect_b32 vcc_lo, -1, 0
	s_cmp_eq_u32 s5, 0
	v_cndmask_b32_e32 v5, -1, v5, vcc_lo
	v_cmp_le_u32_e32 vcc_lo, s56, v2
	s_cselect_b32 s4, -1, 0
	v_cndmask_b32_e64 v6, 0, -1, vcc_lo
	s_delay_alu instid0(VALU_DEP_3) | instskip(NEXT) | instid1(VALU_DEP_2)
	v_cmp_ne_u32_e32 vcc_lo, 0, v5
	v_cndmask_b32_e64 v5, -1, v6, s4
	v_cndmask_b32_e32 v6, s6, v7, vcc_lo
	v_cndmask_b32_e32 v4, v3, v4, vcc_lo
	s_delay_alu instid0(VALU_DEP_3) | instskip(NEXT) | instid1(VALU_DEP_3)
	v_cmp_ne_u32_e32 vcc_lo, 0, v5
	v_cndmask_b32_e32 v3, s5, v6, vcc_lo
	s_delay_alu instid0(VALU_DEP_3)
	v_cndmask_b32_e32 v2, v2, v4, vcc_lo
	s_cbranch_execnz .LBB85_49
.LBB85_48:                              ;   in Loop: Header=BB85_15 Depth=1
	v_cvt_f32_u32_e32 v2, s56
	s_sub_i32 s4, 0, s56
	s_delay_alu instid0(VALU_DEP_1) | instskip(SKIP_2) | instid1(VALU_DEP_1)
	v_rcp_iflag_f32_e32 v2, v2
	s_waitcnt_depctr 0xfff
	v_mul_f32_e32 v2, 0x4f7ffffe, v2
	v_cvt_u32_f32_e32 v2, v2
	s_delay_alu instid0(VALU_DEP_1) | instskip(NEXT) | instid1(VALU_DEP_1)
	v_mul_lo_u32 v3, s4, v2
	v_mul_hi_u32 v3, v2, v3
	s_delay_alu instid0(VALU_DEP_1) | instskip(NEXT) | instid1(VALU_DEP_1)
	v_add_nc_u32_e32 v2, v2, v3
	v_mul_hi_u32 v2, s24, v2
	s_delay_alu instid0(VALU_DEP_1) | instskip(NEXT) | instid1(VALU_DEP_1)
	v_mul_lo_u32 v2, v2, s56
	v_sub_nc_u32_e32 v2, s24, v2
	s_delay_alu instid0(VALU_DEP_1) | instskip(SKIP_1) | instid1(VALU_DEP_2)
	v_subrev_nc_u32_e32 v3, s56, v2
	v_cmp_le_u32_e32 vcc_lo, s56, v2
	v_cndmask_b32_e32 v2, v2, v3, vcc_lo
	s_delay_alu instid0(VALU_DEP_1) | instskip(SKIP_1) | instid1(VALU_DEP_2)
	v_subrev_nc_u32_e32 v3, s56, v2
	v_cmp_le_u32_e32 vcc_lo, s56, v2
	v_cndmask_b32_e32 v12, v2, v3, vcc_lo
	s_delay_alu instid0(VALU_DEP_1)
	v_dual_mov_b32 v2, v12 :: v_dual_mov_b32 v3, v13
.LBB85_49:                              ;   in Loop: Header=BB85_15 Depth=1
	s_delay_alu instid0(VALU_DEP_1) | instskip(NEXT) | instid1(VALU_DEP_2)
	v_sub_co_u32 v16, vcc_lo, s24, v2
	v_sub_co_ci_u32_e32 v17, vcc_lo, s25, v3, vcc_lo
	v_mov_b32_e32 v2, 0
	v_mov_b32_e32 v3, 0
	s_mov_b64 s[22:23], 0
	s_mov_b32 s58, exec_lo
	s_delay_alu instid0(VALU_DEP_1)
	v_dual_mov_b32 v5, v3 :: v_dual_mov_b32 v4, v2
	v_dual_mov_b32 v7, v3 :: v_dual_mov_b32 v6, v2
	;; [unrolled: 1-line block ×3, first 2 shown]
	v_cmpx_gt_u64_e64 v[16:17], v[14:15]
	s_cbranch_execz .LBB85_53
; %bb.50:                               ;   in Loop: Header=BB85_15 Depth=1
	v_dual_mov_b32 v19, v15 :: v_dual_mov_b32 v18, v14
	s_and_b32 s70, s82, 0xfe
	s_mov_b32 s63, 0
	s_mov_b64 s[64:65], 0
	s_mov_b64 s[66:67], 0
	;; [unrolled: 1-line block ×3, first 2 shown]
.LBB85_51:                              ;   Parent Loop BB85_15 Depth=1
                                        ; =>  This Inner Loop Header: Depth=2
	v_mad_u64_u32 v[2:3], null, v18, s42, s[50:51]
	v_mul_lo_u32 v4, v18, s43
	v_mul_lo_u32 v5, v19, s42
	s_delay_alu instid0(VALU_DEP_1) | instskip(NEXT) | instid1(VALU_DEP_4)
	v_add3_u32 v3, v5, v3, v4
	v_add_co_u32 v4, vcc_lo, v2, s42
	s_delay_alu instid0(VALU_DEP_2)
	v_add_co_ci_u32_e32 v5, vcc_lo, s43, v3, vcc_lo
	s_clause 0x1
	global_load_i8 v6, v[2:3], off
	global_load_i8 v7, v[4:5], off
	v_add_co_u32 v2, vcc_lo, v4, s42
	v_add_co_ci_u32_e32 v3, vcc_lo, s43, v5, vcc_lo
	s_delay_alu instid0(VALU_DEP_2)
	v_add_co_u32 v4, vcc_lo, v2, s42
	global_load_i8 v2, v[2:3], off
	v_add_co_ci_u32_e32 v5, vcc_lo, s43, v3, vcc_lo
	v_add_co_u32 v18, vcc_lo, v18, s56
	v_add_co_ci_u32_e32 v19, vcc_lo, 0, v19, vcc_lo
	global_load_i8 v3, v[4:5], off
	v_cmp_ge_u64_e32 vcc_lo, v[18:19], v[16:17]
	s_waitcnt vmcnt(3)
	v_add_nc_u32_e32 v4, 0x80, v6
	s_waitcnt vmcnt(2)
	v_add_nc_u32_e32 v6, 0x80, v7
	s_delay_alu instid0(VALU_DEP_2) | instskip(SKIP_1) | instid1(VALU_DEP_2)
	v_and_b32_e32 v5, s89, v4
	v_bfe_u32 v4, v4, s70, 2
	v_cmp_eq_u32_e64 s4, s88, v5
	s_waitcnt vmcnt(1)
	v_add_nc_u32_e32 v2, 0x80, v2
	v_and_b32_e32 v5, s89, v6
	v_bfe_u32 v6, v6, s70, 2
	v_cmp_eq_u32_e64 s5, 0, v4
	v_cmp_eq_u32_e64 s6, 1, v4
	;; [unrolled: 1-line block ×4, first 2 shown]
	s_waitcnt vmcnt(0)
	v_add_nc_u32_e32 v3, 0x80, v3
	v_and_b32_e32 v4, s89, v2
	v_cmp_eq_u32_e64 s9, s88, v5
	v_bfe_u32 v2, v2, s70, 2
	v_cmp_eq_u32_e64 s10, 0, v6
	s_and_b32 s5, s4, s5
	v_cmp_eq_u32_e64 s13, s88, v4
	v_cndmask_b32_e64 v5, 0, 1, s5
	v_and_b32_e32 v4, s89, v3
	v_bfe_u32 v3, v3, s70, 2
	v_cmp_eq_u32_e64 s14, 0, v2
	s_and_b32 s10, s9, s10
	v_cmp_ne_u32_e64 s15, 0, v5
	v_cndmask_b32_e64 v5, 0, 1, s10
	v_cmp_eq_u32_e64 s18, s88, v4
	v_cmp_eq_u32_e64 s19, 0, v3
	s_and_b32 s14, s13, s14
	v_cmp_eq_u32_e64 s10, 1, v2
	v_cmp_eq_u32_e64 s16, 2, v2
	;; [unrolled: 1-line block ×3, first 2 shown]
	s_bcnt1_i32_b32 s71, s15
	v_cmp_ne_u32_e64 s15, 0, v5
	v_cndmask_b32_e64 v2, 0, 1, s14
	s_and_b32 s19, s18, s19
	v_cmp_eq_u32_e64 s14, 1, v3
	v_cmp_eq_u32_e64 s20, 2, v3
	;; [unrolled: 1-line block ×3, first 2 shown]
	v_cndmask_b32_e64 v3, 0, 1, s19
	s_bcnt1_i32_b32 s19, s15
	v_cmp_ne_u32_e64 s15, 0, v2
	s_add_i32 s71, s19, s71
	v_cmp_eq_u32_e64 s5, 1, v6
	v_cmp_ne_u32_e64 s19, 0, v3
	v_cmp_eq_u32_e64 s11, 2, v6
	s_bcnt1_i32_b32 s15, s15
	v_cmp_eq_u32_e64 s12, 3, v6
	s_add_i32 s15, s71, s15
	s_bcnt1_i32_b32 s19, s19
	s_delay_alu instid0(SALU_CYCLE_1) | instskip(NEXT) | instid1(SALU_CYCLE_1)
	s_add_i32 s15, s15, s19
	s_add_u32 s68, s68, s15
	s_addc_u32 s69, s69, 0
	s_and_b32 s6, s4, s6
	s_and_b32 s5, s9, s5
	v_cndmask_b32_e64 v2, 0, 1, s6
	v_cndmask_b32_e64 v3, 0, 1, s5
	s_and_b32 s5, s13, s10
	s_delay_alu instid0(SALU_CYCLE_1) | instskip(SKIP_1) | instid1(VALU_DEP_2)
	v_cndmask_b32_e64 v4, 0, 1, s5
	s_and_b32 s5, s18, s14
	v_cmp_ne_u32_e64 s6, 0, v3
	v_cndmask_b32_e64 v5, 0, 1, s5
	v_cmp_ne_u32_e64 s5, 0, v2
	v_cmp_ne_u32_e64 s10, 0, v4
	s_delay_alu instid0(VALU_DEP_4) | instskip(NEXT) | instid1(VALU_DEP_3)
	s_bcnt1_i32_b32 s6, s6
	v_cmp_ne_u32_e64 s14, 0, v5
	s_delay_alu instid0(VALU_DEP_3) | instskip(NEXT) | instid1(VALU_DEP_2)
	s_bcnt1_i32_b32 s5, s5
	s_bcnt1_i32_b32 s10, s10
	s_add_i32 s5, s6, s5
	s_delay_alu instid0(VALU_DEP_1) | instskip(SKIP_1) | instid1(SALU_CYCLE_1)
	s_bcnt1_i32_b32 s14, s14
	s_add_i32 s5, s5, s10
	s_add_i32 s5, s5, s14
	s_delay_alu instid0(SALU_CYCLE_1) | instskip(SKIP_2) | instid1(SALU_CYCLE_1)
	s_add_u32 s66, s66, s5
	s_addc_u32 s67, s67, 0
	s_and_b32 s5, s4, s7
	v_cndmask_b32_e64 v2, 0, 1, s5
	s_and_b32 s5, s9, s11
	s_delay_alu instid0(SALU_CYCLE_1) | instskip(SKIP_1) | instid1(SALU_CYCLE_1)
	v_cndmask_b32_e64 v3, 0, 1, s5
	s_and_b32 s5, s13, s16
	v_cndmask_b32_e64 v4, 0, 1, s5
	s_and_b32 s5, s18, s20
	s_delay_alu instid0(VALU_DEP_2) | instskip(SKIP_3) | instid1(VALU_DEP_4)
	v_cmp_ne_u32_e64 s6, 0, v3
	v_cndmask_b32_e64 v5, 0, 1, s5
	v_cmp_ne_u32_e64 s5, 0, v2
	v_cmp_ne_u32_e64 s7, 0, v4
	s_bcnt1_i32_b32 s6, s6
	s_delay_alu instid0(VALU_DEP_3) | instskip(NEXT) | instid1(VALU_DEP_3)
	v_cmp_ne_u32_e64 s10, 0, v5
	s_bcnt1_i32_b32 s5, s5
	s_delay_alu instid0(VALU_DEP_2) | instskip(SKIP_1) | instid1(VALU_DEP_1)
	s_bcnt1_i32_b32 s7, s7
	s_add_i32 s5, s6, s5
	s_bcnt1_i32_b32 s10, s10
	s_add_i32 s5, s5, s7
	s_delay_alu instid0(SALU_CYCLE_1) | instskip(NEXT) | instid1(SALU_CYCLE_1)
	s_add_i32 s5, s5, s10
	s_add_u32 s64, s64, s5
	s_addc_u32 s65, s65, 0
	s_and_b32 s4, s4, s8
	v_mov_b32_e32 v6, s64
	v_cndmask_b32_e64 v2, 0, 1, s4
	s_and_b32 s4, s9, s12
	v_mov_b32_e32 v7, s65
	v_cndmask_b32_e64 v3, 0, 1, s4
	s_and_b32 s4, s13, s17
	s_delay_alu instid0(SALU_CYCLE_1) | instskip(SKIP_1) | instid1(VALU_DEP_2)
	v_cndmask_b32_e64 v4, 0, 1, s4
	s_and_b32 s4, s18, s21
	v_cmp_ne_u32_e64 s5, 0, v3
	v_cndmask_b32_e64 v5, 0, 1, s4
	v_cmp_ne_u32_e64 s4, 0, v2
	v_cmp_ne_u32_e64 s6, 0, v4
	v_mov_b32_e32 v2, s68
	s_bcnt1_i32_b32 s5, s5
	v_cmp_ne_u32_e64 s7, 0, v5
	s_bcnt1_i32_b32 s4, s4
	s_bcnt1_i32_b32 s6, s6
	s_add_i32 s4, s5, s4
	v_mov_b32_e32 v4, s66
	s_bcnt1_i32_b32 s5, s7
	s_add_i32 s4, s4, s6
	v_mov_b32_e32 v3, s69
	s_add_i32 s4, s4, s5
	v_mov_b32_e32 v5, s67
	s_add_u32 s22, s22, s4
	s_addc_u32 s23, s23, 0
	s_delay_alu instid0(SALU_CYCLE_1) | instskip(SKIP_1) | instid1(SALU_CYCLE_1)
	v_dual_mov_b32 v8, s22 :: v_dual_mov_b32 v9, s23
	s_or_b32 s63, vcc_lo, s63
	s_and_not1_b32 exec_lo, exec_lo, s63
	s_cbranch_execnz .LBB85_51
; %bb.52:                               ;   in Loop: Header=BB85_15 Depth=1
	s_or_b32 exec_lo, exec_lo, s63
.LBB85_53:                              ;   in Loop: Header=BB85_15 Depth=1
	s_delay_alu instid0(SALU_CYCLE_1) | instskip(SKIP_3) | instid1(VALU_DEP_2)
	s_or_b32 exec_lo, exec_lo, s58
	v_add_co_u32 v16, vcc_lo, v16, v0
	v_add_co_ci_u32_e32 v17, vcc_lo, 0, v17, vcc_lo
	v_dual_mov_b32 v19, 0 :: v_dual_and_b32 v12, 0xffff, v25
	v_cmp_gt_u64_e32 vcc_lo, s[24:25], v[16:17]
	s_and_saveexec_b32 s4, vcc_lo
	s_cbranch_execz .LBB85_55
; %bb.54:                               ;   in Loop: Header=BB85_15 Depth=1
	v_mad_u64_u32 v[18:19], null, v16, s42, s[50:51]
	v_mul_lo_u32 v25, v16, s43
	v_mul_lo_u32 v26, v17, s42
	s_delay_alu instid0(VALU_DEP_1)
	v_add3_u32 v19, v26, v19, v25
	global_load_u8 v19, v[18:19], off
.LBB85_55:                              ;   in Loop: Header=BB85_15 Depth=1
	s_or_b32 exec_lo, exec_lo, s4
	s_and_saveexec_b32 s8, vcc_lo
	s_cbranch_execz .LBB85_62
; %bb.56:                               ;   in Loop: Header=BB85_15 Depth=1
	s_and_b32 s10, s82, 0xfe
	s_mov_b32 s9, 0
	s_branch .LBB85_58
.LBB85_57:                              ;   in Loop: Header=BB85_58 Depth=2
	s_or_b32 exec_lo, exec_lo, s5
	s_waitcnt vmcnt(0)
	v_bfe_i32 v19, v19, 0, 8
	s_and_b32 s6, exec_lo, vcc_lo
	s_delay_alu instid0(SALU_CYCLE_1) | instskip(NEXT) | instid1(VALU_DEP_1)
	s_or_b32 s9, s6, s9
	v_add_nc_u32_e32 v19, 0x80, v19
	s_delay_alu instid0(VALU_DEP_1) | instskip(SKIP_1) | instid1(VALU_DEP_2)
	v_and_b32_e32 v25, s89, v19
	v_bfe_u32 v19, v19, s10, 2
	v_cmp_eq_u32_e64 s4, s88, v25
	s_delay_alu instid0(VALU_DEP_2) | instskip(SKIP_2) | instid1(VALU_DEP_3)
	v_cmp_eq_u32_e64 s5, 0, v19
	v_cmp_eq_u32_e32 vcc_lo, 1, v19
	v_cmp_eq_u32_e64 s6, 2, v19
	s_and_b32 s5, s4, s5
	s_delay_alu instid0(SALU_CYCLE_1) | instskip(SKIP_4) | instid1(SALU_CYCLE_1)
	v_cndmask_b32_e64 v25, 0, 1, s5
	s_and_b32 s5, s4, vcc_lo
	v_cmp_eq_u32_e32 vcc_lo, 3, v19
	v_cndmask_b32_e64 v26, 0, 1, s5
	s_and_b32 s5, s4, s6
	v_cndmask_b32_e64 v27, 0, 1, s5
	v_cmp_ne_u32_e64 s5, 0, v25
	s_delay_alu instid0(VALU_DEP_3) | instskip(SKIP_1) | instid1(SALU_CYCLE_1)
	v_cmp_ne_u32_e64 s6, 0, v26
	s_and_b32 s4, s4, vcc_lo
	v_cndmask_b32_e64 v19, 0, 1, s4
	s_delay_alu instid0(VALU_DEP_3)
	s_bcnt1_i32_b32 s4, s5
	v_cmp_ne_u32_e64 s7, 0, v27
	v_add_co_u32 v2, vcc_lo, v2, s4
	s_bcnt1_i32_b32 s5, s6
	v_add_co_ci_u32_e32 v3, vcc_lo, 0, v3, vcc_lo
	v_add_co_u32 v4, vcc_lo, v4, s5
	v_add_co_ci_u32_e32 v5, vcc_lo, 0, v5, vcc_lo
	s_bcnt1_i32_b32 s6, s7
	v_cmp_ne_u32_e32 vcc_lo, 0, v19
	v_add_co_u32 v6, s4, v6, s6
	s_delay_alu instid0(VALU_DEP_1)
	v_add_co_ci_u32_e64 v7, s4, 0, v7, s4
	s_bcnt1_i32_b32 s4, vcc_lo
	v_mov_b32_e32 v19, v18
	v_add_co_u32 v8, vcc_lo, v8, s4
	v_add_co_ci_u32_e32 v9, vcc_lo, 0, v9, vcc_lo
	s_and_not1_b32 exec_lo, exec_lo, s9
	s_cbranch_execz .LBB85_61
.LBB85_58:                              ;   Parent Loop BB85_15 Depth=1
                                        ; =>  This Inner Loop Header: Depth=2
	v_add_co_u32 v16, vcc_lo, v16, v12
	v_add_co_ci_u32_e32 v17, vcc_lo, 0, v17, vcc_lo
	v_mov_b32_e32 v18, 0
	s_mov_b32 s5, exec_lo
	s_delay_alu instid0(VALU_DEP_2)
	v_cmp_le_u64_e32 vcc_lo, s[24:25], v[16:17]
	v_cmpx_gt_u64_e64 s[24:25], v[16:17]
	s_cbranch_execz .LBB85_57
; %bb.59:                               ;   in Loop: Header=BB85_58 Depth=2
	v_mad_u64_u32 v[25:26], null, v16, s42, s[50:51]
	v_mul_lo_u32 v18, v16, s43
	v_mul_lo_u32 v27, v17, s42
	s_delay_alu instid0(VALU_DEP_1)
	v_add3_u32 v26, v27, v26, v18
	global_load_u8 v18, v[25:26], off
	s_branch .LBB85_57
.LBB85_60:                              ;   in Loop: Header=BB85_15 Depth=1
                                        ; implicit-def: $vgpr8_vgpr9
                                        ; implicit-def: $vgpr4_vgpr5
	s_cbranch_execnz .LBB85_63
	s_branch .LBB85_72
.LBB85_61:                              ;   in Loop: Header=BB85_15 Depth=1
	s_or_b32 exec_lo, exec_lo, s9
.LBB85_62:                              ;   in Loop: Header=BB85_15 Depth=1
	s_delay_alu instid0(SALU_CYCLE_1)
	s_or_b32 exec_lo, exec_lo, s8
	s_branch .LBB85_72
.LBB85_63:                              ;   in Loop: Header=BB85_15 Depth=1
	global_load_u16 v12, v13, s[60:61]
	s_mov_b64 s[64:65], 0
	s_mov_b32 s63, exec_lo
	s_waitcnt vmcnt(0)
	v_readfirstlane_b32 s4, v12
	s_delay_alu instid0(VALU_DEP_1) | instskip(NEXT) | instid1(SALU_CYCLE_1)
	s_and_b32 s4, 0xffff, s4
	s_lshl_b32 s58, s4, 2
	s_delay_alu instid0(SALU_CYCLE_1) | instskip(SKIP_1) | instid1(VALU_DEP_1)
	v_cvt_f32_u32_e32 v2, s58
	s_sub_i32 s5, 0, s58
	v_rcp_iflag_f32_e32 v2, v2
	s_waitcnt_depctr 0xfff
	v_mul_f32_e32 v2, 0x4f7ffffe, v2
	s_delay_alu instid0(VALU_DEP_1) | instskip(NEXT) | instid1(VALU_DEP_1)
	v_cvt_u32_f32_e32 v2, v2
	v_readfirstlane_b32 s4, v2
	v_mov_b32_e32 v2, 0
	v_mov_b32_e32 v3, 0
	s_delay_alu instid0(VALU_DEP_3) | instskip(NEXT) | instid1(VALU_DEP_1)
	s_mul_i32 s5, s5, s4
	v_dual_mov_b32 v5, v3 :: v_dual_mov_b32 v4, v2
	s_mul_hi_u32 s5, s4, s5
	v_dual_mov_b32 v7, v3 :: v_dual_mov_b32 v6, v2
	s_add_i32 s4, s4, s5
	v_dual_mov_b32 v9, v3 :: v_dual_mov_b32 v8, v2
	s_mul_hi_u32 s4, s62, s4
	s_delay_alu instid0(SALU_CYCLE_1) | instskip(NEXT) | instid1(SALU_CYCLE_1)
	s_mul_i32 s4, s4, s58
	s_sub_i32 s4, s62, s4
	s_delay_alu instid0(SALU_CYCLE_1) | instskip(SKIP_2) | instid1(SALU_CYCLE_1)
	s_sub_i32 s5, s4, s58
	s_cmp_ge_u32 s4, s58
	s_cselect_b32 s4, s5, s4
	s_sub_i32 s5, s4, s58
	s_cmp_ge_u32 s4, s58
	s_cselect_b32 s4, s5, s4
	s_delay_alu instid0(SALU_CYCLE_1) | instskip(NEXT) | instid1(SALU_CYCLE_1)
	s_sub_i32 s56, s62, s4
	v_cmpx_gt_u32_e64 s56, v14
	s_cbranch_execz .LBB85_67
; %bb.64:                               ;   in Loop: Header=BB85_15 Depth=1
	v_dual_mov_b32 v18, v14 :: v_dual_mov_b32 v17, v15
	v_mov_b32_e32 v16, v14
	s_and_b32 s91, s82, 0xfe
	s_mov_b32 s90, 0
	s_mov_b64 s[66:67], 0
	s_mov_b64 s[68:69], 0
	;; [unrolled: 1-line block ×3, first 2 shown]
.LBB85_65:                              ;   Parent Loop BB85_15 Depth=1
                                        ; =>  This Inner Loop Header: Depth=2
	ds_load_b32 v2, v18
	v_add_co_u32 v16, vcc_lo, v16, s58
	v_add_co_ci_u32_e32 v17, vcc_lo, 0, v17, vcc_lo
	s_delay_alu instid0(VALU_DEP_1)
	v_cmp_le_u64_e32 vcc_lo, s[56:57], v[16:17]
	s_waitcnt lgkmcnt(0)
	v_bfe_i32 v3, v2, 0, 8
	v_bfe_i32 v4, v2, 8, 8
	;; [unrolled: 1-line block ×3, first 2 shown]
	v_ashrrev_i32_e32 v2, 24, v2
	s_delay_alu instid0(VALU_DEP_4) | instskip(NEXT) | instid1(VALU_DEP_4)
	v_add_nc_u32_e32 v3, 0x80, v3
	v_add_nc_u32_e32 v4, 0x80, v4
	s_delay_alu instid0(VALU_DEP_4) | instskip(NEXT) | instid1(VALU_DEP_4)
	v_add_nc_u32_e32 v5, 0x80, v5
	v_add_nc_u32_e32 v2, 0x80, v2
	s_delay_alu instid0(VALU_DEP_4)
	v_and_b32_e32 v6, s89, v3
	v_bfe_u32 v3, v3, s91, 2
	v_and_b32_e32 v7, s89, v4
	v_bfe_u32 v4, v4, s91, 2
	v_and_b32_e32 v8, s89, v5
	v_bfe_u32 v5, v5, s91, 2
	v_cmp_eq_u32_e64 s4, s88, v6
	v_cmp_eq_u32_e64 s8, 0, v3
	v_and_b32_e32 v9, s89, v2
	v_bfe_u32 v2, v2, s91, 2
	v_cmp_eq_u32_e64 s5, s88, v7
	v_cmp_eq_u32_e64 s9, 0, v4
	;; [unrolled: 1-line block ×4, first 2 shown]
	s_and_b32 s8, s4, s8
	v_cmp_eq_u32_e64 s7, s88, v9
	v_cmp_eq_u32_e64 s11, 0, v2
	;; [unrolled: 1-line block ×5, first 2 shown]
	v_cndmask_b32_e64 v2, 0, 1, s8
	s_and_b32 s8, s5, s9
	v_cmp_eq_u32_e64 s12, 1, v3
	v_cmp_eq_u32_e64 s16, 2, v3
	v_cmp_eq_u32_e64 s20, 3, v3
	v_cndmask_b32_e64 v3, 0, 1, s8
	s_and_b32 s8, s6, s10
	v_cmp_eq_u32_e64 s13, 1, v4
	v_cmp_eq_u32_e64 s17, 2, v4
	v_cmp_eq_u32_e64 s21, 3, v4
	;; [unrolled: 5-line block ×3, first 2 shown]
	v_cndmask_b32_e64 v5, 0, 1, s8
	v_cmp_ne_u32_e64 s8, 0, v2
	v_cmp_ne_u32_e64 s9, 0, v3
	;; [unrolled: 1-line block ×3, first 2 shown]
	s_delay_alu instid0(VALU_DEP_4) | instskip(NEXT) | instid1(VALU_DEP_4)
	v_cmp_ne_u32_e64 s11, 0, v5
	s_bcnt1_i32_b32 s8, s8
	s_delay_alu instid0(VALU_DEP_3) | instskip(NEXT) | instid1(VALU_DEP_2)
	s_bcnt1_i32_b32 s9, s9
	s_bcnt1_i32_b32 s10, s10
	s_add_i32 s8, s9, s8
	s_bcnt1_i32_b32 s11, s11
	s_add_i32 s8, s8, s10
	s_delay_alu instid0(SALU_CYCLE_1) | instskip(NEXT) | instid1(SALU_CYCLE_1)
	s_add_i32 s8, s8, s11
	s_add_u32 s70, s70, s8
	s_addc_u32 s71, s71, 0
	s_and_b32 s8, s4, s12
	v_add_nc_u32_e32 v18, s58, v18
	v_cndmask_b32_e64 v2, 0, 1, s8
	s_and_b32 s8, s5, s13
	s_delay_alu instid0(SALU_CYCLE_1) | instskip(SKIP_1) | instid1(SALU_CYCLE_1)
	v_cndmask_b32_e64 v3, 0, 1, s8
	s_and_b32 s8, s6, s14
	v_cndmask_b32_e64 v4, 0, 1, s8
	s_and_b32 s8, s7, s15
	s_delay_alu instid0(VALU_DEP_2) | instskip(SKIP_3) | instid1(VALU_DEP_4)
	v_cmp_ne_u32_e64 s9, 0, v3
	v_cndmask_b32_e64 v5, 0, 1, s8
	v_cmp_ne_u32_e64 s8, 0, v2
	v_cmp_ne_u32_e64 s10, 0, v4
	s_bcnt1_i32_b32 s9, s9
	s_delay_alu instid0(VALU_DEP_3) | instskip(NEXT) | instid1(VALU_DEP_3)
	v_cmp_ne_u32_e64 s11, 0, v5
	s_bcnt1_i32_b32 s8, s8
	s_delay_alu instid0(VALU_DEP_2) | instskip(SKIP_1) | instid1(VALU_DEP_1)
	s_bcnt1_i32_b32 s10, s10
	s_add_i32 s8, s9, s8
	s_bcnt1_i32_b32 s11, s11
	s_add_i32 s8, s8, s10
	s_delay_alu instid0(SALU_CYCLE_1) | instskip(NEXT) | instid1(SALU_CYCLE_1)
	s_add_i32 s8, s8, s11
	s_add_u32 s68, s68, s8
	s_addc_u32 s69, s69, 0
	s_and_b32 s8, s4, s16
	s_delay_alu instid0(SALU_CYCLE_1) | instskip(SKIP_1) | instid1(SALU_CYCLE_1)
	v_cndmask_b32_e64 v2, 0, 1, s8
	s_and_b32 s8, s5, s17
	v_cndmask_b32_e64 v3, 0, 1, s8
	s_and_b32 s8, s6, s18
	s_delay_alu instid0(SALU_CYCLE_1) | instskip(SKIP_1) | instid1(VALU_DEP_2)
	v_cndmask_b32_e64 v4, 0, 1, s8
	s_and_b32 s8, s7, s19
	v_cmp_ne_u32_e64 s9, 0, v3
	v_cndmask_b32_e64 v5, 0, 1, s8
	v_cmp_ne_u32_e64 s8, 0, v2
	v_cmp_ne_u32_e64 s10, 0, v4
	s_delay_alu instid0(VALU_DEP_4) | instskip(NEXT) | instid1(VALU_DEP_3)
	s_bcnt1_i32_b32 s9, s9
	v_cmp_ne_u32_e64 s11, 0, v5
	s_delay_alu instid0(VALU_DEP_3) | instskip(NEXT) | instid1(VALU_DEP_2)
	s_bcnt1_i32_b32 s8, s8
	s_bcnt1_i32_b32 s10, s10
	s_add_i32 s8, s9, s8
	s_delay_alu instid0(VALU_DEP_1) | instskip(SKIP_1) | instid1(SALU_CYCLE_1)
	s_bcnt1_i32_b32 s11, s11
	s_add_i32 s8, s8, s10
	s_add_i32 s8, s8, s11
	s_delay_alu instid0(SALU_CYCLE_1)
	s_add_u32 s66, s66, s8
	s_addc_u32 s67, s67, 0
	s_and_b32 s4, s4, s20
	v_mov_b32_e32 v6, s66
	v_cndmask_b32_e64 v2, 0, 1, s4
	s_and_b32 s4, s5, s21
	v_mov_b32_e32 v7, s67
	v_cndmask_b32_e64 v3, 0, 1, s4
	s_and_b32 s4, s6, s22
	s_delay_alu instid0(SALU_CYCLE_1) | instskip(SKIP_1) | instid1(VALU_DEP_2)
	v_cndmask_b32_e64 v4, 0, 1, s4
	s_and_b32 s4, s7, s23
	v_cmp_ne_u32_e64 s5, 0, v3
	v_cndmask_b32_e64 v5, 0, 1, s4
	v_cmp_ne_u32_e64 s4, 0, v2
	v_cmp_ne_u32_e64 s6, 0, v4
	v_dual_mov_b32 v2, s70 :: v_dual_mov_b32 v3, s71
	s_delay_alu instid0(VALU_DEP_4) | instskip(NEXT) | instid1(VALU_DEP_4)
	v_cmp_ne_u32_e64 s7, 0, v5
	s_bcnt1_i32_b32 s4, s4
	s_bcnt1_i32_b32 s5, s5
	;; [unrolled: 1-line block ×3, first 2 shown]
	s_add_i32 s4, s5, s4
	s_bcnt1_i32_b32 s5, s7
	s_add_i32 s4, s4, s6
	v_mov_b32_e32 v4, s68
	s_add_i32 s4, s4, s5
	v_mov_b32_e32 v5, s69
	s_add_u32 s64, s64, s4
	s_addc_u32 s65, s65, 0
	s_delay_alu instid0(SALU_CYCLE_1) | instskip(SKIP_1) | instid1(SALU_CYCLE_1)
	v_dual_mov_b32 v8, s64 :: v_dual_mov_b32 v9, s65
	s_or_b32 s90, vcc_lo, s90
	s_and_not1_b32 exec_lo, exec_lo, s90
	s_cbranch_execnz .LBB85_65
; %bb.66:                               ;   in Loop: Header=BB85_15 Depth=1
	s_or_b32 exec_lo, exec_lo, s90
.LBB85_67:                              ;   in Loop: Header=BB85_15 Depth=1
	s_delay_alu instid0(SALU_CYCLE_1) | instskip(SKIP_3) | instid1(VALU_DEP_1)
	s_or_b32 exec_lo, exec_lo, s63
	v_and_b32_e32 v18, 0xffff, v12
	v_add_nc_u32_e32 v12, s56, v0
	s_mov_b32 s9, exec_lo
	v_cmpx_gt_u32_e64 s62, v12
	s_cbranch_execz .LBB85_71
; %bb.68:                               ;   in Loop: Header=BB85_15 Depth=1
	v_mov_b32_e32 v17, v13
	v_dual_mov_b32 v16, v12 :: v_dual_add_nc_u32 v19, s56, v0
	s_mov_b32 s11, 0
	s_and_b32 s10, s62, 0x7fffffff
	s_and_b32 s13, s82, 0xfe
	s_mov_b32 s12, s11
.LBB85_69:                              ;   Parent Loop BB85_15 Depth=1
                                        ; =>  This Inner Loop Header: Depth=2
	ds_load_i8 v12, v19
	v_add_co_u32 v16, vcc_lo, v16, v18
	v_add_co_ci_u32_e32 v17, vcc_lo, 0, v17, vcc_lo
	v_add_nc_u32_e32 v19, v19, v18
	s_delay_alu instid0(VALU_DEP_2) | instskip(SKIP_2) | instid1(VALU_DEP_1)
	v_cmp_le_u64_e32 vcc_lo, s[10:11], v[16:17]
	s_waitcnt lgkmcnt(0)
	v_add_nc_u32_e32 v12, 0x80, v12
	v_and_b32_e32 v25, s89, v12
	v_bfe_u32 v12, v12, s13, 2
	s_delay_alu instid0(VALU_DEP_2) | instskip(NEXT) | instid1(VALU_DEP_2)
	v_cmp_eq_u32_e64 s4, s88, v25
	v_cmp_eq_u32_e64 s5, 0, v12
	;; [unrolled: 1-line block ×5, first 2 shown]
	s_delay_alu instid0(VALU_DEP_4) | instskip(NEXT) | instid1(SALU_CYCLE_1)
	s_and_b32 s5, s4, s5
	v_cndmask_b32_e64 v12, 0, 1, s5
	s_and_b32 s5, s4, s6
	s_delay_alu instid0(SALU_CYCLE_1)
	v_cndmask_b32_e64 v25, 0, 1, s5
	s_and_b32 s5, s4, s7
	s_and_b32 s4, s4, s8
	v_cndmask_b32_e64 v26, 0, 1, s5
	v_cndmask_b32_e64 v27, 0, 1, s4
	v_cmp_ne_u32_e64 s4, 0, v12
	v_cmp_ne_u32_e64 s5, 0, v25
	s_delay_alu instid0(VALU_DEP_4) | instskip(NEXT) | instid1(VALU_DEP_4)
	v_cmp_ne_u32_e64 s6, 0, v26
	v_cmp_ne_u32_e64 s7, 0, v27
	s_delay_alu instid0(VALU_DEP_4) | instskip(NEXT) | instid1(VALU_DEP_3)
	s_bcnt1_i32_b32 s4, s4
	s_bcnt1_i32_b32 s5, s5
	v_add_co_u32 v2, s4, v2, s4
	s_delay_alu instid0(VALU_DEP_1)
	v_add_co_ci_u32_e64 v3, s4, 0, v3, s4
	v_add_co_u32 v4, s4, v4, s5
	s_bcnt1_i32_b32 s6, s6
	v_add_co_ci_u32_e64 v5, s4, 0, v5, s4
	v_add_co_u32 v6, s4, v6, s6
	s_bcnt1_i32_b32 s7, s7
	v_add_co_ci_u32_e64 v7, s4, 0, v7, s4
	v_add_co_u32 v8, s4, v8, s7
	s_delay_alu instid0(VALU_DEP_1) | instskip(SKIP_1) | instid1(SALU_CYCLE_1)
	v_add_co_ci_u32_e64 v9, s4, 0, v9, s4
	s_or_b32 s12, vcc_lo, s12
	s_and_not1_b32 exec_lo, exec_lo, s12
	s_cbranch_execnz .LBB85_69
; %bb.70:                               ;   in Loop: Header=BB85_15 Depth=1
	s_or_b32 exec_lo, exec_lo, s12
.LBB85_71:                              ;   in Loop: Header=BB85_15 Depth=1
	s_delay_alu instid0(SALU_CYCLE_1)
	s_or_b32 exec_lo, exec_lo, s9
.LBB85_72:                              ;   in Loop: Header=BB85_15 Depth=1
	s_lshl_b32 s4, s86, 7
	s_and_saveexec_b32 s5, s1
	s_cbranch_execz .LBB85_74
; %bb.73:                               ;   in Loop: Header=BB85_15 Depth=1
	v_or_b32_e32 v12, s4, v21
	s_delay_alu instid0(VALU_DEP_1)
	v_lshlrev_b32_e32 v12, 3, v12
	ds_store_b128 v12, v[2:5] offset:3072
	ds_store_b128 v12, v[6:9] offset:3088
.LBB85_74:                              ;   in Loop: Header=BB85_15 Depth=1
	s_or_b32 exec_lo, exec_lo, s5
	s_waitcnt vmcnt(0) lgkmcnt(0)
	s_barrier
	buffer_gl0_inv
	s_and_saveexec_b32 s5, s35
	s_cbranch_execz .LBB85_85
; %bb.75:                               ;   in Loop: Header=BB85_15 Depth=1
	v_mov_b32_e32 v2, 0
	v_mov_b32_e32 v3, 0
	s_and_not1_b32 vcc_lo, exec_lo, s75
	s_cbranch_vccnz .LBB85_84
; %bb.76:                               ;   in Loop: Header=BB85_15 Depth=1
	v_mov_b32_e32 v2, 0
	v_mov_b32_e32 v3, 0
	s_and_not1_b32 vcc_lo, exec_lo, s76
	s_cbranch_vccnz .LBB85_81
; %bb.77:                               ;   in Loop: Header=BB85_15 Depth=1
	v_lshl_add_u32 v4, s86, 10, v23
	s_mov_b32 s6, 0
	s_set_inst_prefetch_distance 0x1
	.p2align	6
.LBB85_78:                              ;   Parent Loop BB85_15 Depth=1
                                        ; =>  This Inner Loop Header: Depth=2
	ds_load_2addr_b64 v[5:8], v4 offset1:4
	ds_load_2addr_b64 v[16:19], v4 offset0:8 offset1:12
	ds_load_2addr_b64 v[25:28], v4 offset0:16 offset1:20
	s_add_i32 s6, s6, 8
	s_delay_alu instid0(SALU_CYCLE_1) | instskip(SKIP_3) | instid1(VALU_DEP_2)
	s_cmp_eq_u32 s77, s6
	s_waitcnt lgkmcnt(2)
	v_add_co_u32 v2, vcc_lo, v5, v2
	v_add_co_ci_u32_e32 v3, vcc_lo, v6, v3, vcc_lo
	v_add_co_u32 v2, vcc_lo, v7, v2
	s_delay_alu instid0(VALU_DEP_2)
	v_add_co_ci_u32_e32 v3, vcc_lo, v8, v3, vcc_lo
	ds_load_2addr_b64 v[5:8], v4 offset0:24 offset1:28
	s_waitcnt lgkmcnt(2)
	v_add_co_u32 v2, vcc_lo, v16, v2
	v_add_co_ci_u32_e32 v3, vcc_lo, v17, v3, vcc_lo
	v_add_nc_u32_e32 v4, 0x100, v4
	s_delay_alu instid0(VALU_DEP_3) | instskip(NEXT) | instid1(VALU_DEP_3)
	v_add_co_u32 v2, vcc_lo, v18, v2
	v_add_co_ci_u32_e32 v3, vcc_lo, v19, v3, vcc_lo
	s_waitcnt lgkmcnt(1)
	s_delay_alu instid0(VALU_DEP_2) | instskip(NEXT) | instid1(VALU_DEP_2)
	v_add_co_u32 v2, vcc_lo, v25, v2
	v_add_co_ci_u32_e32 v3, vcc_lo, v26, v3, vcc_lo
	s_delay_alu instid0(VALU_DEP_2) | instskip(NEXT) | instid1(VALU_DEP_2)
	v_add_co_u32 v2, vcc_lo, v27, v2
	v_add_co_ci_u32_e32 v3, vcc_lo, v28, v3, vcc_lo
	s_waitcnt lgkmcnt(0)
	s_delay_alu instid0(VALU_DEP_2) | instskip(NEXT) | instid1(VALU_DEP_2)
	v_add_co_u32 v2, vcc_lo, v5, v2
	v_add_co_ci_u32_e32 v3, vcc_lo, v6, v3, vcc_lo
	s_delay_alu instid0(VALU_DEP_2) | instskip(NEXT) | instid1(VALU_DEP_2)
	v_add_co_u32 v2, vcc_lo, v7, v2
	v_add_co_ci_u32_e32 v3, vcc_lo, v8, v3, vcc_lo
	s_cbranch_scc0 .LBB85_78
; %bb.79:                               ;   in Loop: Header=BB85_15 Depth=1
	s_set_inst_prefetch_distance 0x2
	s_mov_b32 s6, s77
	s_and_not1_b32 vcc_lo, exec_lo, s78
	s_cbranch_vccz .LBB85_82
	s_branch .LBB85_84
.LBB85_80:                              ;   in Loop: Header=BB85_15 Depth=1
                                        ; implicit-def: $vgpr2_vgpr3
	s_branch .LBB85_48
.LBB85_81:                              ;   in Loop: Header=BB85_15 Depth=1
	s_mov_b32 s6, 0
	s_and_not1_b32 vcc_lo, exec_lo, s78
	s_cbranch_vccnz .LBB85_84
.LBB85_82:                              ;   in Loop: Header=BB85_15 Depth=1
	s_lshl_b32 s7, s86, 10
	s_lshl_b32 s6, s6, 5
	s_delay_alu instid0(SALU_CYCLE_1)
	v_add3_u32 v4, s7, s6, v23
	s_mov_b32 s6, s74
.LBB85_83:                              ;   Parent Loop BB85_15 Depth=1
                                        ; =>  This Inner Loop Header: Depth=2
	ds_load_b64 v[5:6], v4
	v_add_nc_u32_e32 v4, 32, v4
	s_add_i32 s6, s6, -1
	s_delay_alu instid0(SALU_CYCLE_1)
	s_cmp_lg_u32 s6, 0
	s_waitcnt lgkmcnt(0)
	v_add_co_u32 v2, vcc_lo, v5, v2
	v_add_co_ci_u32_e32 v3, vcc_lo, v6, v3, vcc_lo
	s_cbranch_scc1 .LBB85_83
.LBB85_84:                              ;   in Loop: Header=BB85_15 Depth=1
	v_add_lshl_u32 v4, s4, v20, 3
	ds_store_b64 v4, v[2:3] offset:3072
.LBB85_85:                              ;   in Loop: Header=BB85_15 Depth=1
	s_or_b32 exec_lo, exec_lo, s5
	s_lshl_b32 s4, s4, 3
	s_waitcnt lgkmcnt(0)
	v_mov_b32_e32 v6, s4
	s_barrier
	buffer_gl0_inv
	s_and_b32 s17, s82, 0xfe
	s_mov_b32 s19, -1
	ds_load_b128 v[2:5], v6 offset:3072
	ds_load_b128 v[6:9], v6 offset:3088
	s_lshl_b32 s16, 3, s17
	s_delay_alu instid0(SALU_CYCLE_1)
	s_not_b32 s18, s16
	s_waitcnt lgkmcnt(1)
	v_readfirstlane_b32 s13, v3
	v_readfirstlane_b32 s12, v2
	;; [unrolled: 1-line block ×4, first 2 shown]
	s_waitcnt lgkmcnt(0)
	v_readfirstlane_b32 s8, v6
	v_readfirstlane_b32 s9, v7
	s_cmp_eq_u64 s[12:13], 1
	v_readfirstlane_b32 s6, v8
	s_cselect_b32 s4, -1, 0
	s_cmp_eq_u64 s[54:55], 1
	v_readfirstlane_b32 s7, v9
	s_cselect_b32 s5, -1, 0
	s_delay_alu instid0(SALU_CYCLE_1) | instskip(NEXT) | instid1(SALU_CYCLE_1)
	s_and_b32 s20, s4, s5
	s_and_b32 vcc_lo, exec_lo, s20
	s_cbranch_vccz .LBB85_100
; %bb.86:                               ;   in Loop: Header=BB85_15 Depth=1
	ds_load_b64 v[2:3], v13 offset:5120
	s_waitcnt lgkmcnt(0)
	s_barrier
	buffer_gl0_inv
	v_readfirstlane_b32 s14, v2
	v_readfirstlane_b32 s15, v3
	s_and_saveexec_b32 s4, s3
	s_cbranch_execz .LBB85_88
; %bb.87:                               ;   in Loop: Header=BB85_15 Depth=1
	ds_store_b8 v0, v13 offset:3072
.LBB85_88:                              ;   in Loop: Header=BB85_15 Depth=1
	s_or_b32 exec_lo, exec_lo, s4
	s_and_b32 s88, s88, s18
	s_or_b32 s89, s89, s16
	s_cmp_eq_u64 s[14:15], 0
	s_waitcnt lgkmcnt(0)
	s_barrier
	buffer_gl0_inv
	s_cbranch_scc1 .LBB85_101
; %bb.89:                               ;   in Loop: Header=BB85_15 Depth=1
	s_add_u32 s21, s47, s14
	s_addc_u32 s5, s72, s15
	s_mov_b32 s4, s57
	s_delay_alu instid0(SALU_CYCLE_1)
	s_cmp_lg_u64 s[4:5], 0
	s_cbranch_scc0 .LBB85_146
; %bb.90:                               ;   in Loop: Header=BB85_15 Depth=1
	v_cvt_f32_u32_e32 v2, s33
	s_sub_u32 s23, 0, s33
	s_subb_u32 s56, 0, 0
	s_delay_alu instid0(VALU_DEP_1) | instskip(NEXT) | instid1(VALU_DEP_1)
	v_fmac_f32_e64 v2, 0, 0x4f800000
	v_rcp_f32_e32 v2, v2
	s_waitcnt_depctr 0xfff
	v_mul_f32_e32 v2, 0x5f7ffffc, v2
	s_delay_alu instid0(VALU_DEP_1) | instskip(NEXT) | instid1(VALU_DEP_1)
	v_mul_f32_e32 v3, 0x2f800000, v2
	v_trunc_f32_e32 v3, v3
	s_delay_alu instid0(VALU_DEP_1) | instskip(SKIP_1) | instid1(VALU_DEP_2)
	v_fmac_f32_e32 v2, 0xcf800000, v3
	v_cvt_u32_f32_e32 v3, v3
	v_cvt_u32_f32_e32 v2, v2
	s_delay_alu instid0(VALU_DEP_2) | instskip(NEXT) | instid1(VALU_DEP_2)
	v_readfirstlane_b32 s4, v3
	v_readfirstlane_b32 s22, v2
	s_delay_alu instid0(VALU_DEP_2) | instskip(NEXT) | instid1(VALU_DEP_1)
	s_mul_i32 s58, s23, s4
	s_mul_hi_u32 s63, s23, s22
	s_mul_i32 s62, s56, s22
	s_add_i32 s58, s63, s58
	s_mul_i32 s64, s23, s22
	s_add_i32 s58, s58, s62
	s_mul_hi_u32 s63, s22, s64
	s_mul_hi_u32 s65, s4, s64
	s_mul_i32 s62, s4, s64
	s_mul_hi_u32 s64, s22, s58
	s_mul_i32 s22, s22, s58
	s_mul_hi_u32 s66, s4, s58
	s_add_u32 s22, s63, s22
	s_addc_u32 s63, 0, s64
	s_add_u32 s22, s22, s62
	s_mul_i32 s58, s4, s58
	s_addc_u32 s22, s63, s65
	s_addc_u32 s62, s66, 0
	s_add_u32 s22, s22, s58
	s_addc_u32 s58, 0, s62
	v_add_co_u32 v2, s22, v2, s22
	s_delay_alu instid0(VALU_DEP_1) | instskip(SKIP_1) | instid1(VALU_DEP_1)
	s_cmp_lg_u32 s22, 0
	s_addc_u32 s4, s4, s58
	v_readfirstlane_b32 s22, v2
	s_mul_i32 s58, s23, s4
	s_delay_alu instid0(VALU_DEP_1)
	s_mul_hi_u32 s62, s23, s22
	s_mul_i32 s56, s56, s22
	s_add_i32 s58, s62, s58
	s_mul_i32 s23, s23, s22
	s_add_i32 s58, s58, s56
	s_mul_hi_u32 s62, s4, s23
	s_mul_i32 s63, s4, s23
	s_mul_hi_u32 s23, s22, s23
	s_mul_hi_u32 s64, s22, s58
	s_mul_i32 s22, s22, s58
	s_mul_hi_u32 s56, s4, s58
	s_add_u32 s22, s23, s22
	s_addc_u32 s23, 0, s64
	s_add_u32 s22, s22, s63
	s_mul_i32 s58, s4, s58
	s_addc_u32 s22, s23, s62
	s_addc_u32 s23, s56, 0
	s_add_u32 s22, s22, s58
	s_addc_u32 s23, 0, s23
	v_add_co_u32 v2, s22, v2, s22
	s_delay_alu instid0(VALU_DEP_1) | instskip(SKIP_1) | instid1(VALU_DEP_1)
	s_cmp_lg_u32 s22, 0
	s_addc_u32 s4, s4, s23
	v_readfirstlane_b32 s22, v2
	s_mul_i32 s56, s21, s4
	s_mul_hi_u32 s23, s21, s4
	s_mul_hi_u32 s58, s5, s4
	s_mul_i32 s4, s5, s4
	s_mul_hi_u32 s62, s21, s22
	s_mul_hi_u32 s63, s5, s22
	s_mul_i32 s22, s5, s22
	s_add_u32 s56, s62, s56
	s_addc_u32 s23, 0, s23
	s_add_u32 s22, s56, s22
	s_addc_u32 s22, s23, s63
	s_addc_u32 s23, s58, 0
	s_add_u32 s4, s22, s4
	s_addc_u32 s22, 0, s23
	s_mul_hi_u32 s23, s33, s4
	s_mul_i32 s4, s33, s4
	s_mul_i32 s22, s33, s22
	v_sub_co_u32 v2, s4, s21, s4
	s_add_i32 s23, s23, s22
	s_cmp_lg_u32 s4, 0
	s_delay_alu instid0(VALU_DEP_1) | instskip(SKIP_2) | instid1(VALU_DEP_1)
	v_sub_co_u32 v3, s4, v2, s33
	s_subb_u32 s22, s5, s23
	s_cmp_lg_u32 s4, 0
	v_cmp_le_u32_e32 vcc_lo, s33, v3
	v_sub_co_u32 v4, s4, v3, s33
	s_subb_u32 s23, s22, 0
	s_cmp_lg_u32 s4, 0
	v_cndmask_b32_e64 v5, 0, -1, vcc_lo
	s_subb_u32 s4, s23, 0
	s_cmp_eq_u32 s23, 0
	v_mov_b32_e32 v7, s4
	s_cselect_b32 vcc_lo, -1, 0
	s_cmp_eq_u32 s22, 0
	v_cndmask_b32_e32 v5, -1, v5, vcc_lo
	v_cmp_le_u32_e32 vcc_lo, s33, v2
	s_cselect_b32 s4, -1, 0
	v_cndmask_b32_e64 v6, 0, -1, vcc_lo
	s_delay_alu instid0(VALU_DEP_3) | instskip(NEXT) | instid1(VALU_DEP_2)
	v_cmp_ne_u32_e32 vcc_lo, 0, v5
	v_cndmask_b32_e64 v5, -1, v6, s4
	v_cndmask_b32_e32 v6, s23, v7, vcc_lo
	v_cndmask_b32_e32 v4, v3, v4, vcc_lo
	s_delay_alu instid0(VALU_DEP_3) | instskip(NEXT) | instid1(VALU_DEP_3)
	v_cmp_ne_u32_e32 vcc_lo, 0, v5
	v_cndmask_b32_e32 v3, s22, v6, vcc_lo
	s_delay_alu instid0(VALU_DEP_3)
	v_cndmask_b32_e32 v2, v2, v4, vcc_lo
	s_cbranch_execnz .LBB85_92
.LBB85_91:                              ;   in Loop: Header=BB85_15 Depth=1
	v_cvt_f32_u32_e32 v2, s33
	s_sub_i32 s4, 0, s33
	s_delay_alu instid0(VALU_DEP_1) | instskip(SKIP_2) | instid1(VALU_DEP_1)
	v_rcp_iflag_f32_e32 v2, v2
	s_waitcnt_depctr 0xfff
	v_mul_f32_e32 v2, 0x4f7ffffe, v2
	v_cvt_u32_f32_e32 v2, v2
	s_delay_alu instid0(VALU_DEP_1) | instskip(NEXT) | instid1(VALU_DEP_1)
	v_mul_lo_u32 v3, s4, v2
	v_mul_hi_u32 v3, v2, v3
	s_delay_alu instid0(VALU_DEP_1) | instskip(NEXT) | instid1(VALU_DEP_1)
	v_add_nc_u32_e32 v2, v2, v3
	v_mul_hi_u32 v2, s21, v2
	s_delay_alu instid0(VALU_DEP_1) | instskip(NEXT) | instid1(VALU_DEP_1)
	v_mul_lo_u32 v2, v2, s33
	v_sub_nc_u32_e32 v2, s21, v2
	s_delay_alu instid0(VALU_DEP_1) | instskip(SKIP_1) | instid1(VALU_DEP_2)
	v_subrev_nc_u32_e32 v3, s33, v2
	v_cmp_le_u32_e32 vcc_lo, s33, v2
	v_cndmask_b32_e32 v2, v2, v3, vcc_lo
	s_delay_alu instid0(VALU_DEP_1) | instskip(SKIP_1) | instid1(VALU_DEP_2)
	v_subrev_nc_u32_e32 v3, s33, v2
	v_cmp_le_u32_e32 vcc_lo, s33, v2
	v_cndmask_b32_e32 v12, v2, v3, vcc_lo
	s_delay_alu instid0(VALU_DEP_1)
	v_dual_mov_b32 v2, v12 :: v_dual_mov_b32 v3, v13
.LBB85_92:                              ;   in Loop: Header=BB85_15 Depth=1
	s_delay_alu instid0(VALU_DEP_1) | instskip(NEXT) | instid1(VALU_DEP_2)
	v_sub_co_u32 v2, vcc_lo, s21, v2
	v_sub_co_ci_u32_e32 v3, vcc_lo, s5, v3, vcc_lo
	s_mov_b32 s4, 0
	s_mov_b32 s5, exec_lo
                                        ; implicit-def: $vgpr24
	s_delay_alu instid0(VALU_DEP_1)
	v_cmpx_gt_u64_e64 v[2:3], v[0:1]
	s_cbranch_execz .LBB85_103
; %bb.93:                               ;   in Loop: Header=BB85_15 Depth=1
	v_dual_mov_b32 v6, v0 :: v_dual_mov_b32 v5, v1
	v_mov_b32_e32 v4, v0
	s_mov_b32 s21, 0
                                        ; implicit-def: $sgpr22
	s_set_inst_prefetch_distance 0x1
	s_branch .LBB85_95
	.p2align	6
.LBB85_94:                              ;   in Loop: Header=BB85_95 Depth=2
	s_or_b32 exec_lo, exec_lo, s4
	s_waitcnt lgkmcnt(0)
	s_barrier
	buffer_gl0_inv
	ds_load_u16 v7, v13 offset:3072
	v_add_co_u32 v4, vcc_lo, v4, s33
	v_add_co_ci_u32_e32 v5, vcc_lo, 0, v5, vcc_lo
	v_add_nc_u32_e32 v6, s33, v6
	s_waitcnt lgkmcnt(0)
	s_barrier
	s_delay_alu instid0(VALU_DEP_2) | instskip(SKIP_2) | instid1(VALU_DEP_1)
	v_cmp_ge_u64_e32 vcc_lo, v[4:5], v[2:3]
	buffer_gl0_inv
	v_and_b32_e32 v8, 0xff, v7
	v_cmp_ne_u16_e64 s4, 0, v8
	s_delay_alu instid0(VALU_DEP_1) | instskip(NEXT) | instid1(SALU_CYCLE_1)
	s_or_b32 s23, vcc_lo, s4
	s_and_b32 s23, exec_lo, s23
	s_delay_alu instid0(SALU_CYCLE_1) | instskip(SKIP_2) | instid1(SALU_CYCLE_1)
	s_or_b32 s21, s23, s21
	s_and_not1_b32 s22, s22, exec_lo
	s_and_b32 s4, s4, exec_lo
	s_or_b32 s22, s22, s4
	s_and_not1_b32 exec_lo, exec_lo, s21
	s_cbranch_execz .LBB85_102
.LBB85_95:                              ;   Parent Loop BB85_15 Depth=1
                                        ; =>  This Inner Loop Header: Depth=2
	s_delay_alu instid0(VALU_DEP_1)
	v_cmp_gt_u64_e32 vcc_lo, s[14:15], v[4:5]
	v_mov_b32_e32 v7, 0
	s_and_saveexec_b32 s4, vcc_lo
	s_cbranch_execz .LBB85_97
; %bb.96:                               ;   in Loop: Header=BB85_95 Depth=2
	ds_load_u8 v7, v6
.LBB85_97:                              ;   in Loop: Header=BB85_95 Depth=2
	s_or_b32 exec_lo, exec_lo, s4
	s_and_saveexec_b32 s4, vcc_lo
	s_cbranch_execz .LBB85_94
; %bb.98:                               ;   in Loop: Header=BB85_95 Depth=2
	s_waitcnt lgkmcnt(0)
	v_bfe_i32 v8, v7, 0, 8
	s_delay_alu instid0(VALU_DEP_1) | instskip(NEXT) | instid1(VALU_DEP_1)
	v_add_nc_u32_e32 v8, 0x80, v8
	v_and_b32_e32 v8, s89, v8
	s_delay_alu instid0(VALU_DEP_1)
	v_cmp_eq_u32_e32 vcc_lo, s88, v8
	s_and_b32 exec_lo, exec_lo, vcc_lo
	s_cbranch_execz .LBB85_94
; %bb.99:                               ;   in Loop: Header=BB85_95 Depth=2
	v_lshlrev_b16 v7, 8, v7
	s_delay_alu instid0(VALU_DEP_1)
	v_or_b32_e32 v7, 1, v7
	ds_store_b16 v13, v7 offset:3072
	s_branch .LBB85_94
.LBB85_100:                             ;   in Loop: Header=BB85_15 Depth=1
	s_mov_b32 s4, -1
                                        ; implicit-def: $sgpr5
                                        ; implicit-def: $sgpr15
                                        ; implicit-def: $sgpr14
	s_branch .LBB85_117
.LBB85_101:                             ;   in Loop: Header=BB85_15 Depth=1
	s_mov_b32 s5, -1
	s_mov_b32 s4, 0
                                        ; implicit-def: $sgpr14
                                        ; implicit-def: $vgpr24
	s_mov_b32 s15, s5
	s_cbranch_execnz .LBB85_104
	s_branch .LBB85_117
.LBB85_102:                             ;   in Loop: Header=BB85_15 Depth=1
	s_set_inst_prefetch_distance 0x2
	s_or_b32 exec_lo, exec_lo, s21
	v_lshrrev_b16 v24, 8, v7
	s_and_b32 s4, s22, exec_lo
.LBB85_103:                             ;   in Loop: Header=BB85_15 Depth=1
	s_or_b32 exec_lo, exec_lo, s5
	s_mov_b32 s14, -1
	s_mov_b32 s5, 0
	s_delay_alu instid0(SALU_CYCLE_1)
	s_mov_b32 s15, s5
	s_branch .LBB85_117
.LBB85_104:                             ;   in Loop: Header=BB85_15 Depth=1
	s_mov_b32 s58, s57
	s_delay_alu instid0(SALU_CYCLE_1)
	s_cmp_lg_u64 s[58:59], 0
	s_cbranch_scc0 .LBB85_147
; %bb.105:                              ;   in Loop: Header=BB85_15 Depth=1
	v_cvt_f32_u32_e32 v2, s33
	s_sub_u32 s14, 0, s33
	s_subb_u32 s15, 0, 0
	s_delay_alu instid0(VALU_DEP_1) | instskip(NEXT) | instid1(VALU_DEP_1)
	v_fmac_f32_e64 v2, 0, 0x4f800000
	v_rcp_f32_e32 v2, v2
	s_waitcnt_depctr 0xfff
	v_mul_f32_e32 v2, 0x5f7ffffc, v2
	s_delay_alu instid0(VALU_DEP_1) | instskip(NEXT) | instid1(VALU_DEP_1)
	v_mul_f32_e32 v3, 0x2f800000, v2
	v_trunc_f32_e32 v3, v3
	s_delay_alu instid0(VALU_DEP_1) | instskip(SKIP_1) | instid1(VALU_DEP_2)
	v_fmac_f32_e32 v2, 0xcf800000, v3
	v_cvt_u32_f32_e32 v3, v3
	v_cvt_u32_f32_e32 v2, v2
	s_delay_alu instid0(VALU_DEP_2) | instskip(NEXT) | instid1(VALU_DEP_2)
	v_readfirstlane_b32 s4, v3
	v_readfirstlane_b32 s5, v2
	s_delay_alu instid0(VALU_DEP_2) | instskip(NEXT) | instid1(VALU_DEP_1)
	s_mul_i32 s21, s14, s4
	s_mul_hi_u32 s23, s14, s5
	s_mul_i32 s22, s15, s5
	s_add_i32 s21, s23, s21
	s_mul_i32 s56, s14, s5
	s_add_i32 s21, s21, s22
	s_mul_hi_u32 s23, s5, s56
	s_mul_hi_u32 s58, s4, s56
	s_mul_i32 s22, s4, s56
	s_mul_hi_u32 s56, s5, s21
	s_mul_i32 s5, s5, s21
	s_mul_hi_u32 s62, s4, s21
	s_add_u32 s5, s23, s5
	s_addc_u32 s23, 0, s56
	s_add_u32 s5, s5, s22
	s_mul_i32 s21, s4, s21
	s_addc_u32 s5, s23, s58
	s_addc_u32 s22, s62, 0
	s_add_u32 s5, s5, s21
	s_addc_u32 s21, 0, s22
	v_add_co_u32 v2, s5, v2, s5
	s_delay_alu instid0(VALU_DEP_1) | instskip(SKIP_1) | instid1(VALU_DEP_1)
	s_cmp_lg_u32 s5, 0
	s_addc_u32 s4, s4, s21
	v_readfirstlane_b32 s5, v2
	s_mul_i32 s21, s14, s4
	s_delay_alu instid0(VALU_DEP_1)
	s_mul_hi_u32 s22, s14, s5
	s_mul_i32 s15, s15, s5
	s_add_i32 s21, s22, s21
	s_mul_i32 s14, s14, s5
	s_add_i32 s21, s21, s15
	s_mul_hi_u32 s22, s4, s14
	s_mul_i32 s23, s4, s14
	s_mul_hi_u32 s14, s5, s14
	s_mul_hi_u32 s56, s5, s21
	s_mul_i32 s5, s5, s21
	s_mul_hi_u32 s15, s4, s21
	s_add_u32 s5, s14, s5
	s_addc_u32 s14, 0, s56
	s_add_u32 s5, s5, s23
	s_mul_i32 s21, s4, s21
	s_addc_u32 s5, s14, s22
	s_addc_u32 s14, s15, 0
	s_add_u32 s5, s5, s21
	s_addc_u32 s14, 0, s14
	v_add_co_u32 v2, s5, v2, s5
	s_delay_alu instid0(VALU_DEP_1) | instskip(SKIP_1) | instid1(VALU_DEP_1)
	s_cmp_lg_u32 s5, 0
	s_addc_u32 s4, s4, s14
	v_readfirstlane_b32 s5, v2
	s_mul_i32 s15, s73, s4
	s_mul_hi_u32 s14, s73, s4
	s_mul_hi_u32 s21, s59, s4
	s_mul_i32 s4, s59, s4
	s_mul_hi_u32 s22, s73, s5
	s_mul_hi_u32 s23, s59, s5
	s_mul_i32 s5, s59, s5
	s_add_u32 s15, s22, s15
	s_addc_u32 s14, 0, s14
	s_add_u32 s5, s15, s5
	s_addc_u32 s5, s14, s23
	s_addc_u32 s14, s21, 0
	s_add_u32 s4, s5, s4
	s_addc_u32 s5, 0, s14
	s_mul_hi_u32 s14, s33, s4
	s_mul_i32 s4, s33, s4
	s_mul_i32 s5, s33, s5
	v_sub_co_u32 v2, s4, s73, s4
	s_add_i32 s14, s14, s5
	s_cmp_lg_u32 s4, 0
	s_delay_alu instid0(VALU_DEP_1) | instskip(SKIP_2) | instid1(VALU_DEP_1)
	v_sub_co_u32 v3, s4, v2, s33
	s_subb_u32 s5, s59, s14
	s_cmp_lg_u32 s4, 0
	v_cmp_le_u32_e32 vcc_lo, s33, v3
	v_sub_co_u32 v4, s4, v3, s33
	s_subb_u32 s14, s5, 0
	s_cmp_lg_u32 s4, 0
	v_cndmask_b32_e64 v5, 0, -1, vcc_lo
	s_subb_u32 s4, s14, 0
	s_cmp_eq_u32 s14, 0
	v_mov_b32_e32 v7, s4
	s_cselect_b32 vcc_lo, -1, 0
	s_cmp_eq_u32 s5, 0
	v_cndmask_b32_e32 v5, -1, v5, vcc_lo
	v_cmp_le_u32_e32 vcc_lo, s33, v2
	s_cselect_b32 s4, -1, 0
	v_cndmask_b32_e64 v6, 0, -1, vcc_lo
	s_delay_alu instid0(VALU_DEP_3) | instskip(NEXT) | instid1(VALU_DEP_2)
	v_cmp_ne_u32_e32 vcc_lo, 0, v5
	v_cndmask_b32_e64 v5, -1, v6, s4
	v_cndmask_b32_e32 v6, s14, v7, vcc_lo
	v_cndmask_b32_e32 v4, v3, v4, vcc_lo
	s_delay_alu instid0(VALU_DEP_3) | instskip(NEXT) | instid1(VALU_DEP_3)
	v_cmp_ne_u32_e32 vcc_lo, 0, v5
	v_cndmask_b32_e32 v3, s5, v6, vcc_lo
	s_delay_alu instid0(VALU_DEP_3)
	v_cndmask_b32_e32 v2, v2, v4, vcc_lo
	s_cbranch_execnz .LBB85_107
.LBB85_106:                             ;   in Loop: Header=BB85_15 Depth=1
	v_cvt_f32_u32_e32 v2, s33
	s_sub_i32 s4, 0, s33
	s_delay_alu instid0(VALU_DEP_1) | instskip(SKIP_2) | instid1(VALU_DEP_1)
	v_rcp_iflag_f32_e32 v2, v2
	s_waitcnt_depctr 0xfff
	v_mul_f32_e32 v2, 0x4f7ffffe, v2
	v_cvt_u32_f32_e32 v2, v2
	s_delay_alu instid0(VALU_DEP_1) | instskip(NEXT) | instid1(VALU_DEP_1)
	v_mul_lo_u32 v3, s4, v2
	v_mul_hi_u32 v3, v2, v3
	s_delay_alu instid0(VALU_DEP_1) | instskip(NEXT) | instid1(VALU_DEP_1)
	v_add_nc_u32_e32 v2, v2, v3
	v_mul_hi_u32 v2, s73, v2
	s_delay_alu instid0(VALU_DEP_1) | instskip(NEXT) | instid1(VALU_DEP_1)
	v_mul_lo_u32 v2, v2, s33
	v_sub_nc_u32_e32 v2, s73, v2
	s_delay_alu instid0(VALU_DEP_1) | instskip(SKIP_1) | instid1(VALU_DEP_2)
	v_subrev_nc_u32_e32 v3, s33, v2
	v_cmp_le_u32_e32 vcc_lo, s33, v2
	v_cndmask_b32_e32 v2, v2, v3, vcc_lo
	s_delay_alu instid0(VALU_DEP_1) | instskip(SKIP_1) | instid1(VALU_DEP_2)
	v_subrev_nc_u32_e32 v3, s33, v2
	v_cmp_le_u32_e32 vcc_lo, s33, v2
	v_cndmask_b32_e32 v12, v2, v3, vcc_lo
	s_delay_alu instid0(VALU_DEP_1)
	v_dual_mov_b32 v2, v12 :: v_dual_mov_b32 v3, v13
.LBB85_107:                             ;   in Loop: Header=BB85_15 Depth=1
	s_delay_alu instid0(VALU_DEP_1) | instskip(NEXT) | instid1(VALU_DEP_2)
	v_sub_co_u32 v2, vcc_lo, s73, v2
	v_sub_co_ci_u32_e32 v3, vcc_lo, s59, v3, vcc_lo
	s_mov_b32 s4, 0
	s_mov_b32 s5, exec_lo
                                        ; implicit-def: $vgpr24
	s_delay_alu instid0(VALU_DEP_1)
	v_cmpx_gt_u64_e64 v[2:3], v[0:1]
	s_cbranch_execz .LBB85_116
; %bb.108:                              ;   in Loop: Header=BB85_15 Depth=1
	v_dual_mov_b32 v5, v1 :: v_dual_mov_b32 v4, v0
	s_mov_b32 s14, 0
                                        ; implicit-def: $sgpr15
	s_branch .LBB85_110
.LBB85_109:                             ;   in Loop: Header=BB85_110 Depth=2
	s_or_b32 exec_lo, exec_lo, s4
	s_waitcnt vmcnt(0) lgkmcnt(0)
	s_barrier
	buffer_gl0_inv
	ds_load_u16 v6, v13 offset:3072
	v_add_co_u32 v4, vcc_lo, v4, s33
	v_add_co_ci_u32_e32 v5, vcc_lo, 0, v5, vcc_lo
	s_waitcnt lgkmcnt(0)
	s_barrier
	buffer_gl0_inv
	v_cmp_ge_u64_e32 vcc_lo, v[4:5], v[2:3]
	v_and_b32_e32 v7, 0xff, v6
	s_delay_alu instid0(VALU_DEP_1) | instskip(NEXT) | instid1(VALU_DEP_1)
	v_cmp_ne_u16_e64 s4, 0, v7
	s_or_b32 s21, vcc_lo, s4
	s_delay_alu instid0(SALU_CYCLE_1) | instskip(NEXT) | instid1(SALU_CYCLE_1)
	s_and_b32 s21, exec_lo, s21
	s_or_b32 s14, s21, s14
	s_and_not1_b32 s15, s15, exec_lo
	s_and_b32 s4, s4, exec_lo
	s_delay_alu instid0(SALU_CYCLE_1)
	s_or_b32 s15, s15, s4
	s_and_not1_b32 exec_lo, exec_lo, s14
	s_cbranch_execz .LBB85_115
.LBB85_110:                             ;   Parent Loop BB85_15 Depth=1
                                        ; =>  This Inner Loop Header: Depth=2
	s_delay_alu instid0(VALU_DEP_1)
	v_cmp_gt_u64_e32 vcc_lo, s[24:25], v[4:5]
	v_mov_b32_e32 v6, 0
	s_and_saveexec_b32 s4, vcc_lo
	s_cbranch_execz .LBB85_112
; %bb.111:                              ;   in Loop: Header=BB85_110 Depth=2
	v_mad_u64_u32 v[6:7], null, v4, s42, s[50:51]
	v_mul_lo_u32 v8, v4, s43
	v_mul_lo_u32 v9, v5, s42
	s_delay_alu instid0(VALU_DEP_1)
	v_add3_u32 v7, v9, v7, v8
	global_load_u8 v6, v[6:7], off
.LBB85_112:                             ;   in Loop: Header=BB85_110 Depth=2
	s_or_b32 exec_lo, exec_lo, s4
	s_and_saveexec_b32 s4, vcc_lo
	s_cbranch_execz .LBB85_109
; %bb.113:                              ;   in Loop: Header=BB85_110 Depth=2
	s_waitcnt vmcnt(0)
	v_bfe_i32 v7, v6, 0, 8
	s_delay_alu instid0(VALU_DEP_1) | instskip(NEXT) | instid1(VALU_DEP_1)
	v_add_nc_u32_e32 v7, 0x80, v7
	v_and_b32_e32 v7, s89, v7
	s_delay_alu instid0(VALU_DEP_1)
	v_cmp_eq_u32_e32 vcc_lo, s88, v7
	s_and_b32 exec_lo, exec_lo, vcc_lo
	s_cbranch_execz .LBB85_109
; %bb.114:                              ;   in Loop: Header=BB85_110 Depth=2
	v_lshlrev_b16 v6, 8, v6
	s_delay_alu instid0(VALU_DEP_1)
	v_or_b32_e32 v6, 1, v6
	ds_store_b16 v13, v6 offset:3072
	s_branch .LBB85_109
.LBB85_115:                             ;   in Loop: Header=BB85_15 Depth=1
	s_or_b32 exec_lo, exec_lo, s14
	v_lshrrev_b16 v24, 8, v6
	s_and_b32 s4, s15, exec_lo
.LBB85_116:                             ;   in Loop: Header=BB85_15 Depth=1
	s_or_b32 exec_lo, exec_lo, s5
	s_mov_b32 s15, -1
	s_mov_b32 s5, 0
	s_mov_b32 s14, 0
.LBB85_117:                             ;   in Loop: Header=BB85_15 Depth=1
	s_and_not1_b32 s21, s84, exec_lo
	s_and_b32 s5, s5, exec_lo
	s_and_b32 s15, s15, exec_lo
	s_or_b32 s84, s21, s5
	s_and_not1_b32 s5, s87, exec_lo
	s_and_not1_b32 s21, s85, exec_lo
	s_and_b32 s14, s14, exec_lo
	s_or_b32 s87, s5, s15
	s_or_b32 s85, s21, s14
	s_and_saveexec_b32 s14, s4
	s_cbranch_execz .LBB85_14
; %bb.118:                              ;   in Loop: Header=BB85_15 Depth=1
	s_xor_b32 s4, s20, -1
	s_mov_b32 s56, 1
	s_and_not1_b32 vcc_lo, exec_lo, s4
	s_cbranch_vccnz .LBB85_129
; %bb.119:                              ;   in Loop: Header=BB85_15 Depth=1
	v_cmp_gt_u64_e64 s4, s[54:55], s[12:13]
                                        ; implicit-def: $sgpr56
                                        ; implicit-def: $sgpr5
                                        ; implicit-def: $sgpr15
	s_delay_alu instid0(VALU_DEP_1)
	s_and_b32 vcc_lo, exec_lo, s4
	s_mov_b32 s4, -1
	s_cbranch_vccnz .LBB85_125
; %bb.120:                              ;   in Loop: Header=BB85_15 Depth=1
	ds_load_b64 v[2:3], v13 offset:5120
	s_waitcnt lgkmcnt(0)
	v_cmp_ne_u64_e32 vcc_lo, 0, v[2:3]
	s_cbranch_vccnz .LBB85_124
; %bb.121:                              ;   in Loop: Header=BB85_15 Depth=1
	s_and_saveexec_b32 s4, s2
	s_cbranch_execz .LBB85_123
; %bb.122:                              ;   in Loop: Header=BB85_15 Depth=1
	v_dual_mov_b32 v2, s12 :: v_dual_mov_b32 v3, s13
	ds_store_b64 v13, v[2:3] offset:5128
.LBB85_123:                             ;   in Loop: Header=BB85_15 Depth=1
	s_or_b32 exec_lo, exec_lo, s4
	s_waitcnt lgkmcnt(0)
	s_barrier
	buffer_gl0_inv
.LBB85_124:                             ;   in Loop: Header=BB85_15 Depth=1
	s_and_b32 s5, s88, s18
	s_or_b32 s15, s89, s16
	s_mov_b32 s4, 0
	s_mov_b32 s56, 8
.LBB85_125:                             ;   in Loop: Header=BB85_15 Depth=1
	s_and_not1_b32 vcc_lo, exec_lo, s4
	s_cbranch_vccnz .LBB85_127
; %bb.126:                              ;   in Loop: Header=BB85_15 Depth=1
	s_sub_u32 s54, s54, s12
	s_subb_u32 s55, s55, s13
	s_mov_b32 s4, -1
	s_mov_b32 s56, 0
	s_mov_b32 s5, s88
	;; [unrolled: 1-line block ×3, first 2 shown]
.LBB85_127:                             ;   in Loop: Header=BB85_15 Depth=1
	s_delay_alu instid0(SALU_CYCLE_1)
	s_mov_b32 s89, s15
	s_mov_b32 s88, s5
	s_and_b32 vcc_lo, exec_lo, s4
	s_mov_b32 s15, -1
	s_cbranch_vccnz .LBB85_130
.LBB85_128:                             ;   in Loop: Header=BB85_15 Depth=1
	s_mov_b32 s5, -1
                                        ; implicit-def: $sgpr12
                                        ; implicit-def: $sgpr19
                                        ; implicit-def: $sgpr13
	s_delay_alu instid0(SALU_CYCLE_1) | instskip(NEXT) | instid1(SALU_CYCLE_1)
	s_and_saveexec_b32 s4, s5
	s_xor_b32 s4, exec_lo, s4
	s_cbranch_execz .LBB85_13
	s_branch .LBB85_276
.LBB85_129:                             ;   in Loop: Header=BB85_15 Depth=1
	s_mov_b64 s[54:55], 1
	s_mov_b32 s15, -1
	s_branch .LBB85_128
.LBB85_130:                             ;   in Loop: Header=BB85_15 Depth=1
	s_cmp_eq_u64 s[10:11], 1
	s_cselect_b32 s4, -1, 0
	s_cmp_eq_u64 s[54:55], 1
	s_cselect_b32 s5, -1, 0
	s_delay_alu instid0(SALU_CYCLE_1)
	s_and_b32 s21, s4, s5
	s_mov_b32 s4, -1
	s_and_b32 vcc_lo, exec_lo, s21
	s_cbranch_vccz .LBB85_145
; %bb.131:                              ;   in Loop: Header=BB85_15 Depth=1
	ds_load_b64 v[2:3], v13 offset:5120
	s_waitcnt lgkmcnt(0)
	s_barrier
	buffer_gl0_inv
	v_readfirstlane_b32 s12, v2
	v_readfirstlane_b32 s13, v3
	s_and_saveexec_b32 s4, s3
	s_cbranch_execz .LBB85_133
; %bb.132:                              ;   in Loop: Header=BB85_15 Depth=1
	ds_store_b8 v0, v13 offset:3072
.LBB85_133:                             ;   in Loop: Header=BB85_15 Depth=1
	s_or_b32 exec_lo, exec_lo, s4
	s_lshl_b32 s4, 1, s17
	s_and_b32 s5, s88, s18
	s_or_b32 s89, s89, s16
	s_or_b32 s88, s5, s4
	s_cmp_eq_u64 s[12:13], 0
	s_waitcnt lgkmcnt(0)
	s_barrier
	buffer_gl0_inv
	s_cbranch_scc1 .LBB85_148
; %bb.134:                              ;   in Loop: Header=BB85_15 Depth=1
	s_add_u32 s19, s47, s12
	s_addc_u32 s5, s72, s13
	s_mov_b32 s4, s57
	s_delay_alu instid0(SALU_CYCLE_1)
	s_cmp_lg_u64 s[4:5], 0
	s_cbranch_scc0 .LBB85_193
; %bb.135:                              ;   in Loop: Header=BB85_15 Depth=1
	v_cvt_f32_u32_e32 v2, s33
	s_sub_u32 s22, 0, s33
	s_subb_u32 s23, 0, 0
	s_delay_alu instid0(VALU_DEP_1) | instskip(NEXT) | instid1(VALU_DEP_1)
	v_fmac_f32_e64 v2, 0, 0x4f800000
	v_rcp_f32_e32 v2, v2
	s_waitcnt_depctr 0xfff
	v_mul_f32_e32 v2, 0x5f7ffffc, v2
	s_delay_alu instid0(VALU_DEP_1) | instskip(NEXT) | instid1(VALU_DEP_1)
	v_mul_f32_e32 v3, 0x2f800000, v2
	v_trunc_f32_e32 v3, v3
	s_delay_alu instid0(VALU_DEP_1) | instskip(SKIP_1) | instid1(VALU_DEP_2)
	v_fmac_f32_e32 v2, 0xcf800000, v3
	v_cvt_u32_f32_e32 v3, v3
	v_cvt_u32_f32_e32 v2, v2
	s_delay_alu instid0(VALU_DEP_2) | instskip(NEXT) | instid1(VALU_DEP_2)
	v_readfirstlane_b32 s4, v3
	v_readfirstlane_b32 s20, v2
	s_delay_alu instid0(VALU_DEP_2) | instskip(NEXT) | instid1(VALU_DEP_1)
	s_mul_i32 s56, s22, s4
	s_mul_hi_u32 s62, s22, s20
	s_mul_i32 s58, s23, s20
	s_add_i32 s56, s62, s56
	s_mul_i32 s63, s22, s20
	s_add_i32 s56, s56, s58
	s_mul_hi_u32 s62, s20, s63
	s_mul_hi_u32 s64, s4, s63
	s_mul_i32 s58, s4, s63
	s_mul_hi_u32 s63, s20, s56
	s_mul_i32 s20, s20, s56
	s_mul_hi_u32 s65, s4, s56
	s_add_u32 s20, s62, s20
	s_addc_u32 s62, 0, s63
	s_add_u32 s20, s20, s58
	s_mul_i32 s56, s4, s56
	s_addc_u32 s20, s62, s64
	s_addc_u32 s58, s65, 0
	s_add_u32 s20, s20, s56
	s_addc_u32 s56, 0, s58
	v_add_co_u32 v2, s20, v2, s20
	s_delay_alu instid0(VALU_DEP_1) | instskip(SKIP_1) | instid1(VALU_DEP_1)
	s_cmp_lg_u32 s20, 0
	s_addc_u32 s4, s4, s56
	v_readfirstlane_b32 s20, v2
	s_mul_i32 s56, s22, s4
	s_delay_alu instid0(VALU_DEP_1)
	s_mul_hi_u32 s58, s22, s20
	s_mul_i32 s23, s23, s20
	s_add_i32 s56, s58, s56
	s_mul_i32 s22, s22, s20
	s_add_i32 s56, s56, s23
	s_mul_hi_u32 s58, s4, s22
	s_mul_i32 s62, s4, s22
	s_mul_hi_u32 s22, s20, s22
	s_mul_hi_u32 s63, s20, s56
	s_mul_i32 s20, s20, s56
	s_mul_hi_u32 s23, s4, s56
	s_add_u32 s20, s22, s20
	s_addc_u32 s22, 0, s63
	s_add_u32 s20, s20, s62
	s_mul_i32 s56, s4, s56
	s_addc_u32 s20, s22, s58
	s_addc_u32 s22, s23, 0
	s_add_u32 s20, s20, s56
	s_addc_u32 s22, 0, s22
	v_add_co_u32 v2, s20, v2, s20
	s_delay_alu instid0(VALU_DEP_1) | instskip(SKIP_1) | instid1(VALU_DEP_1)
	s_cmp_lg_u32 s20, 0
	s_addc_u32 s4, s4, s22
	v_readfirstlane_b32 s20, v2
	s_mul_i32 s23, s19, s4
	s_mul_hi_u32 s22, s19, s4
	s_mul_hi_u32 s56, s5, s4
	s_mul_i32 s4, s5, s4
	s_mul_hi_u32 s58, s19, s20
	s_mul_hi_u32 s62, s5, s20
	s_mul_i32 s20, s5, s20
	s_add_u32 s23, s58, s23
	s_addc_u32 s22, 0, s22
	s_add_u32 s20, s23, s20
	s_addc_u32 s20, s22, s62
	s_addc_u32 s22, s56, 0
	s_add_u32 s4, s20, s4
	s_addc_u32 s20, 0, s22
	s_mul_hi_u32 s22, s33, s4
	s_mul_i32 s4, s33, s4
	s_mul_i32 s20, s33, s20
	v_sub_co_u32 v2, s4, s19, s4
	s_add_i32 s22, s22, s20
	s_cmp_lg_u32 s4, 0
	s_delay_alu instid0(VALU_DEP_1) | instskip(SKIP_2) | instid1(VALU_DEP_1)
	v_sub_co_u32 v3, s4, v2, s33
	s_subb_u32 s20, s5, s22
	s_cmp_lg_u32 s4, 0
	v_cmp_le_u32_e32 vcc_lo, s33, v3
	v_sub_co_u32 v4, s4, v3, s33
	s_subb_u32 s22, s20, 0
	s_cmp_lg_u32 s4, 0
	v_cndmask_b32_e64 v5, 0, -1, vcc_lo
	s_subb_u32 s4, s22, 0
	s_cmp_eq_u32 s22, 0
	v_mov_b32_e32 v7, s4
	s_cselect_b32 vcc_lo, -1, 0
	s_cmp_eq_u32 s20, 0
	v_cndmask_b32_e32 v5, -1, v5, vcc_lo
	v_cmp_le_u32_e32 vcc_lo, s33, v2
	s_cselect_b32 s4, -1, 0
	v_cndmask_b32_e64 v6, 0, -1, vcc_lo
	s_delay_alu instid0(VALU_DEP_3) | instskip(NEXT) | instid1(VALU_DEP_2)
	v_cmp_ne_u32_e32 vcc_lo, 0, v5
	v_cndmask_b32_e64 v5, -1, v6, s4
	v_cndmask_b32_e32 v6, s22, v7, vcc_lo
	v_cndmask_b32_e32 v4, v3, v4, vcc_lo
	s_delay_alu instid0(VALU_DEP_3) | instskip(NEXT) | instid1(VALU_DEP_3)
	v_cmp_ne_u32_e32 vcc_lo, 0, v5
	v_cndmask_b32_e32 v3, s20, v6, vcc_lo
	s_delay_alu instid0(VALU_DEP_3)
	v_cndmask_b32_e32 v2, v2, v4, vcc_lo
	s_cbranch_execnz .LBB85_137
.LBB85_136:                             ;   in Loop: Header=BB85_15 Depth=1
	v_cvt_f32_u32_e32 v2, s33
	s_sub_i32 s4, 0, s33
	s_delay_alu instid0(VALU_DEP_1) | instskip(SKIP_2) | instid1(VALU_DEP_1)
	v_rcp_iflag_f32_e32 v2, v2
	s_waitcnt_depctr 0xfff
	v_mul_f32_e32 v2, 0x4f7ffffe, v2
	v_cvt_u32_f32_e32 v2, v2
	s_delay_alu instid0(VALU_DEP_1) | instskip(NEXT) | instid1(VALU_DEP_1)
	v_mul_lo_u32 v3, s4, v2
	v_mul_hi_u32 v3, v2, v3
	s_delay_alu instid0(VALU_DEP_1) | instskip(NEXT) | instid1(VALU_DEP_1)
	v_add_nc_u32_e32 v2, v2, v3
	v_mul_hi_u32 v2, s19, v2
	s_delay_alu instid0(VALU_DEP_1) | instskip(NEXT) | instid1(VALU_DEP_1)
	v_mul_lo_u32 v2, v2, s33
	v_sub_nc_u32_e32 v2, s19, v2
	s_delay_alu instid0(VALU_DEP_1) | instskip(SKIP_1) | instid1(VALU_DEP_2)
	v_subrev_nc_u32_e32 v3, s33, v2
	v_cmp_le_u32_e32 vcc_lo, s33, v2
	v_cndmask_b32_e32 v2, v2, v3, vcc_lo
	s_delay_alu instid0(VALU_DEP_1) | instskip(SKIP_1) | instid1(VALU_DEP_2)
	v_subrev_nc_u32_e32 v3, s33, v2
	v_cmp_le_u32_e32 vcc_lo, s33, v2
	v_cndmask_b32_e32 v12, v2, v3, vcc_lo
	s_delay_alu instid0(VALU_DEP_1)
	v_dual_mov_b32 v2, v12 :: v_dual_mov_b32 v3, v13
.LBB85_137:                             ;   in Loop: Header=BB85_15 Depth=1
	s_delay_alu instid0(VALU_DEP_1) | instskip(NEXT) | instid1(VALU_DEP_2)
	v_sub_co_u32 v2, vcc_lo, s19, v2
	v_sub_co_ci_u32_e32 v3, vcc_lo, s5, v3, vcc_lo
	s_mov_b32 s4, 0
	s_mov_b32 s5, exec_lo
                                        ; implicit-def: $vgpr24
	s_delay_alu instid0(VALU_DEP_1)
	v_cmpx_gt_u64_e64 v[2:3], v[0:1]
	s_cbranch_execz .LBB85_150
; %bb.138:                              ;   in Loop: Header=BB85_15 Depth=1
	v_dual_mov_b32 v6, v0 :: v_dual_mov_b32 v5, v1
	v_mov_b32_e32 v4, v0
	s_mov_b32 s19, 0
                                        ; implicit-def: $sgpr20
	s_set_inst_prefetch_distance 0x1
	s_branch .LBB85_140
	.p2align	6
.LBB85_139:                             ;   in Loop: Header=BB85_140 Depth=2
	s_or_b32 exec_lo, exec_lo, s4
	s_waitcnt lgkmcnt(0)
	s_barrier
	buffer_gl0_inv
	ds_load_u16 v7, v13 offset:3072
	v_add_co_u32 v4, vcc_lo, v4, s33
	v_add_co_ci_u32_e32 v5, vcc_lo, 0, v5, vcc_lo
	v_add_nc_u32_e32 v6, s33, v6
	s_waitcnt lgkmcnt(0)
	s_barrier
	s_delay_alu instid0(VALU_DEP_2) | instskip(SKIP_2) | instid1(VALU_DEP_1)
	v_cmp_ge_u64_e32 vcc_lo, v[4:5], v[2:3]
	buffer_gl0_inv
	v_and_b32_e32 v8, 0xff, v7
	v_cmp_ne_u16_e64 s4, 0, v8
	s_delay_alu instid0(VALU_DEP_1) | instskip(NEXT) | instid1(SALU_CYCLE_1)
	s_or_b32 s22, vcc_lo, s4
	s_and_b32 s22, exec_lo, s22
	s_delay_alu instid0(SALU_CYCLE_1) | instskip(SKIP_2) | instid1(SALU_CYCLE_1)
	s_or_b32 s19, s22, s19
	s_and_not1_b32 s20, s20, exec_lo
	s_and_b32 s4, s4, exec_lo
	s_or_b32 s20, s20, s4
	s_and_not1_b32 exec_lo, exec_lo, s19
	s_cbranch_execz .LBB85_149
.LBB85_140:                             ;   Parent Loop BB85_15 Depth=1
                                        ; =>  This Inner Loop Header: Depth=2
	s_delay_alu instid0(VALU_DEP_1)
	v_cmp_gt_u64_e32 vcc_lo, s[12:13], v[4:5]
	v_mov_b32_e32 v7, 0
	s_and_saveexec_b32 s4, vcc_lo
	s_cbranch_execz .LBB85_142
; %bb.141:                              ;   in Loop: Header=BB85_140 Depth=2
	ds_load_u8 v7, v6
.LBB85_142:                             ;   in Loop: Header=BB85_140 Depth=2
	s_or_b32 exec_lo, exec_lo, s4
	s_and_saveexec_b32 s4, vcc_lo
	s_cbranch_execz .LBB85_139
; %bb.143:                              ;   in Loop: Header=BB85_140 Depth=2
	s_waitcnt lgkmcnt(0)
	v_bfe_i32 v8, v7, 0, 8
	s_delay_alu instid0(VALU_DEP_1) | instskip(NEXT) | instid1(VALU_DEP_1)
	v_add_nc_u32_e32 v8, 0x80, v8
	v_and_b32_e32 v8, s89, v8
	s_delay_alu instid0(VALU_DEP_1)
	v_cmp_eq_u32_e32 vcc_lo, s88, v8
	s_and_b32 exec_lo, exec_lo, vcc_lo
	s_cbranch_execz .LBB85_139
; %bb.144:                              ;   in Loop: Header=BB85_140 Depth=2
	v_lshlrev_b16 v7, 8, v7
	s_delay_alu instid0(VALU_DEP_1)
	v_or_b32_e32 v7, 1, v7
	ds_store_b16 v13, v7 offset:3072
	s_branch .LBB85_139
.LBB85_145:                             ;   in Loop: Header=BB85_15 Depth=1
                                        ; implicit-def: $sgpr13
                                        ; implicit-def: $sgpr19
                                        ; implicit-def: $sgpr12
	s_branch .LBB85_164
.LBB85_146:                             ;   in Loop: Header=BB85_15 Depth=1
                                        ; implicit-def: $vgpr2_vgpr3
	s_branch .LBB85_91
.LBB85_147:                             ;   in Loop: Header=BB85_15 Depth=1
                                        ; implicit-def: $vgpr2_vgpr3
	s_branch .LBB85_106
.LBB85_148:                             ;   in Loop: Header=BB85_15 Depth=1
	s_mov_b32 s13, -1
	s_mov_b32 s4, 0
                                        ; implicit-def: $sgpr12
                                        ; implicit-def: $vgpr24
	s_mov_b32 s19, s13
	s_cbranch_execnz .LBB85_151
	s_branch .LBB85_164
.LBB85_149:                             ;   in Loop: Header=BB85_15 Depth=1
	s_set_inst_prefetch_distance 0x2
	s_or_b32 exec_lo, exec_lo, s19
	v_lshrrev_b16 v24, 8, v7
	s_and_b32 s4, s20, exec_lo
.LBB85_150:                             ;   in Loop: Header=BB85_15 Depth=1
	s_or_b32 exec_lo, exec_lo, s5
	s_mov_b32 s12, -1
	s_mov_b32 s13, 0
	s_delay_alu instid0(SALU_CYCLE_1)
	s_mov_b32 s19, s13
	s_branch .LBB85_164
.LBB85_151:                             ;   in Loop: Header=BB85_15 Depth=1
	s_mov_b32 s58, s57
	s_delay_alu instid0(SALU_CYCLE_1)
	s_cmp_lg_u64 s[58:59], 0
	s_cbranch_scc0 .LBB85_194
; %bb.152:                              ;   in Loop: Header=BB85_15 Depth=1
	v_cvt_f32_u32_e32 v2, s33
	s_sub_u32 s12, 0, s33
	s_subb_u32 s13, 0, 0
	s_delay_alu instid0(VALU_DEP_1) | instskip(NEXT) | instid1(VALU_DEP_1)
	v_fmac_f32_e64 v2, 0, 0x4f800000
	v_rcp_f32_e32 v2, v2
	s_waitcnt_depctr 0xfff
	v_mul_f32_e32 v2, 0x5f7ffffc, v2
	s_delay_alu instid0(VALU_DEP_1) | instskip(NEXT) | instid1(VALU_DEP_1)
	v_mul_f32_e32 v3, 0x2f800000, v2
	v_trunc_f32_e32 v3, v3
	s_delay_alu instid0(VALU_DEP_1) | instskip(SKIP_1) | instid1(VALU_DEP_2)
	v_fmac_f32_e32 v2, 0xcf800000, v3
	v_cvt_u32_f32_e32 v3, v3
	v_cvt_u32_f32_e32 v2, v2
	s_delay_alu instid0(VALU_DEP_2) | instskip(NEXT) | instid1(VALU_DEP_2)
	v_readfirstlane_b32 s4, v3
	v_readfirstlane_b32 s5, v2
	s_delay_alu instid0(VALU_DEP_2) | instskip(NEXT) | instid1(VALU_DEP_1)
	s_mul_i32 s19, s12, s4
	s_mul_hi_u32 s22, s12, s5
	s_mul_i32 s20, s13, s5
	s_add_i32 s19, s22, s19
	s_mul_i32 s23, s12, s5
	s_add_i32 s19, s19, s20
	s_mul_hi_u32 s22, s5, s23
	s_mul_hi_u32 s56, s4, s23
	s_mul_i32 s20, s4, s23
	s_mul_hi_u32 s23, s5, s19
	s_mul_i32 s5, s5, s19
	s_mul_hi_u32 s58, s4, s19
	s_add_u32 s5, s22, s5
	s_addc_u32 s22, 0, s23
	s_add_u32 s5, s5, s20
	s_mul_i32 s19, s4, s19
	s_addc_u32 s5, s22, s56
	s_addc_u32 s20, s58, 0
	s_add_u32 s5, s5, s19
	s_addc_u32 s19, 0, s20
	v_add_co_u32 v2, s5, v2, s5
	s_delay_alu instid0(VALU_DEP_1) | instskip(SKIP_1) | instid1(VALU_DEP_1)
	s_cmp_lg_u32 s5, 0
	s_addc_u32 s4, s4, s19
	v_readfirstlane_b32 s5, v2
	s_mul_i32 s19, s12, s4
	s_delay_alu instid0(VALU_DEP_1)
	s_mul_hi_u32 s20, s12, s5
	s_mul_i32 s13, s13, s5
	s_add_i32 s19, s20, s19
	s_mul_i32 s12, s12, s5
	s_add_i32 s19, s19, s13
	s_mul_hi_u32 s20, s4, s12
	s_mul_i32 s22, s4, s12
	s_mul_hi_u32 s12, s5, s12
	s_mul_hi_u32 s23, s5, s19
	s_mul_i32 s5, s5, s19
	s_mul_hi_u32 s13, s4, s19
	s_add_u32 s5, s12, s5
	s_addc_u32 s12, 0, s23
	s_add_u32 s5, s5, s22
	s_mul_i32 s19, s4, s19
	s_addc_u32 s5, s12, s20
	s_addc_u32 s12, s13, 0
	s_add_u32 s5, s5, s19
	s_addc_u32 s12, 0, s12
	v_add_co_u32 v2, s5, v2, s5
	s_delay_alu instid0(VALU_DEP_1) | instskip(SKIP_1) | instid1(VALU_DEP_1)
	s_cmp_lg_u32 s5, 0
	s_addc_u32 s4, s4, s12
	v_readfirstlane_b32 s5, v2
	s_mul_i32 s13, s73, s4
	s_mul_hi_u32 s12, s73, s4
	s_mul_hi_u32 s19, s59, s4
	s_mul_i32 s4, s59, s4
	s_mul_hi_u32 s20, s73, s5
	s_mul_hi_u32 s22, s59, s5
	s_mul_i32 s5, s59, s5
	s_add_u32 s13, s20, s13
	s_addc_u32 s12, 0, s12
	s_add_u32 s5, s13, s5
	s_addc_u32 s5, s12, s22
	s_addc_u32 s12, s19, 0
	s_add_u32 s4, s5, s4
	s_addc_u32 s5, 0, s12
	s_mul_hi_u32 s12, s33, s4
	s_mul_i32 s4, s33, s4
	s_mul_i32 s5, s33, s5
	v_sub_co_u32 v2, s4, s73, s4
	s_add_i32 s12, s12, s5
	s_cmp_lg_u32 s4, 0
	s_delay_alu instid0(VALU_DEP_1) | instskip(SKIP_2) | instid1(VALU_DEP_1)
	v_sub_co_u32 v3, s4, v2, s33
	s_subb_u32 s5, s59, s12
	s_cmp_lg_u32 s4, 0
	v_cmp_le_u32_e32 vcc_lo, s33, v3
	v_sub_co_u32 v4, s4, v3, s33
	s_subb_u32 s12, s5, 0
	s_cmp_lg_u32 s4, 0
	v_cndmask_b32_e64 v5, 0, -1, vcc_lo
	s_subb_u32 s4, s12, 0
	s_cmp_eq_u32 s12, 0
	v_mov_b32_e32 v7, s4
	s_cselect_b32 vcc_lo, -1, 0
	s_cmp_eq_u32 s5, 0
	v_cndmask_b32_e32 v5, -1, v5, vcc_lo
	v_cmp_le_u32_e32 vcc_lo, s33, v2
	s_cselect_b32 s4, -1, 0
	v_cndmask_b32_e64 v6, 0, -1, vcc_lo
	s_delay_alu instid0(VALU_DEP_3) | instskip(NEXT) | instid1(VALU_DEP_2)
	v_cmp_ne_u32_e32 vcc_lo, 0, v5
	v_cndmask_b32_e64 v5, -1, v6, s4
	v_cndmask_b32_e32 v6, s12, v7, vcc_lo
	v_cndmask_b32_e32 v4, v3, v4, vcc_lo
	s_delay_alu instid0(VALU_DEP_3) | instskip(NEXT) | instid1(VALU_DEP_3)
	v_cmp_ne_u32_e32 vcc_lo, 0, v5
	v_cndmask_b32_e32 v3, s5, v6, vcc_lo
	s_delay_alu instid0(VALU_DEP_3)
	v_cndmask_b32_e32 v2, v2, v4, vcc_lo
	s_cbranch_execnz .LBB85_154
.LBB85_153:                             ;   in Loop: Header=BB85_15 Depth=1
	v_cvt_f32_u32_e32 v2, s33
	s_sub_i32 s4, 0, s33
	s_delay_alu instid0(VALU_DEP_1) | instskip(SKIP_2) | instid1(VALU_DEP_1)
	v_rcp_iflag_f32_e32 v2, v2
	s_waitcnt_depctr 0xfff
	v_mul_f32_e32 v2, 0x4f7ffffe, v2
	v_cvt_u32_f32_e32 v2, v2
	s_delay_alu instid0(VALU_DEP_1) | instskip(NEXT) | instid1(VALU_DEP_1)
	v_mul_lo_u32 v3, s4, v2
	v_mul_hi_u32 v3, v2, v3
	s_delay_alu instid0(VALU_DEP_1) | instskip(NEXT) | instid1(VALU_DEP_1)
	v_add_nc_u32_e32 v2, v2, v3
	v_mul_hi_u32 v2, s73, v2
	s_delay_alu instid0(VALU_DEP_1) | instskip(NEXT) | instid1(VALU_DEP_1)
	v_mul_lo_u32 v2, v2, s33
	v_sub_nc_u32_e32 v2, s73, v2
	s_delay_alu instid0(VALU_DEP_1) | instskip(SKIP_1) | instid1(VALU_DEP_2)
	v_subrev_nc_u32_e32 v3, s33, v2
	v_cmp_le_u32_e32 vcc_lo, s33, v2
	v_cndmask_b32_e32 v2, v2, v3, vcc_lo
	s_delay_alu instid0(VALU_DEP_1) | instskip(SKIP_1) | instid1(VALU_DEP_2)
	v_subrev_nc_u32_e32 v3, s33, v2
	v_cmp_le_u32_e32 vcc_lo, s33, v2
	v_cndmask_b32_e32 v12, v2, v3, vcc_lo
	s_delay_alu instid0(VALU_DEP_1)
	v_dual_mov_b32 v2, v12 :: v_dual_mov_b32 v3, v13
.LBB85_154:                             ;   in Loop: Header=BB85_15 Depth=1
	s_delay_alu instid0(VALU_DEP_1) | instskip(NEXT) | instid1(VALU_DEP_2)
	v_sub_co_u32 v2, vcc_lo, s73, v2
	v_sub_co_ci_u32_e32 v3, vcc_lo, s59, v3, vcc_lo
	s_mov_b32 s4, 0
	s_mov_b32 s5, exec_lo
                                        ; implicit-def: $vgpr24
	s_delay_alu instid0(VALU_DEP_1)
	v_cmpx_gt_u64_e64 v[2:3], v[0:1]
	s_cbranch_execz .LBB85_163
; %bb.155:                              ;   in Loop: Header=BB85_15 Depth=1
	v_dual_mov_b32 v5, v1 :: v_dual_mov_b32 v4, v0
	s_mov_b32 s12, 0
                                        ; implicit-def: $sgpr13
	s_branch .LBB85_157
.LBB85_156:                             ;   in Loop: Header=BB85_157 Depth=2
	s_or_b32 exec_lo, exec_lo, s4
	s_waitcnt vmcnt(0) lgkmcnt(0)
	s_barrier
	buffer_gl0_inv
	ds_load_u16 v6, v13 offset:3072
	v_add_co_u32 v4, vcc_lo, v4, s33
	v_add_co_ci_u32_e32 v5, vcc_lo, 0, v5, vcc_lo
	s_waitcnt lgkmcnt(0)
	s_barrier
	buffer_gl0_inv
	v_cmp_ge_u64_e32 vcc_lo, v[4:5], v[2:3]
	v_and_b32_e32 v7, 0xff, v6
	s_delay_alu instid0(VALU_DEP_1) | instskip(NEXT) | instid1(VALU_DEP_1)
	v_cmp_ne_u16_e64 s4, 0, v7
	s_or_b32 s19, vcc_lo, s4
	s_delay_alu instid0(SALU_CYCLE_1) | instskip(NEXT) | instid1(SALU_CYCLE_1)
	s_and_b32 s19, exec_lo, s19
	s_or_b32 s12, s19, s12
	s_and_not1_b32 s13, s13, exec_lo
	s_and_b32 s4, s4, exec_lo
	s_delay_alu instid0(SALU_CYCLE_1)
	s_or_b32 s13, s13, s4
	s_and_not1_b32 exec_lo, exec_lo, s12
	s_cbranch_execz .LBB85_162
.LBB85_157:                             ;   Parent Loop BB85_15 Depth=1
                                        ; =>  This Inner Loop Header: Depth=2
	s_delay_alu instid0(VALU_DEP_1)
	v_cmp_gt_u64_e32 vcc_lo, s[24:25], v[4:5]
	v_mov_b32_e32 v6, 0
	s_and_saveexec_b32 s4, vcc_lo
	s_cbranch_execz .LBB85_159
; %bb.158:                              ;   in Loop: Header=BB85_157 Depth=2
	v_mad_u64_u32 v[6:7], null, v4, s42, s[50:51]
	v_mul_lo_u32 v8, v4, s43
	v_mul_lo_u32 v9, v5, s42
	s_delay_alu instid0(VALU_DEP_1)
	v_add3_u32 v7, v9, v7, v8
	global_load_u8 v6, v[6:7], off
.LBB85_159:                             ;   in Loop: Header=BB85_157 Depth=2
	s_or_b32 exec_lo, exec_lo, s4
	s_and_saveexec_b32 s4, vcc_lo
	s_cbranch_execz .LBB85_156
; %bb.160:                              ;   in Loop: Header=BB85_157 Depth=2
	s_waitcnt vmcnt(0)
	v_bfe_i32 v7, v6, 0, 8
	s_delay_alu instid0(VALU_DEP_1) | instskip(NEXT) | instid1(VALU_DEP_1)
	v_add_nc_u32_e32 v7, 0x80, v7
	v_and_b32_e32 v7, s89, v7
	s_delay_alu instid0(VALU_DEP_1)
	v_cmp_eq_u32_e32 vcc_lo, s88, v7
	s_and_b32 exec_lo, exec_lo, vcc_lo
	s_cbranch_execz .LBB85_156
; %bb.161:                              ;   in Loop: Header=BB85_157 Depth=2
	v_lshlrev_b16 v6, 8, v6
	s_delay_alu instid0(VALU_DEP_1)
	v_or_b32_e32 v6, 1, v6
	ds_store_b16 v13, v6 offset:3072
	s_branch .LBB85_156
.LBB85_162:                             ;   in Loop: Header=BB85_15 Depth=1
	s_or_b32 exec_lo, exec_lo, s12
	v_lshrrev_b16 v24, 8, v6
	s_and_b32 s4, s13, exec_lo
.LBB85_163:                             ;   in Loop: Header=BB85_15 Depth=1
	s_or_b32 exec_lo, exec_lo, s5
	s_mov_b32 s19, -1
	s_mov_b32 s13, 0
	s_mov_b32 s12, 0
.LBB85_164:                             ;   in Loop: Header=BB85_15 Depth=1
	s_mov_b32 s5, 0
                                        ; implicit-def: $sgpr56
	s_and_saveexec_b32 s20, s4
	s_cbranch_execz .LBB85_275
; %bb.165:                              ;   in Loop: Header=BB85_15 Depth=1
	s_xor_b32 s4, s21, -1
	s_mov_b32 s56, 1
	s_and_not1_b32 vcc_lo, exec_lo, s4
	s_cbranch_vccnz .LBB85_176
; %bb.166:                              ;   in Loop: Header=BB85_15 Depth=1
	v_cmp_gt_u64_e64 s4, s[54:55], s[10:11]
                                        ; implicit-def: $sgpr56
                                        ; implicit-def: $sgpr5
                                        ; implicit-def: $sgpr21
	s_delay_alu instid0(VALU_DEP_1)
	s_and_b32 vcc_lo, exec_lo, s4
	s_mov_b32 s4, -1
	s_cbranch_vccnz .LBB85_172
; %bb.167:                              ;   in Loop: Header=BB85_15 Depth=1
	ds_load_b64 v[2:3], v13 offset:5120
	s_waitcnt lgkmcnt(0)
	v_cmp_ne_u64_e32 vcc_lo, 0, v[2:3]
	s_cbranch_vccnz .LBB85_171
; %bb.168:                              ;   in Loop: Header=BB85_15 Depth=1
	s_and_saveexec_b32 s4, s2
	s_cbranch_execz .LBB85_170
; %bb.169:                              ;   in Loop: Header=BB85_15 Depth=1
	v_dual_mov_b32 v2, s10 :: v_dual_mov_b32 v3, s11
	ds_store_b64 v13, v[2:3] offset:5128
.LBB85_170:                             ;   in Loop: Header=BB85_15 Depth=1
	s_or_b32 exec_lo, exec_lo, s4
	s_waitcnt lgkmcnt(0)
	s_barrier
	buffer_gl0_inv
.LBB85_171:                             ;   in Loop: Header=BB85_15 Depth=1
	s_lshl_b32 s4, 1, s17
	s_and_b32 s5, s88, s18
	s_or_b32 s21, s89, s16
	s_or_b32 s5, s5, s4
	s_mov_b32 s4, 0
	s_mov_b32 s56, 8
.LBB85_172:                             ;   in Loop: Header=BB85_15 Depth=1
	s_and_not1_b32 vcc_lo, exec_lo, s4
	s_cbranch_vccnz .LBB85_174
; %bb.173:                              ;   in Loop: Header=BB85_15 Depth=1
	s_sub_u32 s54, s54, s10
	s_subb_u32 s55, s55, s11
	s_mov_b32 s4, -1
	s_mov_b32 s56, 0
	s_mov_b32 s5, s88
	;; [unrolled: 1-line block ×3, first 2 shown]
.LBB85_174:                             ;   in Loop: Header=BB85_15 Depth=1
	s_delay_alu instid0(SALU_CYCLE_1)
	s_mov_b32 s89, s21
	s_mov_b32 s88, s5
	s_and_not1_b32 vcc_lo, exec_lo, s4
	s_mov_b32 s5, -1
	s_cbranch_vccz .LBB85_177
.LBB85_175:                             ;   in Loop: Header=BB85_15 Depth=1
                                        ; implicit-def: $sgpr11
                                        ; implicit-def: $sgpr21
                                        ; implicit-def: $sgpr10
	s_branch .LBB85_274
.LBB85_176:                             ;   in Loop: Header=BB85_15 Depth=1
	s_mov_b64 s[54:55], 1
	s_mov_b32 s5, -1
	s_cbranch_execnz .LBB85_175
.LBB85_177:                             ;   in Loop: Header=BB85_15 Depth=1
	s_cmp_eq_u64 s[8:9], 1
	s_cselect_b32 s4, -1, 0
	s_cmp_eq_u64 s[54:55], 1
	s_cselect_b32 s5, -1, 0
	s_delay_alu instid0(SALU_CYCLE_1)
	s_and_b32 s23, s4, s5
	s_mov_b32 s4, -1
	s_and_b32 vcc_lo, exec_lo, s23
	s_cbranch_vccz .LBB85_192
; %bb.178:                              ;   in Loop: Header=BB85_15 Depth=1
	ds_load_b64 v[2:3], v13 offset:5120
	s_waitcnt lgkmcnt(0)
	s_barrier
	buffer_gl0_inv
	v_readfirstlane_b32 s10, v2
	v_readfirstlane_b32 s11, v3
	s_and_saveexec_b32 s4, s3
	s_cbranch_execz .LBB85_180
; %bb.179:                              ;   in Loop: Header=BB85_15 Depth=1
	ds_store_b8 v0, v13 offset:3072
.LBB85_180:                             ;   in Loop: Header=BB85_15 Depth=1
	s_or_b32 exec_lo, exec_lo, s4
	s_lshl_b32 s4, 2, s17
	s_and_b32 s5, s88, s18
	s_or_b32 s89, s89, s16
	s_or_b32 s88, s5, s4
	s_cmp_eq_u64 s[10:11], 0
	s_waitcnt lgkmcnt(0)
	s_barrier
	buffer_gl0_inv
	s_cbranch_scc1 .LBB85_195
; %bb.181:                              ;   in Loop: Header=BB85_15 Depth=1
	s_add_u32 s21, s47, s10
	s_addc_u32 s5, s72, s11
	s_mov_b32 s4, s57
	s_delay_alu instid0(SALU_CYCLE_1)
	s_cmp_lg_u64 s[4:5], 0
	s_cbranch_scc0 .LBB85_240
; %bb.182:                              ;   in Loop: Header=BB85_15 Depth=1
	v_cvt_f32_u32_e32 v2, s33
	s_sub_u32 s56, 0, s33
	s_subb_u32 s58, 0, 0
	s_delay_alu instid0(VALU_DEP_1) | instskip(NEXT) | instid1(VALU_DEP_1)
	v_fmac_f32_e64 v2, 0, 0x4f800000
	v_rcp_f32_e32 v2, v2
	s_waitcnt_depctr 0xfff
	v_mul_f32_e32 v2, 0x5f7ffffc, v2
	s_delay_alu instid0(VALU_DEP_1) | instskip(NEXT) | instid1(VALU_DEP_1)
	v_mul_f32_e32 v3, 0x2f800000, v2
	v_trunc_f32_e32 v3, v3
	s_delay_alu instid0(VALU_DEP_1) | instskip(SKIP_1) | instid1(VALU_DEP_2)
	v_fmac_f32_e32 v2, 0xcf800000, v3
	v_cvt_u32_f32_e32 v3, v3
	v_cvt_u32_f32_e32 v2, v2
	s_delay_alu instid0(VALU_DEP_2) | instskip(NEXT) | instid1(VALU_DEP_2)
	v_readfirstlane_b32 s4, v3
	v_readfirstlane_b32 s22, v2
	s_delay_alu instid0(VALU_DEP_2) | instskip(NEXT) | instid1(VALU_DEP_1)
	s_mul_i32 s62, s56, s4
	s_mul_hi_u32 s64, s56, s22
	s_mul_i32 s63, s58, s22
	s_add_i32 s62, s64, s62
	s_mul_i32 s65, s56, s22
	s_add_i32 s62, s62, s63
	s_mul_hi_u32 s64, s22, s65
	s_mul_hi_u32 s66, s4, s65
	s_mul_i32 s63, s4, s65
	s_mul_hi_u32 s65, s22, s62
	s_mul_i32 s22, s22, s62
	s_mul_hi_u32 s67, s4, s62
	s_add_u32 s22, s64, s22
	s_addc_u32 s64, 0, s65
	s_add_u32 s22, s22, s63
	s_mul_i32 s62, s4, s62
	s_addc_u32 s22, s64, s66
	s_addc_u32 s63, s67, 0
	s_add_u32 s22, s22, s62
	s_addc_u32 s62, 0, s63
	v_add_co_u32 v2, s22, v2, s22
	s_delay_alu instid0(VALU_DEP_1) | instskip(SKIP_1) | instid1(VALU_DEP_1)
	s_cmp_lg_u32 s22, 0
	s_addc_u32 s4, s4, s62
	v_readfirstlane_b32 s22, v2
	s_mul_i32 s62, s56, s4
	s_delay_alu instid0(VALU_DEP_1)
	s_mul_hi_u32 s63, s56, s22
	s_mul_i32 s58, s58, s22
	s_add_i32 s62, s63, s62
	s_mul_i32 s56, s56, s22
	s_add_i32 s62, s62, s58
	s_mul_hi_u32 s63, s4, s56
	s_mul_i32 s64, s4, s56
	s_mul_hi_u32 s56, s22, s56
	s_mul_hi_u32 s65, s22, s62
	s_mul_i32 s22, s22, s62
	s_mul_hi_u32 s58, s4, s62
	s_add_u32 s22, s56, s22
	s_addc_u32 s56, 0, s65
	s_add_u32 s22, s22, s64
	s_mul_i32 s62, s4, s62
	s_addc_u32 s22, s56, s63
	s_addc_u32 s56, s58, 0
	s_add_u32 s22, s22, s62
	s_addc_u32 s56, 0, s56
	v_add_co_u32 v2, s22, v2, s22
	s_delay_alu instid0(VALU_DEP_1) | instskip(SKIP_1) | instid1(VALU_DEP_1)
	s_cmp_lg_u32 s22, 0
	s_addc_u32 s4, s4, s56
	v_readfirstlane_b32 s22, v2
	s_mul_i32 s58, s21, s4
	s_mul_hi_u32 s56, s21, s4
	s_mul_hi_u32 s62, s5, s4
	s_mul_i32 s4, s5, s4
	s_mul_hi_u32 s63, s21, s22
	s_mul_hi_u32 s64, s5, s22
	s_mul_i32 s22, s5, s22
	s_add_u32 s58, s63, s58
	s_addc_u32 s56, 0, s56
	s_add_u32 s22, s58, s22
	s_addc_u32 s22, s56, s64
	s_addc_u32 s56, s62, 0
	s_add_u32 s4, s22, s4
	s_addc_u32 s22, 0, s56
	s_mul_hi_u32 s56, s33, s4
	s_mul_i32 s4, s33, s4
	s_mul_i32 s22, s33, s22
	v_sub_co_u32 v2, s4, s21, s4
	s_add_i32 s56, s56, s22
	s_cmp_lg_u32 s4, 0
	s_delay_alu instid0(VALU_DEP_1) | instskip(SKIP_2) | instid1(VALU_DEP_1)
	v_sub_co_u32 v3, s4, v2, s33
	s_subb_u32 s22, s5, s56
	s_cmp_lg_u32 s4, 0
	v_cmp_le_u32_e32 vcc_lo, s33, v3
	v_sub_co_u32 v4, s4, v3, s33
	s_subb_u32 s56, s22, 0
	s_cmp_lg_u32 s4, 0
	v_cndmask_b32_e64 v5, 0, -1, vcc_lo
	s_subb_u32 s4, s56, 0
	s_cmp_eq_u32 s56, 0
	v_mov_b32_e32 v7, s4
	s_cselect_b32 vcc_lo, -1, 0
	s_cmp_eq_u32 s22, 0
	v_cndmask_b32_e32 v5, -1, v5, vcc_lo
	v_cmp_le_u32_e32 vcc_lo, s33, v2
	s_cselect_b32 s4, -1, 0
	v_cndmask_b32_e64 v6, 0, -1, vcc_lo
	s_delay_alu instid0(VALU_DEP_3) | instskip(NEXT) | instid1(VALU_DEP_2)
	v_cmp_ne_u32_e32 vcc_lo, 0, v5
	v_cndmask_b32_e64 v5, -1, v6, s4
	v_cndmask_b32_e32 v6, s56, v7, vcc_lo
	v_cndmask_b32_e32 v4, v3, v4, vcc_lo
	s_delay_alu instid0(VALU_DEP_3) | instskip(NEXT) | instid1(VALU_DEP_3)
	v_cmp_ne_u32_e32 vcc_lo, 0, v5
	v_cndmask_b32_e32 v3, s22, v6, vcc_lo
	s_delay_alu instid0(VALU_DEP_3)
	v_cndmask_b32_e32 v2, v2, v4, vcc_lo
	s_cbranch_execnz .LBB85_184
.LBB85_183:                             ;   in Loop: Header=BB85_15 Depth=1
	v_cvt_f32_u32_e32 v2, s33
	s_sub_i32 s4, 0, s33
	s_delay_alu instid0(VALU_DEP_1) | instskip(SKIP_2) | instid1(VALU_DEP_1)
	v_rcp_iflag_f32_e32 v2, v2
	s_waitcnt_depctr 0xfff
	v_mul_f32_e32 v2, 0x4f7ffffe, v2
	v_cvt_u32_f32_e32 v2, v2
	s_delay_alu instid0(VALU_DEP_1) | instskip(NEXT) | instid1(VALU_DEP_1)
	v_mul_lo_u32 v3, s4, v2
	v_mul_hi_u32 v3, v2, v3
	s_delay_alu instid0(VALU_DEP_1) | instskip(NEXT) | instid1(VALU_DEP_1)
	v_add_nc_u32_e32 v2, v2, v3
	v_mul_hi_u32 v2, s21, v2
	s_delay_alu instid0(VALU_DEP_1) | instskip(NEXT) | instid1(VALU_DEP_1)
	v_mul_lo_u32 v2, v2, s33
	v_sub_nc_u32_e32 v2, s21, v2
	s_delay_alu instid0(VALU_DEP_1) | instskip(SKIP_1) | instid1(VALU_DEP_2)
	v_subrev_nc_u32_e32 v3, s33, v2
	v_cmp_le_u32_e32 vcc_lo, s33, v2
	v_cndmask_b32_e32 v2, v2, v3, vcc_lo
	s_delay_alu instid0(VALU_DEP_1) | instskip(SKIP_1) | instid1(VALU_DEP_2)
	v_subrev_nc_u32_e32 v3, s33, v2
	v_cmp_le_u32_e32 vcc_lo, s33, v2
	v_cndmask_b32_e32 v12, v2, v3, vcc_lo
	s_delay_alu instid0(VALU_DEP_1)
	v_dual_mov_b32 v2, v12 :: v_dual_mov_b32 v3, v13
.LBB85_184:                             ;   in Loop: Header=BB85_15 Depth=1
	s_delay_alu instid0(VALU_DEP_1) | instskip(NEXT) | instid1(VALU_DEP_2)
	v_sub_co_u32 v2, vcc_lo, s21, v2
	v_sub_co_ci_u32_e32 v3, vcc_lo, s5, v3, vcc_lo
	s_mov_b32 s4, 0
	s_mov_b32 s5, exec_lo
                                        ; implicit-def: $vgpr24
	s_delay_alu instid0(VALU_DEP_1)
	v_cmpx_gt_u64_e64 v[2:3], v[0:1]
	s_cbranch_execz .LBB85_197
; %bb.185:                              ;   in Loop: Header=BB85_15 Depth=1
	v_dual_mov_b32 v6, v0 :: v_dual_mov_b32 v5, v1
	v_mov_b32_e32 v4, v0
	s_mov_b32 s21, 0
                                        ; implicit-def: $sgpr22
	s_set_inst_prefetch_distance 0x1
	s_branch .LBB85_187
	.p2align	6
.LBB85_186:                             ;   in Loop: Header=BB85_187 Depth=2
	s_or_b32 exec_lo, exec_lo, s4
	s_waitcnt lgkmcnt(0)
	s_barrier
	buffer_gl0_inv
	ds_load_u16 v7, v13 offset:3072
	v_add_co_u32 v4, vcc_lo, v4, s33
	v_add_co_ci_u32_e32 v5, vcc_lo, 0, v5, vcc_lo
	v_add_nc_u32_e32 v6, s33, v6
	s_waitcnt lgkmcnt(0)
	s_barrier
	s_delay_alu instid0(VALU_DEP_2) | instskip(SKIP_2) | instid1(VALU_DEP_1)
	v_cmp_ge_u64_e32 vcc_lo, v[4:5], v[2:3]
	buffer_gl0_inv
	v_and_b32_e32 v8, 0xff, v7
	v_cmp_ne_u16_e64 s4, 0, v8
	s_delay_alu instid0(VALU_DEP_1) | instskip(NEXT) | instid1(SALU_CYCLE_1)
	s_or_b32 s56, vcc_lo, s4
	s_and_b32 s56, exec_lo, s56
	s_delay_alu instid0(SALU_CYCLE_1) | instskip(SKIP_2) | instid1(SALU_CYCLE_1)
	s_or_b32 s21, s56, s21
	s_and_not1_b32 s22, s22, exec_lo
	s_and_b32 s4, s4, exec_lo
	s_or_b32 s22, s22, s4
	s_and_not1_b32 exec_lo, exec_lo, s21
	s_cbranch_execz .LBB85_196
.LBB85_187:                             ;   Parent Loop BB85_15 Depth=1
                                        ; =>  This Inner Loop Header: Depth=2
	s_delay_alu instid0(VALU_DEP_1)
	v_cmp_gt_u64_e32 vcc_lo, s[10:11], v[4:5]
	v_mov_b32_e32 v7, 0
	s_and_saveexec_b32 s4, vcc_lo
	s_cbranch_execz .LBB85_189
; %bb.188:                              ;   in Loop: Header=BB85_187 Depth=2
	ds_load_u8 v7, v6
.LBB85_189:                             ;   in Loop: Header=BB85_187 Depth=2
	s_or_b32 exec_lo, exec_lo, s4
	s_and_saveexec_b32 s4, vcc_lo
	s_cbranch_execz .LBB85_186
; %bb.190:                              ;   in Loop: Header=BB85_187 Depth=2
	s_waitcnt lgkmcnt(0)
	v_bfe_i32 v8, v7, 0, 8
	s_delay_alu instid0(VALU_DEP_1) | instskip(NEXT) | instid1(VALU_DEP_1)
	v_add_nc_u32_e32 v8, 0x80, v8
	v_and_b32_e32 v8, s89, v8
	s_delay_alu instid0(VALU_DEP_1)
	v_cmp_eq_u32_e32 vcc_lo, s88, v8
	s_and_b32 exec_lo, exec_lo, vcc_lo
	s_cbranch_execz .LBB85_186
; %bb.191:                              ;   in Loop: Header=BB85_187 Depth=2
	v_lshlrev_b16 v7, 8, v7
	s_delay_alu instid0(VALU_DEP_1)
	v_or_b32_e32 v7, 1, v7
	ds_store_b16 v13, v7 offset:3072
	s_branch .LBB85_186
.LBB85_192:                             ;   in Loop: Header=BB85_15 Depth=1
                                        ; implicit-def: $sgpr10
                                        ; implicit-def: $sgpr21
                                        ; implicit-def: $sgpr11
	s_branch .LBB85_211
.LBB85_193:                             ;   in Loop: Header=BB85_15 Depth=1
                                        ; implicit-def: $vgpr2_vgpr3
	s_branch .LBB85_136
.LBB85_194:                             ;   in Loop: Header=BB85_15 Depth=1
                                        ; implicit-def: $vgpr2_vgpr3
	s_branch .LBB85_153
.LBB85_195:                             ;   in Loop: Header=BB85_15 Depth=1
	s_mov_b32 s10, -1
	s_mov_b32 s4, 0
                                        ; implicit-def: $sgpr11
                                        ; implicit-def: $vgpr24
	s_mov_b32 s21, s10
	s_cbranch_execnz .LBB85_198
	s_branch .LBB85_211
.LBB85_196:                             ;   in Loop: Header=BB85_15 Depth=1
	s_set_inst_prefetch_distance 0x2
	s_or_b32 exec_lo, exec_lo, s21
	v_lshrrev_b16 v24, 8, v7
	s_and_b32 s4, s22, exec_lo
.LBB85_197:                             ;   in Loop: Header=BB85_15 Depth=1
	s_or_b32 exec_lo, exec_lo, s5
	s_mov_b32 s11, -1
	s_mov_b32 s10, 0
	s_delay_alu instid0(SALU_CYCLE_1)
	s_mov_b32 s21, s10
	s_branch .LBB85_211
.LBB85_198:                             ;   in Loop: Header=BB85_15 Depth=1
	s_mov_b32 s58, s57
	s_delay_alu instid0(SALU_CYCLE_1)
	s_cmp_lg_u64 s[58:59], 0
	s_cbranch_scc0 .LBB85_241
; %bb.199:                              ;   in Loop: Header=BB85_15 Depth=1
	v_cvt_f32_u32_e32 v2, s33
	s_sub_u32 s10, 0, s33
	s_subb_u32 s11, 0, 0
	s_delay_alu instid0(VALU_DEP_1) | instskip(NEXT) | instid1(VALU_DEP_1)
	v_fmac_f32_e64 v2, 0, 0x4f800000
	v_rcp_f32_e32 v2, v2
	s_waitcnt_depctr 0xfff
	v_mul_f32_e32 v2, 0x5f7ffffc, v2
	s_delay_alu instid0(VALU_DEP_1) | instskip(NEXT) | instid1(VALU_DEP_1)
	v_mul_f32_e32 v3, 0x2f800000, v2
	v_trunc_f32_e32 v3, v3
	s_delay_alu instid0(VALU_DEP_1) | instskip(SKIP_1) | instid1(VALU_DEP_2)
	v_fmac_f32_e32 v2, 0xcf800000, v3
	v_cvt_u32_f32_e32 v3, v3
	v_cvt_u32_f32_e32 v2, v2
	s_delay_alu instid0(VALU_DEP_2) | instskip(NEXT) | instid1(VALU_DEP_2)
	v_readfirstlane_b32 s4, v3
	v_readfirstlane_b32 s5, v2
	s_delay_alu instid0(VALU_DEP_2) | instskip(NEXT) | instid1(VALU_DEP_1)
	s_mul_i32 s21, s10, s4
	s_mul_hi_u32 s56, s10, s5
	s_mul_i32 s22, s11, s5
	s_add_i32 s21, s56, s21
	s_mul_i32 s58, s10, s5
	s_add_i32 s21, s21, s22
	s_mul_hi_u32 s56, s5, s58
	s_mul_hi_u32 s62, s4, s58
	s_mul_i32 s22, s4, s58
	s_mul_hi_u32 s58, s5, s21
	s_mul_i32 s5, s5, s21
	s_mul_hi_u32 s63, s4, s21
	s_add_u32 s5, s56, s5
	s_addc_u32 s56, 0, s58
	s_add_u32 s5, s5, s22
	s_mul_i32 s21, s4, s21
	s_addc_u32 s5, s56, s62
	s_addc_u32 s22, s63, 0
	s_add_u32 s5, s5, s21
	s_addc_u32 s21, 0, s22
	v_add_co_u32 v2, s5, v2, s5
	s_delay_alu instid0(VALU_DEP_1) | instskip(SKIP_1) | instid1(VALU_DEP_1)
	s_cmp_lg_u32 s5, 0
	s_addc_u32 s4, s4, s21
	v_readfirstlane_b32 s5, v2
	s_mul_i32 s21, s10, s4
	s_delay_alu instid0(VALU_DEP_1)
	s_mul_hi_u32 s22, s10, s5
	s_mul_i32 s11, s11, s5
	s_add_i32 s21, s22, s21
	s_mul_i32 s10, s10, s5
	s_add_i32 s21, s21, s11
	s_mul_hi_u32 s22, s4, s10
	s_mul_i32 s56, s4, s10
	s_mul_hi_u32 s10, s5, s10
	s_mul_hi_u32 s58, s5, s21
	s_mul_i32 s5, s5, s21
	s_mul_hi_u32 s11, s4, s21
	s_add_u32 s5, s10, s5
	s_addc_u32 s10, 0, s58
	s_add_u32 s5, s5, s56
	s_mul_i32 s21, s4, s21
	s_addc_u32 s5, s10, s22
	s_addc_u32 s10, s11, 0
	s_add_u32 s5, s5, s21
	s_addc_u32 s10, 0, s10
	v_add_co_u32 v2, s5, v2, s5
	s_delay_alu instid0(VALU_DEP_1) | instskip(SKIP_1) | instid1(VALU_DEP_1)
	s_cmp_lg_u32 s5, 0
	s_addc_u32 s4, s4, s10
	v_readfirstlane_b32 s5, v2
	s_mul_i32 s11, s73, s4
	s_mul_hi_u32 s10, s73, s4
	s_mul_hi_u32 s21, s59, s4
	s_mul_i32 s4, s59, s4
	s_mul_hi_u32 s22, s73, s5
	s_mul_hi_u32 s56, s59, s5
	s_mul_i32 s5, s59, s5
	s_add_u32 s11, s22, s11
	s_addc_u32 s10, 0, s10
	s_add_u32 s5, s11, s5
	s_addc_u32 s5, s10, s56
	s_addc_u32 s10, s21, 0
	s_add_u32 s4, s5, s4
	s_addc_u32 s5, 0, s10
	s_mul_hi_u32 s10, s33, s4
	s_mul_i32 s4, s33, s4
	s_mul_i32 s5, s33, s5
	v_sub_co_u32 v2, s4, s73, s4
	s_add_i32 s10, s10, s5
	s_cmp_lg_u32 s4, 0
	s_delay_alu instid0(VALU_DEP_1) | instskip(SKIP_2) | instid1(VALU_DEP_1)
	v_sub_co_u32 v3, s4, v2, s33
	s_subb_u32 s5, s59, s10
	s_cmp_lg_u32 s4, 0
	v_cmp_le_u32_e32 vcc_lo, s33, v3
	v_sub_co_u32 v4, s4, v3, s33
	s_subb_u32 s10, s5, 0
	s_cmp_lg_u32 s4, 0
	v_cndmask_b32_e64 v5, 0, -1, vcc_lo
	s_subb_u32 s4, s10, 0
	s_cmp_eq_u32 s10, 0
	v_mov_b32_e32 v7, s4
	s_cselect_b32 vcc_lo, -1, 0
	s_cmp_eq_u32 s5, 0
	v_cndmask_b32_e32 v5, -1, v5, vcc_lo
	v_cmp_le_u32_e32 vcc_lo, s33, v2
	s_cselect_b32 s4, -1, 0
	v_cndmask_b32_e64 v6, 0, -1, vcc_lo
	s_delay_alu instid0(VALU_DEP_3) | instskip(NEXT) | instid1(VALU_DEP_2)
	v_cmp_ne_u32_e32 vcc_lo, 0, v5
	v_cndmask_b32_e64 v5, -1, v6, s4
	v_cndmask_b32_e32 v6, s10, v7, vcc_lo
	v_cndmask_b32_e32 v4, v3, v4, vcc_lo
	s_delay_alu instid0(VALU_DEP_3) | instskip(NEXT) | instid1(VALU_DEP_3)
	v_cmp_ne_u32_e32 vcc_lo, 0, v5
	v_cndmask_b32_e32 v3, s5, v6, vcc_lo
	s_delay_alu instid0(VALU_DEP_3)
	v_cndmask_b32_e32 v2, v2, v4, vcc_lo
	s_cbranch_execnz .LBB85_201
.LBB85_200:                             ;   in Loop: Header=BB85_15 Depth=1
	v_cvt_f32_u32_e32 v2, s33
	s_sub_i32 s4, 0, s33
	s_delay_alu instid0(VALU_DEP_1) | instskip(SKIP_2) | instid1(VALU_DEP_1)
	v_rcp_iflag_f32_e32 v2, v2
	s_waitcnt_depctr 0xfff
	v_mul_f32_e32 v2, 0x4f7ffffe, v2
	v_cvt_u32_f32_e32 v2, v2
	s_delay_alu instid0(VALU_DEP_1) | instskip(NEXT) | instid1(VALU_DEP_1)
	v_mul_lo_u32 v3, s4, v2
	v_mul_hi_u32 v3, v2, v3
	s_delay_alu instid0(VALU_DEP_1) | instskip(NEXT) | instid1(VALU_DEP_1)
	v_add_nc_u32_e32 v2, v2, v3
	v_mul_hi_u32 v2, s73, v2
	s_delay_alu instid0(VALU_DEP_1) | instskip(NEXT) | instid1(VALU_DEP_1)
	v_mul_lo_u32 v2, v2, s33
	v_sub_nc_u32_e32 v2, s73, v2
	s_delay_alu instid0(VALU_DEP_1) | instskip(SKIP_1) | instid1(VALU_DEP_2)
	v_subrev_nc_u32_e32 v3, s33, v2
	v_cmp_le_u32_e32 vcc_lo, s33, v2
	v_cndmask_b32_e32 v2, v2, v3, vcc_lo
	s_delay_alu instid0(VALU_DEP_1) | instskip(SKIP_1) | instid1(VALU_DEP_2)
	v_subrev_nc_u32_e32 v3, s33, v2
	v_cmp_le_u32_e32 vcc_lo, s33, v2
	v_cndmask_b32_e32 v12, v2, v3, vcc_lo
	s_delay_alu instid0(VALU_DEP_1)
	v_dual_mov_b32 v2, v12 :: v_dual_mov_b32 v3, v13
.LBB85_201:                             ;   in Loop: Header=BB85_15 Depth=1
	s_delay_alu instid0(VALU_DEP_1) | instskip(NEXT) | instid1(VALU_DEP_2)
	v_sub_co_u32 v2, vcc_lo, s73, v2
	v_sub_co_ci_u32_e32 v3, vcc_lo, s59, v3, vcc_lo
	s_mov_b32 s4, 0
	s_mov_b32 s5, exec_lo
                                        ; implicit-def: $vgpr24
	s_delay_alu instid0(VALU_DEP_1)
	v_cmpx_gt_u64_e64 v[2:3], v[0:1]
	s_cbranch_execz .LBB85_210
; %bb.202:                              ;   in Loop: Header=BB85_15 Depth=1
	v_dual_mov_b32 v5, v1 :: v_dual_mov_b32 v4, v0
	s_mov_b32 s10, 0
                                        ; implicit-def: $sgpr11
	s_branch .LBB85_204
.LBB85_203:                             ;   in Loop: Header=BB85_204 Depth=2
	s_or_b32 exec_lo, exec_lo, s4
	s_waitcnt vmcnt(0) lgkmcnt(0)
	s_barrier
	buffer_gl0_inv
	ds_load_u16 v6, v13 offset:3072
	v_add_co_u32 v4, vcc_lo, v4, s33
	v_add_co_ci_u32_e32 v5, vcc_lo, 0, v5, vcc_lo
	s_waitcnt lgkmcnt(0)
	s_barrier
	buffer_gl0_inv
	v_cmp_ge_u64_e32 vcc_lo, v[4:5], v[2:3]
	v_and_b32_e32 v7, 0xff, v6
	s_delay_alu instid0(VALU_DEP_1) | instskip(NEXT) | instid1(VALU_DEP_1)
	v_cmp_ne_u16_e64 s4, 0, v7
	s_or_b32 s21, vcc_lo, s4
	s_delay_alu instid0(SALU_CYCLE_1) | instskip(NEXT) | instid1(SALU_CYCLE_1)
	s_and_b32 s21, exec_lo, s21
	s_or_b32 s10, s21, s10
	s_and_not1_b32 s11, s11, exec_lo
	s_and_b32 s4, s4, exec_lo
	s_delay_alu instid0(SALU_CYCLE_1)
	s_or_b32 s11, s11, s4
	s_and_not1_b32 exec_lo, exec_lo, s10
	s_cbranch_execz .LBB85_209
.LBB85_204:                             ;   Parent Loop BB85_15 Depth=1
                                        ; =>  This Inner Loop Header: Depth=2
	s_delay_alu instid0(VALU_DEP_1)
	v_cmp_gt_u64_e32 vcc_lo, s[24:25], v[4:5]
	v_mov_b32_e32 v6, 0
	s_and_saveexec_b32 s4, vcc_lo
	s_cbranch_execz .LBB85_206
; %bb.205:                              ;   in Loop: Header=BB85_204 Depth=2
	v_mad_u64_u32 v[6:7], null, v4, s42, s[50:51]
	v_mul_lo_u32 v8, v4, s43
	v_mul_lo_u32 v9, v5, s42
	s_delay_alu instid0(VALU_DEP_1)
	v_add3_u32 v7, v9, v7, v8
	global_load_u8 v6, v[6:7], off
.LBB85_206:                             ;   in Loop: Header=BB85_204 Depth=2
	s_or_b32 exec_lo, exec_lo, s4
	s_and_saveexec_b32 s4, vcc_lo
	s_cbranch_execz .LBB85_203
; %bb.207:                              ;   in Loop: Header=BB85_204 Depth=2
	s_waitcnt vmcnt(0)
	v_bfe_i32 v7, v6, 0, 8
	s_delay_alu instid0(VALU_DEP_1) | instskip(NEXT) | instid1(VALU_DEP_1)
	v_add_nc_u32_e32 v7, 0x80, v7
	v_and_b32_e32 v7, s89, v7
	s_delay_alu instid0(VALU_DEP_1)
	v_cmp_eq_u32_e32 vcc_lo, s88, v7
	s_and_b32 exec_lo, exec_lo, vcc_lo
	s_cbranch_execz .LBB85_203
; %bb.208:                              ;   in Loop: Header=BB85_204 Depth=2
	v_lshlrev_b16 v6, 8, v6
	s_delay_alu instid0(VALU_DEP_1)
	v_or_b32_e32 v6, 1, v6
	ds_store_b16 v13, v6 offset:3072
	s_branch .LBB85_203
.LBB85_209:                             ;   in Loop: Header=BB85_15 Depth=1
	s_or_b32 exec_lo, exec_lo, s10
	v_lshrrev_b16 v24, 8, v6
	s_and_b32 s4, s11, exec_lo
.LBB85_210:                             ;   in Loop: Header=BB85_15 Depth=1
	s_or_b32 exec_lo, exec_lo, s5
	s_mov_b32 s21, -1
	s_mov_b32 s10, 0
	s_mov_b32 s11, 0
.LBB85_211:                             ;   in Loop: Header=BB85_15 Depth=1
	s_mov_b32 s5, 0
                                        ; implicit-def: $sgpr56
	s_and_saveexec_b32 s22, s4
	s_cbranch_execz .LBB85_273
; %bb.212:                              ;   in Loop: Header=BB85_15 Depth=1
	s_xor_b32 s4, s23, -1
	s_mov_b32 s56, 1
	s_and_not1_b32 vcc_lo, exec_lo, s4
	s_cbranch_vccnz .LBB85_223
; %bb.213:                              ;   in Loop: Header=BB85_15 Depth=1
	v_cmp_gt_u64_e64 s4, s[54:55], s[8:9]
                                        ; implicit-def: $sgpr56
                                        ; implicit-def: $sgpr5
                                        ; implicit-def: $sgpr23
	s_delay_alu instid0(VALU_DEP_1)
	s_and_b32 vcc_lo, exec_lo, s4
	s_mov_b32 s4, -1
	s_cbranch_vccnz .LBB85_219
; %bb.214:                              ;   in Loop: Header=BB85_15 Depth=1
	ds_load_b64 v[2:3], v13 offset:5120
	s_waitcnt lgkmcnt(0)
	v_cmp_ne_u64_e32 vcc_lo, 0, v[2:3]
	s_cbranch_vccnz .LBB85_218
; %bb.215:                              ;   in Loop: Header=BB85_15 Depth=1
	s_and_saveexec_b32 s4, s2
	s_cbranch_execz .LBB85_217
; %bb.216:                              ;   in Loop: Header=BB85_15 Depth=1
	v_dual_mov_b32 v2, s8 :: v_dual_mov_b32 v3, s9
	ds_store_b64 v13, v[2:3] offset:5128
.LBB85_217:                             ;   in Loop: Header=BB85_15 Depth=1
	s_or_b32 exec_lo, exec_lo, s4
	s_waitcnt lgkmcnt(0)
	s_barrier
	buffer_gl0_inv
.LBB85_218:                             ;   in Loop: Header=BB85_15 Depth=1
	s_lshl_b32 s4, 2, s17
	s_and_b32 s5, s88, s18
	s_or_b32 s23, s89, s16
	s_or_b32 s5, s5, s4
	s_mov_b32 s4, 0
	s_mov_b32 s56, 8
.LBB85_219:                             ;   in Loop: Header=BB85_15 Depth=1
	s_and_not1_b32 vcc_lo, exec_lo, s4
	s_cbranch_vccnz .LBB85_221
; %bb.220:                              ;   in Loop: Header=BB85_15 Depth=1
	s_sub_u32 s54, s54, s8
	s_subb_u32 s55, s55, s9
	s_mov_b32 s4, -1
	s_mov_b32 s56, 0
	s_mov_b32 s5, s88
	;; [unrolled: 1-line block ×3, first 2 shown]
.LBB85_221:                             ;   in Loop: Header=BB85_15 Depth=1
	s_delay_alu instid0(SALU_CYCLE_1)
	s_mov_b32 s89, s23
	s_mov_b32 s88, s5
	s_and_not1_b32 vcc_lo, exec_lo, s4
	s_mov_b32 s62, -1
	s_cbranch_vccz .LBB85_224
.LBB85_222:                             ;   in Loop: Header=BB85_15 Depth=1
                                        ; implicit-def: $sgpr8
                                        ; implicit-def: $sgpr18
                                        ; implicit-def: $sgpr9
	s_branch .LBB85_272
.LBB85_223:                             ;   in Loop: Header=BB85_15 Depth=1
	s_mov_b64 s[54:55], 1
	s_mov_b32 s62, -1
	s_cbranch_execnz .LBB85_222
.LBB85_224:                             ;   in Loop: Header=BB85_15 Depth=1
	s_cmp_eq_u64 s[6:7], 1
	s_mov_b32 s23, -1
	s_cselect_b32 s4, -1, 0
	s_cmp_eq_u64 s[54:55], 1
	s_cselect_b32 s5, -1, 0
	s_delay_alu instid0(SALU_CYCLE_1) | instskip(NEXT) | instid1(SALU_CYCLE_1)
	s_and_b32 s17, s4, s5
	s_and_b32 vcc_lo, exec_lo, s17
	s_cbranch_vccz .LBB85_239
; %bb.225:                              ;   in Loop: Header=BB85_15 Depth=1
	ds_load_b64 v[2:3], v13 offset:5120
	s_waitcnt lgkmcnt(0)
	s_barrier
	buffer_gl0_inv
	v_readfirstlane_b32 s8, v2
	v_readfirstlane_b32 s9, v3
	s_and_saveexec_b32 s4, s3
	s_cbranch_execz .LBB85_227
; %bb.226:                              ;   in Loop: Header=BB85_15 Depth=1
	ds_store_b8 v0, v13 offset:3072
.LBB85_227:                             ;   in Loop: Header=BB85_15 Depth=1
	s_or_b32 exec_lo, exec_lo, s4
	s_or_b32 s88, s88, s16
	s_or_b32 s89, s89, s16
	s_cmp_eq_u64 s[8:9], 0
	s_waitcnt lgkmcnt(0)
	s_barrier
	buffer_gl0_inv
	s_cbranch_scc1 .LBB85_242
; %bb.228:                              ;   in Loop: Header=BB85_15 Depth=1
	s_add_u32 s18, s47, s8
	s_addc_u32 s5, s72, s9
	s_mov_b32 s4, s57
	s_delay_alu instid0(SALU_CYCLE_1)
	s_cmp_lg_u64 s[4:5], 0
	s_cbranch_scc0 .LBB85_278
; %bb.229:                              ;   in Loop: Header=BB85_15 Depth=1
	v_cvt_f32_u32_e32 v2, s33
	s_sub_u32 s56, 0, s33
	s_subb_u32 s58, 0, 0
	s_delay_alu instid0(VALU_DEP_1) | instskip(NEXT) | instid1(VALU_DEP_1)
	v_fmac_f32_e64 v2, 0, 0x4f800000
	v_rcp_f32_e32 v2, v2
	s_waitcnt_depctr 0xfff
	v_mul_f32_e32 v2, 0x5f7ffffc, v2
	s_delay_alu instid0(VALU_DEP_1) | instskip(NEXT) | instid1(VALU_DEP_1)
	v_mul_f32_e32 v3, 0x2f800000, v2
	v_trunc_f32_e32 v3, v3
	s_delay_alu instid0(VALU_DEP_1) | instskip(SKIP_1) | instid1(VALU_DEP_2)
	v_fmac_f32_e32 v2, 0xcf800000, v3
	v_cvt_u32_f32_e32 v3, v3
	v_cvt_u32_f32_e32 v2, v2
	s_delay_alu instid0(VALU_DEP_2) | instskip(NEXT) | instid1(VALU_DEP_2)
	v_readfirstlane_b32 s4, v3
	v_readfirstlane_b32 s23, v2
	s_delay_alu instid0(VALU_DEP_2) | instskip(NEXT) | instid1(VALU_DEP_1)
	s_mul_i32 s62, s56, s4
	s_mul_hi_u32 s64, s56, s23
	s_mul_i32 s63, s58, s23
	s_add_i32 s62, s64, s62
	s_mul_i32 s65, s56, s23
	s_add_i32 s62, s62, s63
	s_mul_hi_u32 s64, s23, s65
	s_mul_hi_u32 s66, s4, s65
	s_mul_i32 s63, s4, s65
	s_mul_hi_u32 s65, s23, s62
	s_mul_i32 s23, s23, s62
	s_mul_hi_u32 s67, s4, s62
	s_add_u32 s23, s64, s23
	s_addc_u32 s64, 0, s65
	s_add_u32 s23, s23, s63
	s_mul_i32 s62, s4, s62
	s_addc_u32 s23, s64, s66
	s_addc_u32 s63, s67, 0
	s_add_u32 s23, s23, s62
	s_addc_u32 s62, 0, s63
	v_add_co_u32 v2, s23, v2, s23
	s_delay_alu instid0(VALU_DEP_1) | instskip(SKIP_1) | instid1(VALU_DEP_1)
	s_cmp_lg_u32 s23, 0
	s_addc_u32 s4, s4, s62
	v_readfirstlane_b32 s23, v2
	s_mul_i32 s62, s56, s4
	s_delay_alu instid0(VALU_DEP_1)
	s_mul_hi_u32 s63, s56, s23
	s_mul_i32 s58, s58, s23
	s_add_i32 s62, s63, s62
	s_mul_i32 s56, s56, s23
	s_add_i32 s62, s62, s58
	s_mul_hi_u32 s63, s4, s56
	s_mul_i32 s64, s4, s56
	s_mul_hi_u32 s56, s23, s56
	s_mul_hi_u32 s65, s23, s62
	s_mul_i32 s23, s23, s62
	s_mul_hi_u32 s58, s4, s62
	s_add_u32 s23, s56, s23
	s_addc_u32 s56, 0, s65
	s_add_u32 s23, s23, s64
	s_mul_i32 s62, s4, s62
	s_addc_u32 s23, s56, s63
	s_addc_u32 s56, s58, 0
	s_add_u32 s23, s23, s62
	s_addc_u32 s56, 0, s56
	v_add_co_u32 v2, s23, v2, s23
	s_delay_alu instid0(VALU_DEP_1) | instskip(SKIP_1) | instid1(VALU_DEP_1)
	s_cmp_lg_u32 s23, 0
	s_addc_u32 s4, s4, s56
	v_readfirstlane_b32 s23, v2
	s_mul_i32 s58, s18, s4
	s_mul_hi_u32 s56, s18, s4
	s_mul_hi_u32 s62, s5, s4
	s_mul_i32 s4, s5, s4
	s_mul_hi_u32 s63, s18, s23
	s_mul_hi_u32 s64, s5, s23
	s_mul_i32 s23, s5, s23
	s_add_u32 s58, s63, s58
	s_addc_u32 s56, 0, s56
	s_add_u32 s23, s58, s23
	s_addc_u32 s23, s56, s64
	s_addc_u32 s56, s62, 0
	s_add_u32 s4, s23, s4
	s_addc_u32 s23, 0, s56
	s_mul_hi_u32 s56, s33, s4
	s_mul_i32 s4, s33, s4
	s_mul_i32 s23, s33, s23
	v_sub_co_u32 v2, s4, s18, s4
	s_add_i32 s56, s56, s23
	s_cmp_lg_u32 s4, 0
	s_delay_alu instid0(VALU_DEP_1) | instskip(SKIP_2) | instid1(VALU_DEP_1)
	v_sub_co_u32 v3, s4, v2, s33
	s_subb_u32 s23, s5, s56
	s_cmp_lg_u32 s4, 0
	v_cmp_le_u32_e32 vcc_lo, s33, v3
	v_sub_co_u32 v4, s4, v3, s33
	s_subb_u32 s56, s23, 0
	s_cmp_lg_u32 s4, 0
	v_cndmask_b32_e64 v5, 0, -1, vcc_lo
	s_subb_u32 s4, s56, 0
	s_cmp_eq_u32 s56, 0
	v_mov_b32_e32 v7, s4
	s_cselect_b32 vcc_lo, -1, 0
	s_cmp_eq_u32 s23, 0
	v_cndmask_b32_e32 v5, -1, v5, vcc_lo
	v_cmp_le_u32_e32 vcc_lo, s33, v2
	s_cselect_b32 s4, -1, 0
	v_cndmask_b32_e64 v6, 0, -1, vcc_lo
	s_delay_alu instid0(VALU_DEP_3) | instskip(NEXT) | instid1(VALU_DEP_2)
	v_cmp_ne_u32_e32 vcc_lo, 0, v5
	v_cndmask_b32_e64 v5, -1, v6, s4
	v_cndmask_b32_e32 v6, s56, v7, vcc_lo
	v_cndmask_b32_e32 v4, v3, v4, vcc_lo
	s_delay_alu instid0(VALU_DEP_3) | instskip(NEXT) | instid1(VALU_DEP_3)
	v_cmp_ne_u32_e32 vcc_lo, 0, v5
	v_cndmask_b32_e32 v3, s23, v6, vcc_lo
	s_delay_alu instid0(VALU_DEP_3)
	v_cndmask_b32_e32 v2, v2, v4, vcc_lo
	s_cbranch_execnz .LBB85_231
.LBB85_230:                             ;   in Loop: Header=BB85_15 Depth=1
	v_cvt_f32_u32_e32 v2, s33
	s_sub_i32 s4, 0, s33
	s_delay_alu instid0(VALU_DEP_1) | instskip(SKIP_2) | instid1(VALU_DEP_1)
	v_rcp_iflag_f32_e32 v2, v2
	s_waitcnt_depctr 0xfff
	v_mul_f32_e32 v2, 0x4f7ffffe, v2
	v_cvt_u32_f32_e32 v2, v2
	s_delay_alu instid0(VALU_DEP_1) | instskip(NEXT) | instid1(VALU_DEP_1)
	v_mul_lo_u32 v3, s4, v2
	v_mul_hi_u32 v3, v2, v3
	s_delay_alu instid0(VALU_DEP_1) | instskip(NEXT) | instid1(VALU_DEP_1)
	v_add_nc_u32_e32 v2, v2, v3
	v_mul_hi_u32 v2, s18, v2
	s_delay_alu instid0(VALU_DEP_1) | instskip(NEXT) | instid1(VALU_DEP_1)
	v_mul_lo_u32 v2, v2, s33
	v_sub_nc_u32_e32 v2, s18, v2
	s_delay_alu instid0(VALU_DEP_1) | instskip(SKIP_1) | instid1(VALU_DEP_2)
	v_subrev_nc_u32_e32 v3, s33, v2
	v_cmp_le_u32_e32 vcc_lo, s33, v2
	v_cndmask_b32_e32 v2, v2, v3, vcc_lo
	s_delay_alu instid0(VALU_DEP_1) | instskip(SKIP_1) | instid1(VALU_DEP_2)
	v_subrev_nc_u32_e32 v3, s33, v2
	v_cmp_le_u32_e32 vcc_lo, s33, v2
	v_cndmask_b32_e32 v12, v2, v3, vcc_lo
	s_delay_alu instid0(VALU_DEP_1)
	v_dual_mov_b32 v2, v12 :: v_dual_mov_b32 v3, v13
.LBB85_231:                             ;   in Loop: Header=BB85_15 Depth=1
	s_delay_alu instid0(VALU_DEP_1) | instskip(NEXT) | instid1(VALU_DEP_2)
	v_sub_co_u32 v2, vcc_lo, s18, v2
	v_sub_co_ci_u32_e32 v3, vcc_lo, s5, v3, vcc_lo
	s_mov_b32 s23, 0
	s_mov_b32 s5, exec_lo
                                        ; implicit-def: $vgpr24
	s_delay_alu instid0(VALU_DEP_1)
	v_cmpx_gt_u64_e64 v[2:3], v[0:1]
	s_cbranch_execz .LBB85_244
; %bb.232:                              ;   in Loop: Header=BB85_15 Depth=1
	v_dual_mov_b32 v6, v0 :: v_dual_mov_b32 v5, v1
	v_mov_b32_e32 v4, v0
	s_mov_b32 s18, 0
                                        ; implicit-def: $sgpr23
	s_set_inst_prefetch_distance 0x1
	s_branch .LBB85_234
	.p2align	6
.LBB85_233:                             ;   in Loop: Header=BB85_234 Depth=2
	s_or_b32 exec_lo, exec_lo, s4
	s_waitcnt lgkmcnt(0)
	s_barrier
	buffer_gl0_inv
	ds_load_u16 v7, v13 offset:3072
	v_add_co_u32 v4, vcc_lo, v4, s33
	v_add_co_ci_u32_e32 v5, vcc_lo, 0, v5, vcc_lo
	v_add_nc_u32_e32 v6, s33, v6
	s_waitcnt lgkmcnt(0)
	s_barrier
	s_delay_alu instid0(VALU_DEP_2) | instskip(SKIP_2) | instid1(VALU_DEP_1)
	v_cmp_ge_u64_e32 vcc_lo, v[4:5], v[2:3]
	buffer_gl0_inv
	v_and_b32_e32 v8, 0xff, v7
	v_cmp_ne_u16_e64 s4, 0, v8
	s_delay_alu instid0(VALU_DEP_1) | instskip(NEXT) | instid1(SALU_CYCLE_1)
	s_or_b32 s56, vcc_lo, s4
	s_and_b32 s56, exec_lo, s56
	s_delay_alu instid0(SALU_CYCLE_1) | instskip(SKIP_2) | instid1(SALU_CYCLE_1)
	s_or_b32 s18, s56, s18
	s_and_not1_b32 s23, s23, exec_lo
	s_and_b32 s4, s4, exec_lo
	s_or_b32 s23, s23, s4
	s_and_not1_b32 exec_lo, exec_lo, s18
	s_cbranch_execz .LBB85_243
.LBB85_234:                             ;   Parent Loop BB85_15 Depth=1
                                        ; =>  This Inner Loop Header: Depth=2
	s_delay_alu instid0(VALU_DEP_1)
	v_cmp_gt_u64_e32 vcc_lo, s[8:9], v[4:5]
	v_mov_b32_e32 v7, 0
	s_and_saveexec_b32 s4, vcc_lo
	s_cbranch_execz .LBB85_236
; %bb.235:                              ;   in Loop: Header=BB85_234 Depth=2
	ds_load_u8 v7, v6
.LBB85_236:                             ;   in Loop: Header=BB85_234 Depth=2
	s_or_b32 exec_lo, exec_lo, s4
	s_and_saveexec_b32 s4, vcc_lo
	s_cbranch_execz .LBB85_233
; %bb.237:                              ;   in Loop: Header=BB85_234 Depth=2
	s_waitcnt lgkmcnt(0)
	v_bfe_i32 v8, v7, 0, 8
	s_delay_alu instid0(VALU_DEP_1) | instskip(NEXT) | instid1(VALU_DEP_1)
	v_add_nc_u32_e32 v8, 0x80, v8
	v_and_b32_e32 v8, s89, v8
	s_delay_alu instid0(VALU_DEP_1)
	v_cmp_eq_u32_e32 vcc_lo, s88, v8
	s_and_b32 exec_lo, exec_lo, vcc_lo
	s_cbranch_execz .LBB85_233
; %bb.238:                              ;   in Loop: Header=BB85_234 Depth=2
	v_lshlrev_b16 v7, 8, v7
	s_delay_alu instid0(VALU_DEP_1)
	v_or_b32_e32 v7, 1, v7
	ds_store_b16 v13, v7 offset:3072
	s_branch .LBB85_233
.LBB85_239:                             ;   in Loop: Header=BB85_15 Depth=1
                                        ; implicit-def: $sgpr8
                                        ; implicit-def: $sgpr18
                                        ; implicit-def: $sgpr9
	s_branch .LBB85_258
.LBB85_240:                             ;   in Loop: Header=BB85_15 Depth=1
                                        ; implicit-def: $vgpr2_vgpr3
	s_branch .LBB85_183
.LBB85_241:                             ;   in Loop: Header=BB85_15 Depth=1
                                        ; implicit-def: $vgpr2_vgpr3
	s_branch .LBB85_200
.LBB85_242:                             ;   in Loop: Header=BB85_15 Depth=1
	s_mov_b32 s8, -1
	s_mov_b32 s23, 0
                                        ; implicit-def: $sgpr9
                                        ; implicit-def: $vgpr24
	s_mov_b32 s18, s8
	s_cbranch_execnz .LBB85_245
	s_branch .LBB85_258
.LBB85_243:                             ;   in Loop: Header=BB85_15 Depth=1
	s_set_inst_prefetch_distance 0x2
	s_or_b32 exec_lo, exec_lo, s18
	v_lshrrev_b16 v24, 8, v7
	s_and_b32 s23, s23, exec_lo
.LBB85_244:                             ;   in Loop: Header=BB85_15 Depth=1
	s_or_b32 exec_lo, exec_lo, s5
	s_mov_b32 s9, -1
	s_mov_b32 s8, 0
	s_delay_alu instid0(SALU_CYCLE_1)
	s_mov_b32 s18, s8
	s_branch .LBB85_258
.LBB85_245:                             ;   in Loop: Header=BB85_15 Depth=1
	s_mov_b32 s58, s57
	s_delay_alu instid0(SALU_CYCLE_1)
	s_cmp_lg_u64 s[58:59], 0
	s_cbranch_scc0 .LBB85_279
; %bb.246:                              ;   in Loop: Header=BB85_15 Depth=1
	v_cvt_f32_u32_e32 v2, s33
	s_sub_u32 s8, 0, s33
	s_subb_u32 s9, 0, 0
	s_delay_alu instid0(VALU_DEP_1) | instskip(NEXT) | instid1(VALU_DEP_1)
	v_fmac_f32_e64 v2, 0, 0x4f800000
	v_rcp_f32_e32 v2, v2
	s_waitcnt_depctr 0xfff
	v_mul_f32_e32 v2, 0x5f7ffffc, v2
	s_delay_alu instid0(VALU_DEP_1) | instskip(NEXT) | instid1(VALU_DEP_1)
	v_mul_f32_e32 v3, 0x2f800000, v2
	v_trunc_f32_e32 v3, v3
	s_delay_alu instid0(VALU_DEP_1) | instskip(SKIP_1) | instid1(VALU_DEP_2)
	v_fmac_f32_e32 v2, 0xcf800000, v3
	v_cvt_u32_f32_e32 v3, v3
	v_cvt_u32_f32_e32 v2, v2
	s_delay_alu instid0(VALU_DEP_2) | instskip(NEXT) | instid1(VALU_DEP_2)
	v_readfirstlane_b32 s4, v3
	v_readfirstlane_b32 s5, v2
	s_delay_alu instid0(VALU_DEP_2) | instskip(NEXT) | instid1(VALU_DEP_1)
	s_mul_i32 s18, s8, s4
	s_mul_hi_u32 s56, s8, s5
	s_mul_i32 s23, s9, s5
	s_add_i32 s18, s56, s18
	s_mul_i32 s58, s8, s5
	s_add_i32 s18, s18, s23
	s_mul_hi_u32 s56, s5, s58
	s_mul_hi_u32 s62, s4, s58
	s_mul_i32 s23, s4, s58
	s_mul_hi_u32 s58, s5, s18
	s_mul_i32 s5, s5, s18
	s_mul_hi_u32 s63, s4, s18
	s_add_u32 s5, s56, s5
	s_addc_u32 s56, 0, s58
	s_add_u32 s5, s5, s23
	s_mul_i32 s18, s4, s18
	s_addc_u32 s5, s56, s62
	s_addc_u32 s23, s63, 0
	s_add_u32 s5, s5, s18
	s_addc_u32 s18, 0, s23
	v_add_co_u32 v2, s5, v2, s5
	s_delay_alu instid0(VALU_DEP_1) | instskip(SKIP_1) | instid1(VALU_DEP_1)
	s_cmp_lg_u32 s5, 0
	s_addc_u32 s4, s4, s18
	v_readfirstlane_b32 s5, v2
	s_mul_i32 s18, s8, s4
	s_delay_alu instid0(VALU_DEP_1)
	s_mul_hi_u32 s23, s8, s5
	s_mul_i32 s9, s9, s5
	s_add_i32 s18, s23, s18
	s_mul_i32 s8, s8, s5
	s_add_i32 s18, s18, s9
	s_mul_hi_u32 s23, s4, s8
	s_mul_i32 s56, s4, s8
	s_mul_hi_u32 s8, s5, s8
	s_mul_hi_u32 s58, s5, s18
	s_mul_i32 s5, s5, s18
	s_mul_hi_u32 s9, s4, s18
	s_add_u32 s5, s8, s5
	s_addc_u32 s8, 0, s58
	s_add_u32 s5, s5, s56
	s_mul_i32 s18, s4, s18
	s_addc_u32 s5, s8, s23
	s_addc_u32 s8, s9, 0
	s_add_u32 s5, s5, s18
	s_addc_u32 s8, 0, s8
	v_add_co_u32 v2, s5, v2, s5
	s_delay_alu instid0(VALU_DEP_1) | instskip(SKIP_1) | instid1(VALU_DEP_1)
	s_cmp_lg_u32 s5, 0
	s_addc_u32 s4, s4, s8
	v_readfirstlane_b32 s5, v2
	s_mul_i32 s9, s73, s4
	s_mul_hi_u32 s8, s73, s4
	s_mul_hi_u32 s18, s59, s4
	s_mul_i32 s4, s59, s4
	s_mul_hi_u32 s23, s73, s5
	s_mul_hi_u32 s56, s59, s5
	s_mul_i32 s5, s59, s5
	s_add_u32 s9, s23, s9
	s_addc_u32 s8, 0, s8
	s_add_u32 s5, s9, s5
	s_addc_u32 s5, s8, s56
	s_addc_u32 s8, s18, 0
	s_add_u32 s4, s5, s4
	s_addc_u32 s5, 0, s8
	s_mul_hi_u32 s8, s33, s4
	s_mul_i32 s4, s33, s4
	s_mul_i32 s5, s33, s5
	v_sub_co_u32 v2, s4, s73, s4
	s_add_i32 s8, s8, s5
	s_cmp_lg_u32 s4, 0
	s_delay_alu instid0(VALU_DEP_1) | instskip(SKIP_2) | instid1(VALU_DEP_1)
	v_sub_co_u32 v3, s4, v2, s33
	s_subb_u32 s5, s59, s8
	s_cmp_lg_u32 s4, 0
	v_cmp_le_u32_e32 vcc_lo, s33, v3
	v_sub_co_u32 v4, s4, v3, s33
	s_subb_u32 s8, s5, 0
	s_cmp_lg_u32 s4, 0
	v_cndmask_b32_e64 v5, 0, -1, vcc_lo
	s_subb_u32 s4, s8, 0
	s_cmp_eq_u32 s8, 0
	v_mov_b32_e32 v7, s4
	s_cselect_b32 vcc_lo, -1, 0
	s_cmp_eq_u32 s5, 0
	v_cndmask_b32_e32 v5, -1, v5, vcc_lo
	v_cmp_le_u32_e32 vcc_lo, s33, v2
	s_cselect_b32 s4, -1, 0
	v_cndmask_b32_e64 v6, 0, -1, vcc_lo
	s_delay_alu instid0(VALU_DEP_3) | instskip(NEXT) | instid1(VALU_DEP_2)
	v_cmp_ne_u32_e32 vcc_lo, 0, v5
	v_cndmask_b32_e64 v5, -1, v6, s4
	v_cndmask_b32_e32 v6, s8, v7, vcc_lo
	v_cndmask_b32_e32 v4, v3, v4, vcc_lo
	s_delay_alu instid0(VALU_DEP_3) | instskip(NEXT) | instid1(VALU_DEP_3)
	v_cmp_ne_u32_e32 vcc_lo, 0, v5
	v_cndmask_b32_e32 v3, s5, v6, vcc_lo
	s_delay_alu instid0(VALU_DEP_3)
	v_cndmask_b32_e32 v2, v2, v4, vcc_lo
	s_cbranch_execnz .LBB85_248
.LBB85_247:                             ;   in Loop: Header=BB85_15 Depth=1
	v_cvt_f32_u32_e32 v2, s33
	s_sub_i32 s4, 0, s33
	s_delay_alu instid0(VALU_DEP_1) | instskip(SKIP_2) | instid1(VALU_DEP_1)
	v_rcp_iflag_f32_e32 v2, v2
	s_waitcnt_depctr 0xfff
	v_mul_f32_e32 v2, 0x4f7ffffe, v2
	v_cvt_u32_f32_e32 v2, v2
	s_delay_alu instid0(VALU_DEP_1) | instskip(NEXT) | instid1(VALU_DEP_1)
	v_mul_lo_u32 v3, s4, v2
	v_mul_hi_u32 v3, v2, v3
	s_delay_alu instid0(VALU_DEP_1) | instskip(NEXT) | instid1(VALU_DEP_1)
	v_add_nc_u32_e32 v2, v2, v3
	v_mul_hi_u32 v2, s73, v2
	s_delay_alu instid0(VALU_DEP_1) | instskip(NEXT) | instid1(VALU_DEP_1)
	v_mul_lo_u32 v2, v2, s33
	v_sub_nc_u32_e32 v2, s73, v2
	s_delay_alu instid0(VALU_DEP_1) | instskip(SKIP_1) | instid1(VALU_DEP_2)
	v_subrev_nc_u32_e32 v3, s33, v2
	v_cmp_le_u32_e32 vcc_lo, s33, v2
	v_cndmask_b32_e32 v2, v2, v3, vcc_lo
	s_delay_alu instid0(VALU_DEP_1) | instskip(SKIP_1) | instid1(VALU_DEP_2)
	v_subrev_nc_u32_e32 v3, s33, v2
	v_cmp_le_u32_e32 vcc_lo, s33, v2
	v_cndmask_b32_e32 v12, v2, v3, vcc_lo
	s_delay_alu instid0(VALU_DEP_1)
	v_dual_mov_b32 v2, v12 :: v_dual_mov_b32 v3, v13
.LBB85_248:                             ;   in Loop: Header=BB85_15 Depth=1
	s_delay_alu instid0(VALU_DEP_1) | instskip(NEXT) | instid1(VALU_DEP_2)
	v_sub_co_u32 v2, vcc_lo, s73, v2
	v_sub_co_ci_u32_e32 v3, vcc_lo, s59, v3, vcc_lo
	s_mov_b32 s23, 0
	s_mov_b32 s5, exec_lo
                                        ; implicit-def: $vgpr24
	s_delay_alu instid0(VALU_DEP_1)
	v_cmpx_gt_u64_e64 v[2:3], v[0:1]
	s_cbranch_execz .LBB85_257
; %bb.249:                              ;   in Loop: Header=BB85_15 Depth=1
	v_dual_mov_b32 v5, v1 :: v_dual_mov_b32 v4, v0
	s_mov_b32 s8, 0
                                        ; implicit-def: $sgpr9
	s_branch .LBB85_251
.LBB85_250:                             ;   in Loop: Header=BB85_251 Depth=2
	s_or_b32 exec_lo, exec_lo, s4
	s_waitcnt vmcnt(0) lgkmcnt(0)
	s_barrier
	buffer_gl0_inv
	ds_load_u16 v6, v13 offset:3072
	v_add_co_u32 v4, vcc_lo, v4, s33
	v_add_co_ci_u32_e32 v5, vcc_lo, 0, v5, vcc_lo
	s_waitcnt lgkmcnt(0)
	s_barrier
	buffer_gl0_inv
	v_cmp_ge_u64_e32 vcc_lo, v[4:5], v[2:3]
	v_and_b32_e32 v7, 0xff, v6
	s_delay_alu instid0(VALU_DEP_1) | instskip(NEXT) | instid1(VALU_DEP_1)
	v_cmp_ne_u16_e64 s4, 0, v7
	s_or_b32 s18, vcc_lo, s4
	s_delay_alu instid0(SALU_CYCLE_1) | instskip(NEXT) | instid1(SALU_CYCLE_1)
	s_and_b32 s18, exec_lo, s18
	s_or_b32 s8, s18, s8
	s_and_not1_b32 s9, s9, exec_lo
	s_and_b32 s4, s4, exec_lo
	s_delay_alu instid0(SALU_CYCLE_1)
	s_or_b32 s9, s9, s4
	s_and_not1_b32 exec_lo, exec_lo, s8
	s_cbranch_execz .LBB85_256
.LBB85_251:                             ;   Parent Loop BB85_15 Depth=1
                                        ; =>  This Inner Loop Header: Depth=2
	s_delay_alu instid0(VALU_DEP_1)
	v_cmp_gt_u64_e32 vcc_lo, s[24:25], v[4:5]
	v_mov_b32_e32 v6, 0
	s_and_saveexec_b32 s4, vcc_lo
	s_cbranch_execz .LBB85_253
; %bb.252:                              ;   in Loop: Header=BB85_251 Depth=2
	v_mad_u64_u32 v[6:7], null, v4, s42, s[50:51]
	v_mul_lo_u32 v8, v4, s43
	v_mul_lo_u32 v9, v5, s42
	s_delay_alu instid0(VALU_DEP_1)
	v_add3_u32 v7, v9, v7, v8
	global_load_u8 v6, v[6:7], off
.LBB85_253:                             ;   in Loop: Header=BB85_251 Depth=2
	s_or_b32 exec_lo, exec_lo, s4
	s_and_saveexec_b32 s4, vcc_lo
	s_cbranch_execz .LBB85_250
; %bb.254:                              ;   in Loop: Header=BB85_251 Depth=2
	s_waitcnt vmcnt(0)
	v_bfe_i32 v7, v6, 0, 8
	s_delay_alu instid0(VALU_DEP_1) | instskip(NEXT) | instid1(VALU_DEP_1)
	v_add_nc_u32_e32 v7, 0x80, v7
	v_and_b32_e32 v7, s89, v7
	s_delay_alu instid0(VALU_DEP_1)
	v_cmp_eq_u32_e32 vcc_lo, s88, v7
	s_and_b32 exec_lo, exec_lo, vcc_lo
	s_cbranch_execz .LBB85_250
; %bb.255:                              ;   in Loop: Header=BB85_251 Depth=2
	v_lshlrev_b16 v6, 8, v6
	s_delay_alu instid0(VALU_DEP_1)
	v_or_b32_e32 v6, 1, v6
	ds_store_b16 v13, v6 offset:3072
	s_branch .LBB85_250
.LBB85_256:                             ;   in Loop: Header=BB85_15 Depth=1
	s_or_b32 exec_lo, exec_lo, s8
	v_lshrrev_b16 v24, 8, v6
	s_and_b32 s23, s9, exec_lo
.LBB85_257:                             ;   in Loop: Header=BB85_15 Depth=1
	s_or_b32 exec_lo, exec_lo, s5
	s_mov_b32 s18, -1
	s_mov_b32 s8, 0
	s_mov_b32 s9, 0
.LBB85_258:                             ;   in Loop: Header=BB85_15 Depth=1
	s_mov_b32 s62, 0
                                        ; implicit-def: $sgpr56
                                        ; implicit-def: $sgpr4_sgpr5
	s_and_saveexec_b32 s58, s23
	s_cbranch_execz .LBB85_271
; %bb.259:                              ;   in Loop: Header=BB85_15 Depth=1
	s_xor_b32 s17, s17, -1
	s_mov_b64 s[4:5], 1
	s_and_not1_b32 vcc_lo, exec_lo, s17
	s_mov_b32 s56, 1
	s_cbranch_vccnz .LBB85_270
; %bb.260:                              ;   in Loop: Header=BB85_15 Depth=1
	v_cmp_gt_u64_e64 s4, s[54:55], s[6:7]
	s_delay_alu instid0(VALU_DEP_1)
	s_and_b32 vcc_lo, exec_lo, s4
	s_cbranch_vccnz .LBB85_266
; %bb.261:                              ;   in Loop: Header=BB85_15 Depth=1
	ds_load_b64 v[2:3], v13 offset:5120
	s_waitcnt lgkmcnt(0)
	v_cmp_ne_u64_e32 vcc_lo, 0, v[2:3]
	s_cbranch_vccnz .LBB85_265
; %bb.262:                              ;   in Loop: Header=BB85_15 Depth=1
	s_and_saveexec_b32 s4, s2
	s_cbranch_execz .LBB85_264
; %bb.263:                              ;   in Loop: Header=BB85_15 Depth=1
	v_dual_mov_b32 v2, s6 :: v_dual_mov_b32 v3, s7
	ds_store_b64 v13, v[2:3] offset:5128
.LBB85_264:                             ;   in Loop: Header=BB85_15 Depth=1
	s_or_b32 exec_lo, exec_lo, s4
	s_waitcnt lgkmcnt(0)
	s_barrier
	buffer_gl0_inv
.LBB85_265:                             ;   in Loop: Header=BB85_15 Depth=1
	s_or_b32 s17, s88, s16
	s_or_b32 s16, s89, s16
	s_mov_b32 s4, 0
	s_mov_b32 s56, 8
	s_branch .LBB85_267
.LBB85_266:                             ;   in Loop: Header=BB85_15 Depth=1
	s_mov_b32 s4, -1
                                        ; implicit-def: $sgpr56
                                        ; implicit-def: $sgpr17
                                        ; implicit-def: $sgpr16
.LBB85_267:                             ;   in Loop: Header=BB85_15 Depth=1
	s_delay_alu instid0(SALU_CYCLE_1)
	s_and_not1_b32 vcc_lo, exec_lo, s4
	s_cbranch_vccnz .LBB85_269
; %bb.268:                              ;   in Loop: Header=BB85_15 Depth=1
	s_sub_u32 s54, s54, s6
	s_subb_u32 s55, s55, s7
	s_mov_b32 s56, 8
	s_mov_b32 s17, s88
	;; [unrolled: 1-line block ×3, first 2 shown]
.LBB85_269:                             ;   in Loop: Header=BB85_15 Depth=1
	s_mov_b64 s[4:5], s[54:55]
	s_mov_b32 s88, s17
	s_mov_b32 s89, s16
.LBB85_270:                             ;   in Loop: Header=BB85_15 Depth=1
	s_mov_b32 s62, exec_lo
.LBB85_271:                             ;   in Loop: Header=BB85_15 Depth=1
	s_or_b32 exec_lo, exec_lo, s58
	s_mov_b64 s[54:55], s[4:5]
.LBB85_272:                             ;   in Loop: Header=BB85_15 Depth=1
	s_and_not1_b32 s4, s10, exec_lo
	s_and_b32 s5, s8, exec_lo
	s_and_not1_b32 s6, s11, exec_lo
	s_or_b32 s10, s4, s5
	s_and_not1_b32 s4, s21, exec_lo
	s_and_b32 s5, s18, exec_lo
	s_and_b32 s7, s9, exec_lo
	s_or_b32 s21, s4, s5
	s_or_b32 s11, s6, s7
	s_and_b32 s5, s62, exec_lo
.LBB85_273:                             ;   in Loop: Header=BB85_15 Depth=1
	s_or_b32 exec_lo, exec_lo, s22
.LBB85_274:                             ;   in Loop: Header=BB85_15 Depth=1
	s_delay_alu instid0(SALU_CYCLE_1)
	s_and_not1_b32 s4, s13, exec_lo
	s_and_b32 s6, s10, exec_lo
	s_and_not1_b32 s7, s12, exec_lo
	s_or_b32 s13, s4, s6
	s_and_not1_b32 s4, s19, exec_lo
	s_and_b32 s6, s21, exec_lo
	s_and_b32 s8, s11, exec_lo
	s_or_b32 s19, s4, s6
	s_or_b32 s12, s7, s8
	s_and_b32 s5, s5, exec_lo
.LBB85_275:                             ;   in Loop: Header=BB85_15 Depth=1
	s_or_b32 exec_lo, exec_lo, s20
	s_and_saveexec_b32 s4, s5
	s_delay_alu instid0(SALU_CYCLE_1)
	s_xor_b32 s4, exec_lo, s4
	s_cbranch_execz .LBB85_13
.LBB85_276:                             ;   in Loop: Header=BB85_15 Depth=1
	s_and_b32 s5, s56, -9
	s_delay_alu instid0(SALU_CYCLE_1)
	s_cmp_eq_u32 s5, 0
	s_cbranch_scc1 .LBB85_11
; %bb.277:                              ;   in Loop: Header=BB85_15 Depth=1
	s_mov_b32 s5, -1
	s_mov_b32 s6, -1
                                        ; implicit-def: $sgpr89
                                        ; implicit-def: $sgpr54_sgpr55
                                        ; implicit-def: $sgpr82
                                        ; implicit-def: $sgpr86
	s_branch .LBB85_12
.LBB85_278:                             ;   in Loop: Header=BB85_15 Depth=1
                                        ; implicit-def: $vgpr2_vgpr3
	s_branch .LBB85_230
.LBB85_279:                             ;   in Loop: Header=BB85_15 Depth=1
                                        ; implicit-def: $vgpr2_vgpr3
	s_branch .LBB85_247
.LBB85_280:
	s_or_b32 exec_lo, exec_lo, s79
	s_xor_b32 s4, s83, -1
	s_xor_b32 s1, s80, -1
	;; [unrolled: 1-line block ×3, first 2 shown]
	s_mov_b32 s2, 0
	s_and_saveexec_b32 s5, s1
	s_delay_alu instid0(SALU_CYCLE_1)
	s_xor_b32 s1, exec_lo, s5
	s_cbranch_execz .LBB85_297
; %bb.281:
	s_and_saveexec_b32 s2, s4
	s_delay_alu instid0(SALU_CYCLE_1)
	s_xor_b32 s2, exec_lo, s2
	s_cbranch_execz .LBB85_295
; %bb.282:
	s_and_saveexec_b32 s4, s3
	s_delay_alu instid0(SALU_CYCLE_1)
	s_xor_b32 s3, exec_lo, s4
; %bb.283:
	v_xor_b32_e32 v24, 0xffffff80, v2
; %bb.284:
	s_or_b32 exec_lo, exec_lo, s3
	s_mul_i32 s3, s46, s45
	s_mul_hi_u32 s4, s46, s44
	s_mul_i32 s5, s46, s44
	s_add_i32 s4, s4, s3
	s_sub_u32 s3, s34, s5
	s_subb_u32 s4, 0, s4
	s_mul_i32 s5, s3, s39
	s_mul_hi_u32 s6, s3, s38
	s_mul_i32 s4, s4, s38
	s_add_i32 s5, s6, s5
	s_mul_hi_u32 s6, s46, s36
	s_add_i32 s5, s5, s4
	s_mul_i32 s4, s46, s37
	s_mul_i32 s7, s46, s36
	s_add_i32 s6, s6, s4
	s_mul_i32 s3, s3, s38
	s_add_u32 s4, s52, s7
	v_mov_b32_e32 v2, 0
	s_addc_u32 s6, s53, s6
	s_add_u32 s4, s4, s3
	s_addc_u32 s5, s6, s5
	global_store_b8 v2, v24, s[4:5]
	s_and_saveexec_b32 s3, s0
	s_cbranch_execz .LBB85_294
; %bb.285:
	v_and_b32_e32 v4, 0xff, v24
	s_mov_b32 s0, 0
                                        ; implicit-def: $sgpr4
                                        ; implicit-def: $sgpr6
                                        ; implicit-def: $sgpr5
	s_set_inst_prefetch_distance 0x1
	s_branch .LBB85_287
	.p2align	6
.LBB85_286:                             ;   in Loop: Header=BB85_287 Depth=1
	s_or_b32 exec_lo, exec_lo, s7
	s_delay_alu instid0(SALU_CYCLE_1) | instskip(NEXT) | instid1(SALU_CYCLE_1)
	s_and_b32 s7, exec_lo, s6
	s_or_b32 s0, s7, s0
	s_and_not1_b32 s4, s4, exec_lo
	s_and_b32 s7, s5, exec_lo
	s_delay_alu instid0(SALU_CYCLE_1)
	s_or_b32 s4, s4, s7
	s_and_not1_b32 exec_lo, exec_lo, s0
	s_cbranch_execz .LBB85_292
.LBB85_287:                             ; =>This Inner Loop Header: Depth=1
	v_dual_mov_b32 v3, v1 :: v_dual_mov_b32 v2, v0
	s_or_b32 s5, s5, exec_lo
	s_or_b32 s6, s6, exec_lo
	s_delay_alu instid0(VALU_DEP_1) | instskip(NEXT) | instid1(VALU_DEP_2)
	v_mul_lo_u32 v6, v3, s42
	v_mad_u64_u32 v[0:1], null, v2, s42, s[50:51]
	v_mul_lo_u32 v5, v2, s43
	s_delay_alu instid0(VALU_DEP_1)
	v_add3_u32 v1, v6, v1, v5
	global_load_u8 v0, v[0:1], off
	s_waitcnt vmcnt(0)
	v_cmp_ne_u16_e32 vcc_lo, v0, v4
                                        ; implicit-def: $vgpr0_vgpr1
	s_and_saveexec_b32 s7, vcc_lo
	s_cbranch_execz .LBB85_286
; %bb.288:                              ;   in Loop: Header=BB85_287 Depth=1
	v_add_co_u32 v0, vcc_lo, v2, s33
	v_add_co_ci_u32_e32 v1, vcc_lo, 0, v3, vcc_lo
	s_and_not1_b32 s6, s6, exec_lo
	s_and_not1_b32 s5, s5, exec_lo
	s_delay_alu instid0(VALU_DEP_1) | instskip(SKIP_1) | instid1(SALU_CYCLE_1)
	v_cmp_le_u64_e32 vcc_lo, s[24:25], v[0:1]
	s_and_b32 s8, vcc_lo, exec_lo
	s_or_b32 s6, s6, s8
	s_branch .LBB85_286
.LBB85_289:
	v_cvt_f32_u32_e32 v1, s44
	s_sub_i32 s3, 0, s44
	s_delay_alu instid0(VALU_DEP_1) | instskip(SKIP_2) | instid1(VALU_DEP_1)
	v_rcp_iflag_f32_e32 v1, v1
	s_waitcnt_depctr 0xfff
	v_mul_f32_e32 v1, 0x4f7ffffe, v1
	v_cvt_u32_f32_e32 v1, v1
	s_delay_alu instid0(VALU_DEP_1) | instskip(NEXT) | instid1(VALU_DEP_1)
	v_readfirstlane_b32 s2, v1
	s_mul_i32 s3, s3, s2
	s_delay_alu instid0(SALU_CYCLE_1) | instskip(NEXT) | instid1(SALU_CYCLE_1)
	s_mul_hi_u32 s3, s2, s3
	s_add_i32 s2, s2, s3
	s_delay_alu instid0(SALU_CYCLE_1) | instskip(NEXT) | instid1(SALU_CYCLE_1)
	s_mul_hi_u32 s2, s34, s2
	s_mul_i32 s3, s2, s44
	s_add_i32 s4, s2, 1
	s_sub_i32 s3, s34, s3
	s_delay_alu instid0(SALU_CYCLE_1)
	s_sub_i32 s5, s3, s44
	s_cmp_ge_u32 s3, s44
	s_cselect_b32 s2, s4, s2
	s_cselect_b32 s3, s5, s3
	s_add_i32 s4, s2, 1
	s_cmp_ge_u32 s3, s44
	s_cselect_b32 s46, s4, s2
	s_load_b64 s[42:43], s[0:1], 0x4f0
	v_cmp_lt_u64_e64 s2, s[34:35], s[26:27]
	s_delay_alu instid0(VALU_DEP_1)
	s_and_b32 vcc_lo, exec_lo, s2
	s_cbranch_vccnz .LBB85_3
.LBB85_290:
	v_cvt_f32_u32_e32 v1, s26
	s_sub_i32 s3, 0, s26
	s_delay_alu instid0(VALU_DEP_1) | instskip(SKIP_2) | instid1(VALU_DEP_1)
	v_rcp_iflag_f32_e32 v1, v1
	s_waitcnt_depctr 0xfff
	v_mul_f32_e32 v1, 0x4f7ffffe, v1
	v_cvt_u32_f32_e32 v1, v1
	s_delay_alu instid0(VALU_DEP_1) | instskip(NEXT) | instid1(VALU_DEP_1)
	v_readfirstlane_b32 s2, v1
	s_mul_i32 s3, s3, s2
	s_delay_alu instid0(SALU_CYCLE_1) | instskip(NEXT) | instid1(SALU_CYCLE_1)
	s_mul_hi_u32 s3, s2, s3
	s_add_i32 s2, s2, s3
	s_delay_alu instid0(SALU_CYCLE_1) | instskip(NEXT) | instid1(SALU_CYCLE_1)
	s_mul_hi_u32 s2, s34, s2
	s_mul_i32 s3, s2, s26
	s_add_i32 s4, s2, 1
	s_sub_i32 s3, s34, s3
	s_delay_alu instid0(SALU_CYCLE_1)
	s_sub_i32 s5, s3, s26
	s_cmp_ge_u32 s3, s26
	s_cselect_b32 s2, s4, s2
	s_cselect_b32 s3, s5, s3
	s_add_i32 s4, s2, 1
	s_cmp_ge_u32 s3, s26
	s_cselect_b32 s40, s4, s2
	v_cmp_lt_u64_e64 s2, s[34:35], s[14:15]
	s_mov_b64 s[16:17], 0
	s_delay_alu instid0(VALU_DEP_1)
	s_and_b32 vcc_lo, exec_lo, s2
	s_cbranch_vccnz .LBB85_4
.LBB85_291:
	v_cvt_f32_u32_e32 v1, s14
	s_sub_i32 s3, 0, s14
	s_delay_alu instid0(VALU_DEP_1) | instskip(SKIP_2) | instid1(VALU_DEP_1)
	v_rcp_iflag_f32_e32 v1, v1
	s_waitcnt_depctr 0xfff
	v_mul_f32_e32 v1, 0x4f7ffffe, v1
	v_cvt_u32_f32_e32 v1, v1
	s_delay_alu instid0(VALU_DEP_1) | instskip(NEXT) | instid1(VALU_DEP_1)
	v_readfirstlane_b32 s2, v1
	s_mul_i32 s3, s3, s2
	s_delay_alu instid0(SALU_CYCLE_1) | instskip(NEXT) | instid1(SALU_CYCLE_1)
	s_mul_hi_u32 s3, s2, s3
	s_add_i32 s2, s2, s3
	s_delay_alu instid0(SALU_CYCLE_1) | instskip(NEXT) | instid1(SALU_CYCLE_1)
	s_mul_hi_u32 s2, s34, s2
	s_mul_i32 s3, s2, s14
	s_add_i32 s4, s2, 1
	s_sub_i32 s3, s34, s3
	s_delay_alu instid0(SALU_CYCLE_1)
	s_sub_i32 s5, s3, s14
	s_cmp_ge_u32 s3, s14
	s_cselect_b32 s2, s4, s2
	s_cselect_b32 s3, s5, s3
	s_add_i32 s4, s2, 1
	s_cmp_ge_u32 s3, s14
	s_cselect_b32 s16, s4, s2
	v_cmp_eq_u32_e64 s2, 0, v0
	s_delay_alu instid0(VALU_DEP_1)
	s_and_saveexec_b32 s3, s2
	s_cbranch_execnz .LBB85_5
	s_branch .LBB85_6
.LBB85_292:
	s_set_inst_prefetch_distance 0x2
	s_or_b32 exec_lo, exec_lo, s0
	s_and_saveexec_b32 s0, s4
	s_delay_alu instid0(SALU_CYCLE_1)
	s_xor_b32 s0, exec_lo, s0
	s_cbranch_execz .LBB85_294
; %bb.293:
	s_mul_i32 s0, s40, s27
	s_mul_hi_u32 s4, s40, s26
	s_mul_i32 s5, s40, s26
	s_add_i32 s4, s4, s0
	s_sub_u32 s0, s34, s5
	s_subb_u32 s4, 0, s4
	s_mul_i32 s5, s0, s31
	s_mul_hi_u32 s6, s0, s30
	s_mul_hi_u32 s7, s40, s28
	s_add_i32 s6, s6, s5
	s_mul_i32 s5, s40, s29
	s_mul_i32 s8, s4, s30
	s_add_i32 s5, s7, s5
	s_mul_i32 s4, s40, s28
	s_add_i32 s7, s6, s8
	s_lshl_b64 s[4:5], s[4:5], 3
	s_mul_i32 s6, s0, s30
	s_add_u32 s0, s48, s4
	s_addc_u32 s8, s49, s5
	s_lshl_b64 s[4:5], s[6:7], 3
	v_mov_b32_e32 v0, 0
	s_add_u32 s4, s0, s4
	s_addc_u32 s5, s8, s5
	global_store_b64 v0, v[2:3], s[4:5]
.LBB85_294:
	s_or_b32 exec_lo, exec_lo, s3
.LBB85_295:
	s_or_saveexec_b32 s0, s2
	s_mov_b32 s2, 0
	s_xor_b32 exec_lo, exec_lo, s0
	s_cbranch_execnz .LBB85_303
.LBB85_296:
	s_or_b32 exec_lo, exec_lo, s0
	s_delay_alu instid0(SALU_CYCLE_1)
	s_and_b32 s2, s2, exec_lo
.LBB85_297:
	s_and_not1_saveexec_b32 s0, s1
	s_cbranch_execnz .LBB85_301
; %bb.298:
	s_or_b32 exec_lo, exec_lo, s0
	s_and_saveexec_b32 s0, s2
.LBB85_299:
	; divergent unreachable
.LBB85_300:
	s_nop 0
	s_sendmsg sendmsg(MSG_DEALLOC_VGPRS)
	s_endpgm
.LBB85_301:
	s_cbranch_execnz .LBB85_305
; %bb.302:
	s_or_b32 s2, s2, exec_lo
	s_or_b32 exec_lo, exec_lo, s0
	s_and_saveexec_b32 s0, s2
	s_cbranch_execnz .LBB85_299
	s_branch .LBB85_300
.LBB85_303:
	s_cbranch_execnz .LBB85_307
; %bb.304:
	s_mov_b32 s2, exec_lo
	s_branch .LBB85_296
.LBB85_305:
	s_trap 2
	s_sendmsg_rtn_b32 s0, sendmsg(MSG_RTN_GET_DOORBELL)
	s_mov_b32 ttmp2, m0
	s_waitcnt lgkmcnt(0)
	s_and_b32 s0, s0, 0x3ff
	s_delay_alu instid0(SALU_CYCLE_1) | instskip(NEXT) | instid1(SALU_CYCLE_1)
	s_bitset1_b32 s0, 10
	s_mov_b32 m0, s0
	s_sendmsg sendmsg(MSG_INTERRUPT)
	s_mov_b32 m0, ttmp2
.LBB85_306:                             ; =>This Inner Loop Header: Depth=1
	s_sethalt 5
	s_branch .LBB85_306
.LBB85_307:
	s_trap 2
	s_sendmsg_rtn_b32 s0, sendmsg(MSG_RTN_GET_DOORBELL)
	s_mov_b32 ttmp2, m0
	s_waitcnt lgkmcnt(0)
	s_and_b32 s0, s0, 0x3ff
	s_delay_alu instid0(SALU_CYCLE_1) | instskip(NEXT) | instid1(SALU_CYCLE_1)
	s_bitset1_b32 s0, 10
	s_mov_b32 m0, s0
	s_sendmsg sendmsg(MSG_INTERRUPT)
	s_mov_b32 m0, ttmp2
.LBB85_308:                             ; =>This Inner Loop Header: Depth=1
	s_sethalt 5
	s_branch .LBB85_308
	.section	.rodata,"a",@progbits
	.p2align	6, 0x0
	.amdhsa_kernel _ZN2at6native12_GLOBAL__N_112gatherMedianIamLi2EEEvNS_4cuda6detail10TensorInfoIT_T0_EENS5_IlS7_EENS5_IKS6_S7_EES7_S7_S7_b
		.amdhsa_group_segment_fixed_size 5152
		.amdhsa_private_segment_fixed_size 0
		.amdhsa_kernarg_size 1536
		.amdhsa_user_sgpr_count 13
		.amdhsa_user_sgpr_dispatch_ptr 0
		.amdhsa_user_sgpr_queue_ptr 0
		.amdhsa_user_sgpr_kernarg_segment_ptr 1
		.amdhsa_user_sgpr_dispatch_id 0
		.amdhsa_user_sgpr_private_segment_size 0
		.amdhsa_wavefront_size32 1
		.amdhsa_uses_dynamic_stack 0
		.amdhsa_enable_private_segment 0
		.amdhsa_system_sgpr_workgroup_id_x 1
		.amdhsa_system_sgpr_workgroup_id_y 1
		.amdhsa_system_sgpr_workgroup_id_z 1
		.amdhsa_system_sgpr_workgroup_info 0
		.amdhsa_system_vgpr_workitem_id 0
		.amdhsa_next_free_vgpr 29
		.amdhsa_next_free_sgpr 92
		.amdhsa_reserve_vcc 1
		.amdhsa_float_round_mode_32 0
		.amdhsa_float_round_mode_16_64 0
		.amdhsa_float_denorm_mode_32 3
		.amdhsa_float_denorm_mode_16_64 3
		.amdhsa_dx10_clamp 1
		.amdhsa_ieee_mode 1
		.amdhsa_fp16_overflow 0
		.amdhsa_workgroup_processor_mode 1
		.amdhsa_memory_ordered 1
		.amdhsa_forward_progress 0
		.amdhsa_shared_vgpr_count 0
		.amdhsa_exception_fp_ieee_invalid_op 0
		.amdhsa_exception_fp_denorm_src 0
		.amdhsa_exception_fp_ieee_div_zero 0
		.amdhsa_exception_fp_ieee_overflow 0
		.amdhsa_exception_fp_ieee_underflow 0
		.amdhsa_exception_fp_ieee_inexact 0
		.amdhsa_exception_int_div_zero 0
	.end_amdhsa_kernel
	.section	.text._ZN2at6native12_GLOBAL__N_112gatherMedianIamLi2EEEvNS_4cuda6detail10TensorInfoIT_T0_EENS5_IlS7_EENS5_IKS6_S7_EES7_S7_S7_b,"axG",@progbits,_ZN2at6native12_GLOBAL__N_112gatherMedianIamLi2EEEvNS_4cuda6detail10TensorInfoIT_T0_EENS5_IlS7_EENS5_IKS6_S7_EES7_S7_S7_b,comdat
.Lfunc_end85:
	.size	_ZN2at6native12_GLOBAL__N_112gatherMedianIamLi2EEEvNS_4cuda6detail10TensorInfoIT_T0_EENS5_IlS7_EENS5_IKS6_S7_EES7_S7_S7_b, .Lfunc_end85-_ZN2at6native12_GLOBAL__N_112gatherMedianIamLi2EEEvNS_4cuda6detail10TensorInfoIT_T0_EENS5_IlS7_EENS5_IKS6_S7_EES7_S7_S7_b
                                        ; -- End function
	.section	.AMDGPU.csdata,"",@progbits
; Kernel info:
; codeLenInByte = 17080
; NumSgprs: 94
; NumVgprs: 29
; ScratchSize: 0
; MemoryBound: 0
; FloatMode: 240
; IeeeMode: 1
; LDSByteSize: 5152 bytes/workgroup (compile time only)
; SGPRBlocks: 11
; VGPRBlocks: 3
; NumSGPRsForWavesPerEU: 94
; NumVGPRsForWavesPerEU: 29
; Occupancy: 16
; WaveLimiterHint : 1
; COMPUTE_PGM_RSRC2:SCRATCH_EN: 0
; COMPUTE_PGM_RSRC2:USER_SGPR: 13
; COMPUTE_PGM_RSRC2:TRAP_HANDLER: 0
; COMPUTE_PGM_RSRC2:TGID_X_EN: 1
; COMPUTE_PGM_RSRC2:TGID_Y_EN: 1
; COMPUTE_PGM_RSRC2:TGID_Z_EN: 1
; COMPUTE_PGM_RSRC2:TIDIG_COMP_CNT: 0
	.section	.text._ZN2at6native12_GLOBAL__N_112gatherMedianIamLi3EEEvNS_4cuda6detail10TensorInfoIT_T0_EENS5_IlS7_EENS5_IKS6_S7_EES7_S7_S7_b,"axG",@progbits,_ZN2at6native12_GLOBAL__N_112gatherMedianIamLi3EEEvNS_4cuda6detail10TensorInfoIT_T0_EENS5_IlS7_EENS5_IKS6_S7_EES7_S7_S7_b,comdat
	.globl	_ZN2at6native12_GLOBAL__N_112gatherMedianIamLi3EEEvNS_4cuda6detail10TensorInfoIT_T0_EENS5_IlS7_EENS5_IKS6_S7_EES7_S7_S7_b ; -- Begin function _ZN2at6native12_GLOBAL__N_112gatherMedianIamLi3EEEvNS_4cuda6detail10TensorInfoIT_T0_EENS5_IlS7_EENS5_IKS6_S7_EES7_S7_S7_b
	.p2align	8
	.type	_ZN2at6native12_GLOBAL__N_112gatherMedianIamLi3EEEvNS_4cuda6detail10TensorInfoIT_T0_EENS5_IlS7_EENS5_IKS6_S7_EES7_S7_S7_b,@function
_ZN2at6native12_GLOBAL__N_112gatherMedianIamLi3EEEvNS_4cuda6detail10TensorInfoIT_T0_EENS5_IlS7_EENS5_IKS6_S7_EES7_S7_S7_b: ; @_ZN2at6native12_GLOBAL__N_112gatherMedianIamLi3EEEvNS_4cuda6detail10TensorInfoIT_T0_EENS5_IlS7_EENS5_IKS6_S7_EES7_S7_S7_b
; %bb.0:
	s_clause 0x1
	s_load_b64 s[16:17], s[0:1], 0x500
	s_load_b128 s[24:27], s[0:1], 0x4e0
	s_add_u32 s18, s0, 0x500
	s_addc_u32 s19, s1, 0
	s_mov_b32 s35, 0
	s_waitcnt lgkmcnt(0)
	s_mul_i32 s2, s17, s15
	s_delay_alu instid0(SALU_CYCLE_1) | instskip(NEXT) | instid1(SALU_CYCLE_1)
	s_add_i32 s2, s2, s14
	s_mul_i32 s2, s2, s16
	s_delay_alu instid0(SALU_CYCLE_1) | instskip(NEXT) | instid1(SALU_CYCLE_1)
	s_add_i32 s34, s2, s13
	v_cmp_ge_u64_e64 s2, s[34:35], s[26:27]
	s_delay_alu instid0(VALU_DEP_1)
	s_and_b32 vcc_lo, exec_lo, s2
	s_cbranch_vccnz .LBB86_306
; %bb.1:
	s_load_b128 s[36:39], s[0:1], 0x10
	s_mov_b64 s[50:51], 0
	s_mov_b64 s[52:53], 0
	s_waitcnt lgkmcnt(0)
	v_cmp_lt_u64_e64 s2, s[34:35], s[38:39]
	s_delay_alu instid0(VALU_DEP_1)
	s_and_b32 vcc_lo, exec_lo, s2
	s_cbranch_vccnz .LBB86_3
; %bb.2:
	v_cvt_f32_u32_e32 v1, s38
	s_sub_i32 s3, 0, s38
	s_mov_b32 s53, 0
	s_delay_alu instid0(VALU_DEP_1) | instskip(SKIP_2) | instid1(VALU_DEP_1)
	v_rcp_iflag_f32_e32 v1, v1
	s_waitcnt_depctr 0xfff
	v_mul_f32_e32 v1, 0x4f7ffffe, v1
	v_cvt_u32_f32_e32 v1, v1
	s_delay_alu instid0(VALU_DEP_1) | instskip(NEXT) | instid1(VALU_DEP_1)
	v_readfirstlane_b32 s2, v1
	s_mul_i32 s3, s3, s2
	s_delay_alu instid0(SALU_CYCLE_1) | instskip(NEXT) | instid1(SALU_CYCLE_1)
	s_mul_hi_u32 s3, s2, s3
	s_add_i32 s2, s2, s3
	s_delay_alu instid0(SALU_CYCLE_1) | instskip(NEXT) | instid1(SALU_CYCLE_1)
	s_mul_hi_u32 s2, s34, s2
	s_mul_i32 s3, s2, s38
	s_add_i32 s4, s2, 1
	s_sub_i32 s3, s34, s3
	s_delay_alu instid0(SALU_CYCLE_1)
	s_sub_i32 s5, s3, s38
	s_cmp_ge_u32 s3, s38
	s_cselect_b32 s2, s4, s2
	s_cselect_b32 s3, s5, s3
	s_add_i32 s4, s2, 1
	s_cmp_ge_u32 s3, s38
	s_cselect_b32 s52, s4, s2
.LBB86_3:
	s_load_b128 s[28:31], s[0:1], 0x1b0
	v_cmp_lt_u64_e64 s2, s[52:53], s[36:37]
	s_delay_alu instid0(VALU_DEP_1)
	s_and_b32 vcc_lo, exec_lo, s2
	s_cbranch_vccnz .LBB86_5
; %bb.4:
	v_cvt_f32_u32_e32 v1, s36
	s_sub_i32 s3, 0, s36
	s_delay_alu instid0(VALU_DEP_1) | instskip(SKIP_2) | instid1(VALU_DEP_1)
	v_rcp_iflag_f32_e32 v1, v1
	s_waitcnt_depctr 0xfff
	v_mul_f32_e32 v1, 0x4f7ffffe, v1
	v_cvt_u32_f32_e32 v1, v1
	s_delay_alu instid0(VALU_DEP_1) | instskip(NEXT) | instid1(VALU_DEP_1)
	v_readfirstlane_b32 s2, v1
	s_mul_i32 s3, s3, s2
	s_delay_alu instid0(SALU_CYCLE_1) | instskip(NEXT) | instid1(SALU_CYCLE_1)
	s_mul_hi_u32 s3, s2, s3
	s_add_i32 s2, s2, s3
	s_delay_alu instid0(SALU_CYCLE_1) | instskip(NEXT) | instid1(SALU_CYCLE_1)
	s_mul_hi_u32 s2, s52, s2
	s_mul_i32 s3, s2, s36
	s_add_i32 s4, s2, 1
	s_sub_i32 s3, s52, s3
	s_delay_alu instid0(SALU_CYCLE_1)
	s_sub_i32 s5, s3, s36
	s_cmp_ge_u32 s3, s36
	s_cselect_b32 s2, s4, s2
	s_cselect_b32 s3, s5, s3
	s_add_i32 s4, s2, 1
	s_cmp_ge_u32 s3, s36
	s_cselect_b32 s50, s4, s2
.LBB86_5:
	s_waitcnt lgkmcnt(0)
	v_cmp_lt_u64_e64 s2, s[34:35], s[30:31]
	s_mov_b64 s[26:27], 0
	s_mov_b64 s[48:49], 0
	s_delay_alu instid0(VALU_DEP_1)
	s_and_b32 vcc_lo, exec_lo, s2
	s_cbranch_vccnz .LBB86_7
; %bb.6:
	v_cvt_f32_u32_e32 v1, s30
	s_sub_i32 s3, 0, s30
	s_mov_b32 s49, 0
	s_delay_alu instid0(VALU_DEP_1) | instskip(SKIP_2) | instid1(VALU_DEP_1)
	v_rcp_iflag_f32_e32 v1, v1
	s_waitcnt_depctr 0xfff
	v_mul_f32_e32 v1, 0x4f7ffffe, v1
	v_cvt_u32_f32_e32 v1, v1
	s_delay_alu instid0(VALU_DEP_1) | instskip(NEXT) | instid1(VALU_DEP_1)
	v_readfirstlane_b32 s2, v1
	s_mul_i32 s3, s3, s2
	s_delay_alu instid0(SALU_CYCLE_1) | instskip(NEXT) | instid1(SALU_CYCLE_1)
	s_mul_hi_u32 s3, s2, s3
	s_add_i32 s2, s2, s3
	s_delay_alu instid0(SALU_CYCLE_1) | instskip(NEXT) | instid1(SALU_CYCLE_1)
	s_mul_hi_u32 s2, s34, s2
	s_mul_i32 s3, s2, s30
	s_add_i32 s4, s2, 1
	s_sub_i32 s3, s34, s3
	s_delay_alu instid0(SALU_CYCLE_1)
	s_sub_i32 s5, s3, s30
	s_cmp_ge_u32 s3, s30
	s_cselect_b32 s2, s4, s2
	s_cselect_b32 s3, s5, s3
	s_add_i32 s4, s2, 1
	s_cmp_ge_u32 s3, s30
	s_cselect_b32 s48, s4, s2
.LBB86_7:
	s_load_b128 s[4:7], s[0:1], 0x350
	v_cmp_lt_u64_e64 s2, s[48:49], s[28:29]
	s_delay_alu instid0(VALU_DEP_1)
	s_and_b32 vcc_lo, exec_lo, s2
	s_cbranch_vccnz .LBB86_9
; %bb.8:
	v_cvt_f32_u32_e32 v1, s28
	s_sub_i32 s3, 0, s28
	s_delay_alu instid0(VALU_DEP_1) | instskip(SKIP_2) | instid1(VALU_DEP_1)
	v_rcp_iflag_f32_e32 v1, v1
	s_waitcnt_depctr 0xfff
	v_mul_f32_e32 v1, 0x4f7ffffe, v1
	v_cvt_u32_f32_e32 v1, v1
	s_delay_alu instid0(VALU_DEP_1) | instskip(NEXT) | instid1(VALU_DEP_1)
	v_readfirstlane_b32 s2, v1
	s_mul_i32 s3, s3, s2
	s_delay_alu instid0(SALU_CYCLE_1) | instskip(NEXT) | instid1(SALU_CYCLE_1)
	s_mul_hi_u32 s3, s2, s3
	s_add_i32 s2, s2, s3
	s_delay_alu instid0(SALU_CYCLE_1) | instskip(NEXT) | instid1(SALU_CYCLE_1)
	s_mul_hi_u32 s2, s48, s2
	s_mul_i32 s3, s2, s28
	s_add_i32 s8, s2, 1
	s_sub_i32 s3, s48, s3
	s_delay_alu instid0(SALU_CYCLE_1)
	s_sub_i32 s9, s3, s28
	s_cmp_ge_u32 s3, s28
	s_cselect_b32 s2, s8, s2
	s_cselect_b32 s3, s9, s3
	s_add_i32 s8, s2, 1
	s_cmp_ge_u32 s3, s28
	s_cselect_b32 s26, s8, s2
.LBB86_9:
	s_load_b64 s[54:55], s[0:1], 0x4f0
	s_waitcnt lgkmcnt(0)
	v_cmp_lt_u64_e64 s2, s[34:35], s[6:7]
	s_mov_b64 s[14:15], 0
	s_mov_b64 s[20:21], 0
	s_delay_alu instid0(VALU_DEP_1)
	s_and_b32 vcc_lo, exec_lo, s2
	s_cbranch_vccnz .LBB86_11
; %bb.10:
	v_cvt_f32_u32_e32 v1, s6
	s_sub_i32 s3, 0, s6
	s_mov_b32 s21, 0
	s_delay_alu instid0(VALU_DEP_1) | instskip(SKIP_2) | instid1(VALU_DEP_1)
	v_rcp_iflag_f32_e32 v1, v1
	s_waitcnt_depctr 0xfff
	v_mul_f32_e32 v1, 0x4f7ffffe, v1
	v_cvt_u32_f32_e32 v1, v1
	s_delay_alu instid0(VALU_DEP_1) | instskip(NEXT) | instid1(VALU_DEP_1)
	v_readfirstlane_b32 s2, v1
	s_mul_i32 s3, s3, s2
	s_delay_alu instid0(SALU_CYCLE_1) | instskip(NEXT) | instid1(SALU_CYCLE_1)
	s_mul_hi_u32 s3, s2, s3
	s_add_i32 s2, s2, s3
	s_delay_alu instid0(SALU_CYCLE_1) | instskip(NEXT) | instid1(SALU_CYCLE_1)
	s_mul_hi_u32 s2, s34, s2
	s_mul_i32 s3, s2, s6
	s_add_i32 s8, s2, 1
	s_sub_i32 s3, s34, s3
	s_delay_alu instid0(SALU_CYCLE_1)
	s_sub_i32 s9, s3, s6
	s_cmp_ge_u32 s3, s6
	s_cselect_b32 s2, s8, s2
	s_cselect_b32 s3, s9, s3
	s_add_i32 s8, s2, 1
	s_cmp_ge_u32 s3, s6
	s_cselect_b32 s20, s8, s2
.LBB86_11:
	s_delay_alu instid0(SALU_CYCLE_1) | instskip(NEXT) | instid1(VALU_DEP_1)
	v_cmp_lt_u64_e64 s2, s[20:21], s[4:5]
	s_and_b32 vcc_lo, exec_lo, s2
	s_cbranch_vccnz .LBB86_13
; %bb.12:
	v_cvt_f32_u32_e32 v1, s4
	s_sub_i32 s3, 0, s4
	s_delay_alu instid0(VALU_DEP_1) | instskip(SKIP_2) | instid1(VALU_DEP_1)
	v_rcp_iflag_f32_e32 v1, v1
	s_waitcnt_depctr 0xfff
	v_mul_f32_e32 v1, 0x4f7ffffe, v1
	v_cvt_u32_f32_e32 v1, v1
	s_delay_alu instid0(VALU_DEP_1) | instskip(NEXT) | instid1(VALU_DEP_1)
	v_readfirstlane_b32 s2, v1
	s_mul_i32 s3, s3, s2
	s_delay_alu instid0(SALU_CYCLE_1) | instskip(NEXT) | instid1(SALU_CYCLE_1)
	s_mul_hi_u32 s3, s2, s3
	s_add_i32 s2, s2, s3
	s_delay_alu instid0(SALU_CYCLE_1) | instskip(NEXT) | instid1(SALU_CYCLE_1)
	s_mul_hi_u32 s2, s20, s2
	s_mul_i32 s3, s2, s4
	s_add_i32 s8, s2, 1
	s_sub_i32 s3, s20, s3
	s_delay_alu instid0(SALU_CYCLE_1)
	s_sub_i32 s9, s3, s4
	s_cmp_ge_u32 s3, s4
	s_cselect_b32 s2, s8, s2
	s_cselect_b32 s3, s9, s3
	s_add_i32 s8, s2, 1
	s_cmp_ge_u32 s3, s4
	s_cselect_b32 s14, s8, s2
.LBB86_13:
	s_clause 0x1
	s_load_b64 s[22:23], s[0:1], 0x420
	s_load_b128 s[8:11], s[0:1], 0x410
	v_cmp_eq_u32_e64 s2, 0, v0
	s_delay_alu instid0(VALU_DEP_1)
	s_and_saveexec_b32 s3, s2
	s_cbranch_execz .LBB86_15
; %bb.14:
	v_mov_b32_e32 v1, 0
	s_delay_alu instid0(VALU_DEP_1)
	v_mov_b32_e32 v2, v1
	ds_store_b64 v1, v[1:2] offset:5136
.LBB86_15:
	s_or_b32 exec_lo, exec_lo, s3
	v_mov_b32_e32 v1, 0
	s_waitcnt lgkmcnt(0)
	s_barrier
	buffer_gl0_inv
	s_barrier
	buffer_gl0_inv
	ds_load_b64 v[1:2], v1 offset:5136
	s_clause 0x5
	s_load_b32 s3, s[0:1], 0x4f8
	s_load_b64 s[62:63], s[0:1], 0x340
	s_load_b64 s[56:57], s[0:1], 0x280
	s_load_b128 s[40:43], s[0:1], 0x270
	s_load_b64 s[60:61], s[0:1], 0xe0
	s_load_b128 s[44:47], s[0:1], 0xd0
	s_mov_b64 s[66:67], s[24:25]
	s_waitcnt lgkmcnt(0)
	s_bitcmp1_b32 s3, 0
	v_readfirstlane_b32 s58, v1
	v_readfirstlane_b32 s59, v2
	s_cselect_b32 s3, -1, 0
	s_delay_alu instid0(VALU_DEP_1) | instskip(NEXT) | instid1(VALU_DEP_1)
	v_cmp_lt_i64_e64 s12, s[58:59], 1
	s_or_b32 s3, s3, s12
	s_delay_alu instid0(SALU_CYCLE_1)
	s_and_not1_b32 vcc_lo, exec_lo, s3
	s_cbranch_vccnz .LBB86_17
; %bb.16:
	s_not_b64 s[58:59], s[58:59]
	s_delay_alu instid0(SALU_CYCLE_1) | instskip(SKIP_1) | instid1(SALU_CYCLE_1)
	s_add_u32 s58, s58, s24
	s_addc_u32 s59, s59, s25
	s_lshr_b64 s[58:59], s[58:59], 1
	s_delay_alu instid0(SALU_CYCLE_1)
	s_add_u32 s66, s58, 1
	s_addc_u32 s67, s59, 0
.LBB86_17:
	s_clause 0x1
	s_load_b64 s[58:59], s[0:1], 0x1a0
	s_load_b64 s[64:65], s[0:1], 0x0
	s_and_saveexec_b32 s0, s2
	s_cbranch_execz .LBB86_19
; %bb.18:
	v_dual_mov_b32 v1, 0 :: v_dual_mov_b32 v4, s25
	s_delay_alu instid0(VALU_DEP_1)
	v_dual_mov_b32 v3, s24 :: v_dual_mov_b32 v2, v1
	ds_store_b32 v1, v1 offset:5144
	ds_store_b128 v1, v[1:4] offset:5120
.LBB86_19:
	s_or_b32 exec_lo, exec_lo, s0
	s_mul_i32 s0, s20, s7
	s_mul_hi_u32 s1, s20, s6
	s_mul_i32 s3, s20, s6
	s_add_i32 s1, s1, s0
	s_sub_u32 s0, s34, s3
	s_subb_u32 s1, 0, s1
	s_mul_i32 s3, s0, s23
	s_mul_hi_u32 s6, s0, s22
	s_mul_i32 s1, s1, s22
	s_add_i32 s3, s6, s3
	s_mul_i32 s7, s14, s8
	s_add_i32 s3, s3, s1
	s_mul_i32 s1, s14, s5
	s_mul_hi_u32 s5, s14, s4
	s_mul_i32 s4, s14, s4
	s_add_i32 s5, s5, s1
	s_sub_u32 s1, s20, s4
	s_subb_u32 s5, s21, s5
	s_mul_i32 s4, s1, s11
	s_mul_hi_u32 s6, s1, s10
	s_mul_i32 s5, s5, s10
	s_add_i32 s4, s6, s4
	s_mul_hi_u32 s6, s14, s8
	s_add_i32 s4, s4, s5
	s_mul_i32 s5, s14, s9
	s_mul_i32 s1, s1, s10
	s_add_i32 s6, s6, s5
	s_add_u32 s5, s62, s7
	s_addc_u32 s6, s63, s6
	s_mul_i32 s0, s0, s22
	s_add_u32 s1, s5, s1
	s_addc_u32 s4, s6, s4
	s_add_u32 s62, s1, s0
	s_addc_u32 s63, s4, s3
	s_waitcnt lgkmcnt(0)
	s_barrier
	buffer_gl0_inv
	s_load_b32 s4, s[18:19], 0xc
	v_mad_u64_u32 v[10:11], null, v0, s54, s[62:63]
	v_mbcnt_lo_u32_b32 v20, -1, 0
	v_mov_b32_e32 v13, 0
	v_cmp_gt_u32_e32 vcc_lo, 32, v0
	v_cmp_lt_u64_e64 s35, 0xc00, s[24:25]
	v_lshlrev_b32_e32 v14, 2, v0
	v_cmp_gt_i32_e64 s3, 4, v20
	v_dual_mov_b32 v2, v11 :: v_dual_mov_b32 v1, v13
	v_cmp_eq_u32_e64 s1, 0, v20
	v_mov_b32_e32 v15, v13
	s_delay_alu instid0(VALU_DEP_4) | instskip(NEXT) | instid1(VALU_DEP_3)
	s_and_b32 s33, vcc_lo, s3
	v_mad_u64_u32 v[3:4], null, v0, s55, v[2:3]
	v_lshrrev_b32_e32 v4, 3, v0
	v_cmp_gt_u64_e64 s0, s[24:25], v[0:1]
	v_cmp_gt_u32_e64 s3, 2, v0
	v_lshl_or_b32 v23, v20, 3, 0xc00
	s_waitcnt lgkmcnt(0)
	s_and_b32 s27, s4, 0xffff
	s_bfe_u32 s5, s4, 0xb0005
	s_add_u32 s51, s27, -1
	s_addc_u32 s84, 0, -1
	s_add_u32 s85, s51, s24
	s_addc_u32 s71, s84, s25
	s_cmp_lt_u32 s13, s16
	v_dual_mov_b32 v11, v3 :: v_dual_mov_b32 v24, 0
	s_cselect_b32 s6, 12, 18
	v_lshlrev_b64 v[2:3], v20, -1
	s_add_u32 s72, s18, s6
	s_addc_u32 s73, s19, 0
	s_add_i32 s6, s5, -1
	s_bfe_u32 s86, s27, 0x30005
	s_cmp_gt_u32 s6, 6
	v_and_b32_e32 v21, 0x7c, v4
	v_not_b32_e32 v22, v2
	v_cmp_gt_u16_e64 s87, s4, 31
	s_cselect_b32 s88, -1, 0
	s_and_b32 s89, s5, 0x7f8
	s_cmp_lg_u32 s86, 0
	s_mov_b32 s69, 0
	s_mov_b32 s94, 6
	s_cselect_b32 s90, -1, 0
	s_mov_b32 s91, 0
	s_mov_b32 s98, 0
	s_mov_b32 s100, 0
	s_mov_b32 s101, 0
                                        ; implicit-def: $sgpr92
                                        ; implicit-def: $sgpr95
                                        ; implicit-def: $sgpr93
                                        ; implicit-def: $sgpr97
                                        ; implicit-def: $sgpr99
                                        ; implicit-def: $sgpr96
	s_branch .LBB86_24
.LBB86_20:                              ;   in Loop: Header=BB86_24 Depth=1
	s_xor_b32 s98, s98, 1
	s_add_i32 s7, s94, -2
	s_cmp_eq_u32 s94, 0
	s_mov_b32 s5, 0
	s_cselect_b32 s6, -1, 0
	s_mov_b32 s94, s7
.LBB86_21:                              ;   in Loop: Header=BB86_24 Depth=1
	s_and_not1_b32 s7, s13, exec_lo
	s_and_b32 s5, s5, exec_lo
	s_and_not1_b32 s19, s19, exec_lo
	s_or_b32 s13, s7, s5
	s_and_not1_b32 s12, s12, exec_lo
	s_or_not1_b32 s15, s6, exec_lo
.LBB86_22:                              ;   in Loop: Header=BB86_24 Depth=1
	s_or_b32 exec_lo, exec_lo, s4
	s_delay_alu instid0(SALU_CYCLE_1)
	s_and_not1_b32 s4, s96, exec_lo
	s_and_b32 s5, s13, exec_lo
	s_and_not1_b32 s6, s97, exec_lo
	s_or_b32 s96, s4, s5
	s_and_not1_b32 s4, s99, exec_lo
	s_and_b32 s5, s19, exec_lo
	s_and_b32 s7, s12, exec_lo
	s_or_b32 s99, s4, s5
	s_or_b32 s97, s6, s7
	s_or_not1_b32 s19, s15, exec_lo
.LBB86_23:                              ;   in Loop: Header=BB86_24 Depth=1
	s_or_b32 exec_lo, exec_lo, s14
	s_delay_alu instid0(SALU_CYCLE_1)
	s_and_b32 s4, exec_lo, s19
	v_mov_b32_e32 v2, s100
	s_or_b32 s91, s4, s91
	s_and_not1_b32 s4, s93, exec_lo
	s_and_b32 s5, s96, exec_lo
	s_and_not1_b32 s6, s92, exec_lo
	s_or_b32 s93, s4, s5
	s_and_not1_b32 s4, s95, exec_lo
	s_and_b32 s5, s99, exec_lo
	s_and_b32 s7, s97, exec_lo
	s_or_b32 s95, s4, s5
	s_or_b32 s92, s6, s7
	s_and_not1_b32 exec_lo, exec_lo, s91
	s_cbranch_execz .LBB86_289
.LBB86_24:                              ; =>This Loop Header: Depth=1
                                        ;     Child Loop BB86_29 Depth 2
                                        ;     Child Loop BB86_47 Depth 2
	;; [unrolled: 1-line block ×16, first 2 shown]
	ds_load_b128 v[2:5], v13 offset:5120
	s_waitcnt lgkmcnt(0)
	v_readfirstlane_b32 s75, v3
	v_readfirstlane_b32 s74, v2
	s_delay_alu instid0(VALU_DEP_1)
	s_cmp_lg_u64 s[74:75], 0
	s_cbranch_scc1 .LBB86_54
; %bb.25:                               ;   in Loop: Header=BB86_24 Depth=1
	s_and_b32 vcc_lo, exec_lo, s35
	s_cbranch_vccz .LBB86_37
; %bb.26:                               ;   in Loop: Header=BB86_24 Depth=1
	v_cmp_gt_u64_e32 vcc_lo, 0xc01, v[4:5]
	s_mov_b32 s6, 0
	s_mov_b32 s4, 0
	s_cbranch_vccz .LBB86_38
; %bb.27:                               ;   in Loop: Header=BB86_24 Depth=1
	global_load_u16 v2, v13, s[72:73]
	global_load_u8 v5, v[10:11], off
	s_mov_b32 s7, 0
	s_waitcnt vmcnt(1)
	v_dual_mov_b32 v3, v1 :: v_dual_and_b32 v4, 0xffff, v2
	v_mov_b32_e32 v2, v0
	s_branch .LBB86_29
.LBB86_28:                              ;   in Loop: Header=BB86_29 Depth=2
	s_or_b32 exec_lo, exec_lo, s5
	v_mov_b32_e32 v5, v6
	s_and_not1_b32 exec_lo, exec_lo, s7
	s_cbranch_execz .LBB86_39
.LBB86_29:                              ;   Parent Loop BB86_24 Depth=1
                                        ; =>  This Inner Loop Header: Depth=2
	s_delay_alu instid0(VALU_DEP_1) | instskip(NEXT) | instid1(VALU_DEP_3)
	v_add_co_u32 v2, vcc_lo, v2, v4
	v_add_co_ci_u32_e32 v3, vcc_lo, 0, v3, vcc_lo
	s_waitcnt lgkmcnt(0)
	v_dual_mov_b32 v7, 0 :: v_dual_mov_b32 v6, 0
	s_mov_b32 s5, exec_lo
	s_delay_alu instid0(VALU_DEP_2)
	v_cmp_le_u64_e32 vcc_lo, s[24:25], v[2:3]
	v_cmpx_gt_u64_e64 s[24:25], v[2:3]
	s_cbranch_execz .LBB86_31
; %bb.30:                               ;   in Loop: Header=BB86_29 Depth=2
	v_mad_u64_u32 v[8:9], null, v2, s54, s[62:63]
	v_mul_lo_u32 v6, v2, s55
	v_mul_lo_u32 v12, v3, s54
	s_delay_alu instid0(VALU_DEP_1)
	v_add3_u32 v9, v12, v9, v6
	global_load_u8 v6, v[8:9], off
.LBB86_31:                              ;   in Loop: Header=BB86_29 Depth=2
	s_or_b32 exec_lo, exec_lo, s5
	s_waitcnt vmcnt(0)
	v_bfe_i32 v8, v5, 0, 8
	s_delay_alu instid0(VALU_DEP_1) | instskip(NEXT) | instid1(VALU_DEP_1)
	v_add_nc_u32_e32 v8, 0x80, v8
	v_and_b32_e32 v8, s101, v8
	s_delay_alu instid0(VALU_DEP_1) | instskip(NEXT) | instid1(VALU_DEP_1)
	v_cmp_eq_u32_e64 s4, s100, v8
	s_cmp_lg_u32 s4, 0
	s_cselect_b32 s5, -1, 0
	s_delay_alu instid0(SALU_CYCLE_1) | instskip(NEXT) | instid1(SALU_CYCLE_1)
	s_and_b32 s5, s1, s5
	s_and_saveexec_b32 s8, s5
	s_cbranch_execz .LBB86_35
; %bb.32:                               ;   in Loop: Header=BB86_29 Depth=2
	s_mov_b32 s11, exec_lo
	s_bcnt1_i32_b32 s9, s4
	v_mbcnt_lo_u32_b32 v7, s11, 0
	s_mov_b32 s10, exec_lo
                                        ; implicit-def: $vgpr8
	s_delay_alu instid0(VALU_DEP_1)
	v_cmpx_eq_u32_e32 0, v7
	s_cbranch_execz .LBB86_34
; %bb.33:                               ;   in Loop: Header=BB86_29 Depth=2
	s_bcnt1_i32_b32 s5, s11
	s_delay_alu instid0(SALU_CYCLE_1) | instskip(NEXT) | instid1(SALU_CYCLE_1)
	s_mul_i32 s5, s9, s5
	v_mov_b32_e32 v8, s5
	ds_add_rtn_u32 v8, v13, v8 offset:5144
.LBB86_34:                              ;   in Loop: Header=BB86_29 Depth=2
	s_or_b32 exec_lo, exec_lo, s10
	s_waitcnt lgkmcnt(0)
	v_readfirstlane_b32 s5, v8
	s_delay_alu instid0(VALU_DEP_1)
	v_mad_u32_u24 v7, s9, v7, s5
.LBB86_35:                              ;   in Loop: Header=BB86_29 Depth=2
	s_or_b32 exec_lo, exec_lo, s8
	ds_bpermute_b32 v7, v13, v7
	s_and_b32 s5, exec_lo, vcc_lo
	s_delay_alu instid0(SALU_CYCLE_1)
	s_or_b32 s7, s5, s7
	s_and_saveexec_b32 s5, s4
	s_cbranch_execz .LBB86_28
; %bb.36:                               ;   in Loop: Header=BB86_29 Depth=2
	v_and_b32_e32 v8, s4, v22
	s_waitcnt lgkmcnt(0)
	s_delay_alu instid0(VALU_DEP_1)
	v_bcnt_u32_b32 v7, v8, v7
	ds_store_b8 v7, v5
	s_branch .LBB86_28
.LBB86_37:                              ;   in Loop: Header=BB86_24 Depth=1
	s_mov_b32 s4, 0
                                        ; implicit-def: $sgpr74_sgpr75
	s_cbranch_execnz .LBB86_42
	s_branch .LBB86_52
.LBB86_38:                              ;   in Loop: Header=BB86_24 Depth=1
	s_mov_b64 s[74:75], 0
	s_and_b32 vcc_lo, exec_lo, s6
	s_cbranch_vccnz .LBB86_42
	s_branch .LBB86_52
.LBB86_39:                              ;   in Loop: Header=BB86_24 Depth=1
	s_or_b32 exec_lo, exec_lo, s7
	s_waitcnt lgkmcnt(0)
	s_barrier
	buffer_gl0_inv
	s_and_saveexec_b32 s4, s2
	s_cbranch_execz .LBB86_41
; %bb.40:                               ;   in Loop: Header=BB86_24 Depth=1
	ds_load_b32 v2, v13 offset:5144
	s_waitcnt lgkmcnt(0)
	v_ashrrev_i32_e32 v3, 31, v2
	ds_store_b64 v13, v[2:3] offset:5120
.LBB86_41:                              ;   in Loop: Header=BB86_24 Depth=1
	s_or_b32 exec_lo, exec_lo, s4
	s_waitcnt lgkmcnt(0)
	s_mov_b32 s4, -1
	s_barrier
	s_mov_b64 s[74:75], 0
	s_and_b32 vcc_lo, exec_lo, s6
	s_cbranch_vccz .LBB86_52
.LBB86_42:                              ;   in Loop: Header=BB86_24 Depth=1
	v_mov_b32_e32 v4, 0
	s_and_saveexec_b32 s4, s0
	s_cbranch_execz .LBB86_44
; %bb.43:                               ;   in Loop: Header=BB86_24 Depth=1
	global_load_u8 v4, v[10:11], off
.LBB86_44:                              ;   in Loop: Header=BB86_24 Depth=1
	s_or_b32 exec_lo, exec_lo, s4
	s_and_saveexec_b32 s5, s0
	s_cbranch_execz .LBB86_49
; %bb.45:                               ;   in Loop: Header=BB86_24 Depth=1
	global_load_u16 v2, v13, s[72:73]
	v_mov_b32_e32 v5, v0
	s_mov_b32 s6, 0
	s_waitcnt vmcnt(0)
	v_dual_mov_b32 v3, v1 :: v_dual_and_b32 v6, 0xffff, v2
	v_mov_b32_e32 v2, v0
	s_set_inst_prefetch_distance 0x1
	s_branch .LBB86_47
	.p2align	6
.LBB86_46:                              ;   in Loop: Header=BB86_47 Depth=2
	s_or_b32 exec_lo, exec_lo, s7
	ds_store_b8 v5, v4
	s_waitcnt vmcnt(0)
	v_dual_mov_b32 v4, v7 :: v_dual_add_nc_u32 v5, v5, v6
	s_and_b32 s4, exec_lo, vcc_lo
	s_delay_alu instid0(SALU_CYCLE_1) | instskip(NEXT) | instid1(SALU_CYCLE_1)
	s_or_b32 s6, s4, s6
	s_and_not1_b32 exec_lo, exec_lo, s6
	s_cbranch_execz .LBB86_49
.LBB86_47:                              ;   Parent Loop BB86_24 Depth=1
                                        ; =>  This Inner Loop Header: Depth=2
	s_delay_alu instid0(VALU_DEP_1) | instskip(SKIP_3) | instid1(VALU_DEP_2)
	v_add_co_u32 v2, vcc_lo, v2, v6
	v_add_co_ci_u32_e32 v3, vcc_lo, 0, v3, vcc_lo
	v_mov_b32_e32 v7, 0
	s_mov_b32 s7, exec_lo
	v_cmp_le_u64_e32 vcc_lo, s[24:25], v[2:3]
	v_cmpx_gt_u64_e64 s[24:25], v[2:3]
	s_cbranch_execz .LBB86_46
; %bb.48:                               ;   in Loop: Header=BB86_47 Depth=2
	v_mad_u64_u32 v[7:8], null, v2, s54, s[62:63]
	v_mul_lo_u32 v9, v2, s55
	v_mul_lo_u32 v12, v3, s54
	s_delay_alu instid0(VALU_DEP_1)
	v_add3_u32 v8, v12, v8, v9
	global_load_u8 v7, v[7:8], off
	s_branch .LBB86_46
.LBB86_49:                              ;   in Loop: Header=BB86_24 Depth=1
	s_set_inst_prefetch_distance 0x2
	s_or_b32 exec_lo, exec_lo, s5
	s_waitcnt vmcnt(0) lgkmcnt(0)
	s_barrier
	buffer_gl0_inv
	s_and_saveexec_b32 s4, s2
	s_cbranch_execz .LBB86_51
; %bb.50:                               ;   in Loop: Header=BB86_24 Depth=1
	v_dual_mov_b32 v2, s24 :: v_dual_mov_b32 v3, s25
	ds_store_b64 v13, v[2:3] offset:5120
.LBB86_51:                              ;   in Loop: Header=BB86_24 Depth=1
	s_or_b32 exec_lo, exec_lo, s4
	s_mov_b32 s4, -1
	s_waitcnt lgkmcnt(0)
	s_barrier
                                        ; implicit-def: $sgpr74_sgpr75
.LBB86_52:                              ;   in Loop: Header=BB86_24 Depth=1
	s_and_b32 vcc_lo, exec_lo, s4
	s_cbranch_vccz .LBB86_54
; %bb.53:                               ;   in Loop: Header=BB86_24 Depth=1
	buffer_gl0_inv
	ds_load_b64 v[2:3], v13 offset:5120
	s_waitcnt lgkmcnt(0)
	v_readfirstlane_b32 s74, v2
.LBB86_54:                              ;   in Loop: Header=BB86_24 Depth=1
	s_delay_alu instid0(VALU_DEP_1)
	s_cmp_lt_i32 s74, 1
	s_cbranch_scc0 .LBB86_69
; %bb.55:                               ;   in Loop: Header=BB86_24 Depth=1
	global_load_u16 v25, v13, s[72:73]
	s_mov_b32 s5, s25
	s_waitcnt vmcnt(0)
	v_readfirstlane_b32 s4, v25
	s_delay_alu instid0(VALU_DEP_1)
	s_and_b32 s6, 0xffff, s4
	s_mov_b32 s4, s69
	s_lshl_b32 s68, s6, 2
	s_cmp_lg_u64 s[4:5], 0
	s_cbranch_scc0 .LBB86_89
; %bb.56:                               ;   in Loop: Header=BB86_24 Depth=1
	v_cvt_f32_u32_e32 v2, s68
	s_sub_u32 s6, 0, s68
	s_subb_u32 s7, 0, 0
	s_delay_alu instid0(VALU_DEP_1) | instskip(NEXT) | instid1(VALU_DEP_1)
	v_fmac_f32_e64 v2, 0, 0x4f800000
	v_rcp_f32_e32 v2, v2
	s_waitcnt_depctr 0xfff
	v_mul_f32_e32 v2, 0x5f7ffffc, v2
	s_delay_alu instid0(VALU_DEP_1) | instskip(NEXT) | instid1(VALU_DEP_1)
	v_mul_f32_e32 v3, 0x2f800000, v2
	v_trunc_f32_e32 v3, v3
	s_delay_alu instid0(VALU_DEP_1) | instskip(SKIP_1) | instid1(VALU_DEP_2)
	v_fmac_f32_e32 v2, 0xcf800000, v3
	v_cvt_u32_f32_e32 v3, v3
	v_cvt_u32_f32_e32 v2, v2
	s_delay_alu instid0(VALU_DEP_2) | instskip(NEXT) | instid1(VALU_DEP_2)
	v_readfirstlane_b32 s4, v3
	v_readfirstlane_b32 s5, v2
	s_delay_alu instid0(VALU_DEP_2) | instskip(NEXT) | instid1(VALU_DEP_1)
	s_mul_i32 s8, s6, s4
	s_mul_hi_u32 s10, s6, s5
	s_mul_i32 s9, s7, s5
	s_add_i32 s8, s10, s8
	s_mul_i32 s11, s6, s5
	s_add_i32 s8, s8, s9
	s_mul_hi_u32 s10, s5, s11
	s_mul_hi_u32 s12, s4, s11
	s_mul_i32 s9, s4, s11
	s_mul_hi_u32 s11, s5, s8
	s_mul_i32 s5, s5, s8
	s_mul_hi_u32 s13, s4, s8
	s_add_u32 s5, s10, s5
	s_addc_u32 s10, 0, s11
	s_add_u32 s5, s5, s9
	s_mul_i32 s8, s4, s8
	s_addc_u32 s5, s10, s12
	s_addc_u32 s9, s13, 0
	s_add_u32 s5, s5, s8
	s_addc_u32 s8, 0, s9
	v_add_co_u32 v2, s5, v2, s5
	s_delay_alu instid0(VALU_DEP_1) | instskip(SKIP_1) | instid1(VALU_DEP_1)
	s_cmp_lg_u32 s5, 0
	s_addc_u32 s4, s4, s8
	v_readfirstlane_b32 s5, v2
	s_mul_i32 s8, s6, s4
	s_delay_alu instid0(VALU_DEP_1)
	s_mul_hi_u32 s9, s6, s5
	s_mul_i32 s7, s7, s5
	s_add_i32 s8, s9, s8
	s_mul_i32 s6, s6, s5
	s_add_i32 s8, s8, s7
	s_mul_hi_u32 s9, s4, s6
	s_mul_i32 s10, s4, s6
	s_mul_hi_u32 s6, s5, s6
	s_mul_hi_u32 s11, s5, s8
	s_mul_i32 s5, s5, s8
	s_mul_hi_u32 s7, s4, s8
	s_add_u32 s5, s6, s5
	s_addc_u32 s6, 0, s11
	s_add_u32 s5, s5, s10
	s_mul_i32 s8, s4, s8
	s_addc_u32 s5, s6, s9
	s_addc_u32 s6, s7, 0
	s_add_u32 s5, s5, s8
	s_addc_u32 s6, 0, s6
	v_add_co_u32 v2, s5, v2, s5
	s_delay_alu instid0(VALU_DEP_1) | instskip(SKIP_1) | instid1(VALU_DEP_1)
	s_cmp_lg_u32 s5, 0
	s_addc_u32 s4, s4, s6
	v_readfirstlane_b32 s5, v2
	s_mul_i32 s7, s24, s4
	s_mul_hi_u32 s6, s24, s4
	s_mul_hi_u32 s8, s25, s4
	s_mul_i32 s4, s25, s4
	s_mul_hi_u32 s9, s24, s5
	s_mul_hi_u32 s10, s25, s5
	s_mul_i32 s5, s25, s5
	s_add_u32 s7, s9, s7
	s_addc_u32 s6, 0, s6
	s_add_u32 s5, s7, s5
	s_addc_u32 s5, s6, s10
	s_addc_u32 s6, s8, 0
	s_add_u32 s4, s5, s4
	s_addc_u32 s5, 0, s6
	s_mul_hi_u32 s6, s68, s4
	s_mul_i32 s4, s68, s4
	s_mul_i32 s5, s68, s5
	v_sub_co_u32 v2, s4, s24, s4
	s_add_i32 s6, s6, s5
	s_cmp_lg_u32 s4, 0
	s_delay_alu instid0(VALU_DEP_1) | instskip(SKIP_2) | instid1(VALU_DEP_1)
	v_sub_co_u32 v3, s4, v2, s68
	s_subb_u32 s5, s25, s6
	s_cmp_lg_u32 s4, 0
	v_cmp_le_u32_e32 vcc_lo, s68, v3
	v_sub_co_u32 v4, s4, v3, s68
	s_subb_u32 s6, s5, 0
	s_cmp_lg_u32 s4, 0
	v_cndmask_b32_e64 v5, 0, -1, vcc_lo
	s_subb_u32 s4, s6, 0
	s_cmp_eq_u32 s6, 0
	v_mov_b32_e32 v7, s4
	s_cselect_b32 vcc_lo, -1, 0
	s_cmp_eq_u32 s5, 0
	v_cndmask_b32_e32 v5, -1, v5, vcc_lo
	v_cmp_le_u32_e32 vcc_lo, s68, v2
	s_cselect_b32 s4, -1, 0
	v_cndmask_b32_e64 v6, 0, -1, vcc_lo
	s_delay_alu instid0(VALU_DEP_3) | instskip(NEXT) | instid1(VALU_DEP_2)
	v_cmp_ne_u32_e32 vcc_lo, 0, v5
	v_cndmask_b32_e64 v5, -1, v6, s4
	v_cndmask_b32_e32 v6, s6, v7, vcc_lo
	v_cndmask_b32_e32 v4, v3, v4, vcc_lo
	s_delay_alu instid0(VALU_DEP_3) | instskip(NEXT) | instid1(VALU_DEP_3)
	v_cmp_ne_u32_e32 vcc_lo, 0, v5
	v_cndmask_b32_e32 v3, s5, v6, vcc_lo
	s_delay_alu instid0(VALU_DEP_3)
	v_cndmask_b32_e32 v2, v2, v4, vcc_lo
	s_cbranch_execnz .LBB86_58
.LBB86_57:                              ;   in Loop: Header=BB86_24 Depth=1
	v_cvt_f32_u32_e32 v2, s68
	s_sub_i32 s4, 0, s68
	s_delay_alu instid0(VALU_DEP_1) | instskip(SKIP_2) | instid1(VALU_DEP_1)
	v_rcp_iflag_f32_e32 v2, v2
	s_waitcnt_depctr 0xfff
	v_mul_f32_e32 v2, 0x4f7ffffe, v2
	v_cvt_u32_f32_e32 v2, v2
	s_delay_alu instid0(VALU_DEP_1) | instskip(NEXT) | instid1(VALU_DEP_1)
	v_mul_lo_u32 v3, s4, v2
	v_mul_hi_u32 v3, v2, v3
	s_delay_alu instid0(VALU_DEP_1) | instskip(NEXT) | instid1(VALU_DEP_1)
	v_add_nc_u32_e32 v2, v2, v3
	v_mul_hi_u32 v2, s24, v2
	s_delay_alu instid0(VALU_DEP_1) | instskip(NEXT) | instid1(VALU_DEP_1)
	v_mul_lo_u32 v2, v2, s68
	v_sub_nc_u32_e32 v2, s24, v2
	s_delay_alu instid0(VALU_DEP_1) | instskip(SKIP_1) | instid1(VALU_DEP_2)
	v_subrev_nc_u32_e32 v3, s68, v2
	v_cmp_le_u32_e32 vcc_lo, s68, v2
	v_cndmask_b32_e32 v2, v2, v3, vcc_lo
	s_delay_alu instid0(VALU_DEP_1) | instskip(SKIP_1) | instid1(VALU_DEP_2)
	v_subrev_nc_u32_e32 v3, s68, v2
	v_cmp_le_u32_e32 vcc_lo, s68, v2
	v_cndmask_b32_e32 v12, v2, v3, vcc_lo
	s_delay_alu instid0(VALU_DEP_1)
	v_dual_mov_b32 v2, v12 :: v_dual_mov_b32 v3, v13
.LBB86_58:                              ;   in Loop: Header=BB86_24 Depth=1
	s_delay_alu instid0(VALU_DEP_1) | instskip(NEXT) | instid1(VALU_DEP_2)
	v_sub_co_u32 v16, vcc_lo, s24, v2
	v_sub_co_ci_u32_e32 v17, vcc_lo, s25, v3, vcc_lo
	v_mov_b32_e32 v2, 0
	v_mov_b32_e32 v3, 0
	s_mov_b64 s[22:23], 0
	s_mov_b32 s70, exec_lo
	s_delay_alu instid0(VALU_DEP_1)
	v_dual_mov_b32 v5, v3 :: v_dual_mov_b32 v4, v2
	v_dual_mov_b32 v7, v3 :: v_dual_mov_b32 v6, v2
	;; [unrolled: 1-line block ×3, first 2 shown]
	v_cmpx_gt_u64_e64 v[16:17], v[14:15]
	s_cbranch_execz .LBB86_62
; %bb.59:                               ;   in Loop: Header=BB86_24 Depth=1
	v_dual_mov_b32 v19, v15 :: v_dual_mov_b32 v18, v14
	s_and_b32 s82, s94, 0xfe
	s_mov_b32 s75, 0
	s_mov_b64 s[76:77], 0
	s_mov_b64 s[78:79], 0
	;; [unrolled: 1-line block ×3, first 2 shown]
.LBB86_60:                              ;   Parent Loop BB86_24 Depth=1
                                        ; =>  This Inner Loop Header: Depth=2
	v_mad_u64_u32 v[2:3], null, v18, s54, s[62:63]
	v_mul_lo_u32 v4, v18, s55
	v_mul_lo_u32 v5, v19, s54
	s_delay_alu instid0(VALU_DEP_1) | instskip(NEXT) | instid1(VALU_DEP_4)
	v_add3_u32 v3, v5, v3, v4
	v_add_co_u32 v4, vcc_lo, v2, s54
	s_delay_alu instid0(VALU_DEP_2)
	v_add_co_ci_u32_e32 v5, vcc_lo, s55, v3, vcc_lo
	s_clause 0x1
	global_load_i8 v6, v[2:3], off
	global_load_i8 v7, v[4:5], off
	v_add_co_u32 v2, vcc_lo, v4, s54
	v_add_co_ci_u32_e32 v3, vcc_lo, s55, v5, vcc_lo
	s_delay_alu instid0(VALU_DEP_2)
	v_add_co_u32 v4, vcc_lo, v2, s54
	global_load_i8 v2, v[2:3], off
	v_add_co_ci_u32_e32 v5, vcc_lo, s55, v3, vcc_lo
	v_add_co_u32 v18, vcc_lo, v18, s68
	v_add_co_ci_u32_e32 v19, vcc_lo, 0, v19, vcc_lo
	global_load_i8 v3, v[4:5], off
	v_cmp_ge_u64_e32 vcc_lo, v[18:19], v[16:17]
	s_waitcnt vmcnt(3)
	v_add_nc_u32_e32 v4, 0x80, v6
	s_waitcnt vmcnt(2)
	v_add_nc_u32_e32 v6, 0x80, v7
	s_delay_alu instid0(VALU_DEP_2) | instskip(SKIP_1) | instid1(VALU_DEP_2)
	v_and_b32_e32 v5, s101, v4
	v_bfe_u32 v4, v4, s82, 2
	v_cmp_eq_u32_e64 s4, s100, v5
	s_waitcnt vmcnt(1)
	v_add_nc_u32_e32 v2, 0x80, v2
	v_and_b32_e32 v5, s101, v6
	v_bfe_u32 v6, v6, s82, 2
	v_cmp_eq_u32_e64 s5, 0, v4
	v_cmp_eq_u32_e64 s6, 1, v4
	;; [unrolled: 1-line block ×4, first 2 shown]
	s_waitcnt vmcnt(0)
	v_add_nc_u32_e32 v3, 0x80, v3
	v_and_b32_e32 v4, s101, v2
	v_cmp_eq_u32_e64 s9, s100, v5
	v_bfe_u32 v2, v2, s82, 2
	v_cmp_eq_u32_e64 s10, 0, v6
	s_and_b32 s5, s4, s5
	v_cmp_eq_u32_e64 s13, s100, v4
	v_cndmask_b32_e64 v5, 0, 1, s5
	v_and_b32_e32 v4, s101, v3
	v_bfe_u32 v3, v3, s82, 2
	v_cmp_eq_u32_e64 s14, 0, v2
	s_and_b32 s10, s9, s10
	v_cmp_ne_u32_e64 s15, 0, v5
	v_cndmask_b32_e64 v5, 0, 1, s10
	v_cmp_eq_u32_e64 s18, s100, v4
	v_cmp_eq_u32_e64 s19, 0, v3
	s_and_b32 s14, s13, s14
	v_cmp_eq_u32_e64 s10, 1, v2
	v_cmp_eq_u32_e64 s16, 2, v2
	;; [unrolled: 1-line block ×3, first 2 shown]
	s_bcnt1_i32_b32 s83, s15
	v_cmp_ne_u32_e64 s15, 0, v5
	v_cndmask_b32_e64 v2, 0, 1, s14
	s_and_b32 s19, s18, s19
	v_cmp_eq_u32_e64 s14, 1, v3
	v_cmp_eq_u32_e64 s20, 2, v3
	;; [unrolled: 1-line block ×3, first 2 shown]
	v_cndmask_b32_e64 v3, 0, 1, s19
	s_bcnt1_i32_b32 s19, s15
	v_cmp_ne_u32_e64 s15, 0, v2
	s_add_i32 s83, s19, s83
	v_cmp_eq_u32_e64 s5, 1, v6
	v_cmp_ne_u32_e64 s19, 0, v3
	v_cmp_eq_u32_e64 s11, 2, v6
	s_bcnt1_i32_b32 s15, s15
	v_cmp_eq_u32_e64 s12, 3, v6
	s_add_i32 s15, s83, s15
	s_bcnt1_i32_b32 s19, s19
	s_delay_alu instid0(SALU_CYCLE_1) | instskip(NEXT) | instid1(SALU_CYCLE_1)
	s_add_i32 s15, s15, s19
	s_add_u32 s80, s80, s15
	s_addc_u32 s81, s81, 0
	s_and_b32 s6, s4, s6
	s_and_b32 s5, s9, s5
	v_cndmask_b32_e64 v2, 0, 1, s6
	v_cndmask_b32_e64 v3, 0, 1, s5
	s_and_b32 s5, s13, s10
	s_delay_alu instid0(SALU_CYCLE_1) | instskip(SKIP_1) | instid1(VALU_DEP_2)
	v_cndmask_b32_e64 v4, 0, 1, s5
	s_and_b32 s5, s18, s14
	v_cmp_ne_u32_e64 s6, 0, v3
	v_cndmask_b32_e64 v5, 0, 1, s5
	v_cmp_ne_u32_e64 s5, 0, v2
	v_cmp_ne_u32_e64 s10, 0, v4
	s_delay_alu instid0(VALU_DEP_4) | instskip(NEXT) | instid1(VALU_DEP_3)
	s_bcnt1_i32_b32 s6, s6
	v_cmp_ne_u32_e64 s14, 0, v5
	s_delay_alu instid0(VALU_DEP_3) | instskip(NEXT) | instid1(VALU_DEP_2)
	s_bcnt1_i32_b32 s5, s5
	s_bcnt1_i32_b32 s10, s10
	s_add_i32 s5, s6, s5
	s_delay_alu instid0(VALU_DEP_1) | instskip(SKIP_1) | instid1(SALU_CYCLE_1)
	s_bcnt1_i32_b32 s14, s14
	s_add_i32 s5, s5, s10
	s_add_i32 s5, s5, s14
	s_delay_alu instid0(SALU_CYCLE_1) | instskip(SKIP_2) | instid1(SALU_CYCLE_1)
	s_add_u32 s78, s78, s5
	s_addc_u32 s79, s79, 0
	s_and_b32 s5, s4, s7
	v_cndmask_b32_e64 v2, 0, 1, s5
	s_and_b32 s5, s9, s11
	s_delay_alu instid0(SALU_CYCLE_1) | instskip(SKIP_1) | instid1(SALU_CYCLE_1)
	v_cndmask_b32_e64 v3, 0, 1, s5
	s_and_b32 s5, s13, s16
	v_cndmask_b32_e64 v4, 0, 1, s5
	s_and_b32 s5, s18, s20
	s_delay_alu instid0(VALU_DEP_2) | instskip(SKIP_3) | instid1(VALU_DEP_4)
	v_cmp_ne_u32_e64 s6, 0, v3
	v_cndmask_b32_e64 v5, 0, 1, s5
	v_cmp_ne_u32_e64 s5, 0, v2
	v_cmp_ne_u32_e64 s7, 0, v4
	s_bcnt1_i32_b32 s6, s6
	s_delay_alu instid0(VALU_DEP_3) | instskip(NEXT) | instid1(VALU_DEP_3)
	v_cmp_ne_u32_e64 s10, 0, v5
	s_bcnt1_i32_b32 s5, s5
	s_delay_alu instid0(VALU_DEP_2) | instskip(SKIP_1) | instid1(VALU_DEP_1)
	s_bcnt1_i32_b32 s7, s7
	s_add_i32 s5, s6, s5
	s_bcnt1_i32_b32 s10, s10
	s_add_i32 s5, s5, s7
	s_delay_alu instid0(SALU_CYCLE_1) | instskip(NEXT) | instid1(SALU_CYCLE_1)
	s_add_i32 s5, s5, s10
	s_add_u32 s76, s76, s5
	s_addc_u32 s77, s77, 0
	s_and_b32 s4, s4, s8
	v_mov_b32_e32 v6, s76
	v_cndmask_b32_e64 v2, 0, 1, s4
	s_and_b32 s4, s9, s12
	v_mov_b32_e32 v7, s77
	v_cndmask_b32_e64 v3, 0, 1, s4
	s_and_b32 s4, s13, s17
	s_delay_alu instid0(SALU_CYCLE_1) | instskip(SKIP_1) | instid1(VALU_DEP_2)
	v_cndmask_b32_e64 v4, 0, 1, s4
	s_and_b32 s4, s18, s21
	v_cmp_ne_u32_e64 s5, 0, v3
	v_cndmask_b32_e64 v5, 0, 1, s4
	v_cmp_ne_u32_e64 s4, 0, v2
	v_cmp_ne_u32_e64 s6, 0, v4
	v_mov_b32_e32 v2, s80
	s_bcnt1_i32_b32 s5, s5
	v_cmp_ne_u32_e64 s7, 0, v5
	s_bcnt1_i32_b32 s4, s4
	s_bcnt1_i32_b32 s6, s6
	s_add_i32 s4, s5, s4
	v_mov_b32_e32 v4, s78
	s_bcnt1_i32_b32 s5, s7
	s_add_i32 s4, s4, s6
	v_mov_b32_e32 v3, s81
	s_add_i32 s4, s4, s5
	v_mov_b32_e32 v5, s79
	s_add_u32 s22, s22, s4
	s_addc_u32 s23, s23, 0
	s_delay_alu instid0(SALU_CYCLE_1) | instskip(SKIP_1) | instid1(SALU_CYCLE_1)
	v_dual_mov_b32 v8, s22 :: v_dual_mov_b32 v9, s23
	s_or_b32 s75, vcc_lo, s75
	s_and_not1_b32 exec_lo, exec_lo, s75
	s_cbranch_execnz .LBB86_60
; %bb.61:                               ;   in Loop: Header=BB86_24 Depth=1
	s_or_b32 exec_lo, exec_lo, s75
.LBB86_62:                              ;   in Loop: Header=BB86_24 Depth=1
	s_delay_alu instid0(SALU_CYCLE_1) | instskip(SKIP_3) | instid1(VALU_DEP_2)
	s_or_b32 exec_lo, exec_lo, s70
	v_add_co_u32 v16, vcc_lo, v16, v0
	v_add_co_ci_u32_e32 v17, vcc_lo, 0, v17, vcc_lo
	v_dual_mov_b32 v19, 0 :: v_dual_and_b32 v12, 0xffff, v25
	v_cmp_gt_u64_e32 vcc_lo, s[24:25], v[16:17]
	s_and_saveexec_b32 s4, vcc_lo
	s_cbranch_execz .LBB86_64
; %bb.63:                               ;   in Loop: Header=BB86_24 Depth=1
	v_mad_u64_u32 v[18:19], null, v16, s54, s[62:63]
	v_mul_lo_u32 v25, v16, s55
	v_mul_lo_u32 v26, v17, s54
	s_delay_alu instid0(VALU_DEP_1)
	v_add3_u32 v19, v26, v19, v25
	global_load_u8 v19, v[18:19], off
.LBB86_64:                              ;   in Loop: Header=BB86_24 Depth=1
	s_or_b32 exec_lo, exec_lo, s4
	s_and_saveexec_b32 s8, vcc_lo
	s_cbranch_execz .LBB86_71
; %bb.65:                               ;   in Loop: Header=BB86_24 Depth=1
	s_and_b32 s10, s94, 0xfe
	s_mov_b32 s9, 0
	s_branch .LBB86_67
.LBB86_66:                              ;   in Loop: Header=BB86_67 Depth=2
	s_or_b32 exec_lo, exec_lo, s5
	s_waitcnt vmcnt(0)
	v_bfe_i32 v19, v19, 0, 8
	s_and_b32 s6, exec_lo, vcc_lo
	s_delay_alu instid0(SALU_CYCLE_1) | instskip(NEXT) | instid1(VALU_DEP_1)
	s_or_b32 s9, s6, s9
	v_add_nc_u32_e32 v19, 0x80, v19
	s_delay_alu instid0(VALU_DEP_1) | instskip(SKIP_1) | instid1(VALU_DEP_2)
	v_and_b32_e32 v25, s101, v19
	v_bfe_u32 v19, v19, s10, 2
	v_cmp_eq_u32_e64 s4, s100, v25
	s_delay_alu instid0(VALU_DEP_2) | instskip(SKIP_2) | instid1(VALU_DEP_3)
	v_cmp_eq_u32_e64 s5, 0, v19
	v_cmp_eq_u32_e32 vcc_lo, 1, v19
	v_cmp_eq_u32_e64 s6, 2, v19
	s_and_b32 s5, s4, s5
	s_delay_alu instid0(SALU_CYCLE_1) | instskip(SKIP_4) | instid1(SALU_CYCLE_1)
	v_cndmask_b32_e64 v25, 0, 1, s5
	s_and_b32 s5, s4, vcc_lo
	v_cmp_eq_u32_e32 vcc_lo, 3, v19
	v_cndmask_b32_e64 v26, 0, 1, s5
	s_and_b32 s5, s4, s6
	v_cndmask_b32_e64 v27, 0, 1, s5
	v_cmp_ne_u32_e64 s5, 0, v25
	s_delay_alu instid0(VALU_DEP_3) | instskip(SKIP_1) | instid1(SALU_CYCLE_1)
	v_cmp_ne_u32_e64 s6, 0, v26
	s_and_b32 s4, s4, vcc_lo
	v_cndmask_b32_e64 v19, 0, 1, s4
	s_delay_alu instid0(VALU_DEP_3)
	s_bcnt1_i32_b32 s4, s5
	v_cmp_ne_u32_e64 s7, 0, v27
	v_add_co_u32 v2, vcc_lo, v2, s4
	s_bcnt1_i32_b32 s5, s6
	v_add_co_ci_u32_e32 v3, vcc_lo, 0, v3, vcc_lo
	v_add_co_u32 v4, vcc_lo, v4, s5
	v_add_co_ci_u32_e32 v5, vcc_lo, 0, v5, vcc_lo
	s_bcnt1_i32_b32 s6, s7
	v_cmp_ne_u32_e32 vcc_lo, 0, v19
	v_add_co_u32 v6, s4, v6, s6
	s_delay_alu instid0(VALU_DEP_1)
	v_add_co_ci_u32_e64 v7, s4, 0, v7, s4
	s_bcnt1_i32_b32 s4, vcc_lo
	v_mov_b32_e32 v19, v18
	v_add_co_u32 v8, vcc_lo, v8, s4
	v_add_co_ci_u32_e32 v9, vcc_lo, 0, v9, vcc_lo
	s_and_not1_b32 exec_lo, exec_lo, s9
	s_cbranch_execz .LBB86_70
.LBB86_67:                              ;   Parent Loop BB86_24 Depth=1
                                        ; =>  This Inner Loop Header: Depth=2
	v_add_co_u32 v16, vcc_lo, v16, v12
	v_add_co_ci_u32_e32 v17, vcc_lo, 0, v17, vcc_lo
	v_mov_b32_e32 v18, 0
	s_mov_b32 s5, exec_lo
	s_delay_alu instid0(VALU_DEP_2)
	v_cmp_le_u64_e32 vcc_lo, s[24:25], v[16:17]
	v_cmpx_gt_u64_e64 s[24:25], v[16:17]
	s_cbranch_execz .LBB86_66
; %bb.68:                               ;   in Loop: Header=BB86_67 Depth=2
	v_mad_u64_u32 v[25:26], null, v16, s54, s[62:63]
	v_mul_lo_u32 v18, v16, s55
	v_mul_lo_u32 v27, v17, s54
	s_delay_alu instid0(VALU_DEP_1)
	v_add3_u32 v26, v27, v26, v18
	global_load_u8 v18, v[25:26], off
	s_branch .LBB86_66
.LBB86_69:                              ;   in Loop: Header=BB86_24 Depth=1
                                        ; implicit-def: $vgpr8_vgpr9
                                        ; implicit-def: $vgpr4_vgpr5
	s_cbranch_execnz .LBB86_72
	s_branch .LBB86_81
.LBB86_70:                              ;   in Loop: Header=BB86_24 Depth=1
	s_or_b32 exec_lo, exec_lo, s9
.LBB86_71:                              ;   in Loop: Header=BB86_24 Depth=1
	s_delay_alu instid0(SALU_CYCLE_1)
	s_or_b32 exec_lo, exec_lo, s8
	s_branch .LBB86_81
.LBB86_72:                              ;   in Loop: Header=BB86_24 Depth=1
	global_load_u16 v12, v13, s[72:73]
	s_mov_b64 s[76:77], 0
	s_mov_b32 s75, exec_lo
	s_waitcnt vmcnt(0)
	v_readfirstlane_b32 s4, v12
	s_delay_alu instid0(VALU_DEP_1) | instskip(NEXT) | instid1(SALU_CYCLE_1)
	s_and_b32 s4, 0xffff, s4
	s_lshl_b32 s70, s4, 2
	s_delay_alu instid0(SALU_CYCLE_1) | instskip(SKIP_1) | instid1(VALU_DEP_1)
	v_cvt_f32_u32_e32 v2, s70
	s_sub_i32 s5, 0, s70
	v_rcp_iflag_f32_e32 v2, v2
	s_waitcnt_depctr 0xfff
	v_mul_f32_e32 v2, 0x4f7ffffe, v2
	s_delay_alu instid0(VALU_DEP_1) | instskip(NEXT) | instid1(VALU_DEP_1)
	v_cvt_u32_f32_e32 v2, v2
	v_readfirstlane_b32 s4, v2
	v_mov_b32_e32 v2, 0
	v_mov_b32_e32 v3, 0
	s_delay_alu instid0(VALU_DEP_3) | instskip(NEXT) | instid1(VALU_DEP_1)
	s_mul_i32 s5, s5, s4
	v_dual_mov_b32 v5, v3 :: v_dual_mov_b32 v4, v2
	s_mul_hi_u32 s5, s4, s5
	v_dual_mov_b32 v7, v3 :: v_dual_mov_b32 v6, v2
	s_add_i32 s4, s4, s5
	v_dual_mov_b32 v9, v3 :: v_dual_mov_b32 v8, v2
	s_mul_hi_u32 s4, s74, s4
	s_delay_alu instid0(SALU_CYCLE_1) | instskip(NEXT) | instid1(SALU_CYCLE_1)
	s_mul_i32 s4, s4, s70
	s_sub_i32 s4, s74, s4
	s_delay_alu instid0(SALU_CYCLE_1) | instskip(SKIP_2) | instid1(SALU_CYCLE_1)
	s_sub_i32 s5, s4, s70
	s_cmp_ge_u32 s4, s70
	s_cselect_b32 s4, s5, s4
	s_sub_i32 s5, s4, s70
	s_cmp_ge_u32 s4, s70
	s_cselect_b32 s4, s5, s4
	s_delay_alu instid0(SALU_CYCLE_1) | instskip(NEXT) | instid1(SALU_CYCLE_1)
	s_sub_i32 s68, s74, s4
	v_cmpx_gt_u32_e64 s68, v14
	s_cbranch_execz .LBB86_76
; %bb.73:                               ;   in Loop: Header=BB86_24 Depth=1
	v_dual_mov_b32 v18, v14 :: v_dual_mov_b32 v17, v15
	v_mov_b32_e32 v16, v14
	s_and_b32 s103, s94, 0xfe
	s_mov_b32 s102, 0
	s_mov_b64 s[78:79], 0
	s_mov_b64 s[80:81], 0
	;; [unrolled: 1-line block ×3, first 2 shown]
.LBB86_74:                              ;   Parent Loop BB86_24 Depth=1
                                        ; =>  This Inner Loop Header: Depth=2
	ds_load_b32 v2, v18
	v_add_co_u32 v16, vcc_lo, v16, s70
	v_add_co_ci_u32_e32 v17, vcc_lo, 0, v17, vcc_lo
	s_delay_alu instid0(VALU_DEP_1)
	v_cmp_le_u64_e32 vcc_lo, s[68:69], v[16:17]
	s_waitcnt lgkmcnt(0)
	v_bfe_i32 v3, v2, 0, 8
	v_bfe_i32 v4, v2, 8, 8
	;; [unrolled: 1-line block ×3, first 2 shown]
	v_ashrrev_i32_e32 v2, 24, v2
	s_delay_alu instid0(VALU_DEP_4) | instskip(NEXT) | instid1(VALU_DEP_4)
	v_add_nc_u32_e32 v3, 0x80, v3
	v_add_nc_u32_e32 v4, 0x80, v4
	s_delay_alu instid0(VALU_DEP_4) | instskip(NEXT) | instid1(VALU_DEP_4)
	v_add_nc_u32_e32 v5, 0x80, v5
	v_add_nc_u32_e32 v2, 0x80, v2
	s_delay_alu instid0(VALU_DEP_4)
	v_and_b32_e32 v6, s101, v3
	v_bfe_u32 v3, v3, s103, 2
	v_and_b32_e32 v7, s101, v4
	v_bfe_u32 v4, v4, s103, 2
	;; [unrolled: 2-line block ×3, first 2 shown]
	v_cmp_eq_u32_e64 s4, s100, v6
	v_cmp_eq_u32_e64 s8, 0, v3
	v_and_b32_e32 v9, s101, v2
	v_bfe_u32 v2, v2, s103, 2
	v_cmp_eq_u32_e64 s5, s100, v7
	v_cmp_eq_u32_e64 s9, 0, v4
	;; [unrolled: 1-line block ×4, first 2 shown]
	s_and_b32 s8, s4, s8
	v_cmp_eq_u32_e64 s7, s100, v9
	v_cmp_eq_u32_e64 s11, 0, v2
	;; [unrolled: 1-line block ×5, first 2 shown]
	v_cndmask_b32_e64 v2, 0, 1, s8
	s_and_b32 s8, s5, s9
	v_cmp_eq_u32_e64 s12, 1, v3
	v_cmp_eq_u32_e64 s16, 2, v3
	v_cmp_eq_u32_e64 s20, 3, v3
	v_cndmask_b32_e64 v3, 0, 1, s8
	s_and_b32 s8, s6, s10
	v_cmp_eq_u32_e64 s13, 1, v4
	v_cmp_eq_u32_e64 s17, 2, v4
	v_cmp_eq_u32_e64 s21, 3, v4
	;; [unrolled: 5-line block ×3, first 2 shown]
	v_cndmask_b32_e64 v5, 0, 1, s8
	v_cmp_ne_u32_e64 s8, 0, v2
	v_cmp_ne_u32_e64 s9, 0, v3
	;; [unrolled: 1-line block ×3, first 2 shown]
	s_delay_alu instid0(VALU_DEP_4) | instskip(NEXT) | instid1(VALU_DEP_4)
	v_cmp_ne_u32_e64 s11, 0, v5
	s_bcnt1_i32_b32 s8, s8
	s_delay_alu instid0(VALU_DEP_3) | instskip(NEXT) | instid1(VALU_DEP_2)
	s_bcnt1_i32_b32 s9, s9
	s_bcnt1_i32_b32 s10, s10
	s_add_i32 s8, s9, s8
	s_bcnt1_i32_b32 s11, s11
	s_add_i32 s8, s8, s10
	s_delay_alu instid0(SALU_CYCLE_1) | instskip(NEXT) | instid1(SALU_CYCLE_1)
	s_add_i32 s8, s8, s11
	s_add_u32 s82, s82, s8
	s_addc_u32 s83, s83, 0
	s_and_b32 s8, s4, s12
	v_add_nc_u32_e32 v18, s70, v18
	v_cndmask_b32_e64 v2, 0, 1, s8
	s_and_b32 s8, s5, s13
	s_delay_alu instid0(SALU_CYCLE_1) | instskip(SKIP_1) | instid1(SALU_CYCLE_1)
	v_cndmask_b32_e64 v3, 0, 1, s8
	s_and_b32 s8, s6, s14
	v_cndmask_b32_e64 v4, 0, 1, s8
	s_and_b32 s8, s7, s15
	s_delay_alu instid0(VALU_DEP_2) | instskip(SKIP_3) | instid1(VALU_DEP_4)
	v_cmp_ne_u32_e64 s9, 0, v3
	v_cndmask_b32_e64 v5, 0, 1, s8
	v_cmp_ne_u32_e64 s8, 0, v2
	v_cmp_ne_u32_e64 s10, 0, v4
	s_bcnt1_i32_b32 s9, s9
	s_delay_alu instid0(VALU_DEP_3) | instskip(NEXT) | instid1(VALU_DEP_3)
	v_cmp_ne_u32_e64 s11, 0, v5
	s_bcnt1_i32_b32 s8, s8
	s_delay_alu instid0(VALU_DEP_2) | instskip(SKIP_1) | instid1(VALU_DEP_1)
	s_bcnt1_i32_b32 s10, s10
	s_add_i32 s8, s9, s8
	s_bcnt1_i32_b32 s11, s11
	s_add_i32 s8, s8, s10
	s_delay_alu instid0(SALU_CYCLE_1) | instskip(NEXT) | instid1(SALU_CYCLE_1)
	s_add_i32 s8, s8, s11
	s_add_u32 s80, s80, s8
	s_addc_u32 s81, s81, 0
	s_and_b32 s8, s4, s16
	s_delay_alu instid0(SALU_CYCLE_1) | instskip(SKIP_1) | instid1(SALU_CYCLE_1)
	v_cndmask_b32_e64 v2, 0, 1, s8
	s_and_b32 s8, s5, s17
	v_cndmask_b32_e64 v3, 0, 1, s8
	s_and_b32 s8, s6, s18
	s_delay_alu instid0(SALU_CYCLE_1) | instskip(SKIP_1) | instid1(VALU_DEP_2)
	v_cndmask_b32_e64 v4, 0, 1, s8
	s_and_b32 s8, s7, s19
	v_cmp_ne_u32_e64 s9, 0, v3
	v_cndmask_b32_e64 v5, 0, 1, s8
	v_cmp_ne_u32_e64 s8, 0, v2
	v_cmp_ne_u32_e64 s10, 0, v4
	s_delay_alu instid0(VALU_DEP_4) | instskip(NEXT) | instid1(VALU_DEP_3)
	s_bcnt1_i32_b32 s9, s9
	v_cmp_ne_u32_e64 s11, 0, v5
	s_delay_alu instid0(VALU_DEP_3) | instskip(NEXT) | instid1(VALU_DEP_2)
	s_bcnt1_i32_b32 s8, s8
	s_bcnt1_i32_b32 s10, s10
	s_add_i32 s8, s9, s8
	s_delay_alu instid0(VALU_DEP_1) | instskip(SKIP_1) | instid1(SALU_CYCLE_1)
	s_bcnt1_i32_b32 s11, s11
	s_add_i32 s8, s8, s10
	s_add_i32 s8, s8, s11
	s_delay_alu instid0(SALU_CYCLE_1)
	s_add_u32 s78, s78, s8
	s_addc_u32 s79, s79, 0
	s_and_b32 s4, s4, s20
	v_mov_b32_e32 v6, s78
	v_cndmask_b32_e64 v2, 0, 1, s4
	s_and_b32 s4, s5, s21
	v_mov_b32_e32 v7, s79
	v_cndmask_b32_e64 v3, 0, 1, s4
	s_and_b32 s4, s6, s22
	s_delay_alu instid0(SALU_CYCLE_1) | instskip(SKIP_1) | instid1(VALU_DEP_2)
	v_cndmask_b32_e64 v4, 0, 1, s4
	s_and_b32 s4, s7, s23
	v_cmp_ne_u32_e64 s5, 0, v3
	v_cndmask_b32_e64 v5, 0, 1, s4
	v_cmp_ne_u32_e64 s4, 0, v2
	v_cmp_ne_u32_e64 s6, 0, v4
	v_dual_mov_b32 v2, s82 :: v_dual_mov_b32 v3, s83
	s_delay_alu instid0(VALU_DEP_4) | instskip(NEXT) | instid1(VALU_DEP_4)
	v_cmp_ne_u32_e64 s7, 0, v5
	s_bcnt1_i32_b32 s4, s4
	s_bcnt1_i32_b32 s5, s5
	;; [unrolled: 1-line block ×3, first 2 shown]
	s_add_i32 s4, s5, s4
	s_bcnt1_i32_b32 s5, s7
	s_add_i32 s4, s4, s6
	v_mov_b32_e32 v4, s80
	s_add_i32 s4, s4, s5
	v_mov_b32_e32 v5, s81
	s_add_u32 s76, s76, s4
	s_addc_u32 s77, s77, 0
	s_delay_alu instid0(SALU_CYCLE_1) | instskip(SKIP_1) | instid1(SALU_CYCLE_1)
	v_dual_mov_b32 v8, s76 :: v_dual_mov_b32 v9, s77
	s_or_b32 s102, vcc_lo, s102
	s_and_not1_b32 exec_lo, exec_lo, s102
	s_cbranch_execnz .LBB86_74
; %bb.75:                               ;   in Loop: Header=BB86_24 Depth=1
	s_or_b32 exec_lo, exec_lo, s102
.LBB86_76:                              ;   in Loop: Header=BB86_24 Depth=1
	s_delay_alu instid0(SALU_CYCLE_1) | instskip(SKIP_3) | instid1(VALU_DEP_1)
	s_or_b32 exec_lo, exec_lo, s75
	v_and_b32_e32 v18, 0xffff, v12
	v_add_nc_u32_e32 v12, s68, v0
	s_mov_b32 s9, exec_lo
	v_cmpx_gt_u32_e64 s74, v12
	s_cbranch_execz .LBB86_80
; %bb.77:                               ;   in Loop: Header=BB86_24 Depth=1
	v_mov_b32_e32 v17, v13
	v_dual_mov_b32 v16, v12 :: v_dual_add_nc_u32 v19, s68, v0
	s_mov_b32 s11, 0
	s_and_b32 s10, s74, 0x7fffffff
	s_and_b32 s13, s94, 0xfe
	s_mov_b32 s12, s11
.LBB86_78:                              ;   Parent Loop BB86_24 Depth=1
                                        ; =>  This Inner Loop Header: Depth=2
	ds_load_i8 v12, v19
	v_add_co_u32 v16, vcc_lo, v16, v18
	v_add_co_ci_u32_e32 v17, vcc_lo, 0, v17, vcc_lo
	v_add_nc_u32_e32 v19, v19, v18
	s_delay_alu instid0(VALU_DEP_2) | instskip(SKIP_2) | instid1(VALU_DEP_1)
	v_cmp_le_u64_e32 vcc_lo, s[10:11], v[16:17]
	s_waitcnt lgkmcnt(0)
	v_add_nc_u32_e32 v12, 0x80, v12
	v_and_b32_e32 v25, s101, v12
	v_bfe_u32 v12, v12, s13, 2
	s_delay_alu instid0(VALU_DEP_2) | instskip(NEXT) | instid1(VALU_DEP_2)
	v_cmp_eq_u32_e64 s4, s100, v25
	v_cmp_eq_u32_e64 s5, 0, v12
	;; [unrolled: 1-line block ×5, first 2 shown]
	s_delay_alu instid0(VALU_DEP_4) | instskip(NEXT) | instid1(SALU_CYCLE_1)
	s_and_b32 s5, s4, s5
	v_cndmask_b32_e64 v12, 0, 1, s5
	s_and_b32 s5, s4, s6
	s_delay_alu instid0(SALU_CYCLE_1)
	v_cndmask_b32_e64 v25, 0, 1, s5
	s_and_b32 s5, s4, s7
	s_and_b32 s4, s4, s8
	v_cndmask_b32_e64 v26, 0, 1, s5
	v_cndmask_b32_e64 v27, 0, 1, s4
	v_cmp_ne_u32_e64 s4, 0, v12
	v_cmp_ne_u32_e64 s5, 0, v25
	s_delay_alu instid0(VALU_DEP_4) | instskip(NEXT) | instid1(VALU_DEP_4)
	v_cmp_ne_u32_e64 s6, 0, v26
	v_cmp_ne_u32_e64 s7, 0, v27
	s_delay_alu instid0(VALU_DEP_4) | instskip(NEXT) | instid1(VALU_DEP_3)
	s_bcnt1_i32_b32 s4, s4
	s_bcnt1_i32_b32 s5, s5
	v_add_co_u32 v2, s4, v2, s4
	s_delay_alu instid0(VALU_DEP_1)
	v_add_co_ci_u32_e64 v3, s4, 0, v3, s4
	v_add_co_u32 v4, s4, v4, s5
	s_bcnt1_i32_b32 s6, s6
	v_add_co_ci_u32_e64 v5, s4, 0, v5, s4
	v_add_co_u32 v6, s4, v6, s6
	s_bcnt1_i32_b32 s7, s7
	v_add_co_ci_u32_e64 v7, s4, 0, v7, s4
	v_add_co_u32 v8, s4, v8, s7
	s_delay_alu instid0(VALU_DEP_1) | instskip(SKIP_1) | instid1(SALU_CYCLE_1)
	v_add_co_ci_u32_e64 v9, s4, 0, v9, s4
	s_or_b32 s12, vcc_lo, s12
	s_and_not1_b32 exec_lo, exec_lo, s12
	s_cbranch_execnz .LBB86_78
; %bb.79:                               ;   in Loop: Header=BB86_24 Depth=1
	s_or_b32 exec_lo, exec_lo, s12
.LBB86_80:                              ;   in Loop: Header=BB86_24 Depth=1
	s_delay_alu instid0(SALU_CYCLE_1)
	s_or_b32 exec_lo, exec_lo, s9
.LBB86_81:                              ;   in Loop: Header=BB86_24 Depth=1
	s_lshl_b32 s4, s98, 7
	s_and_saveexec_b32 s5, s1
	s_cbranch_execz .LBB86_83
; %bb.82:                               ;   in Loop: Header=BB86_24 Depth=1
	v_or_b32_e32 v12, s4, v21
	s_delay_alu instid0(VALU_DEP_1)
	v_lshlrev_b32_e32 v12, 3, v12
	ds_store_b128 v12, v[2:5] offset:3072
	ds_store_b128 v12, v[6:9] offset:3088
.LBB86_83:                              ;   in Loop: Header=BB86_24 Depth=1
	s_or_b32 exec_lo, exec_lo, s5
	s_waitcnt vmcnt(0) lgkmcnt(0)
	s_barrier
	buffer_gl0_inv
	s_and_saveexec_b32 s5, s33
	s_cbranch_execz .LBB86_94
; %bb.84:                               ;   in Loop: Header=BB86_24 Depth=1
	v_mov_b32_e32 v2, 0
	v_mov_b32_e32 v3, 0
	s_and_not1_b32 vcc_lo, exec_lo, s87
	s_cbranch_vccnz .LBB86_93
; %bb.85:                               ;   in Loop: Header=BB86_24 Depth=1
	v_mov_b32_e32 v2, 0
	v_mov_b32_e32 v3, 0
	s_and_not1_b32 vcc_lo, exec_lo, s88
	s_cbranch_vccnz .LBB86_90
; %bb.86:                               ;   in Loop: Header=BB86_24 Depth=1
	v_lshl_add_u32 v4, s98, 10, v23
	s_mov_b32 s6, 0
	s_set_inst_prefetch_distance 0x1
	.p2align	6
.LBB86_87:                              ;   Parent Loop BB86_24 Depth=1
                                        ; =>  This Inner Loop Header: Depth=2
	ds_load_2addr_b64 v[5:8], v4 offset1:4
	ds_load_2addr_b64 v[16:19], v4 offset0:8 offset1:12
	ds_load_2addr_b64 v[25:28], v4 offset0:16 offset1:20
	s_add_i32 s6, s6, 8
	s_delay_alu instid0(SALU_CYCLE_1) | instskip(SKIP_3) | instid1(VALU_DEP_2)
	s_cmp_eq_u32 s89, s6
	s_waitcnt lgkmcnt(2)
	v_add_co_u32 v2, vcc_lo, v5, v2
	v_add_co_ci_u32_e32 v3, vcc_lo, v6, v3, vcc_lo
	v_add_co_u32 v2, vcc_lo, v7, v2
	s_delay_alu instid0(VALU_DEP_2)
	v_add_co_ci_u32_e32 v3, vcc_lo, v8, v3, vcc_lo
	ds_load_2addr_b64 v[5:8], v4 offset0:24 offset1:28
	s_waitcnt lgkmcnt(2)
	v_add_co_u32 v2, vcc_lo, v16, v2
	v_add_co_ci_u32_e32 v3, vcc_lo, v17, v3, vcc_lo
	v_add_nc_u32_e32 v4, 0x100, v4
	s_delay_alu instid0(VALU_DEP_3) | instskip(NEXT) | instid1(VALU_DEP_3)
	v_add_co_u32 v2, vcc_lo, v18, v2
	v_add_co_ci_u32_e32 v3, vcc_lo, v19, v3, vcc_lo
	s_waitcnt lgkmcnt(1)
	s_delay_alu instid0(VALU_DEP_2) | instskip(NEXT) | instid1(VALU_DEP_2)
	v_add_co_u32 v2, vcc_lo, v25, v2
	v_add_co_ci_u32_e32 v3, vcc_lo, v26, v3, vcc_lo
	s_delay_alu instid0(VALU_DEP_2) | instskip(NEXT) | instid1(VALU_DEP_2)
	v_add_co_u32 v2, vcc_lo, v27, v2
	v_add_co_ci_u32_e32 v3, vcc_lo, v28, v3, vcc_lo
	s_waitcnt lgkmcnt(0)
	s_delay_alu instid0(VALU_DEP_2) | instskip(NEXT) | instid1(VALU_DEP_2)
	v_add_co_u32 v2, vcc_lo, v5, v2
	v_add_co_ci_u32_e32 v3, vcc_lo, v6, v3, vcc_lo
	s_delay_alu instid0(VALU_DEP_2) | instskip(NEXT) | instid1(VALU_DEP_2)
	v_add_co_u32 v2, vcc_lo, v7, v2
	v_add_co_ci_u32_e32 v3, vcc_lo, v8, v3, vcc_lo
	s_cbranch_scc0 .LBB86_87
; %bb.88:                               ;   in Loop: Header=BB86_24 Depth=1
	s_set_inst_prefetch_distance 0x2
	s_mov_b32 s6, s89
	s_and_not1_b32 vcc_lo, exec_lo, s90
	s_cbranch_vccz .LBB86_91
	s_branch .LBB86_93
.LBB86_89:                              ;   in Loop: Header=BB86_24 Depth=1
                                        ; implicit-def: $vgpr2_vgpr3
	s_branch .LBB86_57
.LBB86_90:                              ;   in Loop: Header=BB86_24 Depth=1
	s_mov_b32 s6, 0
	s_and_not1_b32 vcc_lo, exec_lo, s90
	s_cbranch_vccnz .LBB86_93
.LBB86_91:                              ;   in Loop: Header=BB86_24 Depth=1
	s_lshl_b32 s7, s98, 10
	s_lshl_b32 s6, s6, 5
	s_delay_alu instid0(SALU_CYCLE_1)
	v_add3_u32 v4, s7, s6, v23
	s_mov_b32 s6, s86
.LBB86_92:                              ;   Parent Loop BB86_24 Depth=1
                                        ; =>  This Inner Loop Header: Depth=2
	ds_load_b64 v[5:6], v4
	v_add_nc_u32_e32 v4, 32, v4
	s_add_i32 s6, s6, -1
	s_delay_alu instid0(SALU_CYCLE_1)
	s_cmp_lg_u32 s6, 0
	s_waitcnt lgkmcnt(0)
	v_add_co_u32 v2, vcc_lo, v5, v2
	v_add_co_ci_u32_e32 v3, vcc_lo, v6, v3, vcc_lo
	s_cbranch_scc1 .LBB86_92
.LBB86_93:                              ;   in Loop: Header=BB86_24 Depth=1
	v_add_lshl_u32 v4, s4, v20, 3
	ds_store_b64 v4, v[2:3] offset:3072
.LBB86_94:                              ;   in Loop: Header=BB86_24 Depth=1
	s_or_b32 exec_lo, exec_lo, s5
	s_lshl_b32 s4, s4, 3
	s_waitcnt lgkmcnt(0)
	v_mov_b32_e32 v6, s4
	s_barrier
	buffer_gl0_inv
	s_and_b32 s17, s94, 0xfe
	s_mov_b32 s19, -1
	ds_load_b128 v[2:5], v6 offset:3072
	ds_load_b128 v[6:9], v6 offset:3088
	s_lshl_b32 s16, 3, s17
	s_delay_alu instid0(SALU_CYCLE_1)
	s_not_b32 s18, s16
	s_waitcnt lgkmcnt(1)
	v_readfirstlane_b32 s13, v3
	v_readfirstlane_b32 s12, v2
	;; [unrolled: 1-line block ×4, first 2 shown]
	s_waitcnt lgkmcnt(0)
	v_readfirstlane_b32 s8, v6
	v_readfirstlane_b32 s9, v7
	s_cmp_eq_u64 s[12:13], 1
	v_readfirstlane_b32 s6, v8
	s_cselect_b32 s4, -1, 0
	s_cmp_eq_u64 s[66:67], 1
	v_readfirstlane_b32 s7, v9
	s_cselect_b32 s5, -1, 0
	s_delay_alu instid0(SALU_CYCLE_1) | instskip(NEXT) | instid1(SALU_CYCLE_1)
	s_and_b32 s20, s4, s5
	s_and_b32 vcc_lo, exec_lo, s20
	s_cbranch_vccz .LBB86_109
; %bb.95:                               ;   in Loop: Header=BB86_24 Depth=1
	ds_load_b64 v[2:3], v13 offset:5120
	s_waitcnt lgkmcnt(0)
	s_barrier
	buffer_gl0_inv
	v_readfirstlane_b32 s14, v2
	v_readfirstlane_b32 s15, v3
	s_and_saveexec_b32 s4, s3
	s_cbranch_execz .LBB86_97
; %bb.96:                               ;   in Loop: Header=BB86_24 Depth=1
	ds_store_b8 v0, v13 offset:3072
.LBB86_97:                              ;   in Loop: Header=BB86_24 Depth=1
	s_or_b32 exec_lo, exec_lo, s4
	s_and_b32 s100, s100, s18
	s_or_b32 s101, s101, s16
	s_cmp_eq_u64 s[14:15], 0
	s_waitcnt lgkmcnt(0)
	s_barrier
	buffer_gl0_inv
	s_cbranch_scc1 .LBB86_110
; %bb.98:                               ;   in Loop: Header=BB86_24 Depth=1
	s_add_u32 s21, s51, s14
	s_addc_u32 s5, s84, s15
	s_mov_b32 s4, s69
	s_delay_alu instid0(SALU_CYCLE_1)
	s_cmp_lg_u64 s[4:5], 0
	s_cbranch_scc0 .LBB86_155
; %bb.99:                               ;   in Loop: Header=BB86_24 Depth=1
	v_cvt_f32_u32_e32 v2, s27
	s_sub_u32 s23, 0, s27
	s_subb_u32 s68, 0, 0
	s_delay_alu instid0(VALU_DEP_1) | instskip(NEXT) | instid1(VALU_DEP_1)
	v_fmac_f32_e64 v2, 0, 0x4f800000
	v_rcp_f32_e32 v2, v2
	s_waitcnt_depctr 0xfff
	v_mul_f32_e32 v2, 0x5f7ffffc, v2
	s_delay_alu instid0(VALU_DEP_1) | instskip(NEXT) | instid1(VALU_DEP_1)
	v_mul_f32_e32 v3, 0x2f800000, v2
	v_trunc_f32_e32 v3, v3
	s_delay_alu instid0(VALU_DEP_1) | instskip(SKIP_1) | instid1(VALU_DEP_2)
	v_fmac_f32_e32 v2, 0xcf800000, v3
	v_cvt_u32_f32_e32 v3, v3
	v_cvt_u32_f32_e32 v2, v2
	s_delay_alu instid0(VALU_DEP_2) | instskip(NEXT) | instid1(VALU_DEP_2)
	v_readfirstlane_b32 s4, v3
	v_readfirstlane_b32 s22, v2
	s_delay_alu instid0(VALU_DEP_2) | instskip(NEXT) | instid1(VALU_DEP_1)
	s_mul_i32 s70, s23, s4
	s_mul_hi_u32 s75, s23, s22
	s_mul_i32 s74, s68, s22
	s_add_i32 s70, s75, s70
	s_mul_i32 s76, s23, s22
	s_add_i32 s70, s70, s74
	s_mul_hi_u32 s75, s22, s76
	s_mul_hi_u32 s77, s4, s76
	s_mul_i32 s74, s4, s76
	s_mul_hi_u32 s76, s22, s70
	s_mul_i32 s22, s22, s70
	s_mul_hi_u32 s78, s4, s70
	s_add_u32 s22, s75, s22
	s_addc_u32 s75, 0, s76
	s_add_u32 s22, s22, s74
	s_mul_i32 s70, s4, s70
	s_addc_u32 s22, s75, s77
	s_addc_u32 s74, s78, 0
	s_add_u32 s22, s22, s70
	s_addc_u32 s70, 0, s74
	v_add_co_u32 v2, s22, v2, s22
	s_delay_alu instid0(VALU_DEP_1) | instskip(SKIP_1) | instid1(VALU_DEP_1)
	s_cmp_lg_u32 s22, 0
	s_addc_u32 s4, s4, s70
	v_readfirstlane_b32 s22, v2
	s_mul_i32 s70, s23, s4
	s_delay_alu instid0(VALU_DEP_1)
	s_mul_hi_u32 s74, s23, s22
	s_mul_i32 s68, s68, s22
	s_add_i32 s70, s74, s70
	s_mul_i32 s23, s23, s22
	s_add_i32 s70, s70, s68
	s_mul_hi_u32 s74, s4, s23
	s_mul_i32 s75, s4, s23
	s_mul_hi_u32 s23, s22, s23
	s_mul_hi_u32 s76, s22, s70
	s_mul_i32 s22, s22, s70
	s_mul_hi_u32 s68, s4, s70
	s_add_u32 s22, s23, s22
	s_addc_u32 s23, 0, s76
	s_add_u32 s22, s22, s75
	s_mul_i32 s70, s4, s70
	s_addc_u32 s22, s23, s74
	s_addc_u32 s23, s68, 0
	s_add_u32 s22, s22, s70
	s_addc_u32 s23, 0, s23
	v_add_co_u32 v2, s22, v2, s22
	s_delay_alu instid0(VALU_DEP_1) | instskip(SKIP_1) | instid1(VALU_DEP_1)
	s_cmp_lg_u32 s22, 0
	s_addc_u32 s4, s4, s23
	v_readfirstlane_b32 s22, v2
	s_mul_i32 s68, s21, s4
	s_mul_hi_u32 s23, s21, s4
	s_mul_hi_u32 s70, s5, s4
	s_mul_i32 s4, s5, s4
	s_mul_hi_u32 s74, s21, s22
	s_mul_hi_u32 s75, s5, s22
	s_mul_i32 s22, s5, s22
	s_add_u32 s68, s74, s68
	s_addc_u32 s23, 0, s23
	s_add_u32 s22, s68, s22
	s_addc_u32 s22, s23, s75
	s_addc_u32 s23, s70, 0
	s_add_u32 s4, s22, s4
	s_addc_u32 s22, 0, s23
	s_mul_hi_u32 s23, s27, s4
	s_mul_i32 s4, s27, s4
	s_mul_i32 s22, s27, s22
	v_sub_co_u32 v2, s4, s21, s4
	s_add_i32 s23, s23, s22
	s_cmp_lg_u32 s4, 0
	s_delay_alu instid0(VALU_DEP_1) | instskip(SKIP_2) | instid1(VALU_DEP_1)
	v_sub_co_u32 v3, s4, v2, s27
	s_subb_u32 s22, s5, s23
	s_cmp_lg_u32 s4, 0
	v_cmp_le_u32_e32 vcc_lo, s27, v3
	v_sub_co_u32 v4, s4, v3, s27
	s_subb_u32 s23, s22, 0
	s_cmp_lg_u32 s4, 0
	v_cndmask_b32_e64 v5, 0, -1, vcc_lo
	s_subb_u32 s4, s23, 0
	s_cmp_eq_u32 s23, 0
	v_mov_b32_e32 v7, s4
	s_cselect_b32 vcc_lo, -1, 0
	s_cmp_eq_u32 s22, 0
	v_cndmask_b32_e32 v5, -1, v5, vcc_lo
	v_cmp_le_u32_e32 vcc_lo, s27, v2
	s_cselect_b32 s4, -1, 0
	v_cndmask_b32_e64 v6, 0, -1, vcc_lo
	s_delay_alu instid0(VALU_DEP_3) | instskip(NEXT) | instid1(VALU_DEP_2)
	v_cmp_ne_u32_e32 vcc_lo, 0, v5
	v_cndmask_b32_e64 v5, -1, v6, s4
	v_cndmask_b32_e32 v6, s23, v7, vcc_lo
	v_cndmask_b32_e32 v4, v3, v4, vcc_lo
	s_delay_alu instid0(VALU_DEP_3) | instskip(NEXT) | instid1(VALU_DEP_3)
	v_cmp_ne_u32_e32 vcc_lo, 0, v5
	v_cndmask_b32_e32 v3, s22, v6, vcc_lo
	s_delay_alu instid0(VALU_DEP_3)
	v_cndmask_b32_e32 v2, v2, v4, vcc_lo
	s_cbranch_execnz .LBB86_101
.LBB86_100:                             ;   in Loop: Header=BB86_24 Depth=1
	v_cvt_f32_u32_e32 v2, s27
	s_sub_i32 s4, 0, s27
	s_delay_alu instid0(VALU_DEP_1) | instskip(SKIP_2) | instid1(VALU_DEP_1)
	v_rcp_iflag_f32_e32 v2, v2
	s_waitcnt_depctr 0xfff
	v_mul_f32_e32 v2, 0x4f7ffffe, v2
	v_cvt_u32_f32_e32 v2, v2
	s_delay_alu instid0(VALU_DEP_1) | instskip(NEXT) | instid1(VALU_DEP_1)
	v_mul_lo_u32 v3, s4, v2
	v_mul_hi_u32 v3, v2, v3
	s_delay_alu instid0(VALU_DEP_1) | instskip(NEXT) | instid1(VALU_DEP_1)
	v_add_nc_u32_e32 v2, v2, v3
	v_mul_hi_u32 v2, s21, v2
	s_delay_alu instid0(VALU_DEP_1) | instskip(NEXT) | instid1(VALU_DEP_1)
	v_mul_lo_u32 v2, v2, s27
	v_sub_nc_u32_e32 v2, s21, v2
	s_delay_alu instid0(VALU_DEP_1) | instskip(SKIP_1) | instid1(VALU_DEP_2)
	v_subrev_nc_u32_e32 v3, s27, v2
	v_cmp_le_u32_e32 vcc_lo, s27, v2
	v_cndmask_b32_e32 v2, v2, v3, vcc_lo
	s_delay_alu instid0(VALU_DEP_1) | instskip(SKIP_1) | instid1(VALU_DEP_2)
	v_subrev_nc_u32_e32 v3, s27, v2
	v_cmp_le_u32_e32 vcc_lo, s27, v2
	v_cndmask_b32_e32 v12, v2, v3, vcc_lo
	s_delay_alu instid0(VALU_DEP_1)
	v_dual_mov_b32 v2, v12 :: v_dual_mov_b32 v3, v13
.LBB86_101:                             ;   in Loop: Header=BB86_24 Depth=1
	s_delay_alu instid0(VALU_DEP_1) | instskip(NEXT) | instid1(VALU_DEP_2)
	v_sub_co_u32 v2, vcc_lo, s21, v2
	v_sub_co_ci_u32_e32 v3, vcc_lo, s5, v3, vcc_lo
	s_mov_b32 s4, 0
	s_mov_b32 s5, exec_lo
                                        ; implicit-def: $vgpr24
	s_delay_alu instid0(VALU_DEP_1)
	v_cmpx_gt_u64_e64 v[2:3], v[0:1]
	s_cbranch_execz .LBB86_112
; %bb.102:                              ;   in Loop: Header=BB86_24 Depth=1
	v_dual_mov_b32 v6, v0 :: v_dual_mov_b32 v5, v1
	v_mov_b32_e32 v4, v0
	s_mov_b32 s21, 0
                                        ; implicit-def: $sgpr22
	s_set_inst_prefetch_distance 0x1
	s_branch .LBB86_104
	.p2align	6
.LBB86_103:                             ;   in Loop: Header=BB86_104 Depth=2
	s_or_b32 exec_lo, exec_lo, s4
	s_waitcnt lgkmcnt(0)
	s_barrier
	buffer_gl0_inv
	ds_load_u16 v7, v13 offset:3072
	v_add_co_u32 v4, vcc_lo, v4, s27
	v_add_co_ci_u32_e32 v5, vcc_lo, 0, v5, vcc_lo
	v_add_nc_u32_e32 v6, s27, v6
	s_waitcnt lgkmcnt(0)
	s_barrier
	s_delay_alu instid0(VALU_DEP_2) | instskip(SKIP_2) | instid1(VALU_DEP_1)
	v_cmp_ge_u64_e32 vcc_lo, v[4:5], v[2:3]
	buffer_gl0_inv
	v_and_b32_e32 v8, 0xff, v7
	v_cmp_ne_u16_e64 s4, 0, v8
	s_delay_alu instid0(VALU_DEP_1) | instskip(NEXT) | instid1(SALU_CYCLE_1)
	s_or_b32 s23, vcc_lo, s4
	s_and_b32 s23, exec_lo, s23
	s_delay_alu instid0(SALU_CYCLE_1) | instskip(SKIP_2) | instid1(SALU_CYCLE_1)
	s_or_b32 s21, s23, s21
	s_and_not1_b32 s22, s22, exec_lo
	s_and_b32 s4, s4, exec_lo
	s_or_b32 s22, s22, s4
	s_and_not1_b32 exec_lo, exec_lo, s21
	s_cbranch_execz .LBB86_111
.LBB86_104:                             ;   Parent Loop BB86_24 Depth=1
                                        ; =>  This Inner Loop Header: Depth=2
	s_delay_alu instid0(VALU_DEP_1)
	v_cmp_gt_u64_e32 vcc_lo, s[14:15], v[4:5]
	v_mov_b32_e32 v7, 0
	s_and_saveexec_b32 s4, vcc_lo
	s_cbranch_execz .LBB86_106
; %bb.105:                              ;   in Loop: Header=BB86_104 Depth=2
	ds_load_u8 v7, v6
.LBB86_106:                             ;   in Loop: Header=BB86_104 Depth=2
	s_or_b32 exec_lo, exec_lo, s4
	s_and_saveexec_b32 s4, vcc_lo
	s_cbranch_execz .LBB86_103
; %bb.107:                              ;   in Loop: Header=BB86_104 Depth=2
	s_waitcnt lgkmcnt(0)
	v_bfe_i32 v8, v7, 0, 8
	s_delay_alu instid0(VALU_DEP_1) | instskip(NEXT) | instid1(VALU_DEP_1)
	v_add_nc_u32_e32 v8, 0x80, v8
	v_and_b32_e32 v8, s101, v8
	s_delay_alu instid0(VALU_DEP_1)
	v_cmp_eq_u32_e32 vcc_lo, s100, v8
	s_and_b32 exec_lo, exec_lo, vcc_lo
	s_cbranch_execz .LBB86_103
; %bb.108:                              ;   in Loop: Header=BB86_104 Depth=2
	v_lshlrev_b16 v7, 8, v7
	s_delay_alu instid0(VALU_DEP_1)
	v_or_b32_e32 v7, 1, v7
	ds_store_b16 v13, v7 offset:3072
	s_branch .LBB86_103
.LBB86_109:                             ;   in Loop: Header=BB86_24 Depth=1
	s_mov_b32 s4, -1
                                        ; implicit-def: $sgpr5
                                        ; implicit-def: $sgpr15
                                        ; implicit-def: $sgpr14
	s_branch .LBB86_126
.LBB86_110:                             ;   in Loop: Header=BB86_24 Depth=1
	s_mov_b32 s5, -1
	s_mov_b32 s4, 0
                                        ; implicit-def: $sgpr14
                                        ; implicit-def: $vgpr24
	s_mov_b32 s15, s5
	s_cbranch_execnz .LBB86_113
	s_branch .LBB86_126
.LBB86_111:                             ;   in Loop: Header=BB86_24 Depth=1
	s_set_inst_prefetch_distance 0x2
	s_or_b32 exec_lo, exec_lo, s21
	v_lshrrev_b16 v24, 8, v7
	s_and_b32 s4, s22, exec_lo
.LBB86_112:                             ;   in Loop: Header=BB86_24 Depth=1
	s_or_b32 exec_lo, exec_lo, s5
	s_mov_b32 s14, -1
	s_mov_b32 s5, 0
	s_delay_alu instid0(SALU_CYCLE_1)
	s_mov_b32 s15, s5
	s_branch .LBB86_126
.LBB86_113:                             ;   in Loop: Header=BB86_24 Depth=1
	s_mov_b32 s70, s69
	s_delay_alu instid0(SALU_CYCLE_1)
	s_cmp_lg_u64 s[70:71], 0
	s_cbranch_scc0 .LBB86_156
; %bb.114:                              ;   in Loop: Header=BB86_24 Depth=1
	v_cvt_f32_u32_e32 v2, s27
	s_sub_u32 s14, 0, s27
	s_subb_u32 s15, 0, 0
	s_delay_alu instid0(VALU_DEP_1) | instskip(NEXT) | instid1(VALU_DEP_1)
	v_fmac_f32_e64 v2, 0, 0x4f800000
	v_rcp_f32_e32 v2, v2
	s_waitcnt_depctr 0xfff
	v_mul_f32_e32 v2, 0x5f7ffffc, v2
	s_delay_alu instid0(VALU_DEP_1) | instskip(NEXT) | instid1(VALU_DEP_1)
	v_mul_f32_e32 v3, 0x2f800000, v2
	v_trunc_f32_e32 v3, v3
	s_delay_alu instid0(VALU_DEP_1) | instskip(SKIP_1) | instid1(VALU_DEP_2)
	v_fmac_f32_e32 v2, 0xcf800000, v3
	v_cvt_u32_f32_e32 v3, v3
	v_cvt_u32_f32_e32 v2, v2
	s_delay_alu instid0(VALU_DEP_2) | instskip(NEXT) | instid1(VALU_DEP_2)
	v_readfirstlane_b32 s4, v3
	v_readfirstlane_b32 s5, v2
	s_delay_alu instid0(VALU_DEP_2) | instskip(NEXT) | instid1(VALU_DEP_1)
	s_mul_i32 s21, s14, s4
	s_mul_hi_u32 s23, s14, s5
	s_mul_i32 s22, s15, s5
	s_add_i32 s21, s23, s21
	s_mul_i32 s68, s14, s5
	s_add_i32 s21, s21, s22
	s_mul_hi_u32 s23, s5, s68
	s_mul_hi_u32 s70, s4, s68
	s_mul_i32 s22, s4, s68
	s_mul_hi_u32 s68, s5, s21
	s_mul_i32 s5, s5, s21
	s_mul_hi_u32 s74, s4, s21
	s_add_u32 s5, s23, s5
	s_addc_u32 s23, 0, s68
	s_add_u32 s5, s5, s22
	s_mul_i32 s21, s4, s21
	s_addc_u32 s5, s23, s70
	s_addc_u32 s22, s74, 0
	s_add_u32 s5, s5, s21
	s_addc_u32 s21, 0, s22
	v_add_co_u32 v2, s5, v2, s5
	s_delay_alu instid0(VALU_DEP_1) | instskip(SKIP_1) | instid1(VALU_DEP_1)
	s_cmp_lg_u32 s5, 0
	s_addc_u32 s4, s4, s21
	v_readfirstlane_b32 s5, v2
	s_mul_i32 s21, s14, s4
	s_delay_alu instid0(VALU_DEP_1)
	s_mul_hi_u32 s22, s14, s5
	s_mul_i32 s15, s15, s5
	s_add_i32 s21, s22, s21
	s_mul_i32 s14, s14, s5
	s_add_i32 s21, s21, s15
	s_mul_hi_u32 s22, s4, s14
	s_mul_i32 s23, s4, s14
	s_mul_hi_u32 s14, s5, s14
	s_mul_hi_u32 s68, s5, s21
	s_mul_i32 s5, s5, s21
	s_mul_hi_u32 s15, s4, s21
	s_add_u32 s5, s14, s5
	s_addc_u32 s14, 0, s68
	s_add_u32 s5, s5, s23
	s_mul_i32 s21, s4, s21
	s_addc_u32 s5, s14, s22
	s_addc_u32 s14, s15, 0
	s_add_u32 s5, s5, s21
	s_addc_u32 s14, 0, s14
	v_add_co_u32 v2, s5, v2, s5
	s_delay_alu instid0(VALU_DEP_1) | instskip(SKIP_1) | instid1(VALU_DEP_1)
	s_cmp_lg_u32 s5, 0
	s_addc_u32 s4, s4, s14
	v_readfirstlane_b32 s5, v2
	s_mul_i32 s15, s85, s4
	s_mul_hi_u32 s14, s85, s4
	s_mul_hi_u32 s21, s71, s4
	s_mul_i32 s4, s71, s4
	s_mul_hi_u32 s22, s85, s5
	s_mul_hi_u32 s23, s71, s5
	s_mul_i32 s5, s71, s5
	s_add_u32 s15, s22, s15
	s_addc_u32 s14, 0, s14
	s_add_u32 s5, s15, s5
	s_addc_u32 s5, s14, s23
	s_addc_u32 s14, s21, 0
	s_add_u32 s4, s5, s4
	s_addc_u32 s5, 0, s14
	s_mul_hi_u32 s14, s27, s4
	s_mul_i32 s4, s27, s4
	s_mul_i32 s5, s27, s5
	v_sub_co_u32 v2, s4, s85, s4
	s_add_i32 s14, s14, s5
	s_cmp_lg_u32 s4, 0
	s_delay_alu instid0(VALU_DEP_1) | instskip(SKIP_2) | instid1(VALU_DEP_1)
	v_sub_co_u32 v3, s4, v2, s27
	s_subb_u32 s5, s71, s14
	s_cmp_lg_u32 s4, 0
	v_cmp_le_u32_e32 vcc_lo, s27, v3
	v_sub_co_u32 v4, s4, v3, s27
	s_subb_u32 s14, s5, 0
	s_cmp_lg_u32 s4, 0
	v_cndmask_b32_e64 v5, 0, -1, vcc_lo
	s_subb_u32 s4, s14, 0
	s_cmp_eq_u32 s14, 0
	v_mov_b32_e32 v7, s4
	s_cselect_b32 vcc_lo, -1, 0
	s_cmp_eq_u32 s5, 0
	v_cndmask_b32_e32 v5, -1, v5, vcc_lo
	v_cmp_le_u32_e32 vcc_lo, s27, v2
	s_cselect_b32 s4, -1, 0
	v_cndmask_b32_e64 v6, 0, -1, vcc_lo
	s_delay_alu instid0(VALU_DEP_3) | instskip(NEXT) | instid1(VALU_DEP_2)
	v_cmp_ne_u32_e32 vcc_lo, 0, v5
	v_cndmask_b32_e64 v5, -1, v6, s4
	v_cndmask_b32_e32 v6, s14, v7, vcc_lo
	v_cndmask_b32_e32 v4, v3, v4, vcc_lo
	s_delay_alu instid0(VALU_DEP_3) | instskip(NEXT) | instid1(VALU_DEP_3)
	v_cmp_ne_u32_e32 vcc_lo, 0, v5
	v_cndmask_b32_e32 v3, s5, v6, vcc_lo
	s_delay_alu instid0(VALU_DEP_3)
	v_cndmask_b32_e32 v2, v2, v4, vcc_lo
	s_cbranch_execnz .LBB86_116
.LBB86_115:                             ;   in Loop: Header=BB86_24 Depth=1
	v_cvt_f32_u32_e32 v2, s27
	s_sub_i32 s4, 0, s27
	s_delay_alu instid0(VALU_DEP_1) | instskip(SKIP_2) | instid1(VALU_DEP_1)
	v_rcp_iflag_f32_e32 v2, v2
	s_waitcnt_depctr 0xfff
	v_mul_f32_e32 v2, 0x4f7ffffe, v2
	v_cvt_u32_f32_e32 v2, v2
	s_delay_alu instid0(VALU_DEP_1) | instskip(NEXT) | instid1(VALU_DEP_1)
	v_mul_lo_u32 v3, s4, v2
	v_mul_hi_u32 v3, v2, v3
	s_delay_alu instid0(VALU_DEP_1) | instskip(NEXT) | instid1(VALU_DEP_1)
	v_add_nc_u32_e32 v2, v2, v3
	v_mul_hi_u32 v2, s85, v2
	s_delay_alu instid0(VALU_DEP_1) | instskip(NEXT) | instid1(VALU_DEP_1)
	v_mul_lo_u32 v2, v2, s27
	v_sub_nc_u32_e32 v2, s85, v2
	s_delay_alu instid0(VALU_DEP_1) | instskip(SKIP_1) | instid1(VALU_DEP_2)
	v_subrev_nc_u32_e32 v3, s27, v2
	v_cmp_le_u32_e32 vcc_lo, s27, v2
	v_cndmask_b32_e32 v2, v2, v3, vcc_lo
	s_delay_alu instid0(VALU_DEP_1) | instskip(SKIP_1) | instid1(VALU_DEP_2)
	v_subrev_nc_u32_e32 v3, s27, v2
	v_cmp_le_u32_e32 vcc_lo, s27, v2
	v_cndmask_b32_e32 v12, v2, v3, vcc_lo
	s_delay_alu instid0(VALU_DEP_1)
	v_dual_mov_b32 v2, v12 :: v_dual_mov_b32 v3, v13
.LBB86_116:                             ;   in Loop: Header=BB86_24 Depth=1
	s_delay_alu instid0(VALU_DEP_1) | instskip(NEXT) | instid1(VALU_DEP_2)
	v_sub_co_u32 v2, vcc_lo, s85, v2
	v_sub_co_ci_u32_e32 v3, vcc_lo, s71, v3, vcc_lo
	s_mov_b32 s4, 0
	s_mov_b32 s5, exec_lo
                                        ; implicit-def: $vgpr24
	s_delay_alu instid0(VALU_DEP_1)
	v_cmpx_gt_u64_e64 v[2:3], v[0:1]
	s_cbranch_execz .LBB86_125
; %bb.117:                              ;   in Loop: Header=BB86_24 Depth=1
	v_dual_mov_b32 v5, v1 :: v_dual_mov_b32 v4, v0
	s_mov_b32 s14, 0
                                        ; implicit-def: $sgpr15
	s_branch .LBB86_119
.LBB86_118:                             ;   in Loop: Header=BB86_119 Depth=2
	s_or_b32 exec_lo, exec_lo, s4
	s_waitcnt vmcnt(0) lgkmcnt(0)
	s_barrier
	buffer_gl0_inv
	ds_load_u16 v6, v13 offset:3072
	v_add_co_u32 v4, vcc_lo, v4, s27
	v_add_co_ci_u32_e32 v5, vcc_lo, 0, v5, vcc_lo
	s_waitcnt lgkmcnt(0)
	s_barrier
	buffer_gl0_inv
	v_cmp_ge_u64_e32 vcc_lo, v[4:5], v[2:3]
	v_and_b32_e32 v7, 0xff, v6
	s_delay_alu instid0(VALU_DEP_1) | instskip(NEXT) | instid1(VALU_DEP_1)
	v_cmp_ne_u16_e64 s4, 0, v7
	s_or_b32 s21, vcc_lo, s4
	s_delay_alu instid0(SALU_CYCLE_1) | instskip(NEXT) | instid1(SALU_CYCLE_1)
	s_and_b32 s21, exec_lo, s21
	s_or_b32 s14, s21, s14
	s_and_not1_b32 s15, s15, exec_lo
	s_and_b32 s4, s4, exec_lo
	s_delay_alu instid0(SALU_CYCLE_1)
	s_or_b32 s15, s15, s4
	s_and_not1_b32 exec_lo, exec_lo, s14
	s_cbranch_execz .LBB86_124
.LBB86_119:                             ;   Parent Loop BB86_24 Depth=1
                                        ; =>  This Inner Loop Header: Depth=2
	s_delay_alu instid0(VALU_DEP_1)
	v_cmp_gt_u64_e32 vcc_lo, s[24:25], v[4:5]
	v_mov_b32_e32 v6, 0
	s_and_saveexec_b32 s4, vcc_lo
	s_cbranch_execz .LBB86_121
; %bb.120:                              ;   in Loop: Header=BB86_119 Depth=2
	v_mad_u64_u32 v[6:7], null, v4, s54, s[62:63]
	v_mul_lo_u32 v8, v4, s55
	v_mul_lo_u32 v9, v5, s54
	s_delay_alu instid0(VALU_DEP_1)
	v_add3_u32 v7, v9, v7, v8
	global_load_u8 v6, v[6:7], off
.LBB86_121:                             ;   in Loop: Header=BB86_119 Depth=2
	s_or_b32 exec_lo, exec_lo, s4
	s_and_saveexec_b32 s4, vcc_lo
	s_cbranch_execz .LBB86_118
; %bb.122:                              ;   in Loop: Header=BB86_119 Depth=2
	s_waitcnt vmcnt(0)
	v_bfe_i32 v7, v6, 0, 8
	s_delay_alu instid0(VALU_DEP_1) | instskip(NEXT) | instid1(VALU_DEP_1)
	v_add_nc_u32_e32 v7, 0x80, v7
	v_and_b32_e32 v7, s101, v7
	s_delay_alu instid0(VALU_DEP_1)
	v_cmp_eq_u32_e32 vcc_lo, s100, v7
	s_and_b32 exec_lo, exec_lo, vcc_lo
	s_cbranch_execz .LBB86_118
; %bb.123:                              ;   in Loop: Header=BB86_119 Depth=2
	v_lshlrev_b16 v6, 8, v6
	s_delay_alu instid0(VALU_DEP_1)
	v_or_b32_e32 v6, 1, v6
	ds_store_b16 v13, v6 offset:3072
	s_branch .LBB86_118
.LBB86_124:                             ;   in Loop: Header=BB86_24 Depth=1
	s_or_b32 exec_lo, exec_lo, s14
	v_lshrrev_b16 v24, 8, v6
	s_and_b32 s4, s15, exec_lo
.LBB86_125:                             ;   in Loop: Header=BB86_24 Depth=1
	s_or_b32 exec_lo, exec_lo, s5
	s_mov_b32 s15, -1
	s_mov_b32 s5, 0
	s_mov_b32 s14, 0
.LBB86_126:                             ;   in Loop: Header=BB86_24 Depth=1
	s_and_not1_b32 s21, s96, exec_lo
	s_and_b32 s5, s5, exec_lo
	s_and_b32 s15, s15, exec_lo
	s_or_b32 s96, s21, s5
	s_and_not1_b32 s5, s99, exec_lo
	s_and_not1_b32 s21, s97, exec_lo
	s_and_b32 s14, s14, exec_lo
	s_or_b32 s99, s5, s15
	s_or_b32 s97, s21, s14
	s_and_saveexec_b32 s14, s4
	s_cbranch_execz .LBB86_23
; %bb.127:                              ;   in Loop: Header=BB86_24 Depth=1
	s_xor_b32 s4, s20, -1
	s_mov_b32 s68, 1
	s_and_not1_b32 vcc_lo, exec_lo, s4
	s_cbranch_vccnz .LBB86_138
; %bb.128:                              ;   in Loop: Header=BB86_24 Depth=1
	v_cmp_gt_u64_e64 s4, s[66:67], s[12:13]
                                        ; implicit-def: $sgpr68
                                        ; implicit-def: $sgpr5
                                        ; implicit-def: $sgpr15
	s_delay_alu instid0(VALU_DEP_1)
	s_and_b32 vcc_lo, exec_lo, s4
	s_mov_b32 s4, -1
	s_cbranch_vccnz .LBB86_134
; %bb.129:                              ;   in Loop: Header=BB86_24 Depth=1
	ds_load_b64 v[2:3], v13 offset:5120
	s_waitcnt lgkmcnt(0)
	v_cmp_ne_u64_e32 vcc_lo, 0, v[2:3]
	s_cbranch_vccnz .LBB86_133
; %bb.130:                              ;   in Loop: Header=BB86_24 Depth=1
	s_and_saveexec_b32 s4, s2
	s_cbranch_execz .LBB86_132
; %bb.131:                              ;   in Loop: Header=BB86_24 Depth=1
	v_dual_mov_b32 v2, s12 :: v_dual_mov_b32 v3, s13
	ds_store_b64 v13, v[2:3] offset:5128
.LBB86_132:                             ;   in Loop: Header=BB86_24 Depth=1
	s_or_b32 exec_lo, exec_lo, s4
	s_waitcnt lgkmcnt(0)
	s_barrier
	buffer_gl0_inv
.LBB86_133:                             ;   in Loop: Header=BB86_24 Depth=1
	s_and_b32 s5, s100, s18
	s_or_b32 s15, s101, s16
	s_mov_b32 s4, 0
	s_mov_b32 s68, 8
.LBB86_134:                             ;   in Loop: Header=BB86_24 Depth=1
	s_and_not1_b32 vcc_lo, exec_lo, s4
	s_cbranch_vccnz .LBB86_136
; %bb.135:                              ;   in Loop: Header=BB86_24 Depth=1
	s_sub_u32 s66, s66, s12
	s_subb_u32 s67, s67, s13
	s_mov_b32 s4, -1
	s_mov_b32 s68, 0
	s_mov_b32 s5, s100
	;; [unrolled: 1-line block ×3, first 2 shown]
.LBB86_136:                             ;   in Loop: Header=BB86_24 Depth=1
	s_delay_alu instid0(SALU_CYCLE_1)
	s_mov_b32 s101, s15
	s_mov_b32 s100, s5
	s_and_b32 vcc_lo, exec_lo, s4
	s_mov_b32 s15, -1
	s_cbranch_vccnz .LBB86_139
.LBB86_137:                             ;   in Loop: Header=BB86_24 Depth=1
	s_mov_b32 s5, -1
                                        ; implicit-def: $sgpr12
                                        ; implicit-def: $sgpr19
                                        ; implicit-def: $sgpr13
	s_delay_alu instid0(SALU_CYCLE_1) | instskip(NEXT) | instid1(SALU_CYCLE_1)
	s_and_saveexec_b32 s4, s5
	s_xor_b32 s4, exec_lo, s4
	s_cbranch_execz .LBB86_22
	s_branch .LBB86_285
.LBB86_138:                             ;   in Loop: Header=BB86_24 Depth=1
	s_mov_b64 s[66:67], 1
	s_mov_b32 s15, -1
	s_branch .LBB86_137
.LBB86_139:                             ;   in Loop: Header=BB86_24 Depth=1
	s_cmp_eq_u64 s[10:11], 1
	s_cselect_b32 s4, -1, 0
	s_cmp_eq_u64 s[66:67], 1
	s_cselect_b32 s5, -1, 0
	s_delay_alu instid0(SALU_CYCLE_1)
	s_and_b32 s21, s4, s5
	s_mov_b32 s4, -1
	s_and_b32 vcc_lo, exec_lo, s21
	s_cbranch_vccz .LBB86_154
; %bb.140:                              ;   in Loop: Header=BB86_24 Depth=1
	ds_load_b64 v[2:3], v13 offset:5120
	s_waitcnt lgkmcnt(0)
	s_barrier
	buffer_gl0_inv
	v_readfirstlane_b32 s12, v2
	v_readfirstlane_b32 s13, v3
	s_and_saveexec_b32 s4, s3
	s_cbranch_execz .LBB86_142
; %bb.141:                              ;   in Loop: Header=BB86_24 Depth=1
	ds_store_b8 v0, v13 offset:3072
.LBB86_142:                             ;   in Loop: Header=BB86_24 Depth=1
	s_or_b32 exec_lo, exec_lo, s4
	s_lshl_b32 s4, 1, s17
	s_and_b32 s5, s100, s18
	s_or_b32 s101, s101, s16
	s_or_b32 s100, s5, s4
	s_cmp_eq_u64 s[12:13], 0
	s_waitcnt lgkmcnt(0)
	s_barrier
	buffer_gl0_inv
	s_cbranch_scc1 .LBB86_157
; %bb.143:                              ;   in Loop: Header=BB86_24 Depth=1
	s_add_u32 s19, s51, s12
	s_addc_u32 s5, s84, s13
	s_mov_b32 s4, s69
	s_delay_alu instid0(SALU_CYCLE_1)
	s_cmp_lg_u64 s[4:5], 0
	s_cbranch_scc0 .LBB86_202
; %bb.144:                              ;   in Loop: Header=BB86_24 Depth=1
	v_cvt_f32_u32_e32 v2, s27
	s_sub_u32 s22, 0, s27
	s_subb_u32 s23, 0, 0
	s_delay_alu instid0(VALU_DEP_1) | instskip(NEXT) | instid1(VALU_DEP_1)
	v_fmac_f32_e64 v2, 0, 0x4f800000
	v_rcp_f32_e32 v2, v2
	s_waitcnt_depctr 0xfff
	v_mul_f32_e32 v2, 0x5f7ffffc, v2
	s_delay_alu instid0(VALU_DEP_1) | instskip(NEXT) | instid1(VALU_DEP_1)
	v_mul_f32_e32 v3, 0x2f800000, v2
	v_trunc_f32_e32 v3, v3
	s_delay_alu instid0(VALU_DEP_1) | instskip(SKIP_1) | instid1(VALU_DEP_2)
	v_fmac_f32_e32 v2, 0xcf800000, v3
	v_cvt_u32_f32_e32 v3, v3
	v_cvt_u32_f32_e32 v2, v2
	s_delay_alu instid0(VALU_DEP_2) | instskip(NEXT) | instid1(VALU_DEP_2)
	v_readfirstlane_b32 s4, v3
	v_readfirstlane_b32 s20, v2
	s_delay_alu instid0(VALU_DEP_2) | instskip(NEXT) | instid1(VALU_DEP_1)
	s_mul_i32 s68, s22, s4
	s_mul_hi_u32 s74, s22, s20
	s_mul_i32 s70, s23, s20
	s_add_i32 s68, s74, s68
	s_mul_i32 s75, s22, s20
	s_add_i32 s68, s68, s70
	s_mul_hi_u32 s74, s20, s75
	s_mul_hi_u32 s76, s4, s75
	s_mul_i32 s70, s4, s75
	s_mul_hi_u32 s75, s20, s68
	s_mul_i32 s20, s20, s68
	s_mul_hi_u32 s77, s4, s68
	s_add_u32 s20, s74, s20
	s_addc_u32 s74, 0, s75
	s_add_u32 s20, s20, s70
	s_mul_i32 s68, s4, s68
	s_addc_u32 s20, s74, s76
	s_addc_u32 s70, s77, 0
	s_add_u32 s20, s20, s68
	s_addc_u32 s68, 0, s70
	v_add_co_u32 v2, s20, v2, s20
	s_delay_alu instid0(VALU_DEP_1) | instskip(SKIP_1) | instid1(VALU_DEP_1)
	s_cmp_lg_u32 s20, 0
	s_addc_u32 s4, s4, s68
	v_readfirstlane_b32 s20, v2
	s_mul_i32 s68, s22, s4
	s_delay_alu instid0(VALU_DEP_1)
	s_mul_hi_u32 s70, s22, s20
	s_mul_i32 s23, s23, s20
	s_add_i32 s68, s70, s68
	s_mul_i32 s22, s22, s20
	s_add_i32 s68, s68, s23
	s_mul_hi_u32 s70, s4, s22
	s_mul_i32 s74, s4, s22
	s_mul_hi_u32 s22, s20, s22
	s_mul_hi_u32 s75, s20, s68
	s_mul_i32 s20, s20, s68
	s_mul_hi_u32 s23, s4, s68
	s_add_u32 s20, s22, s20
	s_addc_u32 s22, 0, s75
	s_add_u32 s20, s20, s74
	s_mul_i32 s68, s4, s68
	s_addc_u32 s20, s22, s70
	s_addc_u32 s22, s23, 0
	s_add_u32 s20, s20, s68
	s_addc_u32 s22, 0, s22
	v_add_co_u32 v2, s20, v2, s20
	s_delay_alu instid0(VALU_DEP_1) | instskip(SKIP_1) | instid1(VALU_DEP_1)
	s_cmp_lg_u32 s20, 0
	s_addc_u32 s4, s4, s22
	v_readfirstlane_b32 s20, v2
	s_mul_i32 s23, s19, s4
	s_mul_hi_u32 s22, s19, s4
	s_mul_hi_u32 s68, s5, s4
	s_mul_i32 s4, s5, s4
	s_mul_hi_u32 s70, s19, s20
	s_mul_hi_u32 s74, s5, s20
	s_mul_i32 s20, s5, s20
	s_add_u32 s23, s70, s23
	s_addc_u32 s22, 0, s22
	s_add_u32 s20, s23, s20
	s_addc_u32 s20, s22, s74
	s_addc_u32 s22, s68, 0
	s_add_u32 s4, s20, s4
	s_addc_u32 s20, 0, s22
	s_mul_hi_u32 s22, s27, s4
	s_mul_i32 s4, s27, s4
	s_mul_i32 s20, s27, s20
	v_sub_co_u32 v2, s4, s19, s4
	s_add_i32 s22, s22, s20
	s_cmp_lg_u32 s4, 0
	s_delay_alu instid0(VALU_DEP_1) | instskip(SKIP_2) | instid1(VALU_DEP_1)
	v_sub_co_u32 v3, s4, v2, s27
	s_subb_u32 s20, s5, s22
	s_cmp_lg_u32 s4, 0
	v_cmp_le_u32_e32 vcc_lo, s27, v3
	v_sub_co_u32 v4, s4, v3, s27
	s_subb_u32 s22, s20, 0
	s_cmp_lg_u32 s4, 0
	v_cndmask_b32_e64 v5, 0, -1, vcc_lo
	s_subb_u32 s4, s22, 0
	s_cmp_eq_u32 s22, 0
	v_mov_b32_e32 v7, s4
	s_cselect_b32 vcc_lo, -1, 0
	s_cmp_eq_u32 s20, 0
	v_cndmask_b32_e32 v5, -1, v5, vcc_lo
	v_cmp_le_u32_e32 vcc_lo, s27, v2
	s_cselect_b32 s4, -1, 0
	v_cndmask_b32_e64 v6, 0, -1, vcc_lo
	s_delay_alu instid0(VALU_DEP_3) | instskip(NEXT) | instid1(VALU_DEP_2)
	v_cmp_ne_u32_e32 vcc_lo, 0, v5
	v_cndmask_b32_e64 v5, -1, v6, s4
	v_cndmask_b32_e32 v6, s22, v7, vcc_lo
	v_cndmask_b32_e32 v4, v3, v4, vcc_lo
	s_delay_alu instid0(VALU_DEP_3) | instskip(NEXT) | instid1(VALU_DEP_3)
	v_cmp_ne_u32_e32 vcc_lo, 0, v5
	v_cndmask_b32_e32 v3, s20, v6, vcc_lo
	s_delay_alu instid0(VALU_DEP_3)
	v_cndmask_b32_e32 v2, v2, v4, vcc_lo
	s_cbranch_execnz .LBB86_146
.LBB86_145:                             ;   in Loop: Header=BB86_24 Depth=1
	v_cvt_f32_u32_e32 v2, s27
	s_sub_i32 s4, 0, s27
	s_delay_alu instid0(VALU_DEP_1) | instskip(SKIP_2) | instid1(VALU_DEP_1)
	v_rcp_iflag_f32_e32 v2, v2
	s_waitcnt_depctr 0xfff
	v_mul_f32_e32 v2, 0x4f7ffffe, v2
	v_cvt_u32_f32_e32 v2, v2
	s_delay_alu instid0(VALU_DEP_1) | instskip(NEXT) | instid1(VALU_DEP_1)
	v_mul_lo_u32 v3, s4, v2
	v_mul_hi_u32 v3, v2, v3
	s_delay_alu instid0(VALU_DEP_1) | instskip(NEXT) | instid1(VALU_DEP_1)
	v_add_nc_u32_e32 v2, v2, v3
	v_mul_hi_u32 v2, s19, v2
	s_delay_alu instid0(VALU_DEP_1) | instskip(NEXT) | instid1(VALU_DEP_1)
	v_mul_lo_u32 v2, v2, s27
	v_sub_nc_u32_e32 v2, s19, v2
	s_delay_alu instid0(VALU_DEP_1) | instskip(SKIP_1) | instid1(VALU_DEP_2)
	v_subrev_nc_u32_e32 v3, s27, v2
	v_cmp_le_u32_e32 vcc_lo, s27, v2
	v_cndmask_b32_e32 v2, v2, v3, vcc_lo
	s_delay_alu instid0(VALU_DEP_1) | instskip(SKIP_1) | instid1(VALU_DEP_2)
	v_subrev_nc_u32_e32 v3, s27, v2
	v_cmp_le_u32_e32 vcc_lo, s27, v2
	v_cndmask_b32_e32 v12, v2, v3, vcc_lo
	s_delay_alu instid0(VALU_DEP_1)
	v_dual_mov_b32 v2, v12 :: v_dual_mov_b32 v3, v13
.LBB86_146:                             ;   in Loop: Header=BB86_24 Depth=1
	s_delay_alu instid0(VALU_DEP_1) | instskip(NEXT) | instid1(VALU_DEP_2)
	v_sub_co_u32 v2, vcc_lo, s19, v2
	v_sub_co_ci_u32_e32 v3, vcc_lo, s5, v3, vcc_lo
	s_mov_b32 s4, 0
	s_mov_b32 s5, exec_lo
                                        ; implicit-def: $vgpr24
	s_delay_alu instid0(VALU_DEP_1)
	v_cmpx_gt_u64_e64 v[2:3], v[0:1]
	s_cbranch_execz .LBB86_159
; %bb.147:                              ;   in Loop: Header=BB86_24 Depth=1
	v_dual_mov_b32 v6, v0 :: v_dual_mov_b32 v5, v1
	v_mov_b32_e32 v4, v0
	s_mov_b32 s19, 0
                                        ; implicit-def: $sgpr20
	s_set_inst_prefetch_distance 0x1
	s_branch .LBB86_149
	.p2align	6
.LBB86_148:                             ;   in Loop: Header=BB86_149 Depth=2
	s_or_b32 exec_lo, exec_lo, s4
	s_waitcnt lgkmcnt(0)
	s_barrier
	buffer_gl0_inv
	ds_load_u16 v7, v13 offset:3072
	v_add_co_u32 v4, vcc_lo, v4, s27
	v_add_co_ci_u32_e32 v5, vcc_lo, 0, v5, vcc_lo
	v_add_nc_u32_e32 v6, s27, v6
	s_waitcnt lgkmcnt(0)
	s_barrier
	s_delay_alu instid0(VALU_DEP_2) | instskip(SKIP_2) | instid1(VALU_DEP_1)
	v_cmp_ge_u64_e32 vcc_lo, v[4:5], v[2:3]
	buffer_gl0_inv
	v_and_b32_e32 v8, 0xff, v7
	v_cmp_ne_u16_e64 s4, 0, v8
	s_delay_alu instid0(VALU_DEP_1) | instskip(NEXT) | instid1(SALU_CYCLE_1)
	s_or_b32 s22, vcc_lo, s4
	s_and_b32 s22, exec_lo, s22
	s_delay_alu instid0(SALU_CYCLE_1) | instskip(SKIP_2) | instid1(SALU_CYCLE_1)
	s_or_b32 s19, s22, s19
	s_and_not1_b32 s20, s20, exec_lo
	s_and_b32 s4, s4, exec_lo
	s_or_b32 s20, s20, s4
	s_and_not1_b32 exec_lo, exec_lo, s19
	s_cbranch_execz .LBB86_158
.LBB86_149:                             ;   Parent Loop BB86_24 Depth=1
                                        ; =>  This Inner Loop Header: Depth=2
	s_delay_alu instid0(VALU_DEP_1)
	v_cmp_gt_u64_e32 vcc_lo, s[12:13], v[4:5]
	v_mov_b32_e32 v7, 0
	s_and_saveexec_b32 s4, vcc_lo
	s_cbranch_execz .LBB86_151
; %bb.150:                              ;   in Loop: Header=BB86_149 Depth=2
	ds_load_u8 v7, v6
.LBB86_151:                             ;   in Loop: Header=BB86_149 Depth=2
	s_or_b32 exec_lo, exec_lo, s4
	s_and_saveexec_b32 s4, vcc_lo
	s_cbranch_execz .LBB86_148
; %bb.152:                              ;   in Loop: Header=BB86_149 Depth=2
	s_waitcnt lgkmcnt(0)
	v_bfe_i32 v8, v7, 0, 8
	s_delay_alu instid0(VALU_DEP_1) | instskip(NEXT) | instid1(VALU_DEP_1)
	v_add_nc_u32_e32 v8, 0x80, v8
	v_and_b32_e32 v8, s101, v8
	s_delay_alu instid0(VALU_DEP_1)
	v_cmp_eq_u32_e32 vcc_lo, s100, v8
	s_and_b32 exec_lo, exec_lo, vcc_lo
	s_cbranch_execz .LBB86_148
; %bb.153:                              ;   in Loop: Header=BB86_149 Depth=2
	v_lshlrev_b16 v7, 8, v7
	s_delay_alu instid0(VALU_DEP_1)
	v_or_b32_e32 v7, 1, v7
	ds_store_b16 v13, v7 offset:3072
	s_branch .LBB86_148
.LBB86_154:                             ;   in Loop: Header=BB86_24 Depth=1
                                        ; implicit-def: $sgpr13
                                        ; implicit-def: $sgpr19
                                        ; implicit-def: $sgpr12
	s_branch .LBB86_173
.LBB86_155:                             ;   in Loop: Header=BB86_24 Depth=1
                                        ; implicit-def: $vgpr2_vgpr3
	s_branch .LBB86_100
.LBB86_156:                             ;   in Loop: Header=BB86_24 Depth=1
                                        ; implicit-def: $vgpr2_vgpr3
	s_branch .LBB86_115
.LBB86_157:                             ;   in Loop: Header=BB86_24 Depth=1
	s_mov_b32 s13, -1
	s_mov_b32 s4, 0
                                        ; implicit-def: $sgpr12
                                        ; implicit-def: $vgpr24
	s_mov_b32 s19, s13
	s_cbranch_execnz .LBB86_160
	s_branch .LBB86_173
.LBB86_158:                             ;   in Loop: Header=BB86_24 Depth=1
	s_set_inst_prefetch_distance 0x2
	s_or_b32 exec_lo, exec_lo, s19
	v_lshrrev_b16 v24, 8, v7
	s_and_b32 s4, s20, exec_lo
.LBB86_159:                             ;   in Loop: Header=BB86_24 Depth=1
	s_or_b32 exec_lo, exec_lo, s5
	s_mov_b32 s12, -1
	s_mov_b32 s13, 0
	s_delay_alu instid0(SALU_CYCLE_1)
	s_mov_b32 s19, s13
	s_branch .LBB86_173
.LBB86_160:                             ;   in Loop: Header=BB86_24 Depth=1
	s_mov_b32 s70, s69
	s_delay_alu instid0(SALU_CYCLE_1)
	s_cmp_lg_u64 s[70:71], 0
	s_cbranch_scc0 .LBB86_203
; %bb.161:                              ;   in Loop: Header=BB86_24 Depth=1
	v_cvt_f32_u32_e32 v2, s27
	s_sub_u32 s12, 0, s27
	s_subb_u32 s13, 0, 0
	s_delay_alu instid0(VALU_DEP_1) | instskip(NEXT) | instid1(VALU_DEP_1)
	v_fmac_f32_e64 v2, 0, 0x4f800000
	v_rcp_f32_e32 v2, v2
	s_waitcnt_depctr 0xfff
	v_mul_f32_e32 v2, 0x5f7ffffc, v2
	s_delay_alu instid0(VALU_DEP_1) | instskip(NEXT) | instid1(VALU_DEP_1)
	v_mul_f32_e32 v3, 0x2f800000, v2
	v_trunc_f32_e32 v3, v3
	s_delay_alu instid0(VALU_DEP_1) | instskip(SKIP_1) | instid1(VALU_DEP_2)
	v_fmac_f32_e32 v2, 0xcf800000, v3
	v_cvt_u32_f32_e32 v3, v3
	v_cvt_u32_f32_e32 v2, v2
	s_delay_alu instid0(VALU_DEP_2) | instskip(NEXT) | instid1(VALU_DEP_2)
	v_readfirstlane_b32 s4, v3
	v_readfirstlane_b32 s5, v2
	s_delay_alu instid0(VALU_DEP_2) | instskip(NEXT) | instid1(VALU_DEP_1)
	s_mul_i32 s19, s12, s4
	s_mul_hi_u32 s22, s12, s5
	s_mul_i32 s20, s13, s5
	s_add_i32 s19, s22, s19
	s_mul_i32 s23, s12, s5
	s_add_i32 s19, s19, s20
	s_mul_hi_u32 s22, s5, s23
	s_mul_hi_u32 s68, s4, s23
	s_mul_i32 s20, s4, s23
	s_mul_hi_u32 s23, s5, s19
	s_mul_i32 s5, s5, s19
	s_mul_hi_u32 s70, s4, s19
	s_add_u32 s5, s22, s5
	s_addc_u32 s22, 0, s23
	s_add_u32 s5, s5, s20
	s_mul_i32 s19, s4, s19
	s_addc_u32 s5, s22, s68
	s_addc_u32 s20, s70, 0
	s_add_u32 s5, s5, s19
	s_addc_u32 s19, 0, s20
	v_add_co_u32 v2, s5, v2, s5
	s_delay_alu instid0(VALU_DEP_1) | instskip(SKIP_1) | instid1(VALU_DEP_1)
	s_cmp_lg_u32 s5, 0
	s_addc_u32 s4, s4, s19
	v_readfirstlane_b32 s5, v2
	s_mul_i32 s19, s12, s4
	s_delay_alu instid0(VALU_DEP_1)
	s_mul_hi_u32 s20, s12, s5
	s_mul_i32 s13, s13, s5
	s_add_i32 s19, s20, s19
	s_mul_i32 s12, s12, s5
	s_add_i32 s19, s19, s13
	s_mul_hi_u32 s20, s4, s12
	s_mul_i32 s22, s4, s12
	s_mul_hi_u32 s12, s5, s12
	s_mul_hi_u32 s23, s5, s19
	s_mul_i32 s5, s5, s19
	s_mul_hi_u32 s13, s4, s19
	s_add_u32 s5, s12, s5
	s_addc_u32 s12, 0, s23
	s_add_u32 s5, s5, s22
	s_mul_i32 s19, s4, s19
	s_addc_u32 s5, s12, s20
	s_addc_u32 s12, s13, 0
	s_add_u32 s5, s5, s19
	s_addc_u32 s12, 0, s12
	v_add_co_u32 v2, s5, v2, s5
	s_delay_alu instid0(VALU_DEP_1) | instskip(SKIP_1) | instid1(VALU_DEP_1)
	s_cmp_lg_u32 s5, 0
	s_addc_u32 s4, s4, s12
	v_readfirstlane_b32 s5, v2
	s_mul_i32 s13, s85, s4
	s_mul_hi_u32 s12, s85, s4
	s_mul_hi_u32 s19, s71, s4
	s_mul_i32 s4, s71, s4
	s_mul_hi_u32 s20, s85, s5
	s_mul_hi_u32 s22, s71, s5
	s_mul_i32 s5, s71, s5
	s_add_u32 s13, s20, s13
	s_addc_u32 s12, 0, s12
	s_add_u32 s5, s13, s5
	s_addc_u32 s5, s12, s22
	s_addc_u32 s12, s19, 0
	s_add_u32 s4, s5, s4
	s_addc_u32 s5, 0, s12
	s_mul_hi_u32 s12, s27, s4
	s_mul_i32 s4, s27, s4
	s_mul_i32 s5, s27, s5
	v_sub_co_u32 v2, s4, s85, s4
	s_add_i32 s12, s12, s5
	s_cmp_lg_u32 s4, 0
	s_delay_alu instid0(VALU_DEP_1) | instskip(SKIP_2) | instid1(VALU_DEP_1)
	v_sub_co_u32 v3, s4, v2, s27
	s_subb_u32 s5, s71, s12
	s_cmp_lg_u32 s4, 0
	v_cmp_le_u32_e32 vcc_lo, s27, v3
	v_sub_co_u32 v4, s4, v3, s27
	s_subb_u32 s12, s5, 0
	s_cmp_lg_u32 s4, 0
	v_cndmask_b32_e64 v5, 0, -1, vcc_lo
	s_subb_u32 s4, s12, 0
	s_cmp_eq_u32 s12, 0
	v_mov_b32_e32 v7, s4
	s_cselect_b32 vcc_lo, -1, 0
	s_cmp_eq_u32 s5, 0
	v_cndmask_b32_e32 v5, -1, v5, vcc_lo
	v_cmp_le_u32_e32 vcc_lo, s27, v2
	s_cselect_b32 s4, -1, 0
	v_cndmask_b32_e64 v6, 0, -1, vcc_lo
	s_delay_alu instid0(VALU_DEP_3) | instskip(NEXT) | instid1(VALU_DEP_2)
	v_cmp_ne_u32_e32 vcc_lo, 0, v5
	v_cndmask_b32_e64 v5, -1, v6, s4
	v_cndmask_b32_e32 v6, s12, v7, vcc_lo
	v_cndmask_b32_e32 v4, v3, v4, vcc_lo
	s_delay_alu instid0(VALU_DEP_3) | instskip(NEXT) | instid1(VALU_DEP_3)
	v_cmp_ne_u32_e32 vcc_lo, 0, v5
	v_cndmask_b32_e32 v3, s5, v6, vcc_lo
	s_delay_alu instid0(VALU_DEP_3)
	v_cndmask_b32_e32 v2, v2, v4, vcc_lo
	s_cbranch_execnz .LBB86_163
.LBB86_162:                             ;   in Loop: Header=BB86_24 Depth=1
	v_cvt_f32_u32_e32 v2, s27
	s_sub_i32 s4, 0, s27
	s_delay_alu instid0(VALU_DEP_1) | instskip(SKIP_2) | instid1(VALU_DEP_1)
	v_rcp_iflag_f32_e32 v2, v2
	s_waitcnt_depctr 0xfff
	v_mul_f32_e32 v2, 0x4f7ffffe, v2
	v_cvt_u32_f32_e32 v2, v2
	s_delay_alu instid0(VALU_DEP_1) | instskip(NEXT) | instid1(VALU_DEP_1)
	v_mul_lo_u32 v3, s4, v2
	v_mul_hi_u32 v3, v2, v3
	s_delay_alu instid0(VALU_DEP_1) | instskip(NEXT) | instid1(VALU_DEP_1)
	v_add_nc_u32_e32 v2, v2, v3
	v_mul_hi_u32 v2, s85, v2
	s_delay_alu instid0(VALU_DEP_1) | instskip(NEXT) | instid1(VALU_DEP_1)
	v_mul_lo_u32 v2, v2, s27
	v_sub_nc_u32_e32 v2, s85, v2
	s_delay_alu instid0(VALU_DEP_1) | instskip(SKIP_1) | instid1(VALU_DEP_2)
	v_subrev_nc_u32_e32 v3, s27, v2
	v_cmp_le_u32_e32 vcc_lo, s27, v2
	v_cndmask_b32_e32 v2, v2, v3, vcc_lo
	s_delay_alu instid0(VALU_DEP_1) | instskip(SKIP_1) | instid1(VALU_DEP_2)
	v_subrev_nc_u32_e32 v3, s27, v2
	v_cmp_le_u32_e32 vcc_lo, s27, v2
	v_cndmask_b32_e32 v12, v2, v3, vcc_lo
	s_delay_alu instid0(VALU_DEP_1)
	v_dual_mov_b32 v2, v12 :: v_dual_mov_b32 v3, v13
.LBB86_163:                             ;   in Loop: Header=BB86_24 Depth=1
	s_delay_alu instid0(VALU_DEP_1) | instskip(NEXT) | instid1(VALU_DEP_2)
	v_sub_co_u32 v2, vcc_lo, s85, v2
	v_sub_co_ci_u32_e32 v3, vcc_lo, s71, v3, vcc_lo
	s_mov_b32 s4, 0
	s_mov_b32 s5, exec_lo
                                        ; implicit-def: $vgpr24
	s_delay_alu instid0(VALU_DEP_1)
	v_cmpx_gt_u64_e64 v[2:3], v[0:1]
	s_cbranch_execz .LBB86_172
; %bb.164:                              ;   in Loop: Header=BB86_24 Depth=1
	v_dual_mov_b32 v5, v1 :: v_dual_mov_b32 v4, v0
	s_mov_b32 s12, 0
                                        ; implicit-def: $sgpr13
	s_branch .LBB86_166
.LBB86_165:                             ;   in Loop: Header=BB86_166 Depth=2
	s_or_b32 exec_lo, exec_lo, s4
	s_waitcnt vmcnt(0) lgkmcnt(0)
	s_barrier
	buffer_gl0_inv
	ds_load_u16 v6, v13 offset:3072
	v_add_co_u32 v4, vcc_lo, v4, s27
	v_add_co_ci_u32_e32 v5, vcc_lo, 0, v5, vcc_lo
	s_waitcnt lgkmcnt(0)
	s_barrier
	buffer_gl0_inv
	v_cmp_ge_u64_e32 vcc_lo, v[4:5], v[2:3]
	v_and_b32_e32 v7, 0xff, v6
	s_delay_alu instid0(VALU_DEP_1) | instskip(NEXT) | instid1(VALU_DEP_1)
	v_cmp_ne_u16_e64 s4, 0, v7
	s_or_b32 s19, vcc_lo, s4
	s_delay_alu instid0(SALU_CYCLE_1) | instskip(NEXT) | instid1(SALU_CYCLE_1)
	s_and_b32 s19, exec_lo, s19
	s_or_b32 s12, s19, s12
	s_and_not1_b32 s13, s13, exec_lo
	s_and_b32 s4, s4, exec_lo
	s_delay_alu instid0(SALU_CYCLE_1)
	s_or_b32 s13, s13, s4
	s_and_not1_b32 exec_lo, exec_lo, s12
	s_cbranch_execz .LBB86_171
.LBB86_166:                             ;   Parent Loop BB86_24 Depth=1
                                        ; =>  This Inner Loop Header: Depth=2
	s_delay_alu instid0(VALU_DEP_1)
	v_cmp_gt_u64_e32 vcc_lo, s[24:25], v[4:5]
	v_mov_b32_e32 v6, 0
	s_and_saveexec_b32 s4, vcc_lo
	s_cbranch_execz .LBB86_168
; %bb.167:                              ;   in Loop: Header=BB86_166 Depth=2
	v_mad_u64_u32 v[6:7], null, v4, s54, s[62:63]
	v_mul_lo_u32 v8, v4, s55
	v_mul_lo_u32 v9, v5, s54
	s_delay_alu instid0(VALU_DEP_1)
	v_add3_u32 v7, v9, v7, v8
	global_load_u8 v6, v[6:7], off
.LBB86_168:                             ;   in Loop: Header=BB86_166 Depth=2
	s_or_b32 exec_lo, exec_lo, s4
	s_and_saveexec_b32 s4, vcc_lo
	s_cbranch_execz .LBB86_165
; %bb.169:                              ;   in Loop: Header=BB86_166 Depth=2
	s_waitcnt vmcnt(0)
	v_bfe_i32 v7, v6, 0, 8
	s_delay_alu instid0(VALU_DEP_1) | instskip(NEXT) | instid1(VALU_DEP_1)
	v_add_nc_u32_e32 v7, 0x80, v7
	v_and_b32_e32 v7, s101, v7
	s_delay_alu instid0(VALU_DEP_1)
	v_cmp_eq_u32_e32 vcc_lo, s100, v7
	s_and_b32 exec_lo, exec_lo, vcc_lo
	s_cbranch_execz .LBB86_165
; %bb.170:                              ;   in Loop: Header=BB86_166 Depth=2
	v_lshlrev_b16 v6, 8, v6
	s_delay_alu instid0(VALU_DEP_1)
	v_or_b32_e32 v6, 1, v6
	ds_store_b16 v13, v6 offset:3072
	s_branch .LBB86_165
.LBB86_171:                             ;   in Loop: Header=BB86_24 Depth=1
	s_or_b32 exec_lo, exec_lo, s12
	v_lshrrev_b16 v24, 8, v6
	s_and_b32 s4, s13, exec_lo
.LBB86_172:                             ;   in Loop: Header=BB86_24 Depth=1
	s_or_b32 exec_lo, exec_lo, s5
	s_mov_b32 s19, -1
	s_mov_b32 s13, 0
	s_mov_b32 s12, 0
.LBB86_173:                             ;   in Loop: Header=BB86_24 Depth=1
	s_mov_b32 s5, 0
                                        ; implicit-def: $sgpr68
	s_and_saveexec_b32 s20, s4
	s_cbranch_execz .LBB86_284
; %bb.174:                              ;   in Loop: Header=BB86_24 Depth=1
	s_xor_b32 s4, s21, -1
	s_mov_b32 s68, 1
	s_and_not1_b32 vcc_lo, exec_lo, s4
	s_cbranch_vccnz .LBB86_185
; %bb.175:                              ;   in Loop: Header=BB86_24 Depth=1
	v_cmp_gt_u64_e64 s4, s[66:67], s[10:11]
                                        ; implicit-def: $sgpr68
                                        ; implicit-def: $sgpr5
                                        ; implicit-def: $sgpr21
	s_delay_alu instid0(VALU_DEP_1)
	s_and_b32 vcc_lo, exec_lo, s4
	s_mov_b32 s4, -1
	s_cbranch_vccnz .LBB86_181
; %bb.176:                              ;   in Loop: Header=BB86_24 Depth=1
	ds_load_b64 v[2:3], v13 offset:5120
	s_waitcnt lgkmcnt(0)
	v_cmp_ne_u64_e32 vcc_lo, 0, v[2:3]
	s_cbranch_vccnz .LBB86_180
; %bb.177:                              ;   in Loop: Header=BB86_24 Depth=1
	s_and_saveexec_b32 s4, s2
	s_cbranch_execz .LBB86_179
; %bb.178:                              ;   in Loop: Header=BB86_24 Depth=1
	v_dual_mov_b32 v2, s10 :: v_dual_mov_b32 v3, s11
	ds_store_b64 v13, v[2:3] offset:5128
.LBB86_179:                             ;   in Loop: Header=BB86_24 Depth=1
	s_or_b32 exec_lo, exec_lo, s4
	s_waitcnt lgkmcnt(0)
	s_barrier
	buffer_gl0_inv
.LBB86_180:                             ;   in Loop: Header=BB86_24 Depth=1
	s_lshl_b32 s4, 1, s17
	s_and_b32 s5, s100, s18
	s_or_b32 s21, s101, s16
	s_or_b32 s5, s5, s4
	s_mov_b32 s4, 0
	s_mov_b32 s68, 8
.LBB86_181:                             ;   in Loop: Header=BB86_24 Depth=1
	s_and_not1_b32 vcc_lo, exec_lo, s4
	s_cbranch_vccnz .LBB86_183
; %bb.182:                              ;   in Loop: Header=BB86_24 Depth=1
	s_sub_u32 s66, s66, s10
	s_subb_u32 s67, s67, s11
	s_mov_b32 s4, -1
	s_mov_b32 s68, 0
	s_mov_b32 s5, s100
	;; [unrolled: 1-line block ×3, first 2 shown]
.LBB86_183:                             ;   in Loop: Header=BB86_24 Depth=1
	s_delay_alu instid0(SALU_CYCLE_1)
	s_mov_b32 s101, s21
	s_mov_b32 s100, s5
	s_and_not1_b32 vcc_lo, exec_lo, s4
	s_mov_b32 s5, -1
	s_cbranch_vccz .LBB86_186
.LBB86_184:                             ;   in Loop: Header=BB86_24 Depth=1
                                        ; implicit-def: $sgpr11
                                        ; implicit-def: $sgpr21
                                        ; implicit-def: $sgpr10
	s_branch .LBB86_283
.LBB86_185:                             ;   in Loop: Header=BB86_24 Depth=1
	s_mov_b64 s[66:67], 1
	s_mov_b32 s5, -1
	s_cbranch_execnz .LBB86_184
.LBB86_186:                             ;   in Loop: Header=BB86_24 Depth=1
	s_cmp_eq_u64 s[8:9], 1
	s_cselect_b32 s4, -1, 0
	s_cmp_eq_u64 s[66:67], 1
	s_cselect_b32 s5, -1, 0
	s_delay_alu instid0(SALU_CYCLE_1)
	s_and_b32 s23, s4, s5
	s_mov_b32 s4, -1
	s_and_b32 vcc_lo, exec_lo, s23
	s_cbranch_vccz .LBB86_201
; %bb.187:                              ;   in Loop: Header=BB86_24 Depth=1
	ds_load_b64 v[2:3], v13 offset:5120
	s_waitcnt lgkmcnt(0)
	s_barrier
	buffer_gl0_inv
	v_readfirstlane_b32 s10, v2
	v_readfirstlane_b32 s11, v3
	s_and_saveexec_b32 s4, s3
	s_cbranch_execz .LBB86_189
; %bb.188:                              ;   in Loop: Header=BB86_24 Depth=1
	ds_store_b8 v0, v13 offset:3072
.LBB86_189:                             ;   in Loop: Header=BB86_24 Depth=1
	s_or_b32 exec_lo, exec_lo, s4
	s_lshl_b32 s4, 2, s17
	s_and_b32 s5, s100, s18
	s_or_b32 s101, s101, s16
	s_or_b32 s100, s5, s4
	s_cmp_eq_u64 s[10:11], 0
	s_waitcnt lgkmcnt(0)
	s_barrier
	buffer_gl0_inv
	s_cbranch_scc1 .LBB86_204
; %bb.190:                              ;   in Loop: Header=BB86_24 Depth=1
	s_add_u32 s21, s51, s10
	s_addc_u32 s5, s84, s11
	s_mov_b32 s4, s69
	s_delay_alu instid0(SALU_CYCLE_1)
	s_cmp_lg_u64 s[4:5], 0
	s_cbranch_scc0 .LBB86_249
; %bb.191:                              ;   in Loop: Header=BB86_24 Depth=1
	v_cvt_f32_u32_e32 v2, s27
	s_sub_u32 s68, 0, s27
	s_subb_u32 s70, 0, 0
	s_delay_alu instid0(VALU_DEP_1) | instskip(NEXT) | instid1(VALU_DEP_1)
	v_fmac_f32_e64 v2, 0, 0x4f800000
	v_rcp_f32_e32 v2, v2
	s_waitcnt_depctr 0xfff
	v_mul_f32_e32 v2, 0x5f7ffffc, v2
	s_delay_alu instid0(VALU_DEP_1) | instskip(NEXT) | instid1(VALU_DEP_1)
	v_mul_f32_e32 v3, 0x2f800000, v2
	v_trunc_f32_e32 v3, v3
	s_delay_alu instid0(VALU_DEP_1) | instskip(SKIP_1) | instid1(VALU_DEP_2)
	v_fmac_f32_e32 v2, 0xcf800000, v3
	v_cvt_u32_f32_e32 v3, v3
	v_cvt_u32_f32_e32 v2, v2
	s_delay_alu instid0(VALU_DEP_2) | instskip(NEXT) | instid1(VALU_DEP_2)
	v_readfirstlane_b32 s4, v3
	v_readfirstlane_b32 s22, v2
	s_delay_alu instid0(VALU_DEP_2) | instskip(NEXT) | instid1(VALU_DEP_1)
	s_mul_i32 s74, s68, s4
	s_mul_hi_u32 s76, s68, s22
	s_mul_i32 s75, s70, s22
	s_add_i32 s74, s76, s74
	s_mul_i32 s77, s68, s22
	s_add_i32 s74, s74, s75
	s_mul_hi_u32 s76, s22, s77
	s_mul_hi_u32 s78, s4, s77
	s_mul_i32 s75, s4, s77
	s_mul_hi_u32 s77, s22, s74
	s_mul_i32 s22, s22, s74
	s_mul_hi_u32 s79, s4, s74
	s_add_u32 s22, s76, s22
	s_addc_u32 s76, 0, s77
	s_add_u32 s22, s22, s75
	s_mul_i32 s74, s4, s74
	s_addc_u32 s22, s76, s78
	s_addc_u32 s75, s79, 0
	s_add_u32 s22, s22, s74
	s_addc_u32 s74, 0, s75
	v_add_co_u32 v2, s22, v2, s22
	s_delay_alu instid0(VALU_DEP_1) | instskip(SKIP_1) | instid1(VALU_DEP_1)
	s_cmp_lg_u32 s22, 0
	s_addc_u32 s4, s4, s74
	v_readfirstlane_b32 s22, v2
	s_mul_i32 s74, s68, s4
	s_delay_alu instid0(VALU_DEP_1)
	s_mul_hi_u32 s75, s68, s22
	s_mul_i32 s70, s70, s22
	s_add_i32 s74, s75, s74
	s_mul_i32 s68, s68, s22
	s_add_i32 s74, s74, s70
	s_mul_hi_u32 s75, s4, s68
	s_mul_i32 s76, s4, s68
	s_mul_hi_u32 s68, s22, s68
	s_mul_hi_u32 s77, s22, s74
	s_mul_i32 s22, s22, s74
	s_mul_hi_u32 s70, s4, s74
	s_add_u32 s22, s68, s22
	s_addc_u32 s68, 0, s77
	s_add_u32 s22, s22, s76
	s_mul_i32 s74, s4, s74
	s_addc_u32 s22, s68, s75
	s_addc_u32 s68, s70, 0
	s_add_u32 s22, s22, s74
	s_addc_u32 s68, 0, s68
	v_add_co_u32 v2, s22, v2, s22
	s_delay_alu instid0(VALU_DEP_1) | instskip(SKIP_1) | instid1(VALU_DEP_1)
	s_cmp_lg_u32 s22, 0
	s_addc_u32 s4, s4, s68
	v_readfirstlane_b32 s22, v2
	s_mul_i32 s70, s21, s4
	s_mul_hi_u32 s68, s21, s4
	s_mul_hi_u32 s74, s5, s4
	s_mul_i32 s4, s5, s4
	s_mul_hi_u32 s75, s21, s22
	s_mul_hi_u32 s76, s5, s22
	s_mul_i32 s22, s5, s22
	s_add_u32 s70, s75, s70
	s_addc_u32 s68, 0, s68
	s_add_u32 s22, s70, s22
	s_addc_u32 s22, s68, s76
	s_addc_u32 s68, s74, 0
	s_add_u32 s4, s22, s4
	s_addc_u32 s22, 0, s68
	s_mul_hi_u32 s68, s27, s4
	s_mul_i32 s4, s27, s4
	s_mul_i32 s22, s27, s22
	v_sub_co_u32 v2, s4, s21, s4
	s_add_i32 s68, s68, s22
	s_cmp_lg_u32 s4, 0
	s_delay_alu instid0(VALU_DEP_1) | instskip(SKIP_2) | instid1(VALU_DEP_1)
	v_sub_co_u32 v3, s4, v2, s27
	s_subb_u32 s22, s5, s68
	s_cmp_lg_u32 s4, 0
	v_cmp_le_u32_e32 vcc_lo, s27, v3
	v_sub_co_u32 v4, s4, v3, s27
	s_subb_u32 s68, s22, 0
	s_cmp_lg_u32 s4, 0
	v_cndmask_b32_e64 v5, 0, -1, vcc_lo
	s_subb_u32 s4, s68, 0
	s_cmp_eq_u32 s68, 0
	v_mov_b32_e32 v7, s4
	s_cselect_b32 vcc_lo, -1, 0
	s_cmp_eq_u32 s22, 0
	v_cndmask_b32_e32 v5, -1, v5, vcc_lo
	v_cmp_le_u32_e32 vcc_lo, s27, v2
	s_cselect_b32 s4, -1, 0
	v_cndmask_b32_e64 v6, 0, -1, vcc_lo
	s_delay_alu instid0(VALU_DEP_3) | instskip(NEXT) | instid1(VALU_DEP_2)
	v_cmp_ne_u32_e32 vcc_lo, 0, v5
	v_cndmask_b32_e64 v5, -1, v6, s4
	v_cndmask_b32_e32 v6, s68, v7, vcc_lo
	v_cndmask_b32_e32 v4, v3, v4, vcc_lo
	s_delay_alu instid0(VALU_DEP_3) | instskip(NEXT) | instid1(VALU_DEP_3)
	v_cmp_ne_u32_e32 vcc_lo, 0, v5
	v_cndmask_b32_e32 v3, s22, v6, vcc_lo
	s_delay_alu instid0(VALU_DEP_3)
	v_cndmask_b32_e32 v2, v2, v4, vcc_lo
	s_cbranch_execnz .LBB86_193
.LBB86_192:                             ;   in Loop: Header=BB86_24 Depth=1
	v_cvt_f32_u32_e32 v2, s27
	s_sub_i32 s4, 0, s27
	s_delay_alu instid0(VALU_DEP_1) | instskip(SKIP_2) | instid1(VALU_DEP_1)
	v_rcp_iflag_f32_e32 v2, v2
	s_waitcnt_depctr 0xfff
	v_mul_f32_e32 v2, 0x4f7ffffe, v2
	v_cvt_u32_f32_e32 v2, v2
	s_delay_alu instid0(VALU_DEP_1) | instskip(NEXT) | instid1(VALU_DEP_1)
	v_mul_lo_u32 v3, s4, v2
	v_mul_hi_u32 v3, v2, v3
	s_delay_alu instid0(VALU_DEP_1) | instskip(NEXT) | instid1(VALU_DEP_1)
	v_add_nc_u32_e32 v2, v2, v3
	v_mul_hi_u32 v2, s21, v2
	s_delay_alu instid0(VALU_DEP_1) | instskip(NEXT) | instid1(VALU_DEP_1)
	v_mul_lo_u32 v2, v2, s27
	v_sub_nc_u32_e32 v2, s21, v2
	s_delay_alu instid0(VALU_DEP_1) | instskip(SKIP_1) | instid1(VALU_DEP_2)
	v_subrev_nc_u32_e32 v3, s27, v2
	v_cmp_le_u32_e32 vcc_lo, s27, v2
	v_cndmask_b32_e32 v2, v2, v3, vcc_lo
	s_delay_alu instid0(VALU_DEP_1) | instskip(SKIP_1) | instid1(VALU_DEP_2)
	v_subrev_nc_u32_e32 v3, s27, v2
	v_cmp_le_u32_e32 vcc_lo, s27, v2
	v_cndmask_b32_e32 v12, v2, v3, vcc_lo
	s_delay_alu instid0(VALU_DEP_1)
	v_dual_mov_b32 v2, v12 :: v_dual_mov_b32 v3, v13
.LBB86_193:                             ;   in Loop: Header=BB86_24 Depth=1
	s_delay_alu instid0(VALU_DEP_1) | instskip(NEXT) | instid1(VALU_DEP_2)
	v_sub_co_u32 v2, vcc_lo, s21, v2
	v_sub_co_ci_u32_e32 v3, vcc_lo, s5, v3, vcc_lo
	s_mov_b32 s4, 0
	s_mov_b32 s5, exec_lo
                                        ; implicit-def: $vgpr24
	s_delay_alu instid0(VALU_DEP_1)
	v_cmpx_gt_u64_e64 v[2:3], v[0:1]
	s_cbranch_execz .LBB86_206
; %bb.194:                              ;   in Loop: Header=BB86_24 Depth=1
	v_dual_mov_b32 v6, v0 :: v_dual_mov_b32 v5, v1
	v_mov_b32_e32 v4, v0
	s_mov_b32 s21, 0
                                        ; implicit-def: $sgpr22
	s_set_inst_prefetch_distance 0x1
	s_branch .LBB86_196
	.p2align	6
.LBB86_195:                             ;   in Loop: Header=BB86_196 Depth=2
	s_or_b32 exec_lo, exec_lo, s4
	s_waitcnt lgkmcnt(0)
	s_barrier
	buffer_gl0_inv
	ds_load_u16 v7, v13 offset:3072
	v_add_co_u32 v4, vcc_lo, v4, s27
	v_add_co_ci_u32_e32 v5, vcc_lo, 0, v5, vcc_lo
	v_add_nc_u32_e32 v6, s27, v6
	s_waitcnt lgkmcnt(0)
	s_barrier
	s_delay_alu instid0(VALU_DEP_2) | instskip(SKIP_2) | instid1(VALU_DEP_1)
	v_cmp_ge_u64_e32 vcc_lo, v[4:5], v[2:3]
	buffer_gl0_inv
	v_and_b32_e32 v8, 0xff, v7
	v_cmp_ne_u16_e64 s4, 0, v8
	s_delay_alu instid0(VALU_DEP_1) | instskip(NEXT) | instid1(SALU_CYCLE_1)
	s_or_b32 s68, vcc_lo, s4
	s_and_b32 s68, exec_lo, s68
	s_delay_alu instid0(SALU_CYCLE_1) | instskip(SKIP_2) | instid1(SALU_CYCLE_1)
	s_or_b32 s21, s68, s21
	s_and_not1_b32 s22, s22, exec_lo
	s_and_b32 s4, s4, exec_lo
	s_or_b32 s22, s22, s4
	s_and_not1_b32 exec_lo, exec_lo, s21
	s_cbranch_execz .LBB86_205
.LBB86_196:                             ;   Parent Loop BB86_24 Depth=1
                                        ; =>  This Inner Loop Header: Depth=2
	s_delay_alu instid0(VALU_DEP_1)
	v_cmp_gt_u64_e32 vcc_lo, s[10:11], v[4:5]
	v_mov_b32_e32 v7, 0
	s_and_saveexec_b32 s4, vcc_lo
	s_cbranch_execz .LBB86_198
; %bb.197:                              ;   in Loop: Header=BB86_196 Depth=2
	ds_load_u8 v7, v6
.LBB86_198:                             ;   in Loop: Header=BB86_196 Depth=2
	s_or_b32 exec_lo, exec_lo, s4
	s_and_saveexec_b32 s4, vcc_lo
	s_cbranch_execz .LBB86_195
; %bb.199:                              ;   in Loop: Header=BB86_196 Depth=2
	s_waitcnt lgkmcnt(0)
	v_bfe_i32 v8, v7, 0, 8
	s_delay_alu instid0(VALU_DEP_1) | instskip(NEXT) | instid1(VALU_DEP_1)
	v_add_nc_u32_e32 v8, 0x80, v8
	v_and_b32_e32 v8, s101, v8
	s_delay_alu instid0(VALU_DEP_1)
	v_cmp_eq_u32_e32 vcc_lo, s100, v8
	s_and_b32 exec_lo, exec_lo, vcc_lo
	s_cbranch_execz .LBB86_195
; %bb.200:                              ;   in Loop: Header=BB86_196 Depth=2
	v_lshlrev_b16 v7, 8, v7
	s_delay_alu instid0(VALU_DEP_1)
	v_or_b32_e32 v7, 1, v7
	ds_store_b16 v13, v7 offset:3072
	s_branch .LBB86_195
.LBB86_201:                             ;   in Loop: Header=BB86_24 Depth=1
                                        ; implicit-def: $sgpr10
                                        ; implicit-def: $sgpr21
                                        ; implicit-def: $sgpr11
	s_branch .LBB86_220
.LBB86_202:                             ;   in Loop: Header=BB86_24 Depth=1
                                        ; implicit-def: $vgpr2_vgpr3
	s_branch .LBB86_145
.LBB86_203:                             ;   in Loop: Header=BB86_24 Depth=1
                                        ; implicit-def: $vgpr2_vgpr3
	s_branch .LBB86_162
.LBB86_204:                             ;   in Loop: Header=BB86_24 Depth=1
	s_mov_b32 s10, -1
	s_mov_b32 s4, 0
                                        ; implicit-def: $sgpr11
                                        ; implicit-def: $vgpr24
	s_mov_b32 s21, s10
	s_cbranch_execnz .LBB86_207
	s_branch .LBB86_220
.LBB86_205:                             ;   in Loop: Header=BB86_24 Depth=1
	s_set_inst_prefetch_distance 0x2
	s_or_b32 exec_lo, exec_lo, s21
	v_lshrrev_b16 v24, 8, v7
	s_and_b32 s4, s22, exec_lo
.LBB86_206:                             ;   in Loop: Header=BB86_24 Depth=1
	s_or_b32 exec_lo, exec_lo, s5
	s_mov_b32 s11, -1
	s_mov_b32 s10, 0
	s_delay_alu instid0(SALU_CYCLE_1)
	s_mov_b32 s21, s10
	s_branch .LBB86_220
.LBB86_207:                             ;   in Loop: Header=BB86_24 Depth=1
	s_mov_b32 s70, s69
	s_delay_alu instid0(SALU_CYCLE_1)
	s_cmp_lg_u64 s[70:71], 0
	s_cbranch_scc0 .LBB86_250
; %bb.208:                              ;   in Loop: Header=BB86_24 Depth=1
	v_cvt_f32_u32_e32 v2, s27
	s_sub_u32 s10, 0, s27
	s_subb_u32 s11, 0, 0
	s_delay_alu instid0(VALU_DEP_1) | instskip(NEXT) | instid1(VALU_DEP_1)
	v_fmac_f32_e64 v2, 0, 0x4f800000
	v_rcp_f32_e32 v2, v2
	s_waitcnt_depctr 0xfff
	v_mul_f32_e32 v2, 0x5f7ffffc, v2
	s_delay_alu instid0(VALU_DEP_1) | instskip(NEXT) | instid1(VALU_DEP_1)
	v_mul_f32_e32 v3, 0x2f800000, v2
	v_trunc_f32_e32 v3, v3
	s_delay_alu instid0(VALU_DEP_1) | instskip(SKIP_1) | instid1(VALU_DEP_2)
	v_fmac_f32_e32 v2, 0xcf800000, v3
	v_cvt_u32_f32_e32 v3, v3
	v_cvt_u32_f32_e32 v2, v2
	s_delay_alu instid0(VALU_DEP_2) | instskip(NEXT) | instid1(VALU_DEP_2)
	v_readfirstlane_b32 s4, v3
	v_readfirstlane_b32 s5, v2
	s_delay_alu instid0(VALU_DEP_2) | instskip(NEXT) | instid1(VALU_DEP_1)
	s_mul_i32 s21, s10, s4
	s_mul_hi_u32 s68, s10, s5
	s_mul_i32 s22, s11, s5
	s_add_i32 s21, s68, s21
	s_mul_i32 s70, s10, s5
	s_add_i32 s21, s21, s22
	s_mul_hi_u32 s68, s5, s70
	s_mul_hi_u32 s74, s4, s70
	s_mul_i32 s22, s4, s70
	s_mul_hi_u32 s70, s5, s21
	s_mul_i32 s5, s5, s21
	s_mul_hi_u32 s75, s4, s21
	s_add_u32 s5, s68, s5
	s_addc_u32 s68, 0, s70
	s_add_u32 s5, s5, s22
	s_mul_i32 s21, s4, s21
	s_addc_u32 s5, s68, s74
	s_addc_u32 s22, s75, 0
	s_add_u32 s5, s5, s21
	s_addc_u32 s21, 0, s22
	v_add_co_u32 v2, s5, v2, s5
	s_delay_alu instid0(VALU_DEP_1) | instskip(SKIP_1) | instid1(VALU_DEP_1)
	s_cmp_lg_u32 s5, 0
	s_addc_u32 s4, s4, s21
	v_readfirstlane_b32 s5, v2
	s_mul_i32 s21, s10, s4
	s_delay_alu instid0(VALU_DEP_1)
	s_mul_hi_u32 s22, s10, s5
	s_mul_i32 s11, s11, s5
	s_add_i32 s21, s22, s21
	s_mul_i32 s10, s10, s5
	s_add_i32 s21, s21, s11
	s_mul_hi_u32 s22, s4, s10
	s_mul_i32 s68, s4, s10
	s_mul_hi_u32 s10, s5, s10
	s_mul_hi_u32 s70, s5, s21
	s_mul_i32 s5, s5, s21
	s_mul_hi_u32 s11, s4, s21
	s_add_u32 s5, s10, s5
	s_addc_u32 s10, 0, s70
	s_add_u32 s5, s5, s68
	s_mul_i32 s21, s4, s21
	s_addc_u32 s5, s10, s22
	s_addc_u32 s10, s11, 0
	s_add_u32 s5, s5, s21
	s_addc_u32 s10, 0, s10
	v_add_co_u32 v2, s5, v2, s5
	s_delay_alu instid0(VALU_DEP_1) | instskip(SKIP_1) | instid1(VALU_DEP_1)
	s_cmp_lg_u32 s5, 0
	s_addc_u32 s4, s4, s10
	v_readfirstlane_b32 s5, v2
	s_mul_i32 s11, s85, s4
	s_mul_hi_u32 s10, s85, s4
	s_mul_hi_u32 s21, s71, s4
	s_mul_i32 s4, s71, s4
	s_mul_hi_u32 s22, s85, s5
	s_mul_hi_u32 s68, s71, s5
	s_mul_i32 s5, s71, s5
	s_add_u32 s11, s22, s11
	s_addc_u32 s10, 0, s10
	s_add_u32 s5, s11, s5
	s_addc_u32 s5, s10, s68
	s_addc_u32 s10, s21, 0
	s_add_u32 s4, s5, s4
	s_addc_u32 s5, 0, s10
	s_mul_hi_u32 s10, s27, s4
	s_mul_i32 s4, s27, s4
	s_mul_i32 s5, s27, s5
	v_sub_co_u32 v2, s4, s85, s4
	s_add_i32 s10, s10, s5
	s_cmp_lg_u32 s4, 0
	s_delay_alu instid0(VALU_DEP_1) | instskip(SKIP_2) | instid1(VALU_DEP_1)
	v_sub_co_u32 v3, s4, v2, s27
	s_subb_u32 s5, s71, s10
	s_cmp_lg_u32 s4, 0
	v_cmp_le_u32_e32 vcc_lo, s27, v3
	v_sub_co_u32 v4, s4, v3, s27
	s_subb_u32 s10, s5, 0
	s_cmp_lg_u32 s4, 0
	v_cndmask_b32_e64 v5, 0, -1, vcc_lo
	s_subb_u32 s4, s10, 0
	s_cmp_eq_u32 s10, 0
	v_mov_b32_e32 v7, s4
	s_cselect_b32 vcc_lo, -1, 0
	s_cmp_eq_u32 s5, 0
	v_cndmask_b32_e32 v5, -1, v5, vcc_lo
	v_cmp_le_u32_e32 vcc_lo, s27, v2
	s_cselect_b32 s4, -1, 0
	v_cndmask_b32_e64 v6, 0, -1, vcc_lo
	s_delay_alu instid0(VALU_DEP_3) | instskip(NEXT) | instid1(VALU_DEP_2)
	v_cmp_ne_u32_e32 vcc_lo, 0, v5
	v_cndmask_b32_e64 v5, -1, v6, s4
	v_cndmask_b32_e32 v6, s10, v7, vcc_lo
	v_cndmask_b32_e32 v4, v3, v4, vcc_lo
	s_delay_alu instid0(VALU_DEP_3) | instskip(NEXT) | instid1(VALU_DEP_3)
	v_cmp_ne_u32_e32 vcc_lo, 0, v5
	v_cndmask_b32_e32 v3, s5, v6, vcc_lo
	s_delay_alu instid0(VALU_DEP_3)
	v_cndmask_b32_e32 v2, v2, v4, vcc_lo
	s_cbranch_execnz .LBB86_210
.LBB86_209:                             ;   in Loop: Header=BB86_24 Depth=1
	v_cvt_f32_u32_e32 v2, s27
	s_sub_i32 s4, 0, s27
	s_delay_alu instid0(VALU_DEP_1) | instskip(SKIP_2) | instid1(VALU_DEP_1)
	v_rcp_iflag_f32_e32 v2, v2
	s_waitcnt_depctr 0xfff
	v_mul_f32_e32 v2, 0x4f7ffffe, v2
	v_cvt_u32_f32_e32 v2, v2
	s_delay_alu instid0(VALU_DEP_1) | instskip(NEXT) | instid1(VALU_DEP_1)
	v_mul_lo_u32 v3, s4, v2
	v_mul_hi_u32 v3, v2, v3
	s_delay_alu instid0(VALU_DEP_1) | instskip(NEXT) | instid1(VALU_DEP_1)
	v_add_nc_u32_e32 v2, v2, v3
	v_mul_hi_u32 v2, s85, v2
	s_delay_alu instid0(VALU_DEP_1) | instskip(NEXT) | instid1(VALU_DEP_1)
	v_mul_lo_u32 v2, v2, s27
	v_sub_nc_u32_e32 v2, s85, v2
	s_delay_alu instid0(VALU_DEP_1) | instskip(SKIP_1) | instid1(VALU_DEP_2)
	v_subrev_nc_u32_e32 v3, s27, v2
	v_cmp_le_u32_e32 vcc_lo, s27, v2
	v_cndmask_b32_e32 v2, v2, v3, vcc_lo
	s_delay_alu instid0(VALU_DEP_1) | instskip(SKIP_1) | instid1(VALU_DEP_2)
	v_subrev_nc_u32_e32 v3, s27, v2
	v_cmp_le_u32_e32 vcc_lo, s27, v2
	v_cndmask_b32_e32 v12, v2, v3, vcc_lo
	s_delay_alu instid0(VALU_DEP_1)
	v_dual_mov_b32 v2, v12 :: v_dual_mov_b32 v3, v13
.LBB86_210:                             ;   in Loop: Header=BB86_24 Depth=1
	s_delay_alu instid0(VALU_DEP_1) | instskip(NEXT) | instid1(VALU_DEP_2)
	v_sub_co_u32 v2, vcc_lo, s85, v2
	v_sub_co_ci_u32_e32 v3, vcc_lo, s71, v3, vcc_lo
	s_mov_b32 s4, 0
	s_mov_b32 s5, exec_lo
                                        ; implicit-def: $vgpr24
	s_delay_alu instid0(VALU_DEP_1)
	v_cmpx_gt_u64_e64 v[2:3], v[0:1]
	s_cbranch_execz .LBB86_219
; %bb.211:                              ;   in Loop: Header=BB86_24 Depth=1
	v_dual_mov_b32 v5, v1 :: v_dual_mov_b32 v4, v0
	s_mov_b32 s10, 0
                                        ; implicit-def: $sgpr11
	s_branch .LBB86_213
.LBB86_212:                             ;   in Loop: Header=BB86_213 Depth=2
	s_or_b32 exec_lo, exec_lo, s4
	s_waitcnt vmcnt(0) lgkmcnt(0)
	s_barrier
	buffer_gl0_inv
	ds_load_u16 v6, v13 offset:3072
	v_add_co_u32 v4, vcc_lo, v4, s27
	v_add_co_ci_u32_e32 v5, vcc_lo, 0, v5, vcc_lo
	s_waitcnt lgkmcnt(0)
	s_barrier
	buffer_gl0_inv
	v_cmp_ge_u64_e32 vcc_lo, v[4:5], v[2:3]
	v_and_b32_e32 v7, 0xff, v6
	s_delay_alu instid0(VALU_DEP_1) | instskip(NEXT) | instid1(VALU_DEP_1)
	v_cmp_ne_u16_e64 s4, 0, v7
	s_or_b32 s21, vcc_lo, s4
	s_delay_alu instid0(SALU_CYCLE_1) | instskip(NEXT) | instid1(SALU_CYCLE_1)
	s_and_b32 s21, exec_lo, s21
	s_or_b32 s10, s21, s10
	s_and_not1_b32 s11, s11, exec_lo
	s_and_b32 s4, s4, exec_lo
	s_delay_alu instid0(SALU_CYCLE_1)
	s_or_b32 s11, s11, s4
	s_and_not1_b32 exec_lo, exec_lo, s10
	s_cbranch_execz .LBB86_218
.LBB86_213:                             ;   Parent Loop BB86_24 Depth=1
                                        ; =>  This Inner Loop Header: Depth=2
	s_delay_alu instid0(VALU_DEP_1)
	v_cmp_gt_u64_e32 vcc_lo, s[24:25], v[4:5]
	v_mov_b32_e32 v6, 0
	s_and_saveexec_b32 s4, vcc_lo
	s_cbranch_execz .LBB86_215
; %bb.214:                              ;   in Loop: Header=BB86_213 Depth=2
	v_mad_u64_u32 v[6:7], null, v4, s54, s[62:63]
	v_mul_lo_u32 v8, v4, s55
	v_mul_lo_u32 v9, v5, s54
	s_delay_alu instid0(VALU_DEP_1)
	v_add3_u32 v7, v9, v7, v8
	global_load_u8 v6, v[6:7], off
.LBB86_215:                             ;   in Loop: Header=BB86_213 Depth=2
	s_or_b32 exec_lo, exec_lo, s4
	s_and_saveexec_b32 s4, vcc_lo
	s_cbranch_execz .LBB86_212
; %bb.216:                              ;   in Loop: Header=BB86_213 Depth=2
	s_waitcnt vmcnt(0)
	v_bfe_i32 v7, v6, 0, 8
	s_delay_alu instid0(VALU_DEP_1) | instskip(NEXT) | instid1(VALU_DEP_1)
	v_add_nc_u32_e32 v7, 0x80, v7
	v_and_b32_e32 v7, s101, v7
	s_delay_alu instid0(VALU_DEP_1)
	v_cmp_eq_u32_e32 vcc_lo, s100, v7
	s_and_b32 exec_lo, exec_lo, vcc_lo
	s_cbranch_execz .LBB86_212
; %bb.217:                              ;   in Loop: Header=BB86_213 Depth=2
	v_lshlrev_b16 v6, 8, v6
	s_delay_alu instid0(VALU_DEP_1)
	v_or_b32_e32 v6, 1, v6
	ds_store_b16 v13, v6 offset:3072
	s_branch .LBB86_212
.LBB86_218:                             ;   in Loop: Header=BB86_24 Depth=1
	s_or_b32 exec_lo, exec_lo, s10
	v_lshrrev_b16 v24, 8, v6
	s_and_b32 s4, s11, exec_lo
.LBB86_219:                             ;   in Loop: Header=BB86_24 Depth=1
	s_or_b32 exec_lo, exec_lo, s5
	s_mov_b32 s21, -1
	s_mov_b32 s10, 0
	s_mov_b32 s11, 0
.LBB86_220:                             ;   in Loop: Header=BB86_24 Depth=1
	s_mov_b32 s5, 0
                                        ; implicit-def: $sgpr68
	s_and_saveexec_b32 s22, s4
	s_cbranch_execz .LBB86_282
; %bb.221:                              ;   in Loop: Header=BB86_24 Depth=1
	s_xor_b32 s4, s23, -1
	s_mov_b32 s68, 1
	s_and_not1_b32 vcc_lo, exec_lo, s4
	s_cbranch_vccnz .LBB86_232
; %bb.222:                              ;   in Loop: Header=BB86_24 Depth=1
	v_cmp_gt_u64_e64 s4, s[66:67], s[8:9]
                                        ; implicit-def: $sgpr68
                                        ; implicit-def: $sgpr5
                                        ; implicit-def: $sgpr23
	s_delay_alu instid0(VALU_DEP_1)
	s_and_b32 vcc_lo, exec_lo, s4
	s_mov_b32 s4, -1
	s_cbranch_vccnz .LBB86_228
; %bb.223:                              ;   in Loop: Header=BB86_24 Depth=1
	ds_load_b64 v[2:3], v13 offset:5120
	s_waitcnt lgkmcnt(0)
	v_cmp_ne_u64_e32 vcc_lo, 0, v[2:3]
	s_cbranch_vccnz .LBB86_227
; %bb.224:                              ;   in Loop: Header=BB86_24 Depth=1
	s_and_saveexec_b32 s4, s2
	s_cbranch_execz .LBB86_226
; %bb.225:                              ;   in Loop: Header=BB86_24 Depth=1
	v_dual_mov_b32 v2, s8 :: v_dual_mov_b32 v3, s9
	ds_store_b64 v13, v[2:3] offset:5128
.LBB86_226:                             ;   in Loop: Header=BB86_24 Depth=1
	s_or_b32 exec_lo, exec_lo, s4
	s_waitcnt lgkmcnt(0)
	s_barrier
	buffer_gl0_inv
.LBB86_227:                             ;   in Loop: Header=BB86_24 Depth=1
	s_lshl_b32 s4, 2, s17
	s_and_b32 s5, s100, s18
	s_or_b32 s23, s101, s16
	s_or_b32 s5, s5, s4
	s_mov_b32 s4, 0
	s_mov_b32 s68, 8
.LBB86_228:                             ;   in Loop: Header=BB86_24 Depth=1
	s_and_not1_b32 vcc_lo, exec_lo, s4
	s_cbranch_vccnz .LBB86_230
; %bb.229:                              ;   in Loop: Header=BB86_24 Depth=1
	s_sub_u32 s66, s66, s8
	s_subb_u32 s67, s67, s9
	s_mov_b32 s4, -1
	s_mov_b32 s68, 0
	s_mov_b32 s5, s100
	;; [unrolled: 1-line block ×3, first 2 shown]
.LBB86_230:                             ;   in Loop: Header=BB86_24 Depth=1
	s_delay_alu instid0(SALU_CYCLE_1)
	s_mov_b32 s101, s23
	s_mov_b32 s100, s5
	s_and_not1_b32 vcc_lo, exec_lo, s4
	s_mov_b32 s74, -1
	s_cbranch_vccz .LBB86_233
.LBB86_231:                             ;   in Loop: Header=BB86_24 Depth=1
                                        ; implicit-def: $sgpr8
                                        ; implicit-def: $sgpr18
                                        ; implicit-def: $sgpr9
	s_branch .LBB86_281
.LBB86_232:                             ;   in Loop: Header=BB86_24 Depth=1
	s_mov_b64 s[66:67], 1
	s_mov_b32 s74, -1
	s_cbranch_execnz .LBB86_231
.LBB86_233:                             ;   in Loop: Header=BB86_24 Depth=1
	s_cmp_eq_u64 s[6:7], 1
	s_mov_b32 s23, -1
	s_cselect_b32 s4, -1, 0
	s_cmp_eq_u64 s[66:67], 1
	s_cselect_b32 s5, -1, 0
	s_delay_alu instid0(SALU_CYCLE_1) | instskip(NEXT) | instid1(SALU_CYCLE_1)
	s_and_b32 s17, s4, s5
	s_and_b32 vcc_lo, exec_lo, s17
	s_cbranch_vccz .LBB86_248
; %bb.234:                              ;   in Loop: Header=BB86_24 Depth=1
	ds_load_b64 v[2:3], v13 offset:5120
	s_waitcnt lgkmcnt(0)
	s_barrier
	buffer_gl0_inv
	v_readfirstlane_b32 s8, v2
	v_readfirstlane_b32 s9, v3
	s_and_saveexec_b32 s4, s3
	s_cbranch_execz .LBB86_236
; %bb.235:                              ;   in Loop: Header=BB86_24 Depth=1
	ds_store_b8 v0, v13 offset:3072
.LBB86_236:                             ;   in Loop: Header=BB86_24 Depth=1
	s_or_b32 exec_lo, exec_lo, s4
	s_or_b32 s100, s100, s16
	s_or_b32 s101, s101, s16
	s_cmp_eq_u64 s[8:9], 0
	s_waitcnt lgkmcnt(0)
	s_barrier
	buffer_gl0_inv
	s_cbranch_scc1 .LBB86_251
; %bb.237:                              ;   in Loop: Header=BB86_24 Depth=1
	s_add_u32 s18, s51, s8
	s_addc_u32 s5, s84, s9
	s_mov_b32 s4, s69
	s_delay_alu instid0(SALU_CYCLE_1)
	s_cmp_lg_u64 s[4:5], 0
	s_cbranch_scc0 .LBB86_287
; %bb.238:                              ;   in Loop: Header=BB86_24 Depth=1
	v_cvt_f32_u32_e32 v2, s27
	s_sub_u32 s68, 0, s27
	s_subb_u32 s70, 0, 0
	s_delay_alu instid0(VALU_DEP_1) | instskip(NEXT) | instid1(VALU_DEP_1)
	v_fmac_f32_e64 v2, 0, 0x4f800000
	v_rcp_f32_e32 v2, v2
	s_waitcnt_depctr 0xfff
	v_mul_f32_e32 v2, 0x5f7ffffc, v2
	s_delay_alu instid0(VALU_DEP_1) | instskip(NEXT) | instid1(VALU_DEP_1)
	v_mul_f32_e32 v3, 0x2f800000, v2
	v_trunc_f32_e32 v3, v3
	s_delay_alu instid0(VALU_DEP_1) | instskip(SKIP_1) | instid1(VALU_DEP_2)
	v_fmac_f32_e32 v2, 0xcf800000, v3
	v_cvt_u32_f32_e32 v3, v3
	v_cvt_u32_f32_e32 v2, v2
	s_delay_alu instid0(VALU_DEP_2) | instskip(NEXT) | instid1(VALU_DEP_2)
	v_readfirstlane_b32 s4, v3
	v_readfirstlane_b32 s23, v2
	s_delay_alu instid0(VALU_DEP_2) | instskip(NEXT) | instid1(VALU_DEP_1)
	s_mul_i32 s74, s68, s4
	s_mul_hi_u32 s76, s68, s23
	s_mul_i32 s75, s70, s23
	s_add_i32 s74, s76, s74
	s_mul_i32 s77, s68, s23
	s_add_i32 s74, s74, s75
	s_mul_hi_u32 s76, s23, s77
	s_mul_hi_u32 s78, s4, s77
	s_mul_i32 s75, s4, s77
	s_mul_hi_u32 s77, s23, s74
	s_mul_i32 s23, s23, s74
	s_mul_hi_u32 s79, s4, s74
	s_add_u32 s23, s76, s23
	s_addc_u32 s76, 0, s77
	s_add_u32 s23, s23, s75
	s_mul_i32 s74, s4, s74
	s_addc_u32 s23, s76, s78
	s_addc_u32 s75, s79, 0
	s_add_u32 s23, s23, s74
	s_addc_u32 s74, 0, s75
	v_add_co_u32 v2, s23, v2, s23
	s_delay_alu instid0(VALU_DEP_1) | instskip(SKIP_1) | instid1(VALU_DEP_1)
	s_cmp_lg_u32 s23, 0
	s_addc_u32 s4, s4, s74
	v_readfirstlane_b32 s23, v2
	s_mul_i32 s74, s68, s4
	s_delay_alu instid0(VALU_DEP_1)
	s_mul_hi_u32 s75, s68, s23
	s_mul_i32 s70, s70, s23
	s_add_i32 s74, s75, s74
	s_mul_i32 s68, s68, s23
	s_add_i32 s74, s74, s70
	s_mul_hi_u32 s75, s4, s68
	s_mul_i32 s76, s4, s68
	s_mul_hi_u32 s68, s23, s68
	s_mul_hi_u32 s77, s23, s74
	s_mul_i32 s23, s23, s74
	s_mul_hi_u32 s70, s4, s74
	s_add_u32 s23, s68, s23
	s_addc_u32 s68, 0, s77
	s_add_u32 s23, s23, s76
	s_mul_i32 s74, s4, s74
	s_addc_u32 s23, s68, s75
	s_addc_u32 s68, s70, 0
	s_add_u32 s23, s23, s74
	s_addc_u32 s68, 0, s68
	v_add_co_u32 v2, s23, v2, s23
	s_delay_alu instid0(VALU_DEP_1) | instskip(SKIP_1) | instid1(VALU_DEP_1)
	s_cmp_lg_u32 s23, 0
	s_addc_u32 s4, s4, s68
	v_readfirstlane_b32 s23, v2
	s_mul_i32 s70, s18, s4
	s_mul_hi_u32 s68, s18, s4
	s_mul_hi_u32 s74, s5, s4
	s_mul_i32 s4, s5, s4
	s_mul_hi_u32 s75, s18, s23
	s_mul_hi_u32 s76, s5, s23
	s_mul_i32 s23, s5, s23
	s_add_u32 s70, s75, s70
	s_addc_u32 s68, 0, s68
	s_add_u32 s23, s70, s23
	s_addc_u32 s23, s68, s76
	s_addc_u32 s68, s74, 0
	s_add_u32 s4, s23, s4
	s_addc_u32 s23, 0, s68
	s_mul_hi_u32 s68, s27, s4
	s_mul_i32 s4, s27, s4
	s_mul_i32 s23, s27, s23
	v_sub_co_u32 v2, s4, s18, s4
	s_add_i32 s68, s68, s23
	s_cmp_lg_u32 s4, 0
	s_delay_alu instid0(VALU_DEP_1) | instskip(SKIP_2) | instid1(VALU_DEP_1)
	v_sub_co_u32 v3, s4, v2, s27
	s_subb_u32 s23, s5, s68
	s_cmp_lg_u32 s4, 0
	v_cmp_le_u32_e32 vcc_lo, s27, v3
	v_sub_co_u32 v4, s4, v3, s27
	s_subb_u32 s68, s23, 0
	s_cmp_lg_u32 s4, 0
	v_cndmask_b32_e64 v5, 0, -1, vcc_lo
	s_subb_u32 s4, s68, 0
	s_cmp_eq_u32 s68, 0
	v_mov_b32_e32 v7, s4
	s_cselect_b32 vcc_lo, -1, 0
	s_cmp_eq_u32 s23, 0
	v_cndmask_b32_e32 v5, -1, v5, vcc_lo
	v_cmp_le_u32_e32 vcc_lo, s27, v2
	s_cselect_b32 s4, -1, 0
	v_cndmask_b32_e64 v6, 0, -1, vcc_lo
	s_delay_alu instid0(VALU_DEP_3) | instskip(NEXT) | instid1(VALU_DEP_2)
	v_cmp_ne_u32_e32 vcc_lo, 0, v5
	v_cndmask_b32_e64 v5, -1, v6, s4
	v_cndmask_b32_e32 v6, s68, v7, vcc_lo
	v_cndmask_b32_e32 v4, v3, v4, vcc_lo
	s_delay_alu instid0(VALU_DEP_3) | instskip(NEXT) | instid1(VALU_DEP_3)
	v_cmp_ne_u32_e32 vcc_lo, 0, v5
	v_cndmask_b32_e32 v3, s23, v6, vcc_lo
	s_delay_alu instid0(VALU_DEP_3)
	v_cndmask_b32_e32 v2, v2, v4, vcc_lo
	s_cbranch_execnz .LBB86_240
.LBB86_239:                             ;   in Loop: Header=BB86_24 Depth=1
	v_cvt_f32_u32_e32 v2, s27
	s_sub_i32 s4, 0, s27
	s_delay_alu instid0(VALU_DEP_1) | instskip(SKIP_2) | instid1(VALU_DEP_1)
	v_rcp_iflag_f32_e32 v2, v2
	s_waitcnt_depctr 0xfff
	v_mul_f32_e32 v2, 0x4f7ffffe, v2
	v_cvt_u32_f32_e32 v2, v2
	s_delay_alu instid0(VALU_DEP_1) | instskip(NEXT) | instid1(VALU_DEP_1)
	v_mul_lo_u32 v3, s4, v2
	v_mul_hi_u32 v3, v2, v3
	s_delay_alu instid0(VALU_DEP_1) | instskip(NEXT) | instid1(VALU_DEP_1)
	v_add_nc_u32_e32 v2, v2, v3
	v_mul_hi_u32 v2, s18, v2
	s_delay_alu instid0(VALU_DEP_1) | instskip(NEXT) | instid1(VALU_DEP_1)
	v_mul_lo_u32 v2, v2, s27
	v_sub_nc_u32_e32 v2, s18, v2
	s_delay_alu instid0(VALU_DEP_1) | instskip(SKIP_1) | instid1(VALU_DEP_2)
	v_subrev_nc_u32_e32 v3, s27, v2
	v_cmp_le_u32_e32 vcc_lo, s27, v2
	v_cndmask_b32_e32 v2, v2, v3, vcc_lo
	s_delay_alu instid0(VALU_DEP_1) | instskip(SKIP_1) | instid1(VALU_DEP_2)
	v_subrev_nc_u32_e32 v3, s27, v2
	v_cmp_le_u32_e32 vcc_lo, s27, v2
	v_cndmask_b32_e32 v12, v2, v3, vcc_lo
	s_delay_alu instid0(VALU_DEP_1)
	v_dual_mov_b32 v2, v12 :: v_dual_mov_b32 v3, v13
.LBB86_240:                             ;   in Loop: Header=BB86_24 Depth=1
	s_delay_alu instid0(VALU_DEP_1) | instskip(NEXT) | instid1(VALU_DEP_2)
	v_sub_co_u32 v2, vcc_lo, s18, v2
	v_sub_co_ci_u32_e32 v3, vcc_lo, s5, v3, vcc_lo
	s_mov_b32 s23, 0
	s_mov_b32 s5, exec_lo
                                        ; implicit-def: $vgpr24
	s_delay_alu instid0(VALU_DEP_1)
	v_cmpx_gt_u64_e64 v[2:3], v[0:1]
	s_cbranch_execz .LBB86_253
; %bb.241:                              ;   in Loop: Header=BB86_24 Depth=1
	v_dual_mov_b32 v6, v0 :: v_dual_mov_b32 v5, v1
	v_mov_b32_e32 v4, v0
	s_mov_b32 s18, 0
                                        ; implicit-def: $sgpr23
	s_set_inst_prefetch_distance 0x1
	s_branch .LBB86_243
	.p2align	6
.LBB86_242:                             ;   in Loop: Header=BB86_243 Depth=2
	s_or_b32 exec_lo, exec_lo, s4
	s_waitcnt lgkmcnt(0)
	s_barrier
	buffer_gl0_inv
	ds_load_u16 v7, v13 offset:3072
	v_add_co_u32 v4, vcc_lo, v4, s27
	v_add_co_ci_u32_e32 v5, vcc_lo, 0, v5, vcc_lo
	v_add_nc_u32_e32 v6, s27, v6
	s_waitcnt lgkmcnt(0)
	s_barrier
	s_delay_alu instid0(VALU_DEP_2) | instskip(SKIP_2) | instid1(VALU_DEP_1)
	v_cmp_ge_u64_e32 vcc_lo, v[4:5], v[2:3]
	buffer_gl0_inv
	v_and_b32_e32 v8, 0xff, v7
	v_cmp_ne_u16_e64 s4, 0, v8
	s_delay_alu instid0(VALU_DEP_1) | instskip(NEXT) | instid1(SALU_CYCLE_1)
	s_or_b32 s68, vcc_lo, s4
	s_and_b32 s68, exec_lo, s68
	s_delay_alu instid0(SALU_CYCLE_1) | instskip(SKIP_2) | instid1(SALU_CYCLE_1)
	s_or_b32 s18, s68, s18
	s_and_not1_b32 s23, s23, exec_lo
	s_and_b32 s4, s4, exec_lo
	s_or_b32 s23, s23, s4
	s_and_not1_b32 exec_lo, exec_lo, s18
	s_cbranch_execz .LBB86_252
.LBB86_243:                             ;   Parent Loop BB86_24 Depth=1
                                        ; =>  This Inner Loop Header: Depth=2
	s_delay_alu instid0(VALU_DEP_1)
	v_cmp_gt_u64_e32 vcc_lo, s[8:9], v[4:5]
	v_mov_b32_e32 v7, 0
	s_and_saveexec_b32 s4, vcc_lo
	s_cbranch_execz .LBB86_245
; %bb.244:                              ;   in Loop: Header=BB86_243 Depth=2
	ds_load_u8 v7, v6
.LBB86_245:                             ;   in Loop: Header=BB86_243 Depth=2
	s_or_b32 exec_lo, exec_lo, s4
	s_and_saveexec_b32 s4, vcc_lo
	s_cbranch_execz .LBB86_242
; %bb.246:                              ;   in Loop: Header=BB86_243 Depth=2
	s_waitcnt lgkmcnt(0)
	v_bfe_i32 v8, v7, 0, 8
	s_delay_alu instid0(VALU_DEP_1) | instskip(NEXT) | instid1(VALU_DEP_1)
	v_add_nc_u32_e32 v8, 0x80, v8
	v_and_b32_e32 v8, s101, v8
	s_delay_alu instid0(VALU_DEP_1)
	v_cmp_eq_u32_e32 vcc_lo, s100, v8
	s_and_b32 exec_lo, exec_lo, vcc_lo
	s_cbranch_execz .LBB86_242
; %bb.247:                              ;   in Loop: Header=BB86_243 Depth=2
	v_lshlrev_b16 v7, 8, v7
	s_delay_alu instid0(VALU_DEP_1)
	v_or_b32_e32 v7, 1, v7
	ds_store_b16 v13, v7 offset:3072
	s_branch .LBB86_242
.LBB86_248:                             ;   in Loop: Header=BB86_24 Depth=1
                                        ; implicit-def: $sgpr8
                                        ; implicit-def: $sgpr18
                                        ; implicit-def: $sgpr9
	s_branch .LBB86_267
.LBB86_249:                             ;   in Loop: Header=BB86_24 Depth=1
                                        ; implicit-def: $vgpr2_vgpr3
	s_branch .LBB86_192
.LBB86_250:                             ;   in Loop: Header=BB86_24 Depth=1
                                        ; implicit-def: $vgpr2_vgpr3
	s_branch .LBB86_209
.LBB86_251:                             ;   in Loop: Header=BB86_24 Depth=1
	s_mov_b32 s8, -1
	s_mov_b32 s23, 0
                                        ; implicit-def: $sgpr9
                                        ; implicit-def: $vgpr24
	s_mov_b32 s18, s8
	s_cbranch_execnz .LBB86_254
	s_branch .LBB86_267
.LBB86_252:                             ;   in Loop: Header=BB86_24 Depth=1
	s_set_inst_prefetch_distance 0x2
	s_or_b32 exec_lo, exec_lo, s18
	v_lshrrev_b16 v24, 8, v7
	s_and_b32 s23, s23, exec_lo
.LBB86_253:                             ;   in Loop: Header=BB86_24 Depth=1
	s_or_b32 exec_lo, exec_lo, s5
	s_mov_b32 s9, -1
	s_mov_b32 s8, 0
	s_delay_alu instid0(SALU_CYCLE_1)
	s_mov_b32 s18, s8
	s_branch .LBB86_267
.LBB86_254:                             ;   in Loop: Header=BB86_24 Depth=1
	s_mov_b32 s70, s69
	s_delay_alu instid0(SALU_CYCLE_1)
	s_cmp_lg_u64 s[70:71], 0
	s_cbranch_scc0 .LBB86_288
; %bb.255:                              ;   in Loop: Header=BB86_24 Depth=1
	v_cvt_f32_u32_e32 v2, s27
	s_sub_u32 s8, 0, s27
	s_subb_u32 s9, 0, 0
	s_delay_alu instid0(VALU_DEP_1) | instskip(NEXT) | instid1(VALU_DEP_1)
	v_fmac_f32_e64 v2, 0, 0x4f800000
	v_rcp_f32_e32 v2, v2
	s_waitcnt_depctr 0xfff
	v_mul_f32_e32 v2, 0x5f7ffffc, v2
	s_delay_alu instid0(VALU_DEP_1) | instskip(NEXT) | instid1(VALU_DEP_1)
	v_mul_f32_e32 v3, 0x2f800000, v2
	v_trunc_f32_e32 v3, v3
	s_delay_alu instid0(VALU_DEP_1) | instskip(SKIP_1) | instid1(VALU_DEP_2)
	v_fmac_f32_e32 v2, 0xcf800000, v3
	v_cvt_u32_f32_e32 v3, v3
	v_cvt_u32_f32_e32 v2, v2
	s_delay_alu instid0(VALU_DEP_2) | instskip(NEXT) | instid1(VALU_DEP_2)
	v_readfirstlane_b32 s4, v3
	v_readfirstlane_b32 s5, v2
	s_delay_alu instid0(VALU_DEP_2) | instskip(NEXT) | instid1(VALU_DEP_1)
	s_mul_i32 s18, s8, s4
	s_mul_hi_u32 s68, s8, s5
	s_mul_i32 s23, s9, s5
	s_add_i32 s18, s68, s18
	s_mul_i32 s70, s8, s5
	s_add_i32 s18, s18, s23
	s_mul_hi_u32 s68, s5, s70
	s_mul_hi_u32 s74, s4, s70
	s_mul_i32 s23, s4, s70
	s_mul_hi_u32 s70, s5, s18
	s_mul_i32 s5, s5, s18
	s_mul_hi_u32 s75, s4, s18
	s_add_u32 s5, s68, s5
	s_addc_u32 s68, 0, s70
	s_add_u32 s5, s5, s23
	s_mul_i32 s18, s4, s18
	s_addc_u32 s5, s68, s74
	s_addc_u32 s23, s75, 0
	s_add_u32 s5, s5, s18
	s_addc_u32 s18, 0, s23
	v_add_co_u32 v2, s5, v2, s5
	s_delay_alu instid0(VALU_DEP_1) | instskip(SKIP_1) | instid1(VALU_DEP_1)
	s_cmp_lg_u32 s5, 0
	s_addc_u32 s4, s4, s18
	v_readfirstlane_b32 s5, v2
	s_mul_i32 s18, s8, s4
	s_delay_alu instid0(VALU_DEP_1)
	s_mul_hi_u32 s23, s8, s5
	s_mul_i32 s9, s9, s5
	s_add_i32 s18, s23, s18
	s_mul_i32 s8, s8, s5
	s_add_i32 s18, s18, s9
	s_mul_hi_u32 s23, s4, s8
	s_mul_i32 s68, s4, s8
	s_mul_hi_u32 s8, s5, s8
	s_mul_hi_u32 s70, s5, s18
	s_mul_i32 s5, s5, s18
	s_mul_hi_u32 s9, s4, s18
	s_add_u32 s5, s8, s5
	s_addc_u32 s8, 0, s70
	s_add_u32 s5, s5, s68
	s_mul_i32 s18, s4, s18
	s_addc_u32 s5, s8, s23
	s_addc_u32 s8, s9, 0
	s_add_u32 s5, s5, s18
	s_addc_u32 s8, 0, s8
	v_add_co_u32 v2, s5, v2, s5
	s_delay_alu instid0(VALU_DEP_1) | instskip(SKIP_1) | instid1(VALU_DEP_1)
	s_cmp_lg_u32 s5, 0
	s_addc_u32 s4, s4, s8
	v_readfirstlane_b32 s5, v2
	s_mul_i32 s9, s85, s4
	s_mul_hi_u32 s8, s85, s4
	s_mul_hi_u32 s18, s71, s4
	s_mul_i32 s4, s71, s4
	s_mul_hi_u32 s23, s85, s5
	s_mul_hi_u32 s68, s71, s5
	s_mul_i32 s5, s71, s5
	s_add_u32 s9, s23, s9
	s_addc_u32 s8, 0, s8
	s_add_u32 s5, s9, s5
	s_addc_u32 s5, s8, s68
	s_addc_u32 s8, s18, 0
	s_add_u32 s4, s5, s4
	s_addc_u32 s5, 0, s8
	s_mul_hi_u32 s8, s27, s4
	s_mul_i32 s4, s27, s4
	s_mul_i32 s5, s27, s5
	v_sub_co_u32 v2, s4, s85, s4
	s_add_i32 s8, s8, s5
	s_cmp_lg_u32 s4, 0
	s_delay_alu instid0(VALU_DEP_1) | instskip(SKIP_2) | instid1(VALU_DEP_1)
	v_sub_co_u32 v3, s4, v2, s27
	s_subb_u32 s5, s71, s8
	s_cmp_lg_u32 s4, 0
	v_cmp_le_u32_e32 vcc_lo, s27, v3
	v_sub_co_u32 v4, s4, v3, s27
	s_subb_u32 s8, s5, 0
	s_cmp_lg_u32 s4, 0
	v_cndmask_b32_e64 v5, 0, -1, vcc_lo
	s_subb_u32 s4, s8, 0
	s_cmp_eq_u32 s8, 0
	v_mov_b32_e32 v7, s4
	s_cselect_b32 vcc_lo, -1, 0
	s_cmp_eq_u32 s5, 0
	v_cndmask_b32_e32 v5, -1, v5, vcc_lo
	v_cmp_le_u32_e32 vcc_lo, s27, v2
	s_cselect_b32 s4, -1, 0
	v_cndmask_b32_e64 v6, 0, -1, vcc_lo
	s_delay_alu instid0(VALU_DEP_3) | instskip(NEXT) | instid1(VALU_DEP_2)
	v_cmp_ne_u32_e32 vcc_lo, 0, v5
	v_cndmask_b32_e64 v5, -1, v6, s4
	v_cndmask_b32_e32 v6, s8, v7, vcc_lo
	v_cndmask_b32_e32 v4, v3, v4, vcc_lo
	s_delay_alu instid0(VALU_DEP_3) | instskip(NEXT) | instid1(VALU_DEP_3)
	v_cmp_ne_u32_e32 vcc_lo, 0, v5
	v_cndmask_b32_e32 v3, s5, v6, vcc_lo
	s_delay_alu instid0(VALU_DEP_3)
	v_cndmask_b32_e32 v2, v2, v4, vcc_lo
	s_cbranch_execnz .LBB86_257
.LBB86_256:                             ;   in Loop: Header=BB86_24 Depth=1
	v_cvt_f32_u32_e32 v2, s27
	s_sub_i32 s4, 0, s27
	s_delay_alu instid0(VALU_DEP_1) | instskip(SKIP_2) | instid1(VALU_DEP_1)
	v_rcp_iflag_f32_e32 v2, v2
	s_waitcnt_depctr 0xfff
	v_mul_f32_e32 v2, 0x4f7ffffe, v2
	v_cvt_u32_f32_e32 v2, v2
	s_delay_alu instid0(VALU_DEP_1) | instskip(NEXT) | instid1(VALU_DEP_1)
	v_mul_lo_u32 v3, s4, v2
	v_mul_hi_u32 v3, v2, v3
	s_delay_alu instid0(VALU_DEP_1) | instskip(NEXT) | instid1(VALU_DEP_1)
	v_add_nc_u32_e32 v2, v2, v3
	v_mul_hi_u32 v2, s85, v2
	s_delay_alu instid0(VALU_DEP_1) | instskip(NEXT) | instid1(VALU_DEP_1)
	v_mul_lo_u32 v2, v2, s27
	v_sub_nc_u32_e32 v2, s85, v2
	s_delay_alu instid0(VALU_DEP_1) | instskip(SKIP_1) | instid1(VALU_DEP_2)
	v_subrev_nc_u32_e32 v3, s27, v2
	v_cmp_le_u32_e32 vcc_lo, s27, v2
	v_cndmask_b32_e32 v2, v2, v3, vcc_lo
	s_delay_alu instid0(VALU_DEP_1) | instskip(SKIP_1) | instid1(VALU_DEP_2)
	v_subrev_nc_u32_e32 v3, s27, v2
	v_cmp_le_u32_e32 vcc_lo, s27, v2
	v_cndmask_b32_e32 v12, v2, v3, vcc_lo
	s_delay_alu instid0(VALU_DEP_1)
	v_dual_mov_b32 v2, v12 :: v_dual_mov_b32 v3, v13
.LBB86_257:                             ;   in Loop: Header=BB86_24 Depth=1
	s_delay_alu instid0(VALU_DEP_1) | instskip(NEXT) | instid1(VALU_DEP_2)
	v_sub_co_u32 v2, vcc_lo, s85, v2
	v_sub_co_ci_u32_e32 v3, vcc_lo, s71, v3, vcc_lo
	s_mov_b32 s23, 0
	s_mov_b32 s5, exec_lo
                                        ; implicit-def: $vgpr24
	s_delay_alu instid0(VALU_DEP_1)
	v_cmpx_gt_u64_e64 v[2:3], v[0:1]
	s_cbranch_execz .LBB86_266
; %bb.258:                              ;   in Loop: Header=BB86_24 Depth=1
	v_dual_mov_b32 v5, v1 :: v_dual_mov_b32 v4, v0
	s_mov_b32 s8, 0
                                        ; implicit-def: $sgpr9
	s_branch .LBB86_260
.LBB86_259:                             ;   in Loop: Header=BB86_260 Depth=2
	s_or_b32 exec_lo, exec_lo, s4
	s_waitcnt vmcnt(0) lgkmcnt(0)
	s_barrier
	buffer_gl0_inv
	ds_load_u16 v6, v13 offset:3072
	v_add_co_u32 v4, vcc_lo, v4, s27
	v_add_co_ci_u32_e32 v5, vcc_lo, 0, v5, vcc_lo
	s_waitcnt lgkmcnt(0)
	s_barrier
	buffer_gl0_inv
	v_cmp_ge_u64_e32 vcc_lo, v[4:5], v[2:3]
	v_and_b32_e32 v7, 0xff, v6
	s_delay_alu instid0(VALU_DEP_1) | instskip(NEXT) | instid1(VALU_DEP_1)
	v_cmp_ne_u16_e64 s4, 0, v7
	s_or_b32 s18, vcc_lo, s4
	s_delay_alu instid0(SALU_CYCLE_1) | instskip(NEXT) | instid1(SALU_CYCLE_1)
	s_and_b32 s18, exec_lo, s18
	s_or_b32 s8, s18, s8
	s_and_not1_b32 s9, s9, exec_lo
	s_and_b32 s4, s4, exec_lo
	s_delay_alu instid0(SALU_CYCLE_1)
	s_or_b32 s9, s9, s4
	s_and_not1_b32 exec_lo, exec_lo, s8
	s_cbranch_execz .LBB86_265
.LBB86_260:                             ;   Parent Loop BB86_24 Depth=1
                                        ; =>  This Inner Loop Header: Depth=2
	s_delay_alu instid0(VALU_DEP_1)
	v_cmp_gt_u64_e32 vcc_lo, s[24:25], v[4:5]
	v_mov_b32_e32 v6, 0
	s_and_saveexec_b32 s4, vcc_lo
	s_cbranch_execz .LBB86_262
; %bb.261:                              ;   in Loop: Header=BB86_260 Depth=2
	v_mad_u64_u32 v[6:7], null, v4, s54, s[62:63]
	v_mul_lo_u32 v8, v4, s55
	v_mul_lo_u32 v9, v5, s54
	s_delay_alu instid0(VALU_DEP_1)
	v_add3_u32 v7, v9, v7, v8
	global_load_u8 v6, v[6:7], off
.LBB86_262:                             ;   in Loop: Header=BB86_260 Depth=2
	s_or_b32 exec_lo, exec_lo, s4
	s_and_saveexec_b32 s4, vcc_lo
	s_cbranch_execz .LBB86_259
; %bb.263:                              ;   in Loop: Header=BB86_260 Depth=2
	s_waitcnt vmcnt(0)
	v_bfe_i32 v7, v6, 0, 8
	s_delay_alu instid0(VALU_DEP_1) | instskip(NEXT) | instid1(VALU_DEP_1)
	v_add_nc_u32_e32 v7, 0x80, v7
	v_and_b32_e32 v7, s101, v7
	s_delay_alu instid0(VALU_DEP_1)
	v_cmp_eq_u32_e32 vcc_lo, s100, v7
	s_and_b32 exec_lo, exec_lo, vcc_lo
	s_cbranch_execz .LBB86_259
; %bb.264:                              ;   in Loop: Header=BB86_260 Depth=2
	v_lshlrev_b16 v6, 8, v6
	s_delay_alu instid0(VALU_DEP_1)
	v_or_b32_e32 v6, 1, v6
	ds_store_b16 v13, v6 offset:3072
	s_branch .LBB86_259
.LBB86_265:                             ;   in Loop: Header=BB86_24 Depth=1
	s_or_b32 exec_lo, exec_lo, s8
	v_lshrrev_b16 v24, 8, v6
	s_and_b32 s23, s9, exec_lo
.LBB86_266:                             ;   in Loop: Header=BB86_24 Depth=1
	s_or_b32 exec_lo, exec_lo, s5
	s_mov_b32 s18, -1
	s_mov_b32 s8, 0
	s_mov_b32 s9, 0
.LBB86_267:                             ;   in Loop: Header=BB86_24 Depth=1
	s_mov_b32 s74, 0
                                        ; implicit-def: $sgpr68
                                        ; implicit-def: $sgpr4_sgpr5
	s_and_saveexec_b32 s70, s23
	s_cbranch_execz .LBB86_280
; %bb.268:                              ;   in Loop: Header=BB86_24 Depth=1
	s_xor_b32 s17, s17, -1
	s_mov_b64 s[4:5], 1
	s_and_not1_b32 vcc_lo, exec_lo, s17
	s_mov_b32 s68, 1
	s_cbranch_vccnz .LBB86_279
; %bb.269:                              ;   in Loop: Header=BB86_24 Depth=1
	v_cmp_gt_u64_e64 s4, s[66:67], s[6:7]
	s_delay_alu instid0(VALU_DEP_1)
	s_and_b32 vcc_lo, exec_lo, s4
	s_cbranch_vccnz .LBB86_275
; %bb.270:                              ;   in Loop: Header=BB86_24 Depth=1
	ds_load_b64 v[2:3], v13 offset:5120
	s_waitcnt lgkmcnt(0)
	v_cmp_ne_u64_e32 vcc_lo, 0, v[2:3]
	s_cbranch_vccnz .LBB86_274
; %bb.271:                              ;   in Loop: Header=BB86_24 Depth=1
	s_and_saveexec_b32 s4, s2
	s_cbranch_execz .LBB86_273
; %bb.272:                              ;   in Loop: Header=BB86_24 Depth=1
	v_dual_mov_b32 v2, s6 :: v_dual_mov_b32 v3, s7
	ds_store_b64 v13, v[2:3] offset:5128
.LBB86_273:                             ;   in Loop: Header=BB86_24 Depth=1
	s_or_b32 exec_lo, exec_lo, s4
	s_waitcnt lgkmcnt(0)
	s_barrier
	buffer_gl0_inv
.LBB86_274:                             ;   in Loop: Header=BB86_24 Depth=1
	s_or_b32 s17, s100, s16
	s_or_b32 s16, s101, s16
	s_mov_b32 s4, 0
	s_mov_b32 s68, 8
	s_branch .LBB86_276
.LBB86_275:                             ;   in Loop: Header=BB86_24 Depth=1
	s_mov_b32 s4, -1
                                        ; implicit-def: $sgpr68
                                        ; implicit-def: $sgpr17
                                        ; implicit-def: $sgpr16
.LBB86_276:                             ;   in Loop: Header=BB86_24 Depth=1
	s_delay_alu instid0(SALU_CYCLE_1)
	s_and_not1_b32 vcc_lo, exec_lo, s4
	s_cbranch_vccnz .LBB86_278
; %bb.277:                              ;   in Loop: Header=BB86_24 Depth=1
	s_sub_u32 s66, s66, s6
	s_subb_u32 s67, s67, s7
	s_mov_b32 s68, 8
	s_mov_b32 s17, s100
	;; [unrolled: 1-line block ×3, first 2 shown]
.LBB86_278:                             ;   in Loop: Header=BB86_24 Depth=1
	s_mov_b64 s[4:5], s[66:67]
	s_mov_b32 s100, s17
	s_mov_b32 s101, s16
.LBB86_279:                             ;   in Loop: Header=BB86_24 Depth=1
	s_mov_b32 s74, exec_lo
.LBB86_280:                             ;   in Loop: Header=BB86_24 Depth=1
	s_or_b32 exec_lo, exec_lo, s70
	s_mov_b64 s[66:67], s[4:5]
.LBB86_281:                             ;   in Loop: Header=BB86_24 Depth=1
	s_and_not1_b32 s4, s10, exec_lo
	s_and_b32 s5, s8, exec_lo
	s_and_not1_b32 s6, s11, exec_lo
	s_or_b32 s10, s4, s5
	s_and_not1_b32 s4, s21, exec_lo
	s_and_b32 s5, s18, exec_lo
	s_and_b32 s7, s9, exec_lo
	s_or_b32 s21, s4, s5
	s_or_b32 s11, s6, s7
	s_and_b32 s5, s74, exec_lo
.LBB86_282:                             ;   in Loop: Header=BB86_24 Depth=1
	s_or_b32 exec_lo, exec_lo, s22
.LBB86_283:                             ;   in Loop: Header=BB86_24 Depth=1
	s_delay_alu instid0(SALU_CYCLE_1)
	s_and_not1_b32 s4, s13, exec_lo
	s_and_b32 s6, s10, exec_lo
	s_and_not1_b32 s7, s12, exec_lo
	s_or_b32 s13, s4, s6
	s_and_not1_b32 s4, s19, exec_lo
	s_and_b32 s6, s21, exec_lo
	s_and_b32 s8, s11, exec_lo
	s_or_b32 s19, s4, s6
	s_or_b32 s12, s7, s8
	s_and_b32 s5, s5, exec_lo
.LBB86_284:                             ;   in Loop: Header=BB86_24 Depth=1
	s_or_b32 exec_lo, exec_lo, s20
	s_and_saveexec_b32 s4, s5
	s_delay_alu instid0(SALU_CYCLE_1)
	s_xor_b32 s4, exec_lo, s4
	s_cbranch_execz .LBB86_22
.LBB86_285:                             ;   in Loop: Header=BB86_24 Depth=1
	s_and_b32 s5, s68, -9
	s_delay_alu instid0(SALU_CYCLE_1)
	s_cmp_eq_u32 s5, 0
	s_cbranch_scc1 .LBB86_20
; %bb.286:                              ;   in Loop: Header=BB86_24 Depth=1
	s_mov_b32 s5, -1
	s_mov_b32 s6, -1
                                        ; implicit-def: $sgpr101
                                        ; implicit-def: $sgpr66_sgpr67
                                        ; implicit-def: $sgpr94
                                        ; implicit-def: $sgpr98
	s_branch .LBB86_21
.LBB86_287:                             ;   in Loop: Header=BB86_24 Depth=1
                                        ; implicit-def: $vgpr2_vgpr3
	s_branch .LBB86_239
.LBB86_288:                             ;   in Loop: Header=BB86_24 Depth=1
                                        ; implicit-def: $vgpr2_vgpr3
	s_branch .LBB86_256
.LBB86_289:
	s_or_b32 exec_lo, exec_lo, s91
	s_xor_b32 s4, s95, -1
	s_xor_b32 s1, s92, -1
	;; [unrolled: 1-line block ×3, first 2 shown]
	s_mov_b32 s2, 0
	s_and_saveexec_b32 s5, s1
	s_delay_alu instid0(SALU_CYCLE_1)
	s_xor_b32 s1, exec_lo, s5
	s_cbranch_execz .LBB86_303
; %bb.290:
	s_and_saveexec_b32 s2, s4
	s_delay_alu instid0(SALU_CYCLE_1)
	s_xor_b32 s2, exec_lo, s2
	s_cbranch_execz .LBB86_301
; %bb.291:
	s_and_saveexec_b32 s4, s3
	s_delay_alu instid0(SALU_CYCLE_1)
	s_xor_b32 s3, exec_lo, s4
; %bb.292:
	v_xor_b32_e32 v24, 0xffffff80, v2
; %bb.293:
	s_or_b32 exec_lo, exec_lo, s3
	s_mul_i32 s3, s50, s37
	s_mul_hi_u32 s4, s50, s36
	s_mul_i32 s5, s50, s36
	s_add_i32 s4, s4, s3
	s_sub_u32 s3, s52, s5
	s_subb_u32 s4, s53, s4
	s_mul_i32 s5, s3, s47
	s_mul_hi_u32 s6, s3, s46
	s_mul_i32 s4, s4, s46
	s_add_i32 s5, s6, s5
	s_mul_i32 s6, s50, s45
	s_mul_hi_u32 s7, s50, s44
	s_add_i32 s5, s5, s4
	s_add_i32 s7, s7, s6
	s_mul_i32 s4, s52, s39
	s_mul_hi_u32 s6, s52, s38
	s_mul_i32 s8, s52, s38
	s_add_i32 s6, s6, s4
	s_sub_u32 s4, s34, s8
	s_subb_u32 s6, 0, s6
	s_mul_i32 s8, s4, s61
	s_mul_hi_u32 s9, s4, s60
	s_mul_i32 s6, s6, s60
	s_add_i32 s8, s9, s8
	s_mul_i32 s9, s50, s44
	s_add_i32 s8, s8, s6
	s_mul_i32 s3, s3, s46
	s_add_u32 s6, s64, s9
	s_addc_u32 s7, s65, s7
	s_mul_i32 s4, s4, s60
	s_add_u32 s3, s6, s3
	v_mov_b32_e32 v2, 0
	s_addc_u32 s5, s7, s5
	s_add_u32 s4, s3, s4
	s_addc_u32 s5, s5, s8
	global_store_b8 v2, v24, s[4:5]
	s_and_saveexec_b32 s3, s0
	s_cbranch_execz .LBB86_300
; %bb.294:
	v_and_b32_e32 v4, 0xff, v24
	s_mov_b32 s0, 0
                                        ; implicit-def: $sgpr4
                                        ; implicit-def: $sgpr6
                                        ; implicit-def: $sgpr5
	s_set_inst_prefetch_distance 0x1
	s_branch .LBB86_296
	.p2align	6
.LBB86_295:                             ;   in Loop: Header=BB86_296 Depth=1
	s_or_b32 exec_lo, exec_lo, s7
	s_delay_alu instid0(SALU_CYCLE_1) | instskip(NEXT) | instid1(SALU_CYCLE_1)
	s_and_b32 s7, exec_lo, s6
	s_or_b32 s0, s7, s0
	s_and_not1_b32 s4, s4, exec_lo
	s_and_b32 s7, s5, exec_lo
	s_delay_alu instid0(SALU_CYCLE_1)
	s_or_b32 s4, s4, s7
	s_and_not1_b32 exec_lo, exec_lo, s0
	s_cbranch_execz .LBB86_298
.LBB86_296:                             ; =>This Inner Loop Header: Depth=1
	v_dual_mov_b32 v3, v1 :: v_dual_mov_b32 v2, v0
	s_or_b32 s5, s5, exec_lo
	s_or_b32 s6, s6, exec_lo
	s_delay_alu instid0(VALU_DEP_1) | instskip(NEXT) | instid1(VALU_DEP_2)
	v_mul_lo_u32 v6, v3, s54
	v_mad_u64_u32 v[0:1], null, v2, s54, s[62:63]
	v_mul_lo_u32 v5, v2, s55
	s_delay_alu instid0(VALU_DEP_1)
	v_add3_u32 v1, v6, v1, v5
	global_load_u8 v0, v[0:1], off
	s_waitcnt vmcnt(0)
	v_cmp_ne_u16_e32 vcc_lo, v0, v4
                                        ; implicit-def: $vgpr0_vgpr1
	s_and_saveexec_b32 s7, vcc_lo
	s_cbranch_execz .LBB86_295
; %bb.297:                              ;   in Loop: Header=BB86_296 Depth=1
	v_add_co_u32 v0, vcc_lo, v2, s27
	v_add_co_ci_u32_e32 v1, vcc_lo, 0, v3, vcc_lo
	s_and_not1_b32 s6, s6, exec_lo
	s_and_not1_b32 s5, s5, exec_lo
	s_delay_alu instid0(VALU_DEP_1) | instskip(SKIP_1) | instid1(SALU_CYCLE_1)
	v_cmp_le_u64_e32 vcc_lo, s[24:25], v[0:1]
	s_and_b32 s8, vcc_lo, exec_lo
	s_or_b32 s6, s6, s8
	s_branch .LBB86_295
.LBB86_298:
	s_set_inst_prefetch_distance 0x2
	s_or_b32 exec_lo, exec_lo, s0
	s_and_saveexec_b32 s0, s4
	s_delay_alu instid0(SALU_CYCLE_1)
	s_xor_b32 s0, exec_lo, s0
	s_cbranch_execz .LBB86_300
; %bb.299:
	s_mul_i32 s0, s26, s29
	s_mul_hi_u32 s4, s26, s28
	s_mul_i32 s5, s26, s28
	s_add_i32 s4, s4, s0
	s_sub_u32 s0, s48, s5
	s_subb_u32 s4, s49, s4
	s_mul_i32 s5, s0, s43
	s_mul_hi_u32 s6, s0, s42
	s_mul_i32 s4, s4, s42
	s_add_i32 s5, s6, s5
	s_mul_i32 s6, s26, s41
	s_mul_hi_u32 s7, s26, s40
	s_add_i32 s5, s5, s4
	s_mul_i32 s4, s0, s42
	s_add_i32 s7, s7, s6
	s_mul_i32 s0, s48, s31
	s_mul_hi_u32 s6, s48, s30
	s_mul_i32 s8, s48, s30
	s_add_i32 s0, s6, s0
	s_sub_u32 s8, s34, s8
	s_subb_u32 s0, 0, s0
	s_mul_i32 s9, s8, s57
	s_mul_hi_u32 s10, s8, s56
	s_mul_i32 s6, s26, s40
	s_add_i32 s9, s10, s9
	s_mul_i32 s0, s0, s56
	s_lshl_b64 s[6:7], s[6:7], 3
	s_add_i32 s9, s9, s0
	s_add_u32 s0, s58, s6
	s_addc_u32 s6, s59, s7
	s_lshl_b64 s[4:5], s[4:5], 3
	s_mul_i32 s8, s8, s56
	s_add_u32 s0, s0, s4
	s_addc_u32 s6, s6, s5
	s_lshl_b64 s[4:5], s[8:9], 3
	v_mov_b32_e32 v0, 0
	s_add_u32 s4, s0, s4
	s_addc_u32 s5, s6, s5
	global_store_b64 v0, v[2:3], s[4:5]
.LBB86_300:
	s_or_b32 exec_lo, exec_lo, s3
.LBB86_301:
	s_or_saveexec_b32 s0, s2
	s_mov_b32 s2, 0
	s_xor_b32 exec_lo, exec_lo, s0
	s_cbranch_execnz .LBB86_309
.LBB86_302:
	s_or_b32 exec_lo, exec_lo, s0
	s_delay_alu instid0(SALU_CYCLE_1)
	s_and_b32 s2, s2, exec_lo
.LBB86_303:
	s_and_not1_saveexec_b32 s0, s1
	s_cbranch_execnz .LBB86_307
; %bb.304:
	s_or_b32 exec_lo, exec_lo, s0
	s_and_saveexec_b32 s0, s2
.LBB86_305:
	; divergent unreachable
.LBB86_306:
	s_nop 0
	s_sendmsg sendmsg(MSG_DEALLOC_VGPRS)
	s_endpgm
.LBB86_307:
	s_cbranch_execnz .LBB86_311
; %bb.308:
	s_or_b32 s2, s2, exec_lo
	s_or_b32 exec_lo, exec_lo, s0
	s_and_saveexec_b32 s0, s2
	s_cbranch_execnz .LBB86_305
	s_branch .LBB86_306
.LBB86_309:
	s_cbranch_execnz .LBB86_313
; %bb.310:
	s_mov_b32 s2, exec_lo
	s_branch .LBB86_302
.LBB86_311:
	s_trap 2
	s_sendmsg_rtn_b32 s0, sendmsg(MSG_RTN_GET_DOORBELL)
	s_mov_b32 ttmp2, m0
	s_waitcnt lgkmcnt(0)
	s_and_b32 s0, s0, 0x3ff
	s_delay_alu instid0(SALU_CYCLE_1) | instskip(NEXT) | instid1(SALU_CYCLE_1)
	s_bitset1_b32 s0, 10
	s_mov_b32 m0, s0
	s_sendmsg sendmsg(MSG_INTERRUPT)
	s_mov_b32 m0, ttmp2
.LBB86_312:                             ; =>This Inner Loop Header: Depth=1
	s_sethalt 5
	s_branch .LBB86_312
.LBB86_313:
	s_trap 2
	s_sendmsg_rtn_b32 s0, sendmsg(MSG_RTN_GET_DOORBELL)
	s_mov_b32 ttmp2, m0
	s_waitcnt lgkmcnt(0)
	s_and_b32 s0, s0, 0x3ff
	s_delay_alu instid0(SALU_CYCLE_1) | instskip(NEXT) | instid1(SALU_CYCLE_1)
	s_bitset1_b32 s0, 10
	s_mov_b32 m0, s0
	s_sendmsg sendmsg(MSG_INTERRUPT)
	s_mov_b32 m0, ttmp2
.LBB86_314:                             ; =>This Inner Loop Header: Depth=1
	s_sethalt 5
	s_branch .LBB86_314
	.section	.rodata,"a",@progbits
	.p2align	6, 0x0
	.amdhsa_kernel _ZN2at6native12_GLOBAL__N_112gatherMedianIamLi3EEEvNS_4cuda6detail10TensorInfoIT_T0_EENS5_IlS7_EENS5_IKS6_S7_EES7_S7_S7_b
		.amdhsa_group_segment_fixed_size 5152
		.amdhsa_private_segment_fixed_size 0
		.amdhsa_kernarg_size 1536
		.amdhsa_user_sgpr_count 13
		.amdhsa_user_sgpr_dispatch_ptr 0
		.amdhsa_user_sgpr_queue_ptr 0
		.amdhsa_user_sgpr_kernarg_segment_ptr 1
		.amdhsa_user_sgpr_dispatch_id 0
		.amdhsa_user_sgpr_private_segment_size 0
		.amdhsa_wavefront_size32 1
		.amdhsa_uses_dynamic_stack 0
		.amdhsa_enable_private_segment 0
		.amdhsa_system_sgpr_workgroup_id_x 1
		.amdhsa_system_sgpr_workgroup_id_y 1
		.amdhsa_system_sgpr_workgroup_id_z 1
		.amdhsa_system_sgpr_workgroup_info 0
		.amdhsa_system_vgpr_workitem_id 0
		.amdhsa_next_free_vgpr 29
		.amdhsa_next_free_sgpr 104
		.amdhsa_reserve_vcc 1
		.amdhsa_float_round_mode_32 0
		.amdhsa_float_round_mode_16_64 0
		.amdhsa_float_denorm_mode_32 3
		.amdhsa_float_denorm_mode_16_64 3
		.amdhsa_dx10_clamp 1
		.amdhsa_ieee_mode 1
		.amdhsa_fp16_overflow 0
		.amdhsa_workgroup_processor_mode 1
		.amdhsa_memory_ordered 1
		.amdhsa_forward_progress 0
		.amdhsa_shared_vgpr_count 0
		.amdhsa_exception_fp_ieee_invalid_op 0
		.amdhsa_exception_fp_denorm_src 0
		.amdhsa_exception_fp_ieee_div_zero 0
		.amdhsa_exception_fp_ieee_overflow 0
		.amdhsa_exception_fp_ieee_underflow 0
		.amdhsa_exception_fp_ieee_inexact 0
		.amdhsa_exception_int_div_zero 0
	.end_amdhsa_kernel
	.section	.text._ZN2at6native12_GLOBAL__N_112gatherMedianIamLi3EEEvNS_4cuda6detail10TensorInfoIT_T0_EENS5_IlS7_EENS5_IKS6_S7_EES7_S7_S7_b,"axG",@progbits,_ZN2at6native12_GLOBAL__N_112gatherMedianIamLi3EEEvNS_4cuda6detail10TensorInfoIT_T0_EENS5_IlS7_EENS5_IKS6_S7_EES7_S7_S7_b,comdat
.Lfunc_end86:
	.size	_ZN2at6native12_GLOBAL__N_112gatherMedianIamLi3EEEvNS_4cuda6detail10TensorInfoIT_T0_EENS5_IlS7_EENS5_IKS6_S7_EES7_S7_S7_b, .Lfunc_end86-_ZN2at6native12_GLOBAL__N_112gatherMedianIamLi3EEEvNS_4cuda6detail10TensorInfoIT_T0_EENS5_IlS7_EENS5_IKS6_S7_EES7_S7_S7_b
                                        ; -- End function
	.section	.AMDGPU.csdata,"",@progbits
; Kernel info:
; codeLenInByte = 17612
; NumSgprs: 106
; NumVgprs: 29
; ScratchSize: 0
; MemoryBound: 0
; FloatMode: 240
; IeeeMode: 1
; LDSByteSize: 5152 bytes/workgroup (compile time only)
; SGPRBlocks: 13
; VGPRBlocks: 3
; NumSGPRsForWavesPerEU: 106
; NumVGPRsForWavesPerEU: 29
; Occupancy: 16
; WaveLimiterHint : 1
; COMPUTE_PGM_RSRC2:SCRATCH_EN: 0
; COMPUTE_PGM_RSRC2:USER_SGPR: 13
; COMPUTE_PGM_RSRC2:TRAP_HANDLER: 0
; COMPUTE_PGM_RSRC2:TGID_X_EN: 1
; COMPUTE_PGM_RSRC2:TGID_Y_EN: 1
; COMPUTE_PGM_RSRC2:TGID_Z_EN: 1
; COMPUTE_PGM_RSRC2:TIDIG_COMP_CNT: 0
	.section	.text._ZN2at6native12_GLOBAL__N_112gatherMedianIamLin1EEEvNS_4cuda6detail10TensorInfoIT_T0_EENS5_IlS7_EENS5_IKS6_S7_EES7_S7_S7_b,"axG",@progbits,_ZN2at6native12_GLOBAL__N_112gatherMedianIamLin1EEEvNS_4cuda6detail10TensorInfoIT_T0_EENS5_IlS7_EENS5_IKS6_S7_EES7_S7_S7_b,comdat
	.globl	_ZN2at6native12_GLOBAL__N_112gatherMedianIamLin1EEEvNS_4cuda6detail10TensorInfoIT_T0_EENS5_IlS7_EENS5_IKS6_S7_EES7_S7_S7_b ; -- Begin function _ZN2at6native12_GLOBAL__N_112gatherMedianIamLin1EEEvNS_4cuda6detail10TensorInfoIT_T0_EENS5_IlS7_EENS5_IKS6_S7_EES7_S7_S7_b
	.p2align	8
	.type	_ZN2at6native12_GLOBAL__N_112gatherMedianIamLin1EEEvNS_4cuda6detail10TensorInfoIT_T0_EENS5_IlS7_EENS5_IKS6_S7_EES7_S7_S7_b,@function
_ZN2at6native12_GLOBAL__N_112gatherMedianIamLin1EEEvNS_4cuda6detail10TensorInfoIT_T0_EENS5_IlS7_EENS5_IKS6_S7_EES7_S7_S7_b: ; @_ZN2at6native12_GLOBAL__N_112gatherMedianIamLin1EEEvNS_4cuda6detail10TensorInfoIT_T0_EENS5_IlS7_EENS5_IKS6_S7_EES7_S7_S7_b
; %bb.0:
	s_clause 0x1
	s_load_b64 s[4:5], s[0:1], 0x500
	s_load_b128 s[24:27], s[0:1], 0x4e0
	s_add_u32 s6, s0, 0x500
	s_addc_u32 s7, s1, 0
	s_mov_b32 s3, 0
	s_waitcnt lgkmcnt(0)
	s_mul_i32 s2, s5, s15
	s_delay_alu instid0(SALU_CYCLE_1) | instskip(NEXT) | instid1(SALU_CYCLE_1)
	s_add_i32 s2, s2, s14
	s_mul_i32 s2, s2, s4
	s_delay_alu instid0(SALU_CYCLE_1) | instskip(NEXT) | instid1(SALU_CYCLE_1)
	s_add_i32 s2, s2, s13
	v_cmp_ge_u64_e64 s5, s[2:3], s[26:27]
	s_delay_alu instid0(VALU_DEP_1)
	s_and_b32 vcc_lo, exec_lo, s5
	s_cbranch_vccnz .LBB87_319
; %bb.1:
	s_clause 0x1
	s_load_b32 s5, s[0:1], 0x198
	s_load_b64 s[28:29], s[0:1], 0x4f0
	s_mov_b64 s[26:27], 0
	s_mov_b64 s[34:35], s[2:3]
	s_waitcnt lgkmcnt(0)
	s_cmp_lt_i32 s5, 2
	s_cbranch_scc1 .LBB87_9
; %bb.2:
	s_mov_b32 s8, 0
	s_add_i32 s10, s5, -1
	s_mov_b32 s11, s8
	s_add_i32 s5, s5, 1
	s_lshl_b64 s[10:11], s[10:11], 3
	s_mov_b64 s[14:15], s[2:3]
	s_add_u32 s9, s10, s0
	s_addc_u32 s11, s11, s1
	s_add_u32 s10, s9, 8
	s_addc_u32 s11, s11, 0
.LBB87_3:                               ; =>This Inner Loop Header: Depth=1
	s_load_b64 s[16:17], s[10:11], 0x0
                                        ; implicit-def: $sgpr34_sgpr35
	s_waitcnt lgkmcnt(0)
	s_or_b64 s[18:19], s[14:15], s[16:17]
	s_delay_alu instid0(SALU_CYCLE_1) | instskip(NEXT) | instid1(SALU_CYCLE_1)
	s_mov_b32 s9, s19
	s_cmp_lg_u64 s[8:9], 0
	s_mov_b32 s9, -1
	s_cbranch_scc0 .LBB87_5
; %bb.4:                                ;   in Loop: Header=BB87_3 Depth=1
	v_cvt_f32_u32_e32 v1, s16
	v_cvt_f32_u32_e32 v2, s17
	s_sub_u32 s18, 0, s16
	s_subb_u32 s19, 0, s17
	s_waitcnt_depctr 0xfff
	v_fmac_f32_e32 v1, 0x4f800000, v2
	s_delay_alu instid0(VALU_DEP_1) | instskip(SKIP_2) | instid1(VALU_DEP_1)
	v_rcp_f32_e32 v1, v1
	s_waitcnt_depctr 0xfff
	v_mul_f32_e32 v1, 0x5f7ffffc, v1
	v_mul_f32_e32 v2, 0x2f800000, v1
	s_delay_alu instid0(VALU_DEP_1) | instskip(NEXT) | instid1(VALU_DEP_1)
	v_trunc_f32_e32 v2, v2
	v_fmac_f32_e32 v1, 0xcf800000, v2
	v_cvt_u32_f32_e32 v2, v2
	s_delay_alu instid0(VALU_DEP_2) | instskip(NEXT) | instid1(VALU_DEP_2)
	v_cvt_u32_f32_e32 v1, v1
	v_readfirstlane_b32 s9, v2
	s_delay_alu instid0(VALU_DEP_2) | instskip(NEXT) | instid1(VALU_DEP_2)
	v_readfirstlane_b32 s12, v1
	s_mul_i32 s20, s18, s9
	s_delay_alu instid0(VALU_DEP_1)
	s_mul_hi_u32 s22, s18, s12
	s_mul_i32 s21, s19, s12
	s_add_i32 s20, s22, s20
	s_mul_i32 s23, s18, s12
	s_add_i32 s20, s20, s21
	s_mul_hi_u32 s22, s12, s23
	s_mul_hi_u32 s30, s9, s23
	s_mul_i32 s21, s9, s23
	s_mul_hi_u32 s23, s12, s20
	s_mul_i32 s12, s12, s20
	s_mul_hi_u32 s31, s9, s20
	s_add_u32 s12, s22, s12
	s_addc_u32 s22, 0, s23
	s_add_u32 s12, s12, s21
	s_mul_i32 s20, s9, s20
	s_addc_u32 s12, s22, s30
	s_addc_u32 s21, s31, 0
	s_add_u32 s12, s12, s20
	s_addc_u32 s20, 0, s21
	v_add_co_u32 v1, s12, v1, s12
	s_delay_alu instid0(VALU_DEP_1) | instskip(SKIP_1) | instid1(VALU_DEP_1)
	s_cmp_lg_u32 s12, 0
	s_addc_u32 s9, s9, s20
	v_readfirstlane_b32 s12, v1
	s_mul_i32 s20, s18, s9
	s_delay_alu instid0(VALU_DEP_1)
	s_mul_hi_u32 s21, s18, s12
	s_mul_i32 s19, s19, s12
	s_add_i32 s20, s21, s20
	s_mul_i32 s18, s18, s12
	s_add_i32 s20, s20, s19
	s_mul_hi_u32 s21, s9, s18
	s_mul_i32 s22, s9, s18
	s_mul_hi_u32 s18, s12, s18
	s_mul_hi_u32 s23, s12, s20
	s_mul_i32 s12, s12, s20
	s_mul_hi_u32 s19, s9, s20
	s_add_u32 s12, s18, s12
	s_addc_u32 s18, 0, s23
	s_add_u32 s12, s12, s22
	s_mul_i32 s20, s9, s20
	s_addc_u32 s12, s18, s21
	s_addc_u32 s18, s19, 0
	s_add_u32 s12, s12, s20
	s_addc_u32 s18, 0, s18
	v_add_co_u32 v1, s12, v1, s12
	s_delay_alu instid0(VALU_DEP_1) | instskip(SKIP_1) | instid1(VALU_DEP_1)
	s_cmp_lg_u32 s12, 0
	s_addc_u32 s9, s9, s18
	v_readfirstlane_b32 s12, v1
	s_mul_i32 s19, s14, s9
	s_mul_hi_u32 s18, s14, s9
	s_mul_hi_u32 s20, s15, s9
	s_mul_i32 s9, s15, s9
	s_mul_hi_u32 s21, s14, s12
	s_mul_hi_u32 s22, s15, s12
	s_mul_i32 s12, s15, s12
	s_add_u32 s19, s21, s19
	s_addc_u32 s18, 0, s18
	s_add_u32 s12, s19, s12
	s_addc_u32 s12, s18, s22
	s_addc_u32 s18, s20, 0
	s_add_u32 s12, s12, s9
	s_addc_u32 s18, 0, s18
	s_mul_hi_u32 s9, s16, s12
	s_mul_i32 s20, s16, s18
	s_mul_i32 s21, s16, s12
	s_add_i32 s9, s9, s20
	v_sub_co_u32 v1, s20, s14, s21
	s_mul_i32 s19, s17, s12
	s_delay_alu instid0(SALU_CYCLE_1) | instskip(NEXT) | instid1(VALU_DEP_1)
	s_add_i32 s9, s9, s19
	v_sub_co_u32 v2, s21, v1, s16
	s_sub_i32 s19, s15, s9
	s_cmp_lg_u32 s20, 0
	s_subb_u32 s19, s19, s17
	s_cmp_lg_u32 s21, 0
	v_readfirstlane_b32 s21, v2
	s_subb_u32 s19, s19, 0
	s_delay_alu instid0(SALU_CYCLE_1) | instskip(SKIP_1) | instid1(VALU_DEP_1)
	s_cmp_ge_u32 s19, s17
	s_cselect_b32 s22, -1, 0
	s_cmp_ge_u32 s21, s16
	s_cselect_b32 s21, -1, 0
	s_cmp_eq_u32 s19, s17
	s_cselect_b32 s19, s21, s22
	s_add_u32 s21, s12, 1
	s_addc_u32 s22, s18, 0
	s_add_u32 s23, s12, 2
	s_addc_u32 s30, s18, 0
	s_cmp_lg_u32 s19, 0
	s_cselect_b32 s19, s23, s21
	s_cselect_b32 s21, s30, s22
	s_cmp_lg_u32 s20, 0
	v_readfirstlane_b32 s20, v1
	s_subb_u32 s9, s15, s9
	s_delay_alu instid0(SALU_CYCLE_1) | instskip(SKIP_1) | instid1(VALU_DEP_1)
	s_cmp_ge_u32 s9, s17
	s_cselect_b32 s22, -1, 0
	s_cmp_ge_u32 s20, s16
	s_cselect_b32 s20, -1, 0
	s_cmp_eq_u32 s9, s17
	s_cselect_b32 s9, s20, s22
	s_delay_alu instid0(SALU_CYCLE_1)
	s_cmp_lg_u32 s9, 0
	s_mov_b32 s9, 0
	s_cselect_b32 s35, s21, s18
	s_cselect_b32 s34, s19, s12
.LBB87_5:                               ;   in Loop: Header=BB87_3 Depth=1
	s_and_not1_b32 vcc_lo, exec_lo, s9
	s_cbranch_vccnz .LBB87_7
; %bb.6:                                ;   in Loop: Header=BB87_3 Depth=1
	v_cvt_f32_u32_e32 v1, s16
	s_sub_i32 s12, 0, s16
	s_mov_b32 s35, s8
	s_waitcnt_depctr 0xfff
	v_rcp_iflag_f32_e32 v1, v1
	s_waitcnt_depctr 0xfff
	v_mul_f32_e32 v1, 0x4f7ffffe, v1
	s_delay_alu instid0(VALU_DEP_1) | instskip(NEXT) | instid1(VALU_DEP_1)
	v_cvt_u32_f32_e32 v1, v1
	v_readfirstlane_b32 s9, v1
	s_delay_alu instid0(VALU_DEP_1) | instskip(NEXT) | instid1(SALU_CYCLE_1)
	s_mul_i32 s12, s12, s9
	s_mul_hi_u32 s12, s9, s12
	s_delay_alu instid0(SALU_CYCLE_1) | instskip(NEXT) | instid1(SALU_CYCLE_1)
	s_add_i32 s9, s9, s12
	s_mul_hi_u32 s9, s14, s9
	s_delay_alu instid0(SALU_CYCLE_1) | instskip(SKIP_2) | instid1(SALU_CYCLE_1)
	s_mul_i32 s12, s9, s16
	s_add_i32 s18, s9, 1
	s_sub_i32 s12, s14, s12
	s_sub_i32 s19, s12, s16
	s_cmp_ge_u32 s12, s16
	s_cselect_b32 s9, s18, s9
	s_cselect_b32 s12, s19, s12
	s_add_i32 s18, s9, 1
	s_cmp_ge_u32 s12, s16
	s_cselect_b32 s34, s18, s9
.LBB87_7:                               ;   in Loop: Header=BB87_3 Depth=1
	s_load_b64 s[18:19], s[10:11], 0xc8
	s_mul_i32 s9, s34, s17
	s_mul_hi_u32 s12, s34, s16
	s_mul_i32 s17, s35, s16
	s_add_i32 s9, s12, s9
	s_mul_i32 s12, s34, s16
	s_add_i32 s9, s9, s17
	s_sub_u32 s12, s14, s12
	s_subb_u32 s9, s15, s9
	s_waitcnt lgkmcnt(0)
	s_mul_i32 s9, s18, s9
	s_mul_hi_u32 s14, s18, s12
	s_mul_i32 s15, s19, s12
	s_add_i32 s9, s14, s9
	s_mul_i32 s12, s18, s12
	s_add_i32 s9, s9, s15
	s_add_u32 s26, s12, s26
	s_addc_u32 s27, s9, s27
	s_add_i32 s5, s5, -1
	s_add_u32 s10, s10, -8
	s_addc_u32 s11, s11, -1
	s_cmp_gt_u32 s5, 2
	s_cbranch_scc0 .LBB87_9
; %bb.8:                                ;   in Loop: Header=BB87_3 Depth=1
	s_mov_b64 s[14:15], s[34:35]
	s_branch .LBB87_3
.LBB87_9:
	s_clause 0x1
	s_load_b32 s5, s[0:1], 0x338
	s_load_b64 s[36:37], s[0:1], 0xd0
	s_add_u32 s8, s0, 0x1a0
	s_addc_u32 s9, s1, 0
	s_mov_b64 s[30:31], 0
	s_mov_b64 s[38:39], s[2:3]
	s_waitcnt lgkmcnt(0)
	s_cmp_lt_i32 s5, 2
	s_cbranch_scc1 .LBB87_17
; %bb.10:
	s_mov_b32 s10, 0
	s_add_i32 s14, s5, -1
	s_mov_b32 s15, s10
	s_add_i32 s5, s5, 1
	s_lshl_b64 s[14:15], s[14:15], 3
	s_mov_b64 s[16:17], s[2:3]
	s_add_u32 s11, s14, s8
	s_addc_u32 s12, s15, s9
	s_add_u32 s14, s11, 8
	s_addc_u32 s15, s12, 0
.LBB87_11:                              ; =>This Inner Loop Header: Depth=1
	s_load_b64 s[18:19], s[14:15], 0x0
                                        ; implicit-def: $sgpr38_sgpr39
	s_waitcnt lgkmcnt(0)
	s_or_b64 s[20:21], s[16:17], s[18:19]
	s_delay_alu instid0(SALU_CYCLE_1) | instskip(NEXT) | instid1(SALU_CYCLE_1)
	s_mov_b32 s11, s21
	s_cmp_lg_u64 s[10:11], 0
	s_mov_b32 s11, -1
	s_cbranch_scc0 .LBB87_13
; %bb.12:                               ;   in Loop: Header=BB87_11 Depth=1
	v_cvt_f32_u32_e32 v1, s18
	v_cvt_f32_u32_e32 v2, s19
	s_sub_u32 s20, 0, s18
	s_subb_u32 s21, 0, s19
	s_waitcnt_depctr 0xfff
	v_fmac_f32_e32 v1, 0x4f800000, v2
	s_delay_alu instid0(VALU_DEP_1) | instskip(SKIP_2) | instid1(VALU_DEP_1)
	v_rcp_f32_e32 v1, v1
	s_waitcnt_depctr 0xfff
	v_mul_f32_e32 v1, 0x5f7ffffc, v1
	v_mul_f32_e32 v2, 0x2f800000, v1
	s_delay_alu instid0(VALU_DEP_1) | instskip(NEXT) | instid1(VALU_DEP_1)
	v_trunc_f32_e32 v2, v2
	v_fmac_f32_e32 v1, 0xcf800000, v2
	v_cvt_u32_f32_e32 v2, v2
	s_delay_alu instid0(VALU_DEP_2) | instskip(NEXT) | instid1(VALU_DEP_2)
	v_cvt_u32_f32_e32 v1, v1
	v_readfirstlane_b32 s11, v2
	s_delay_alu instid0(VALU_DEP_2) | instskip(NEXT) | instid1(VALU_DEP_2)
	v_readfirstlane_b32 s12, v1
	s_mul_i32 s22, s20, s11
	s_delay_alu instid0(VALU_DEP_1)
	s_mul_hi_u32 s33, s20, s12
	s_mul_i32 s23, s21, s12
	s_add_i32 s22, s33, s22
	s_mul_i32 s38, s20, s12
	s_add_i32 s22, s22, s23
	s_mul_hi_u32 s33, s12, s38
	s_mul_hi_u32 s39, s11, s38
	s_mul_i32 s23, s11, s38
	s_mul_hi_u32 s38, s12, s22
	s_mul_i32 s12, s12, s22
	s_mul_hi_u32 s40, s11, s22
	s_add_u32 s12, s33, s12
	s_addc_u32 s33, 0, s38
	s_add_u32 s12, s12, s23
	s_mul_i32 s22, s11, s22
	s_addc_u32 s12, s33, s39
	s_addc_u32 s23, s40, 0
	s_add_u32 s12, s12, s22
	s_addc_u32 s22, 0, s23
	v_add_co_u32 v1, s12, v1, s12
	s_delay_alu instid0(VALU_DEP_1) | instskip(SKIP_1) | instid1(VALU_DEP_1)
	s_cmp_lg_u32 s12, 0
	s_addc_u32 s11, s11, s22
	v_readfirstlane_b32 s12, v1
	s_mul_i32 s22, s20, s11
	s_delay_alu instid0(VALU_DEP_1)
	s_mul_hi_u32 s23, s20, s12
	s_mul_i32 s21, s21, s12
	s_add_i32 s22, s23, s22
	s_mul_i32 s20, s20, s12
	s_add_i32 s22, s22, s21
	s_mul_hi_u32 s23, s11, s20
	s_mul_i32 s33, s11, s20
	s_mul_hi_u32 s20, s12, s20
	s_mul_hi_u32 s38, s12, s22
	s_mul_i32 s12, s12, s22
	s_mul_hi_u32 s21, s11, s22
	s_add_u32 s12, s20, s12
	s_addc_u32 s20, 0, s38
	s_add_u32 s12, s12, s33
	s_mul_i32 s22, s11, s22
	s_addc_u32 s12, s20, s23
	s_addc_u32 s20, s21, 0
	s_add_u32 s12, s12, s22
	s_addc_u32 s20, 0, s20
	v_add_co_u32 v1, s12, v1, s12
	s_delay_alu instid0(VALU_DEP_1) | instskip(SKIP_1) | instid1(VALU_DEP_1)
	s_cmp_lg_u32 s12, 0
	s_addc_u32 s11, s11, s20
	v_readfirstlane_b32 s12, v1
	s_mul_i32 s21, s16, s11
	s_mul_hi_u32 s20, s16, s11
	s_mul_hi_u32 s22, s17, s11
	s_mul_i32 s11, s17, s11
	s_mul_hi_u32 s23, s16, s12
	s_mul_hi_u32 s33, s17, s12
	s_mul_i32 s12, s17, s12
	s_add_u32 s21, s23, s21
	s_addc_u32 s20, 0, s20
	s_add_u32 s12, s21, s12
	s_addc_u32 s12, s20, s33
	s_addc_u32 s20, s22, 0
	s_add_u32 s12, s12, s11
	s_addc_u32 s20, 0, s20
	s_mul_hi_u32 s11, s18, s12
	s_mul_i32 s22, s18, s20
	s_mul_i32 s23, s18, s12
	s_add_i32 s11, s11, s22
	v_sub_co_u32 v1, s22, s16, s23
	s_mul_i32 s21, s19, s12
	s_delay_alu instid0(SALU_CYCLE_1) | instskip(NEXT) | instid1(VALU_DEP_1)
	s_add_i32 s11, s11, s21
	v_sub_co_u32 v2, s23, v1, s18
	s_sub_i32 s21, s17, s11
	s_cmp_lg_u32 s22, 0
	s_subb_u32 s21, s21, s19
	s_cmp_lg_u32 s23, 0
	v_readfirstlane_b32 s23, v2
	s_subb_u32 s21, s21, 0
	s_delay_alu instid0(SALU_CYCLE_1) | instskip(SKIP_1) | instid1(VALU_DEP_1)
	s_cmp_ge_u32 s21, s19
	s_cselect_b32 s33, -1, 0
	s_cmp_ge_u32 s23, s18
	s_cselect_b32 s23, -1, 0
	s_cmp_eq_u32 s21, s19
	s_cselect_b32 s21, s23, s33
	s_add_u32 s23, s12, 1
	s_addc_u32 s33, s20, 0
	s_add_u32 s38, s12, 2
	s_addc_u32 s39, s20, 0
	s_cmp_lg_u32 s21, 0
	s_cselect_b32 s21, s38, s23
	s_cselect_b32 s23, s39, s33
	s_cmp_lg_u32 s22, 0
	v_readfirstlane_b32 s22, v1
	s_subb_u32 s11, s17, s11
	s_delay_alu instid0(SALU_CYCLE_1) | instskip(SKIP_1) | instid1(VALU_DEP_1)
	s_cmp_ge_u32 s11, s19
	s_cselect_b32 s33, -1, 0
	s_cmp_ge_u32 s22, s18
	s_cselect_b32 s22, -1, 0
	s_cmp_eq_u32 s11, s19
	s_cselect_b32 s11, s22, s33
	s_delay_alu instid0(SALU_CYCLE_1)
	s_cmp_lg_u32 s11, 0
	s_mov_b32 s11, 0
	s_cselect_b32 s39, s23, s20
	s_cselect_b32 s38, s21, s12
.LBB87_13:                              ;   in Loop: Header=BB87_11 Depth=1
	s_and_not1_b32 vcc_lo, exec_lo, s11
	s_cbranch_vccnz .LBB87_15
; %bb.14:                               ;   in Loop: Header=BB87_11 Depth=1
	v_cvt_f32_u32_e32 v1, s18
	s_sub_i32 s12, 0, s18
	s_mov_b32 s39, s10
	s_waitcnt_depctr 0xfff
	v_rcp_iflag_f32_e32 v1, v1
	s_waitcnt_depctr 0xfff
	v_mul_f32_e32 v1, 0x4f7ffffe, v1
	s_delay_alu instid0(VALU_DEP_1) | instskip(NEXT) | instid1(VALU_DEP_1)
	v_cvt_u32_f32_e32 v1, v1
	v_readfirstlane_b32 s11, v1
	s_delay_alu instid0(VALU_DEP_1) | instskip(NEXT) | instid1(SALU_CYCLE_1)
	s_mul_i32 s12, s12, s11
	s_mul_hi_u32 s12, s11, s12
	s_delay_alu instid0(SALU_CYCLE_1) | instskip(NEXT) | instid1(SALU_CYCLE_1)
	s_add_i32 s11, s11, s12
	s_mul_hi_u32 s11, s16, s11
	s_delay_alu instid0(SALU_CYCLE_1) | instskip(SKIP_2) | instid1(SALU_CYCLE_1)
	s_mul_i32 s12, s11, s18
	s_add_i32 s20, s11, 1
	s_sub_i32 s12, s16, s12
	s_sub_i32 s21, s12, s18
	s_cmp_ge_u32 s12, s18
	s_cselect_b32 s11, s20, s11
	s_cselect_b32 s12, s21, s12
	s_add_i32 s20, s11, 1
	s_cmp_ge_u32 s12, s18
	s_cselect_b32 s38, s20, s11
.LBB87_15:                              ;   in Loop: Header=BB87_11 Depth=1
	s_load_b64 s[20:21], s[14:15], 0xc8
	s_mul_i32 s11, s38, s19
	s_mul_hi_u32 s12, s38, s18
	s_mul_i32 s19, s39, s18
	s_add_i32 s11, s12, s11
	s_mul_i32 s12, s38, s18
	s_add_i32 s11, s11, s19
	s_sub_u32 s12, s16, s12
	s_subb_u32 s11, s17, s11
	s_waitcnt lgkmcnt(0)
	s_mul_i32 s11, s20, s11
	s_mul_hi_u32 s16, s20, s12
	s_mul_i32 s17, s21, s12
	s_add_i32 s11, s16, s11
	s_mul_i32 s12, s20, s12
	s_add_i32 s11, s11, s17
	s_add_u32 s30, s12, s30
	s_addc_u32 s31, s11, s31
	s_add_i32 s5, s5, -1
	s_add_u32 s14, s14, -8
	s_addc_u32 s15, s15, -1
	s_cmp_gt_u32 s5, 2
	s_cbranch_scc0 .LBB87_17
; %bb.16:                               ;   in Loop: Header=BB87_11 Depth=1
	s_mov_b64 s[16:17], s[38:39]
	s_branch .LBB87_11
.LBB87_17:
	s_clause 0x1
	s_load_b32 s5, s[0:1], 0x4d8
	s_load_b64 s[40:41], s[8:9], 0xd0
	s_add_u32 s11, s0, 0x340
	s_addc_u32 s12, s1, 0
	s_mov_b64 s[8:9], 0
	s_waitcnt lgkmcnt(0)
	s_cmp_lt_i32 s5, 2
	s_cbranch_scc1 .LBB87_25
; %bb.18:
	s_mov_b32 s10, 0
	s_add_i32 s8, s5, -1
	s_mov_b32 s9, s10
	s_add_i32 s5, s5, 1
	s_lshl_b64 s[8:9], s[8:9], 3
	s_delay_alu instid0(SALU_CYCLE_1)
	s_add_u32 s8, s8, s11
	s_addc_u32 s9, s9, s12
	s_add_u32 s14, s8, 8
	s_addc_u32 s15, s9, 0
	s_mov_b64 s[8:9], 0
.LBB87_19:                              ; =>This Inner Loop Header: Depth=1
	s_load_b64 s[16:17], s[14:15], 0x0
	s_waitcnt lgkmcnt(0)
	s_or_b64 s[18:19], s[2:3], s[16:17]
	s_delay_alu instid0(SALU_CYCLE_1) | instskip(NEXT) | instid1(SALU_CYCLE_1)
	s_mov_b32 s11, s19
                                        ; implicit-def: $sgpr18_sgpr19
	s_cmp_lg_u64 s[10:11], 0
	s_mov_b32 s11, -1
	s_cbranch_scc0 .LBB87_21
; %bb.20:                               ;   in Loop: Header=BB87_19 Depth=1
	v_cvt_f32_u32_e32 v1, s16
	v_cvt_f32_u32_e32 v2, s17
	s_sub_u32 s18, 0, s16
	s_subb_u32 s19, 0, s17
	s_waitcnt_depctr 0xfff
	v_fmac_f32_e32 v1, 0x4f800000, v2
	s_delay_alu instid0(VALU_DEP_1) | instskip(SKIP_2) | instid1(VALU_DEP_1)
	v_rcp_f32_e32 v1, v1
	s_waitcnt_depctr 0xfff
	v_mul_f32_e32 v1, 0x5f7ffffc, v1
	v_mul_f32_e32 v2, 0x2f800000, v1
	s_delay_alu instid0(VALU_DEP_1) | instskip(NEXT) | instid1(VALU_DEP_1)
	v_trunc_f32_e32 v2, v2
	v_fmac_f32_e32 v1, 0xcf800000, v2
	v_cvt_u32_f32_e32 v2, v2
	s_delay_alu instid0(VALU_DEP_2) | instskip(NEXT) | instid1(VALU_DEP_2)
	v_cvt_u32_f32_e32 v1, v1
	v_readfirstlane_b32 s11, v2
	s_delay_alu instid0(VALU_DEP_2) | instskip(NEXT) | instid1(VALU_DEP_2)
	v_readfirstlane_b32 s12, v1
	s_mul_i32 s20, s18, s11
	s_delay_alu instid0(VALU_DEP_1)
	s_mul_hi_u32 s22, s18, s12
	s_mul_i32 s21, s19, s12
	s_add_i32 s20, s22, s20
	s_mul_i32 s23, s18, s12
	s_add_i32 s20, s20, s21
	s_mul_hi_u32 s22, s12, s23
	s_mul_hi_u32 s33, s11, s23
	s_mul_i32 s21, s11, s23
	s_mul_hi_u32 s23, s12, s20
	s_mul_i32 s12, s12, s20
	s_mul_hi_u32 s42, s11, s20
	s_add_u32 s12, s22, s12
	s_addc_u32 s22, 0, s23
	s_add_u32 s12, s12, s21
	s_mul_i32 s20, s11, s20
	s_addc_u32 s12, s22, s33
	s_addc_u32 s21, s42, 0
	s_add_u32 s12, s12, s20
	s_addc_u32 s20, 0, s21
	v_add_co_u32 v1, s12, v1, s12
	s_delay_alu instid0(VALU_DEP_1) | instskip(SKIP_1) | instid1(VALU_DEP_1)
	s_cmp_lg_u32 s12, 0
	s_addc_u32 s11, s11, s20
	v_readfirstlane_b32 s12, v1
	s_mul_i32 s20, s18, s11
	s_delay_alu instid0(VALU_DEP_1)
	s_mul_hi_u32 s21, s18, s12
	s_mul_i32 s19, s19, s12
	s_add_i32 s20, s21, s20
	s_mul_i32 s18, s18, s12
	s_add_i32 s20, s20, s19
	s_mul_hi_u32 s21, s11, s18
	s_mul_i32 s22, s11, s18
	s_mul_hi_u32 s18, s12, s18
	s_mul_hi_u32 s23, s12, s20
	s_mul_i32 s12, s12, s20
	s_mul_hi_u32 s19, s11, s20
	s_add_u32 s12, s18, s12
	s_addc_u32 s18, 0, s23
	s_add_u32 s12, s12, s22
	s_mul_i32 s20, s11, s20
	s_addc_u32 s12, s18, s21
	s_addc_u32 s18, s19, 0
	s_add_u32 s12, s12, s20
	s_addc_u32 s18, 0, s18
	v_add_co_u32 v1, s12, v1, s12
	s_delay_alu instid0(VALU_DEP_1) | instskip(SKIP_1) | instid1(VALU_DEP_1)
	s_cmp_lg_u32 s12, 0
	s_addc_u32 s11, s11, s18
	v_readfirstlane_b32 s12, v1
	s_mul_i32 s19, s2, s11
	s_mul_hi_u32 s18, s2, s11
	s_mul_hi_u32 s20, s3, s11
	s_mul_i32 s11, s3, s11
	s_mul_hi_u32 s21, s2, s12
	s_mul_hi_u32 s22, s3, s12
	s_mul_i32 s12, s3, s12
	s_add_u32 s19, s21, s19
	s_addc_u32 s18, 0, s18
	s_add_u32 s12, s19, s12
	s_addc_u32 s12, s18, s22
	s_addc_u32 s18, s20, 0
	s_add_u32 s12, s12, s11
	s_addc_u32 s18, 0, s18
	s_mul_hi_u32 s11, s16, s12
	s_mul_i32 s20, s16, s18
	s_mul_i32 s21, s16, s12
	s_add_i32 s11, s11, s20
	v_sub_co_u32 v1, s20, s2, s21
	s_mul_i32 s19, s17, s12
	s_delay_alu instid0(SALU_CYCLE_1) | instskip(NEXT) | instid1(VALU_DEP_1)
	s_add_i32 s11, s11, s19
	v_sub_co_u32 v2, s21, v1, s16
	s_sub_i32 s19, s3, s11
	s_cmp_lg_u32 s20, 0
	s_subb_u32 s19, s19, s17
	s_cmp_lg_u32 s21, 0
	v_readfirstlane_b32 s21, v2
	s_subb_u32 s19, s19, 0
	s_delay_alu instid0(SALU_CYCLE_1) | instskip(SKIP_1) | instid1(VALU_DEP_1)
	s_cmp_ge_u32 s19, s17
	s_cselect_b32 s22, -1, 0
	s_cmp_ge_u32 s21, s16
	s_cselect_b32 s21, -1, 0
	s_cmp_eq_u32 s19, s17
	s_cselect_b32 s19, s21, s22
	s_add_u32 s21, s12, 1
	s_addc_u32 s22, s18, 0
	s_add_u32 s23, s12, 2
	s_addc_u32 s33, s18, 0
	s_cmp_lg_u32 s19, 0
	s_cselect_b32 s21, s23, s21
	s_cselect_b32 s19, s33, s22
	s_cmp_lg_u32 s20, 0
	v_readfirstlane_b32 s20, v1
	s_subb_u32 s11, s3, s11
	s_delay_alu instid0(SALU_CYCLE_1) | instskip(SKIP_1) | instid1(VALU_DEP_1)
	s_cmp_ge_u32 s11, s17
	s_cselect_b32 s22, -1, 0
	s_cmp_ge_u32 s20, s16
	s_cselect_b32 s20, -1, 0
	s_cmp_eq_u32 s11, s17
	s_cselect_b32 s11, s20, s22
	s_delay_alu instid0(SALU_CYCLE_1)
	s_cmp_lg_u32 s11, 0
	s_mov_b32 s11, 0
	s_cselect_b32 s19, s19, s18
	s_cselect_b32 s18, s21, s12
.LBB87_21:                              ;   in Loop: Header=BB87_19 Depth=1
	s_and_not1_b32 vcc_lo, exec_lo, s11
	s_cbranch_vccnz .LBB87_23
; %bb.22:                               ;   in Loop: Header=BB87_19 Depth=1
	v_cvt_f32_u32_e32 v1, s16
	s_sub_i32 s12, 0, s16
	s_waitcnt_depctr 0xfff
	v_rcp_iflag_f32_e32 v1, v1
	s_waitcnt_depctr 0xfff
	v_mul_f32_e32 v1, 0x4f7ffffe, v1
	s_delay_alu instid0(VALU_DEP_1) | instskip(NEXT) | instid1(VALU_DEP_1)
	v_cvt_u32_f32_e32 v1, v1
	v_readfirstlane_b32 s11, v1
	s_delay_alu instid0(VALU_DEP_1) | instskip(NEXT) | instid1(SALU_CYCLE_1)
	s_mul_i32 s12, s12, s11
	s_mul_hi_u32 s12, s11, s12
	s_delay_alu instid0(SALU_CYCLE_1) | instskip(NEXT) | instid1(SALU_CYCLE_1)
	s_add_i32 s11, s11, s12
	s_mul_hi_u32 s11, s2, s11
	s_delay_alu instid0(SALU_CYCLE_1) | instskip(SKIP_2) | instid1(SALU_CYCLE_1)
	s_mul_i32 s12, s11, s16
	s_add_i32 s18, s11, 1
	s_sub_i32 s12, s2, s12
	s_sub_i32 s19, s12, s16
	s_cmp_ge_u32 s12, s16
	s_cselect_b32 s11, s18, s11
	s_cselect_b32 s12, s19, s12
	s_add_i32 s18, s11, 1
	s_cmp_ge_u32 s12, s16
	s_mov_b32 s19, s10
	s_cselect_b32 s18, s18, s11
.LBB87_23:                              ;   in Loop: Header=BB87_19 Depth=1
	s_load_b64 s[20:21], s[14:15], 0xc8
	s_mul_i32 s11, s18, s17
	s_mul_hi_u32 s12, s18, s16
	s_mul_i32 s17, s19, s16
	s_add_i32 s11, s12, s11
	s_mul_i32 s12, s18, s16
	s_add_i32 s11, s11, s17
	s_sub_u32 s2, s2, s12
	s_subb_u32 s3, s3, s11
	s_waitcnt lgkmcnt(0)
	s_mul_i32 s3, s20, s3
	s_mul_hi_u32 s11, s20, s2
	s_mul_i32 s12, s21, s2
	s_add_i32 s3, s11, s3
	s_mul_i32 s2, s20, s2
	s_add_i32 s3, s3, s12
	s_add_u32 s8, s2, s8
	s_addc_u32 s9, s3, s9
	s_add_i32 s5, s5, -1
	s_add_u32 s14, s14, -8
	s_addc_u32 s15, s15, -1
	s_cmp_gt_u32 s5, 2
	s_cbranch_scc0 .LBB87_26
; %bb.24:                               ;   in Loop: Header=BB87_19 Depth=1
	s_mov_b64 s[2:3], s[18:19]
	s_branch .LBB87_19
.LBB87_25:
	s_mov_b64 s[18:19], s[2:3]
.LBB87_26:
	v_cmp_eq_u32_e64 s2, 0, v0
	s_delay_alu instid0(VALU_DEP_1)
	s_and_saveexec_b32 s3, s2
	s_cbranch_execz .LBB87_28
; %bb.27:
	v_mov_b32_e32 v1, 0
	s_delay_alu instid0(VALU_DEP_1)
	v_mov_b32_e32 v2, v1
	ds_store_b64 v1, v[1:2] offset:5136
.LBB87_28:
	s_or_b32 exec_lo, exec_lo, s3
	v_mov_b32_e32 v1, 0
	s_waitcnt lgkmcnt(0)
	s_barrier
	buffer_gl0_inv
	s_barrier
	buffer_gl0_inv
	ds_load_b64 v[1:2], v1 offset:5136
	s_clause 0x2
	s_load_b32 s3, s[0:1], 0x4f8
	s_load_b64 s[14:15], s[0:1], 0x410
	s_load_b64 s[10:11], s[0:1], 0x340
	s_mov_b64 s[46:47], s[24:25]
	s_waitcnt lgkmcnt(0)
	v_readfirstlane_b32 s16, v1
	v_readfirstlane_b32 s17, v2
	s_bitcmp1_b32 s3, 0
	s_cselect_b32 s3, -1, 0
	s_delay_alu instid0(VALU_DEP_1) | instskip(NEXT) | instid1(VALU_DEP_1)
	v_cmp_lt_i64_e64 s5, s[16:17], 1
	s_or_b32 s3, s3, s5
	s_delay_alu instid0(SALU_CYCLE_1)
	s_and_not1_b32 vcc_lo, exec_lo, s3
	s_cbranch_vccnz .LBB87_30
; %bb.29:
	s_not_b64 s[16:17], s[16:17]
	s_delay_alu instid0(SALU_CYCLE_1) | instskip(SKIP_1) | instid1(SALU_CYCLE_1)
	s_add_u32 s16, s16, s24
	s_addc_u32 s17, s17, s25
	s_lshr_b64 s[16:17], s[16:17], 1
	s_delay_alu instid0(SALU_CYCLE_1)
	s_add_u32 s46, s16, 1
	s_addc_u32 s47, s17, 0
.LBB87_30:
	s_clause 0x1
	s_load_b64 s[44:45], s[0:1], 0x0
	s_load_b64 s[42:43], s[0:1], 0x1a0
	s_and_saveexec_b32 s0, s2
	s_cbranch_execz .LBB87_32
; %bb.31:
	v_dual_mov_b32 v1, 0 :: v_dual_mov_b32 v4, s25
	s_delay_alu instid0(VALU_DEP_1)
	v_dual_mov_b32 v3, s24 :: v_dual_mov_b32 v2, v1
	ds_store_b32 v1, v1 offset:5144
	ds_store_b128 v1, v[1:4] offset:5120
.LBB87_32:
	s_or_b32 exec_lo, exec_lo, s0
	v_mad_u64_u32 v[2:3], null, v0, s28, 0
	s_mul_i32 s0, s14, s19
	s_mul_hi_u32 s1, s14, s18
	s_mul_i32 s5, s14, s18
	s_waitcnt lgkmcnt(0)
	s_barrier
	buffer_gl0_inv
	s_load_b32 s14, s[6:7], 0xc
	v_dual_mov_b32 v11, 0 :: v_dual_lshlrev_b32 v16, 2, v0
	v_mad_u64_u32 v[4:5], null, v0, s29, v[3:4]
	v_mbcnt_lo_u32_b32 v31, -1, 0
	s_add_i32 s0, s1, s0
	s_delay_alu instid0(VALU_DEP_3)
	v_or_b32_e32 v9, 3, v16
	v_or_b32_e32 v10, 2, v16
	s_mul_i32 s1, s15, s18
	v_cmp_gt_u32_e32 vcc_lo, 32, v0
	s_add_i32 s12, s0, s1
	v_mad_u64_u32 v[18:19], null, s28, v9, 0
	v_mov_b32_e32 v3, v4
	v_lshrrev_b32_e32 v4, 3, v0
	v_mad_u64_u32 v[20:21], null, s28, v10, 0
	v_cmp_gt_i32_e64 s3, 4, v31
	s_add_u32 s0, s10, s5
	s_delay_alu instid0(VALU_DEP_3)
	v_dual_mov_b32 v1, v11 :: v_dual_and_b32 v32, 0x7c, v4
	v_lshlrev_b64 v[4:5], v31, -1
	s_addc_u32 s1, s11, s12
	s_add_u32 s48, s0, s8
	s_addc_u32 s49, s1, s9
	s_waitcnt lgkmcnt(0)
	s_and_b32 s33, s14, 0xffff
	v_mad_u64_u32 v[22:23], null, s28, v16, s[28:29]
	s_and_b32 s72, vcc_lo, s3
	s_bfe_u32 s15, s14, 0xb0005
	s_add_u32 s74, s33, -1
	s_addc_u32 s75, 0, -1
	v_not_b32_e32 v33, v4
	v_dual_mov_b32 v4, v19 :: v_dual_mov_b32 v5, v21
	s_delay_alu instid0(VALU_DEP_3)
	v_mov_b32_e32 v6, v23
	s_add_u32 s76, s74, s24
	s_addc_u32 s53, s75, s25
	s_cmp_lt_u32 s13, s4
	v_mad_u64_u32 v[7:8], null, s29, v9, v[4:5]
	s_cselect_b32 s4, 12, 18
	v_mad_u64_u32 v[8:9], null, s29, v10, v[5:6]
	s_add_u32 s54, s6, s4
	s_addc_u32 s55, s7, 0
	s_add_i32 s4, s15, -1
	s_bfe_u32 s78, s33, 0x30005
	s_cmp_gt_u32 s4, 6
	v_mad_u64_u32 v[4:5], null, s29, v16, v[6:7]
	s_cselect_b32 s79, -1, 0
	s_and_b32 s80, s15, 0x7f8
	s_cmp_lg_u32 s78, 0
	v_add_co_u32 v14, vcc_lo, s48, v2
	s_cselect_b32 s81, -1, 0
	s_add_u32 s4, s8, s5
	s_addc_u32 s5, s9, s12
	s_add_u32 s56, s10, s4
	v_add_co_ci_u32_e32 v15, vcc_lo, s49, v3, vcc_lo
	s_addc_u32 s57, s11, s5
	v_add_co_u32 v12, vcc_lo, s56, v2
	v_cmp_gt_u64_e64 s0, s[24:25], v[0:1]
	v_cmp_lt_u64_e64 s73, 0xc00, s[24:25]
	v_lshlrev_b64 v[23:24], 2, v[2:3]
	v_cmp_eq_u32_e64 s1, 0, v31
	v_cmp_gt_u32_e64 s3, 2, v0
	v_dual_mov_b32 v17, v11 :: v_dual_mov_b32 v34, v4
	v_cmp_gt_u16_e64 s77, s14, 31
	v_dual_mov_b32 v19, v7 :: v_dual_mov_b32 v36, 0
	v_mov_b32_e32 v21, v8
	v_lshl_or_b32 v35, v31, 3, 0xc00
	v_add_co_ci_u32_e32 v13, vcc_lo, s57, v3, vcc_lo
	s_mul_i32 s4, s29, s33
	s_mul_hi_u32 s5, s28, s33
	s_mov_b32 s51, 0
	s_mov_b32 s82, 6
	s_lshl_b64 s[58:59], s[28:29], 2
	s_add_i32 s70, s5, s4
	s_mul_i32 s71, s28, s33
	s_mov_b32 s83, 0
	s_mov_b32 s89, 0
	;; [unrolled: 1-line block ×4, first 2 shown]
                                        ; implicit-def: $sgpr84
                                        ; implicit-def: $sgpr86
                                        ; implicit-def: $sgpr85
                                        ; implicit-def: $sgpr88
                                        ; implicit-def: $sgpr90
                                        ; implicit-def: $sgpr87
	s_branch .LBB87_37
.LBB87_33:                              ;   in Loop: Header=BB87_37 Depth=1
	s_xor_b32 s89, s89, 1
	s_add_i32 s7, s82, -2
	s_cmp_eq_u32 s82, 0
	s_mov_b32 s5, 0
	s_cselect_b32 s6, -1, 0
	s_mov_b32 s82, s7
.LBB87_34:                              ;   in Loop: Header=BB87_37 Depth=1
	s_and_not1_b32 s7, s13, exec_lo
	s_and_b32 s5, s5, exec_lo
	s_and_not1_b32 s19, s19, exec_lo
	s_or_b32 s13, s7, s5
	s_and_not1_b32 s12, s12, exec_lo
	s_or_not1_b32 s15, s6, exec_lo
.LBB87_35:                              ;   in Loop: Header=BB87_37 Depth=1
	s_or_b32 exec_lo, exec_lo, s4
	s_delay_alu instid0(SALU_CYCLE_1)
	s_and_not1_b32 s4, s87, exec_lo
	s_and_b32 s5, s13, exec_lo
	s_and_not1_b32 s6, s88, exec_lo
	s_or_b32 s87, s4, s5
	s_and_not1_b32 s4, s90, exec_lo
	s_and_b32 s5, s19, exec_lo
	s_and_b32 s7, s12, exec_lo
	s_or_b32 s90, s4, s5
	s_or_b32 s88, s6, s7
	s_or_not1_b32 s19, s15, exec_lo
.LBB87_36:                              ;   in Loop: Header=BB87_37 Depth=1
	s_or_b32 exec_lo, exec_lo, s14
	s_delay_alu instid0(SALU_CYCLE_1)
	s_and_b32 s4, exec_lo, s19
	v_mov_b32_e32 v2, s91
	s_or_b32 s83, s4, s83
	s_and_not1_b32 s4, s85, exec_lo
	s_and_b32 s5, s87, exec_lo
	s_and_not1_b32 s6, s84, exec_lo
	s_or_b32 s85, s4, s5
	s_and_not1_b32 s4, s86, exec_lo
	s_and_b32 s5, s90, exec_lo
	s_and_b32 s7, s88, exec_lo
	s_or_b32 s86, s4, s5
	s_or_b32 s84, s6, s7
	s_and_not1_b32 exec_lo, exec_lo, s83
	s_cbranch_execz .LBB87_302
.LBB87_37:                              ; =>This Loop Header: Depth=1
                                        ;     Child Loop BB87_42 Depth 2
                                        ;     Child Loop BB87_60 Depth 2
	;; [unrolled: 1-line block ×16, first 2 shown]
	ds_load_b128 v[2:5], v11 offset:5120
	s_waitcnt lgkmcnt(0)
	v_readfirstlane_b32 s61, v3
	v_readfirstlane_b32 s60, v2
	s_delay_alu instid0(VALU_DEP_1)
	s_cmp_lg_u64 s[60:61], 0
	s_cbranch_scc1 .LBB87_67
; %bb.38:                               ;   in Loop: Header=BB87_37 Depth=1
	s_and_b32 vcc_lo, exec_lo, s73
	s_cbranch_vccz .LBB87_50
; %bb.39:                               ;   in Loop: Header=BB87_37 Depth=1
	v_cmp_gt_u64_e32 vcc_lo, 0xc01, v[4:5]
	s_mov_b32 s6, 0
	s_mov_b32 s4, 0
	s_cbranch_vccz .LBB87_51
; %bb.40:                               ;   in Loop: Header=BB87_37 Depth=1
	global_load_u16 v6, v11, s[54:55]
	global_load_u8 v7, v[14:15], off
	s_mov_b32 s8, 0
	s_waitcnt vmcnt(1)
	v_readfirstlane_b32 s4, v6
	v_and_b32_e32 v6, 0xffff, v6
	s_delay_alu instid0(VALU_DEP_2) | instskip(NEXT) | instid1(SALU_CYCLE_1)
	s_and_b32 s4, 0xffff, s4
	v_add_nc_u32_e32 v8, s4, v0
	s_mul_i32 s5, s29, s4
	s_mul_hi_u32 s7, s28, s4
	s_mul_i32 s9, s28, s4
	s_add_i32 s7, s7, s5
	v_mad_u64_u32 v[2:3], null, s28, v8, s[56:57]
	s_delay_alu instid0(VALU_DEP_1) | instskip(NEXT) | instid1(VALU_DEP_1)
	v_mad_u64_u32 v[4:5], null, s29, v8, v[3:4]
	v_mov_b32_e32 v3, v4
	v_dual_mov_b32 v5, v1 :: v_dual_mov_b32 v4, v0
	s_branch .LBB87_42
.LBB87_41:                              ;   in Loop: Header=BB87_42 Depth=2
	s_or_b32 exec_lo, exec_lo, s5
	v_add_co_u32 v2, vcc_lo, v2, s9
	v_add_co_ci_u32_e32 v3, vcc_lo, s7, v3, vcc_lo
	v_mov_b32_e32 v7, v8
	s_and_not1_b32 exec_lo, exec_lo, s8
	s_cbranch_execz .LBB87_52
.LBB87_42:                              ;   Parent Loop BB87_37 Depth=1
                                        ; =>  This Inner Loop Header: Depth=2
	s_delay_alu instid0(VALU_DEP_1) | instskip(NEXT) | instid1(VALU_DEP_2)
	v_add_co_u32 v4, vcc_lo, v4, v6
	v_add_co_ci_u32_e32 v5, vcc_lo, 0, v5, vcc_lo
	s_waitcnt lgkmcnt(0)
	v_dual_mov_b32 v9, 0 :: v_dual_mov_b32 v8, 0
	s_mov_b32 s5, exec_lo
	s_delay_alu instid0(VALU_DEP_2)
	v_cmp_le_u64_e32 vcc_lo, s[24:25], v[4:5]
	v_cmpx_gt_u64_e64 s[24:25], v[4:5]
	s_cbranch_execz .LBB87_44
; %bb.43:                               ;   in Loop: Header=BB87_42 Depth=2
	global_load_u8 v8, v[2:3], off
.LBB87_44:                              ;   in Loop: Header=BB87_42 Depth=2
	s_or_b32 exec_lo, exec_lo, s5
	s_waitcnt vmcnt(0)
	v_bfe_i32 v10, v7, 0, 8
	s_delay_alu instid0(VALU_DEP_1) | instskip(NEXT) | instid1(VALU_DEP_1)
	v_add_nc_u32_e32 v10, 0x80, v10
	v_and_b32_e32 v10, s92, v10
	s_delay_alu instid0(VALU_DEP_1) | instskip(NEXT) | instid1(VALU_DEP_1)
	v_cmp_eq_u32_e64 s4, s91, v10
	s_cmp_lg_u32 s4, 0
	s_cselect_b32 s5, -1, 0
	s_delay_alu instid0(SALU_CYCLE_1) | instskip(NEXT) | instid1(SALU_CYCLE_1)
	s_and_b32 s5, s1, s5
	s_and_saveexec_b32 s10, s5
	s_cbranch_execz .LBB87_48
; %bb.45:                               ;   in Loop: Header=BB87_42 Depth=2
	s_mov_b32 s13, exec_lo
	s_bcnt1_i32_b32 s11, s4
	v_mbcnt_lo_u32_b32 v9, s13, 0
	s_mov_b32 s12, exec_lo
                                        ; implicit-def: $vgpr10
	s_delay_alu instid0(VALU_DEP_1)
	v_cmpx_eq_u32_e32 0, v9
	s_cbranch_execz .LBB87_47
; %bb.46:                               ;   in Loop: Header=BB87_42 Depth=2
	s_bcnt1_i32_b32 s5, s13
	s_delay_alu instid0(SALU_CYCLE_1) | instskip(NEXT) | instid1(SALU_CYCLE_1)
	s_mul_i32 s5, s11, s5
	v_mov_b32_e32 v10, s5
	ds_add_rtn_u32 v10, v11, v10 offset:5144
.LBB87_47:                              ;   in Loop: Header=BB87_42 Depth=2
	s_or_b32 exec_lo, exec_lo, s12
	s_waitcnt lgkmcnt(0)
	v_readfirstlane_b32 s5, v10
	s_delay_alu instid0(VALU_DEP_1)
	v_mad_u32_u24 v9, s11, v9, s5
.LBB87_48:                              ;   in Loop: Header=BB87_42 Depth=2
	s_or_b32 exec_lo, exec_lo, s10
	ds_bpermute_b32 v9, v11, v9
	s_and_b32 s5, exec_lo, vcc_lo
	s_delay_alu instid0(SALU_CYCLE_1)
	s_or_b32 s8, s5, s8
	s_and_saveexec_b32 s5, s4
	s_cbranch_execz .LBB87_41
; %bb.49:                               ;   in Loop: Header=BB87_42 Depth=2
	v_and_b32_e32 v10, s4, v33
	s_waitcnt lgkmcnt(0)
	s_delay_alu instid0(VALU_DEP_1)
	v_bcnt_u32_b32 v9, v10, v9
	ds_store_b8 v9, v7
	s_branch .LBB87_41
.LBB87_50:                              ;   in Loop: Header=BB87_37 Depth=1
	s_mov_b32 s4, 0
                                        ; implicit-def: $sgpr60_sgpr61
	s_cbranch_execnz .LBB87_55
	s_branch .LBB87_65
.LBB87_51:                              ;   in Loop: Header=BB87_37 Depth=1
	s_mov_b64 s[60:61], 0
	s_and_b32 vcc_lo, exec_lo, s6
	s_cbranch_vccnz .LBB87_55
	s_branch .LBB87_65
.LBB87_52:                              ;   in Loop: Header=BB87_37 Depth=1
	s_or_b32 exec_lo, exec_lo, s8
	s_waitcnt lgkmcnt(0)
	s_barrier
	buffer_gl0_inv
	s_and_saveexec_b32 s4, s2
	s_cbranch_execz .LBB87_54
; %bb.53:                               ;   in Loop: Header=BB87_37 Depth=1
	ds_load_b32 v2, v11 offset:5144
	s_waitcnt lgkmcnt(0)
	v_ashrrev_i32_e32 v3, 31, v2
	ds_store_b64 v11, v[2:3] offset:5120
.LBB87_54:                              ;   in Loop: Header=BB87_37 Depth=1
	s_or_b32 exec_lo, exec_lo, s4
	s_waitcnt lgkmcnt(0)
	s_mov_b32 s4, -1
	s_barrier
	s_mov_b64 s[60:61], 0
	s_and_b32 vcc_lo, exec_lo, s6
	s_cbranch_vccz .LBB87_65
.LBB87_55:                              ;   in Loop: Header=BB87_37 Depth=1
	v_mov_b32_e32 v6, 0
	s_and_saveexec_b32 s4, s0
	s_cbranch_execz .LBB87_57
; %bb.56:                               ;   in Loop: Header=BB87_37 Depth=1
	global_load_u8 v6, v[14:15], off
.LBB87_57:                              ;   in Loop: Header=BB87_37 Depth=1
	s_or_b32 exec_lo, exec_lo, s4
	s_and_saveexec_b32 s5, s0
	s_cbranch_execz .LBB87_62
; %bb.58:                               ;   in Loop: Header=BB87_37 Depth=1
	global_load_u16 v8, v11, s[54:55]
	s_mov_b32 s9, 0
	s_waitcnt vmcnt(0)
	v_readfirstlane_b32 s4, v8
	v_and_b32_e32 v8, 0xffff, v8
	s_delay_alu instid0(VALU_DEP_2) | instskip(NEXT) | instid1(SALU_CYCLE_1)
	s_and_b32 s6, 0xffff, s4
	v_add_nc_u32_e32 v7, s6, v0
	s_mul_i32 s4, s29, s6
	s_mul_hi_u32 s7, s28, s6
	s_mul_i32 s8, s28, s6
	s_add_i32 s7, s7, s4
	v_mad_u64_u32 v[2:3], null, s28, v7, s[56:57]
	s_delay_alu instid0(VALU_DEP_1) | instskip(SKIP_1) | instid1(VALU_DEP_2)
	v_mad_u64_u32 v[4:5], null, s29, v7, v[3:4]
	v_mov_b32_e32 v7, v0
	v_mov_b32_e32 v3, v4
	v_dual_mov_b32 v5, v1 :: v_dual_mov_b32 v4, v0
	s_branch .LBB87_60
	.p2align	6
.LBB87_59:                              ;   in Loop: Header=BB87_60 Depth=2
	s_or_b32 exec_lo, exec_lo, s10
	s_delay_alu instid0(SALU_CYCLE_1)
	s_and_b32 s4, exec_lo, vcc_lo
	v_add_co_u32 v2, vcc_lo, v2, s8
	ds_store_b8 v7, v6
	s_waitcnt vmcnt(0)
	v_dual_mov_b32 v6, v9 :: v_dual_add_nc_u32 v7, s6, v7
	v_add_co_ci_u32_e32 v3, vcc_lo, s7, v3, vcc_lo
	s_or_b32 s9, s4, s9
	s_delay_alu instid0(SALU_CYCLE_1)
	s_and_not1_b32 exec_lo, exec_lo, s9
	s_cbranch_execz .LBB87_62
.LBB87_60:                              ;   Parent Loop BB87_37 Depth=1
                                        ; =>  This Inner Loop Header: Depth=2
	s_delay_alu instid0(VALU_DEP_1) | instskip(NEXT) | instid1(VALU_DEP_2)
	v_add_co_u32 v4, vcc_lo, v4, v8
	v_add_co_ci_u32_e32 v5, vcc_lo, 0, v5, vcc_lo
	v_mov_b32_e32 v9, 0
	s_mov_b32 s10, exec_lo
	s_delay_alu instid0(VALU_DEP_2)
	v_cmp_le_u64_e32 vcc_lo, s[24:25], v[4:5]
	v_cmpx_gt_u64_e64 s[24:25], v[4:5]
	s_cbranch_execz .LBB87_59
; %bb.61:                               ;   in Loop: Header=BB87_60 Depth=2
	global_load_u8 v9, v[2:3], off
	s_branch .LBB87_59
.LBB87_62:                              ;   in Loop: Header=BB87_37 Depth=1
	s_or_b32 exec_lo, exec_lo, s5
	s_waitcnt vmcnt(0) lgkmcnt(0)
	s_barrier
	buffer_gl0_inv
	s_and_saveexec_b32 s4, s2
	s_cbranch_execz .LBB87_64
; %bb.63:                               ;   in Loop: Header=BB87_37 Depth=1
	v_dual_mov_b32 v2, s24 :: v_dual_mov_b32 v3, s25
	ds_store_b64 v11, v[2:3] offset:5120
.LBB87_64:                              ;   in Loop: Header=BB87_37 Depth=1
	s_or_b32 exec_lo, exec_lo, s4
	s_mov_b32 s4, -1
	s_waitcnt lgkmcnt(0)
	s_barrier
                                        ; implicit-def: $sgpr60_sgpr61
.LBB87_65:                              ;   in Loop: Header=BB87_37 Depth=1
	s_and_b32 vcc_lo, exec_lo, s4
	s_cbranch_vccz .LBB87_67
; %bb.66:                               ;   in Loop: Header=BB87_37 Depth=1
	buffer_gl0_inv
	ds_load_b64 v[2:3], v11 offset:5120
	s_waitcnt lgkmcnt(0)
	v_readfirstlane_b32 s60, v2
.LBB87_67:                              ;   in Loop: Header=BB87_37 Depth=1
	s_delay_alu instid0(VALU_DEP_1)
	s_cmp_lt_i32 s60, 1
	s_cbranch_scc0 .LBB87_82
; %bb.68:                               ;   in Loop: Header=BB87_37 Depth=1
	global_load_u16 v4, v11, s[54:55]
	s_mov_b32 s5, s25
	s_waitcnt vmcnt(0)
	v_readfirstlane_b32 s4, v4
	s_delay_alu instid0(VALU_DEP_1)
	s_and_b32 s6, 0xffff, s4
	s_mov_b32 s4, s51
	s_lshl_b32 s50, s6, 2
	s_cmp_lg_u64 s[4:5], 0
	s_cbranch_scc0 .LBB87_102
; %bb.69:                               ;   in Loop: Header=BB87_37 Depth=1
	v_cvt_f32_u32_e32 v2, s50
	s_sub_u32 s6, 0, s50
	s_subb_u32 s7, 0, 0
	s_delay_alu instid0(VALU_DEP_1) | instskip(NEXT) | instid1(VALU_DEP_1)
	v_fmac_f32_e64 v2, 0, 0x4f800000
	v_rcp_f32_e32 v2, v2
	s_waitcnt_depctr 0xfff
	v_mul_f32_e32 v2, 0x5f7ffffc, v2
	s_delay_alu instid0(VALU_DEP_1) | instskip(NEXT) | instid1(VALU_DEP_1)
	v_mul_f32_e32 v3, 0x2f800000, v2
	v_trunc_f32_e32 v3, v3
	s_delay_alu instid0(VALU_DEP_1) | instskip(SKIP_1) | instid1(VALU_DEP_2)
	v_fmac_f32_e32 v2, 0xcf800000, v3
	v_cvt_u32_f32_e32 v3, v3
	v_cvt_u32_f32_e32 v2, v2
	s_delay_alu instid0(VALU_DEP_2) | instskip(NEXT) | instid1(VALU_DEP_2)
	v_readfirstlane_b32 s4, v3
	v_readfirstlane_b32 s5, v2
	s_delay_alu instid0(VALU_DEP_2) | instskip(NEXT) | instid1(VALU_DEP_1)
	s_mul_i32 s8, s6, s4
	s_mul_hi_u32 s10, s6, s5
	s_mul_i32 s9, s7, s5
	s_add_i32 s8, s10, s8
	s_mul_i32 s11, s6, s5
	s_add_i32 s8, s8, s9
	s_mul_hi_u32 s10, s5, s11
	s_mul_hi_u32 s12, s4, s11
	s_mul_i32 s9, s4, s11
	s_mul_hi_u32 s11, s5, s8
	s_mul_i32 s5, s5, s8
	s_mul_hi_u32 s13, s4, s8
	s_add_u32 s5, s10, s5
	s_addc_u32 s10, 0, s11
	s_add_u32 s5, s5, s9
	s_mul_i32 s8, s4, s8
	s_addc_u32 s5, s10, s12
	s_addc_u32 s9, s13, 0
	s_add_u32 s5, s5, s8
	s_addc_u32 s8, 0, s9
	v_add_co_u32 v2, s5, v2, s5
	s_delay_alu instid0(VALU_DEP_1) | instskip(SKIP_1) | instid1(VALU_DEP_1)
	s_cmp_lg_u32 s5, 0
	s_addc_u32 s4, s4, s8
	v_readfirstlane_b32 s5, v2
	s_mul_i32 s8, s6, s4
	s_delay_alu instid0(VALU_DEP_1)
	s_mul_hi_u32 s9, s6, s5
	s_mul_i32 s7, s7, s5
	s_add_i32 s8, s9, s8
	s_mul_i32 s6, s6, s5
	s_add_i32 s8, s8, s7
	s_mul_hi_u32 s9, s4, s6
	s_mul_i32 s10, s4, s6
	s_mul_hi_u32 s6, s5, s6
	s_mul_hi_u32 s11, s5, s8
	s_mul_i32 s5, s5, s8
	s_mul_hi_u32 s7, s4, s8
	s_add_u32 s5, s6, s5
	s_addc_u32 s6, 0, s11
	s_add_u32 s5, s5, s10
	s_mul_i32 s8, s4, s8
	s_addc_u32 s5, s6, s9
	s_addc_u32 s6, s7, 0
	s_add_u32 s5, s5, s8
	s_addc_u32 s6, 0, s6
	v_add_co_u32 v2, s5, v2, s5
	s_delay_alu instid0(VALU_DEP_1) | instskip(SKIP_1) | instid1(VALU_DEP_1)
	s_cmp_lg_u32 s5, 0
	s_addc_u32 s4, s4, s6
	v_readfirstlane_b32 s5, v2
	s_mul_i32 s7, s24, s4
	s_mul_hi_u32 s6, s24, s4
	s_mul_hi_u32 s8, s25, s4
	s_mul_i32 s4, s25, s4
	s_mul_hi_u32 s9, s24, s5
	s_mul_hi_u32 s10, s25, s5
	s_mul_i32 s5, s25, s5
	s_add_u32 s7, s9, s7
	s_addc_u32 s6, 0, s6
	s_add_u32 s5, s7, s5
	s_addc_u32 s5, s6, s10
	s_addc_u32 s6, s8, 0
	s_add_u32 s4, s5, s4
	s_addc_u32 s5, 0, s6
	s_mul_hi_u32 s6, s50, s4
	s_mul_i32 s4, s50, s4
	s_mul_i32 s5, s50, s5
	v_sub_co_u32 v2, s4, s24, s4
	s_add_i32 s6, s6, s5
	s_cmp_lg_u32 s4, 0
	s_delay_alu instid0(VALU_DEP_1) | instskip(SKIP_2) | instid1(VALU_DEP_1)
	v_sub_co_u32 v3, s4, v2, s50
	s_subb_u32 s5, s25, s6
	s_cmp_lg_u32 s4, 0
	v_cmp_le_u32_e32 vcc_lo, s50, v3
	v_sub_co_u32 v5, s4, v3, s50
	s_subb_u32 s6, s5, 0
	s_cmp_lg_u32 s4, 0
	v_cndmask_b32_e64 v6, 0, -1, vcc_lo
	s_subb_u32 s4, s6, 0
	s_cmp_eq_u32 s6, 0
	v_mov_b32_e32 v8, s4
	s_cselect_b32 vcc_lo, -1, 0
	s_cmp_eq_u32 s5, 0
	v_cndmask_b32_e32 v6, -1, v6, vcc_lo
	v_cmp_le_u32_e32 vcc_lo, s50, v2
	s_cselect_b32 s4, -1, 0
	v_cndmask_b32_e64 v7, 0, -1, vcc_lo
	s_delay_alu instid0(VALU_DEP_3) | instskip(NEXT) | instid1(VALU_DEP_2)
	v_cmp_ne_u32_e32 vcc_lo, 0, v6
	v_cndmask_b32_e64 v6, -1, v7, s4
	v_cndmask_b32_e32 v7, s6, v8, vcc_lo
	v_cndmask_b32_e32 v5, v3, v5, vcc_lo
	s_delay_alu instid0(VALU_DEP_3) | instskip(NEXT) | instid1(VALU_DEP_3)
	v_cmp_ne_u32_e32 vcc_lo, 0, v6
	v_cndmask_b32_e32 v3, s5, v7, vcc_lo
	s_delay_alu instid0(VALU_DEP_3)
	v_cndmask_b32_e32 v2, v2, v5, vcc_lo
	s_cbranch_execnz .LBB87_71
.LBB87_70:                              ;   in Loop: Header=BB87_37 Depth=1
	v_cvt_f32_u32_e32 v2, s50
	s_sub_i32 s4, 0, s50
	s_delay_alu instid0(VALU_DEP_1) | instskip(SKIP_2) | instid1(VALU_DEP_1)
	v_rcp_iflag_f32_e32 v2, v2
	s_waitcnt_depctr 0xfff
	v_mul_f32_e32 v2, 0x4f7ffffe, v2
	v_cvt_u32_f32_e32 v2, v2
	s_delay_alu instid0(VALU_DEP_1) | instskip(NEXT) | instid1(VALU_DEP_1)
	v_mul_lo_u32 v3, s4, v2
	v_mul_hi_u32 v3, v2, v3
	s_delay_alu instid0(VALU_DEP_1) | instskip(NEXT) | instid1(VALU_DEP_1)
	v_add_nc_u32_e32 v2, v2, v3
	v_mul_hi_u32 v2, s24, v2
	s_delay_alu instid0(VALU_DEP_1) | instskip(NEXT) | instid1(VALU_DEP_1)
	v_mul_lo_u32 v2, v2, s50
	v_sub_nc_u32_e32 v2, s24, v2
	s_delay_alu instid0(VALU_DEP_1) | instskip(SKIP_1) | instid1(VALU_DEP_2)
	v_subrev_nc_u32_e32 v3, s50, v2
	v_cmp_le_u32_e32 vcc_lo, s50, v2
	v_cndmask_b32_e32 v2, v2, v3, vcc_lo
	s_delay_alu instid0(VALU_DEP_1) | instskip(SKIP_1) | instid1(VALU_DEP_2)
	v_subrev_nc_u32_e32 v3, s50, v2
	v_cmp_le_u32_e32 vcc_lo, s50, v2
	v_cndmask_b32_e32 v10, v2, v3, vcc_lo
	s_delay_alu instid0(VALU_DEP_1)
	v_dual_mov_b32 v2, v10 :: v_dual_mov_b32 v3, v11
.LBB87_71:                              ;   in Loop: Header=BB87_37 Depth=1
	s_delay_alu instid0(VALU_DEP_1) | instskip(NEXT) | instid1(VALU_DEP_2)
	v_sub_co_u32 v25, vcc_lo, s24, v2
	v_sub_co_ci_u32_e32 v26, vcc_lo, s25, v3, vcc_lo
	v_mov_b32_e32 v2, 0
	v_dual_mov_b32 v3, 0 :: v_dual_and_b32 v10, 0xffff, v4
	s_mov_b64 s[62:63], 0
	s_mov_b32 s52, exec_lo
	s_delay_alu instid0(VALU_DEP_1)
	v_dual_mov_b32 v5, v3 :: v_dual_mov_b32 v4, v2
	v_dual_mov_b32 v7, v3 :: v_dual_mov_b32 v6, v2
	;; [unrolled: 1-line block ×3, first 2 shown]
	v_cmpx_gt_u64_e64 v[25:26], v[16:17]
	s_cbranch_execz .LBB87_75
; %bb.72:                               ;   in Loop: Header=BB87_37 Depth=1
	v_mul_lo_u32 v2, s59, v10
	v_mul_hi_u32 v3, s58, v10
	v_mul_lo_u32 v37, s58, v10
	v_dual_mov_b32 v30, v17 :: v_dual_mov_b32 v27, s48
	v_mov_b32_e32 v28, s49
	s_and_b32 s61, s82, 0xfe
	s_mov_b32 s93, 0
	s_delay_alu instid0(VALU_DEP_4)
	v_dual_mov_b32 v29, v16 :: v_dual_add_nc_u32 v38, v3, v2
	s_mov_b64 s[64:65], 0
	s_mov_b64 s[66:67], 0
	;; [unrolled: 1-line block ×3, first 2 shown]
.LBB87_73:                              ;   Parent Loop BB87_37 Depth=1
                                        ; =>  This Inner Loop Header: Depth=2
	v_add_co_u32 v2, vcc_lo, v27, v23
	v_add_co_ci_u32_e32 v3, vcc_lo, v28, v24, vcc_lo
	v_add_co_u32 v4, vcc_lo, v27, v22
	v_add_co_ci_u32_e32 v5, vcc_lo, v28, v34, vcc_lo
	v_add_co_u32 v6, vcc_lo, v27, v20
	v_add_co_ci_u32_e32 v7, vcc_lo, v28, v21, vcc_lo
	v_add_co_u32 v8, vcc_lo, v27, v18
	v_add_co_ci_u32_e32 v9, vcc_lo, v28, v19, vcc_lo
	s_clause 0x3
	global_load_i8 v2, v[2:3], off
	global_load_i8 v3, v[4:5], off
	;; [unrolled: 1-line block ×4, first 2 shown]
	v_add_co_u32 v29, vcc_lo, v29, s50
	v_add_co_ci_u32_e32 v30, vcc_lo, 0, v30, vcc_lo
	v_add_co_u32 v27, vcc_lo, v27, v37
	v_add_co_ci_u32_e32 v28, vcc_lo, v28, v38, vcc_lo
	s_delay_alu instid0(VALU_DEP_3)
	v_cmp_ge_u64_e32 vcc_lo, v[29:30], v[25:26]
	s_waitcnt vmcnt(3)
	v_add_nc_u32_e32 v2, 0x80, v2
	s_waitcnt vmcnt(2)
	v_add_nc_u32_e32 v3, 0x80, v3
	;; [unrolled: 2-line block ×4, first 2 shown]
	v_and_b32_e32 v6, s92, v2
	v_bfe_u32 v2, v2, s61, 2
	v_and_b32_e32 v7, s92, v3
	v_bfe_u32 v3, v3, s61, 2
	;; [unrolled: 2-line block ×3, first 2 shown]
	v_cmp_eq_u32_e64 s4, s91, v6
	v_cmp_eq_u32_e64 s8, 0, v2
	v_and_b32_e32 v9, s92, v5
	v_bfe_u32 v5, v5, s61, 2
	v_cmp_eq_u32_e64 s5, s91, v7
	v_cmp_eq_u32_e64 s9, 0, v3
	;; [unrolled: 1-line block ×4, first 2 shown]
	s_and_b32 s8, s4, s8
	v_cmp_eq_u32_e64 s7, s91, v9
	v_cmp_eq_u32_e64 s11, 0, v5
	;; [unrolled: 1-line block ×5, first 2 shown]
	v_cndmask_b32_e64 v2, 0, 1, s8
	s_and_b32 s8, s5, s9
	v_cmp_eq_u32_e64 s13, 1, v3
	v_cmp_eq_u32_e64 s17, 2, v3
	v_cmp_eq_u32_e64 s21, 3, v3
	v_cndmask_b32_e64 v3, 0, 1, s8
	s_and_b32 s8, s6, s10
	v_cmp_eq_u32_e64 s14, 1, v4
	v_cmp_eq_u32_e64 s18, 2, v4
	v_cmp_eq_u32_e64 s22, 3, v4
	;; [unrolled: 5-line block ×3, first 2 shown]
	v_cndmask_b32_e64 v5, 0, 1, s8
	v_cmp_ne_u32_e64 s8, 0, v2
	v_cmp_ne_u32_e64 s9, 0, v3
	;; [unrolled: 1-line block ×3, first 2 shown]
	s_delay_alu instid0(VALU_DEP_4) | instskip(NEXT) | instid1(VALU_DEP_4)
	v_cmp_ne_u32_e64 s11, 0, v5
	s_bcnt1_i32_b32 s8, s8
	s_delay_alu instid0(VALU_DEP_3) | instskip(NEXT) | instid1(VALU_DEP_2)
	s_bcnt1_i32_b32 s9, s9
	s_bcnt1_i32_b32 s10, s10
	s_add_i32 s8, s9, s8
	s_bcnt1_i32_b32 s11, s11
	s_add_i32 s8, s8, s10
	s_delay_alu instid0(SALU_CYCLE_1) | instskip(NEXT) | instid1(SALU_CYCLE_1)
	s_add_i32 s8, s8, s11
	s_add_u32 s68, s68, s8
	s_addc_u32 s69, s69, 0
	s_and_b32 s8, s4, s12
	s_delay_alu instid0(SALU_CYCLE_1) | instskip(SKIP_1) | instid1(SALU_CYCLE_1)
	v_cndmask_b32_e64 v2, 0, 1, s8
	s_and_b32 s8, s5, s13
	v_cndmask_b32_e64 v3, 0, 1, s8
	s_and_b32 s8, s6, s14
	s_delay_alu instid0(SALU_CYCLE_1) | instskip(SKIP_1) | instid1(VALU_DEP_2)
	v_cndmask_b32_e64 v4, 0, 1, s8
	s_and_b32 s8, s7, s15
	v_cmp_ne_u32_e64 s9, 0, v3
	v_cndmask_b32_e64 v5, 0, 1, s8
	v_cmp_ne_u32_e64 s8, 0, v2
	v_cmp_ne_u32_e64 s10, 0, v4
	s_delay_alu instid0(VALU_DEP_4) | instskip(NEXT) | instid1(VALU_DEP_3)
	s_bcnt1_i32_b32 s9, s9
	v_cmp_ne_u32_e64 s11, 0, v5
	s_delay_alu instid0(VALU_DEP_3) | instskip(NEXT) | instid1(VALU_DEP_2)
	s_bcnt1_i32_b32 s8, s8
	s_bcnt1_i32_b32 s10, s10
	s_add_i32 s8, s9, s8
	s_delay_alu instid0(VALU_DEP_1) | instskip(SKIP_1) | instid1(SALU_CYCLE_1)
	s_bcnt1_i32_b32 s11, s11
	s_add_i32 s8, s8, s10
	s_add_i32 s8, s8, s11
	s_delay_alu instid0(SALU_CYCLE_1) | instskip(SKIP_2) | instid1(SALU_CYCLE_1)
	s_add_u32 s66, s66, s8
	s_addc_u32 s67, s67, 0
	s_and_b32 s8, s4, s16
	v_cndmask_b32_e64 v2, 0, 1, s8
	s_and_b32 s8, s5, s17
	s_delay_alu instid0(SALU_CYCLE_1) | instskip(SKIP_1) | instid1(SALU_CYCLE_1)
	v_cndmask_b32_e64 v3, 0, 1, s8
	s_and_b32 s8, s6, s18
	v_cndmask_b32_e64 v4, 0, 1, s8
	s_and_b32 s8, s7, s19
	s_delay_alu instid0(VALU_DEP_2) | instskip(SKIP_3) | instid1(VALU_DEP_4)
	v_cmp_ne_u32_e64 s9, 0, v3
	v_cndmask_b32_e64 v5, 0, 1, s8
	v_cmp_ne_u32_e64 s8, 0, v2
	v_cmp_ne_u32_e64 s10, 0, v4
	s_bcnt1_i32_b32 s9, s9
	s_delay_alu instid0(VALU_DEP_3) | instskip(NEXT) | instid1(VALU_DEP_3)
	v_cmp_ne_u32_e64 s11, 0, v5
	s_bcnt1_i32_b32 s8, s8
	s_delay_alu instid0(VALU_DEP_2) | instskip(SKIP_1) | instid1(VALU_DEP_1)
	s_bcnt1_i32_b32 s10, s10
	s_add_i32 s8, s9, s8
	s_bcnt1_i32_b32 s11, s11
	s_add_i32 s8, s8, s10
	s_delay_alu instid0(SALU_CYCLE_1) | instskip(NEXT) | instid1(SALU_CYCLE_1)
	s_add_i32 s8, s8, s11
	s_add_u32 s64, s64, s8
	s_addc_u32 s65, s65, 0
	v_mov_b32_e32 v6, s64
	s_and_b32 s4, s4, s20
	v_mov_b32_e32 v7, s65
	v_cndmask_b32_e64 v2, 0, 1, s4
	s_and_b32 s4, s5, s21
	s_delay_alu instid0(SALU_CYCLE_1) | instskip(SKIP_1) | instid1(SALU_CYCLE_1)
	v_cndmask_b32_e64 v3, 0, 1, s4
	s_and_b32 s4, s6, s22
	v_cndmask_b32_e64 v4, 0, 1, s4
	s_and_b32 s4, s7, s23
	s_delay_alu instid0(VALU_DEP_2)
	v_cmp_ne_u32_e64 s5, 0, v3
	v_cndmask_b32_e64 v5, 0, 1, s4
	v_cmp_ne_u32_e64 s4, 0, v2
	v_cmp_ne_u32_e64 s6, 0, v4
	v_mov_b32_e32 v2, s68
	s_bcnt1_i32_b32 s5, s5
	v_cmp_ne_u32_e64 s7, 0, v5
	s_bcnt1_i32_b32 s4, s4
	s_bcnt1_i32_b32 s6, s6
	s_add_i32 s4, s5, s4
	v_mov_b32_e32 v4, s66
	s_bcnt1_i32_b32 s5, s7
	s_add_i32 s4, s4, s6
	v_mov_b32_e32 v3, s69
	s_add_i32 s4, s4, s5
	v_mov_b32_e32 v5, s67
	s_add_u32 s62, s62, s4
	s_addc_u32 s63, s63, 0
	s_delay_alu instid0(SALU_CYCLE_1) | instskip(SKIP_1) | instid1(SALU_CYCLE_1)
	v_dual_mov_b32 v8, s62 :: v_dual_mov_b32 v9, s63
	s_or_b32 s93, vcc_lo, s93
	s_and_not1_b32 exec_lo, exec_lo, s93
	s_cbranch_execnz .LBB87_73
; %bb.74:                               ;   in Loop: Header=BB87_37 Depth=1
	s_or_b32 exec_lo, exec_lo, s93
.LBB87_75:                              ;   in Loop: Header=BB87_37 Depth=1
	s_delay_alu instid0(SALU_CYCLE_1) | instskip(SKIP_3) | instid1(VALU_DEP_2)
	s_or_b32 exec_lo, exec_lo, s52
	v_add_co_u32 v25, vcc_lo, v25, v0
	v_add_co_ci_u32_e32 v26, vcc_lo, 0, v26, vcc_lo
	v_mov_b32_e32 v28, 0
	v_cmp_gt_u64_e32 vcc_lo, s[24:25], v[25:26]
	s_and_saveexec_b32 s4, vcc_lo
	s_cbranch_execz .LBB87_77
; %bb.76:                               ;   in Loop: Header=BB87_37 Depth=1
	v_mad_u64_u32 v[27:28], null, v25, s28, s[48:49]
	v_mul_lo_u32 v29, v25, s29
	v_mul_lo_u32 v30, v26, s28
	s_delay_alu instid0(VALU_DEP_1)
	v_add3_u32 v28, v30, v28, v29
	global_load_u8 v28, v[27:28], off
.LBB87_77:                              ;   in Loop: Header=BB87_37 Depth=1
	s_or_b32 exec_lo, exec_lo, s4
	s_and_saveexec_b32 s8, vcc_lo
	s_cbranch_execz .LBB87_84
; %bb.78:                               ;   in Loop: Header=BB87_37 Depth=1
	s_and_b32 s10, s82, 0xfe
	s_mov_b32 s9, 0
	s_branch .LBB87_80
.LBB87_79:                              ;   in Loop: Header=BB87_80 Depth=2
	s_or_b32 exec_lo, exec_lo, s5
	s_waitcnt vmcnt(0)
	v_bfe_i32 v28, v28, 0, 8
	s_and_b32 s6, exec_lo, vcc_lo
	s_delay_alu instid0(SALU_CYCLE_1) | instskip(NEXT) | instid1(VALU_DEP_1)
	s_or_b32 s9, s6, s9
	v_add_nc_u32_e32 v28, 0x80, v28
	s_delay_alu instid0(VALU_DEP_1) | instskip(SKIP_1) | instid1(VALU_DEP_2)
	v_and_b32_e32 v29, s92, v28
	v_bfe_u32 v28, v28, s10, 2
	v_cmp_eq_u32_e64 s4, s91, v29
	s_delay_alu instid0(VALU_DEP_2) | instskip(SKIP_2) | instid1(VALU_DEP_3)
	v_cmp_eq_u32_e64 s5, 0, v28
	v_cmp_eq_u32_e32 vcc_lo, 1, v28
	v_cmp_eq_u32_e64 s6, 2, v28
	s_and_b32 s5, s4, s5
	s_delay_alu instid0(SALU_CYCLE_1) | instskip(SKIP_4) | instid1(SALU_CYCLE_1)
	v_cndmask_b32_e64 v29, 0, 1, s5
	s_and_b32 s5, s4, vcc_lo
	v_cmp_eq_u32_e32 vcc_lo, 3, v28
	v_cndmask_b32_e64 v30, 0, 1, s5
	s_and_b32 s5, s4, s6
	v_cndmask_b32_e64 v37, 0, 1, s5
	v_cmp_ne_u32_e64 s5, 0, v29
	s_delay_alu instid0(VALU_DEP_3) | instskip(SKIP_1) | instid1(SALU_CYCLE_1)
	v_cmp_ne_u32_e64 s6, 0, v30
	s_and_b32 s4, s4, vcc_lo
	v_cndmask_b32_e64 v28, 0, 1, s4
	s_delay_alu instid0(VALU_DEP_3)
	s_bcnt1_i32_b32 s4, s5
	v_cmp_ne_u32_e64 s7, 0, v37
	v_add_co_u32 v2, vcc_lo, v2, s4
	s_bcnt1_i32_b32 s5, s6
	v_add_co_ci_u32_e32 v3, vcc_lo, 0, v3, vcc_lo
	v_add_co_u32 v4, vcc_lo, v4, s5
	v_add_co_ci_u32_e32 v5, vcc_lo, 0, v5, vcc_lo
	s_bcnt1_i32_b32 s6, s7
	v_cmp_ne_u32_e32 vcc_lo, 0, v28
	v_mov_b32_e32 v28, v27
	v_add_co_u32 v6, s4, v6, s6
	s_delay_alu instid0(VALU_DEP_1) | instskip(SKIP_1) | instid1(SALU_CYCLE_1)
	v_add_co_ci_u32_e64 v7, s4, 0, v7, s4
	s_bcnt1_i32_b32 s4, vcc_lo
	v_add_co_u32 v8, vcc_lo, v8, s4
	v_add_co_ci_u32_e32 v9, vcc_lo, 0, v9, vcc_lo
	s_and_not1_b32 exec_lo, exec_lo, s9
	s_cbranch_execz .LBB87_83
.LBB87_80:                              ;   Parent Loop BB87_37 Depth=1
                                        ; =>  This Inner Loop Header: Depth=2
	v_add_co_u32 v25, vcc_lo, v25, v10
	v_add_co_ci_u32_e32 v26, vcc_lo, 0, v26, vcc_lo
	v_mov_b32_e32 v27, 0
	s_mov_b32 s5, exec_lo
	s_delay_alu instid0(VALU_DEP_2)
	v_cmp_le_u64_e32 vcc_lo, s[24:25], v[25:26]
	v_cmpx_gt_u64_e64 s[24:25], v[25:26]
	s_cbranch_execz .LBB87_79
; %bb.81:                               ;   in Loop: Header=BB87_80 Depth=2
	v_mad_u64_u32 v[29:30], null, v25, s28, s[48:49]
	v_mul_lo_u32 v27, v25, s29
	v_mul_lo_u32 v37, v26, s28
	s_delay_alu instid0(VALU_DEP_1)
	v_add3_u32 v30, v37, v30, v27
	global_load_u8 v27, v[29:30], off
	s_branch .LBB87_79
.LBB87_82:                              ;   in Loop: Header=BB87_37 Depth=1
                                        ; implicit-def: $vgpr8_vgpr9
                                        ; implicit-def: $vgpr4_vgpr5
	s_cbranch_execnz .LBB87_85
	s_branch .LBB87_94
.LBB87_83:                              ;   in Loop: Header=BB87_37 Depth=1
	s_or_b32 exec_lo, exec_lo, s9
.LBB87_84:                              ;   in Loop: Header=BB87_37 Depth=1
	s_delay_alu instid0(SALU_CYCLE_1)
	s_or_b32 exec_lo, exec_lo, s8
	s_branch .LBB87_94
.LBB87_85:                              ;   in Loop: Header=BB87_37 Depth=1
	global_load_u16 v10, v11, s[54:55]
	s_mov_b64 s[62:63], 0
	s_mov_b32 s61, exec_lo
	s_waitcnt vmcnt(0)
	v_readfirstlane_b32 s4, v10
	s_delay_alu instid0(VALU_DEP_1) | instskip(NEXT) | instid1(SALU_CYCLE_1)
	s_and_b32 s4, 0xffff, s4
	s_lshl_b32 s52, s4, 2
	s_delay_alu instid0(SALU_CYCLE_1) | instskip(SKIP_1) | instid1(VALU_DEP_1)
	v_cvt_f32_u32_e32 v2, s52
	s_sub_i32 s5, 0, s52
	v_rcp_iflag_f32_e32 v2, v2
	s_waitcnt_depctr 0xfff
	v_mul_f32_e32 v2, 0x4f7ffffe, v2
	s_delay_alu instid0(VALU_DEP_1) | instskip(NEXT) | instid1(VALU_DEP_1)
	v_cvt_u32_f32_e32 v2, v2
	v_readfirstlane_b32 s4, v2
	v_mov_b32_e32 v2, 0
	v_mov_b32_e32 v3, 0
	s_delay_alu instid0(VALU_DEP_3) | instskip(NEXT) | instid1(VALU_DEP_1)
	s_mul_i32 s5, s5, s4
	v_dual_mov_b32 v5, v3 :: v_dual_mov_b32 v4, v2
	s_mul_hi_u32 s5, s4, s5
	v_dual_mov_b32 v7, v3 :: v_dual_mov_b32 v6, v2
	s_add_i32 s4, s4, s5
	v_dual_mov_b32 v9, v3 :: v_dual_mov_b32 v8, v2
	s_mul_hi_u32 s4, s60, s4
	s_delay_alu instid0(SALU_CYCLE_1) | instskip(NEXT) | instid1(SALU_CYCLE_1)
	s_mul_i32 s4, s4, s52
	s_sub_i32 s4, s60, s4
	s_delay_alu instid0(SALU_CYCLE_1) | instskip(SKIP_2) | instid1(SALU_CYCLE_1)
	s_sub_i32 s5, s4, s52
	s_cmp_ge_u32 s4, s52
	s_cselect_b32 s4, s5, s4
	s_sub_i32 s5, s4, s52
	s_cmp_ge_u32 s4, s52
	s_cselect_b32 s4, s5, s4
	s_delay_alu instid0(SALU_CYCLE_1) | instskip(NEXT) | instid1(SALU_CYCLE_1)
	s_sub_i32 s50, s60, s4
	v_cmpx_gt_u32_e64 s50, v16
	s_cbranch_execz .LBB87_89
; %bb.86:                               ;   in Loop: Header=BB87_37 Depth=1
	v_dual_mov_b32 v27, v16 :: v_dual_mov_b32 v26, v17
	v_mov_b32_e32 v25, v16
	s_and_b32 s94, s82, 0xfe
	s_mov_b32 s93, 0
	s_mov_b64 s[64:65], 0
	s_mov_b64 s[66:67], 0
	;; [unrolled: 1-line block ×3, first 2 shown]
.LBB87_87:                              ;   Parent Loop BB87_37 Depth=1
                                        ; =>  This Inner Loop Header: Depth=2
	ds_load_b32 v2, v27
	v_add_co_u32 v25, vcc_lo, v25, s52
	v_add_co_ci_u32_e32 v26, vcc_lo, 0, v26, vcc_lo
	s_delay_alu instid0(VALU_DEP_1)
	v_cmp_le_u64_e32 vcc_lo, s[50:51], v[25:26]
	s_waitcnt lgkmcnt(0)
	v_bfe_i32 v3, v2, 0, 8
	v_bfe_i32 v4, v2, 8, 8
	;; [unrolled: 1-line block ×3, first 2 shown]
	v_ashrrev_i32_e32 v2, 24, v2
	s_delay_alu instid0(VALU_DEP_4) | instskip(NEXT) | instid1(VALU_DEP_4)
	v_add_nc_u32_e32 v3, 0x80, v3
	v_add_nc_u32_e32 v4, 0x80, v4
	s_delay_alu instid0(VALU_DEP_4) | instskip(NEXT) | instid1(VALU_DEP_4)
	v_add_nc_u32_e32 v5, 0x80, v5
	v_add_nc_u32_e32 v2, 0x80, v2
	s_delay_alu instid0(VALU_DEP_4)
	v_and_b32_e32 v6, s92, v3
	v_bfe_u32 v3, v3, s94, 2
	v_and_b32_e32 v7, s92, v4
	v_bfe_u32 v4, v4, s94, 2
	;; [unrolled: 2-line block ×3, first 2 shown]
	v_cmp_eq_u32_e64 s4, s91, v6
	v_cmp_eq_u32_e64 s8, 0, v3
	v_and_b32_e32 v9, s92, v2
	v_bfe_u32 v2, v2, s94, 2
	v_cmp_eq_u32_e64 s5, s91, v7
	v_cmp_eq_u32_e64 s9, 0, v4
	;; [unrolled: 1-line block ×4, first 2 shown]
	s_and_b32 s8, s4, s8
	v_cmp_eq_u32_e64 s7, s91, v9
	v_cmp_eq_u32_e64 s11, 0, v2
	;; [unrolled: 1-line block ×5, first 2 shown]
	v_cndmask_b32_e64 v2, 0, 1, s8
	s_and_b32 s8, s5, s9
	v_cmp_eq_u32_e64 s12, 1, v3
	v_cmp_eq_u32_e64 s16, 2, v3
	v_cmp_eq_u32_e64 s20, 3, v3
	v_cndmask_b32_e64 v3, 0, 1, s8
	s_and_b32 s8, s6, s10
	v_cmp_eq_u32_e64 s13, 1, v4
	v_cmp_eq_u32_e64 s17, 2, v4
	v_cmp_eq_u32_e64 s21, 3, v4
	;; [unrolled: 5-line block ×3, first 2 shown]
	v_cndmask_b32_e64 v5, 0, 1, s8
	v_cmp_ne_u32_e64 s8, 0, v2
	v_cmp_ne_u32_e64 s9, 0, v3
	;; [unrolled: 1-line block ×3, first 2 shown]
	s_delay_alu instid0(VALU_DEP_4) | instskip(NEXT) | instid1(VALU_DEP_4)
	v_cmp_ne_u32_e64 s11, 0, v5
	s_bcnt1_i32_b32 s8, s8
	s_delay_alu instid0(VALU_DEP_3) | instskip(NEXT) | instid1(VALU_DEP_2)
	s_bcnt1_i32_b32 s9, s9
	s_bcnt1_i32_b32 s10, s10
	s_add_i32 s8, s9, s8
	s_bcnt1_i32_b32 s11, s11
	s_add_i32 s8, s8, s10
	s_delay_alu instid0(SALU_CYCLE_1) | instskip(NEXT) | instid1(SALU_CYCLE_1)
	s_add_i32 s8, s8, s11
	s_add_u32 s68, s68, s8
	s_addc_u32 s69, s69, 0
	s_and_b32 s8, s4, s12
	v_add_nc_u32_e32 v27, s52, v27
	v_cndmask_b32_e64 v2, 0, 1, s8
	s_and_b32 s8, s5, s13
	s_delay_alu instid0(SALU_CYCLE_1) | instskip(SKIP_1) | instid1(SALU_CYCLE_1)
	v_cndmask_b32_e64 v3, 0, 1, s8
	s_and_b32 s8, s6, s14
	v_cndmask_b32_e64 v4, 0, 1, s8
	s_and_b32 s8, s7, s15
	s_delay_alu instid0(VALU_DEP_2) | instskip(SKIP_3) | instid1(VALU_DEP_4)
	v_cmp_ne_u32_e64 s9, 0, v3
	v_cndmask_b32_e64 v5, 0, 1, s8
	v_cmp_ne_u32_e64 s8, 0, v2
	v_cmp_ne_u32_e64 s10, 0, v4
	s_bcnt1_i32_b32 s9, s9
	s_delay_alu instid0(VALU_DEP_3) | instskip(NEXT) | instid1(VALU_DEP_3)
	v_cmp_ne_u32_e64 s11, 0, v5
	s_bcnt1_i32_b32 s8, s8
	s_delay_alu instid0(VALU_DEP_2) | instskip(SKIP_1) | instid1(VALU_DEP_1)
	s_bcnt1_i32_b32 s10, s10
	s_add_i32 s8, s9, s8
	s_bcnt1_i32_b32 s11, s11
	s_add_i32 s8, s8, s10
	s_delay_alu instid0(SALU_CYCLE_1) | instskip(NEXT) | instid1(SALU_CYCLE_1)
	s_add_i32 s8, s8, s11
	s_add_u32 s66, s66, s8
	s_addc_u32 s67, s67, 0
	s_and_b32 s8, s4, s16
	s_delay_alu instid0(SALU_CYCLE_1) | instskip(SKIP_1) | instid1(SALU_CYCLE_1)
	v_cndmask_b32_e64 v2, 0, 1, s8
	s_and_b32 s8, s5, s17
	v_cndmask_b32_e64 v3, 0, 1, s8
	s_and_b32 s8, s6, s18
	s_delay_alu instid0(SALU_CYCLE_1) | instskip(SKIP_1) | instid1(VALU_DEP_2)
	v_cndmask_b32_e64 v4, 0, 1, s8
	s_and_b32 s8, s7, s19
	v_cmp_ne_u32_e64 s9, 0, v3
	v_cndmask_b32_e64 v5, 0, 1, s8
	v_cmp_ne_u32_e64 s8, 0, v2
	v_cmp_ne_u32_e64 s10, 0, v4
	s_delay_alu instid0(VALU_DEP_4) | instskip(NEXT) | instid1(VALU_DEP_3)
	s_bcnt1_i32_b32 s9, s9
	v_cmp_ne_u32_e64 s11, 0, v5
	s_delay_alu instid0(VALU_DEP_3) | instskip(NEXT) | instid1(VALU_DEP_2)
	s_bcnt1_i32_b32 s8, s8
	s_bcnt1_i32_b32 s10, s10
	s_add_i32 s8, s9, s8
	s_delay_alu instid0(VALU_DEP_1) | instskip(SKIP_1) | instid1(SALU_CYCLE_1)
	s_bcnt1_i32_b32 s11, s11
	s_add_i32 s8, s8, s10
	s_add_i32 s8, s8, s11
	s_delay_alu instid0(SALU_CYCLE_1)
	s_add_u32 s64, s64, s8
	s_addc_u32 s65, s65, 0
	s_and_b32 s4, s4, s20
	v_mov_b32_e32 v6, s64
	v_cndmask_b32_e64 v2, 0, 1, s4
	s_and_b32 s4, s5, s21
	v_mov_b32_e32 v7, s65
	v_cndmask_b32_e64 v3, 0, 1, s4
	s_and_b32 s4, s6, s22
	s_delay_alu instid0(SALU_CYCLE_1) | instskip(SKIP_1) | instid1(VALU_DEP_2)
	v_cndmask_b32_e64 v4, 0, 1, s4
	s_and_b32 s4, s7, s23
	v_cmp_ne_u32_e64 s5, 0, v3
	v_cndmask_b32_e64 v5, 0, 1, s4
	v_cmp_ne_u32_e64 s4, 0, v2
	v_mov_b32_e32 v2, s68
	v_cmp_ne_u32_e64 s6, 0, v4
	s_bcnt1_i32_b32 s5, s5
	v_cmp_ne_u32_e64 s7, 0, v5
	s_bcnt1_i32_b32 s4, s4
	v_mov_b32_e32 v4, s66
	s_bcnt1_i32_b32 s6, s6
	s_add_i32 s4, s5, s4
	s_bcnt1_i32_b32 s5, s7
	s_add_i32 s4, s4, s6
	v_mov_b32_e32 v3, s69
	s_add_i32 s4, s4, s5
	v_mov_b32_e32 v5, s67
	s_add_u32 s62, s62, s4
	s_addc_u32 s63, s63, 0
	s_delay_alu instid0(SALU_CYCLE_1) | instskip(SKIP_1) | instid1(SALU_CYCLE_1)
	v_dual_mov_b32 v8, s62 :: v_dual_mov_b32 v9, s63
	s_or_b32 s93, vcc_lo, s93
	s_and_not1_b32 exec_lo, exec_lo, s93
	s_cbranch_execnz .LBB87_87
; %bb.88:                               ;   in Loop: Header=BB87_37 Depth=1
	s_or_b32 exec_lo, exec_lo, s93
.LBB87_89:                              ;   in Loop: Header=BB87_37 Depth=1
	s_delay_alu instid0(SALU_CYCLE_1) | instskip(SKIP_3) | instid1(VALU_DEP_1)
	s_or_b32 exec_lo, exec_lo, s61
	v_and_b32_e32 v27, 0xffff, v10
	v_add_nc_u32_e32 v10, s50, v0
	s_mov_b32 s9, exec_lo
	v_cmpx_gt_u32_e64 s60, v10
	s_cbranch_execz .LBB87_93
; %bb.90:                               ;   in Loop: Header=BB87_37 Depth=1
	v_mov_b32_e32 v26, v11
	v_dual_mov_b32 v25, v10 :: v_dual_add_nc_u32 v28, s50, v0
	s_mov_b32 s11, 0
	s_and_b32 s10, s60, 0x7fffffff
	s_and_b32 s13, s82, 0xfe
	s_mov_b32 s12, s11
.LBB87_91:                              ;   Parent Loop BB87_37 Depth=1
                                        ; =>  This Inner Loop Header: Depth=2
	ds_load_i8 v10, v28
	v_add_co_u32 v25, vcc_lo, v25, v27
	v_add_co_ci_u32_e32 v26, vcc_lo, 0, v26, vcc_lo
	v_add_nc_u32_e32 v28, v28, v27
	s_delay_alu instid0(VALU_DEP_2) | instskip(SKIP_2) | instid1(VALU_DEP_1)
	v_cmp_le_u64_e32 vcc_lo, s[10:11], v[25:26]
	s_waitcnt lgkmcnt(0)
	v_add_nc_u32_e32 v10, 0x80, v10
	v_and_b32_e32 v29, s92, v10
	v_bfe_u32 v10, v10, s13, 2
	s_delay_alu instid0(VALU_DEP_2) | instskip(NEXT) | instid1(VALU_DEP_2)
	v_cmp_eq_u32_e64 s4, s91, v29
	v_cmp_eq_u32_e64 s5, 0, v10
	;; [unrolled: 1-line block ×5, first 2 shown]
	s_delay_alu instid0(VALU_DEP_4) | instskip(NEXT) | instid1(SALU_CYCLE_1)
	s_and_b32 s5, s4, s5
	v_cndmask_b32_e64 v10, 0, 1, s5
	s_and_b32 s5, s4, s6
	s_delay_alu instid0(SALU_CYCLE_1)
	v_cndmask_b32_e64 v29, 0, 1, s5
	s_and_b32 s5, s4, s7
	s_and_b32 s4, s4, s8
	v_cndmask_b32_e64 v30, 0, 1, s5
	v_cndmask_b32_e64 v37, 0, 1, s4
	v_cmp_ne_u32_e64 s4, 0, v10
	v_cmp_ne_u32_e64 s5, 0, v29
	s_delay_alu instid0(VALU_DEP_4) | instskip(NEXT) | instid1(VALU_DEP_4)
	v_cmp_ne_u32_e64 s6, 0, v30
	v_cmp_ne_u32_e64 s7, 0, v37
	s_delay_alu instid0(VALU_DEP_4) | instskip(NEXT) | instid1(VALU_DEP_3)
	s_bcnt1_i32_b32 s4, s4
	s_bcnt1_i32_b32 s5, s5
	v_add_co_u32 v2, s4, v2, s4
	s_delay_alu instid0(VALU_DEP_1)
	v_add_co_ci_u32_e64 v3, s4, 0, v3, s4
	v_add_co_u32 v4, s4, v4, s5
	s_bcnt1_i32_b32 s6, s6
	v_add_co_ci_u32_e64 v5, s4, 0, v5, s4
	v_add_co_u32 v6, s4, v6, s6
	s_bcnt1_i32_b32 s7, s7
	v_add_co_ci_u32_e64 v7, s4, 0, v7, s4
	v_add_co_u32 v8, s4, v8, s7
	s_delay_alu instid0(VALU_DEP_1) | instskip(SKIP_1) | instid1(SALU_CYCLE_1)
	v_add_co_ci_u32_e64 v9, s4, 0, v9, s4
	s_or_b32 s12, vcc_lo, s12
	s_and_not1_b32 exec_lo, exec_lo, s12
	s_cbranch_execnz .LBB87_91
; %bb.92:                               ;   in Loop: Header=BB87_37 Depth=1
	s_or_b32 exec_lo, exec_lo, s12
.LBB87_93:                              ;   in Loop: Header=BB87_37 Depth=1
	s_delay_alu instid0(SALU_CYCLE_1)
	s_or_b32 exec_lo, exec_lo, s9
.LBB87_94:                              ;   in Loop: Header=BB87_37 Depth=1
	s_lshl_b32 s4, s89, 7
	s_and_saveexec_b32 s5, s1
	s_cbranch_execz .LBB87_96
; %bb.95:                               ;   in Loop: Header=BB87_37 Depth=1
	v_or_b32_e32 v10, s4, v32
	s_delay_alu instid0(VALU_DEP_1)
	v_lshlrev_b32_e32 v10, 3, v10
	ds_store_b128 v10, v[2:5] offset:3072
	ds_store_b128 v10, v[6:9] offset:3088
.LBB87_96:                              ;   in Loop: Header=BB87_37 Depth=1
	s_or_b32 exec_lo, exec_lo, s5
	s_waitcnt vmcnt(0) lgkmcnt(0)
	s_barrier
	buffer_gl0_inv
	s_and_saveexec_b32 s5, s72
	s_cbranch_execz .LBB87_107
; %bb.97:                               ;   in Loop: Header=BB87_37 Depth=1
	v_mov_b32_e32 v2, 0
	v_mov_b32_e32 v3, 0
	s_and_not1_b32 vcc_lo, exec_lo, s77
	s_cbranch_vccnz .LBB87_106
; %bb.98:                               ;   in Loop: Header=BB87_37 Depth=1
	v_mov_b32_e32 v2, 0
	v_mov_b32_e32 v3, 0
	s_and_not1_b32 vcc_lo, exec_lo, s79
	s_cbranch_vccnz .LBB87_103
; %bb.99:                               ;   in Loop: Header=BB87_37 Depth=1
	v_lshl_add_u32 v4, s89, 10, v35
	s_mov_b32 s6, 0
	s_set_inst_prefetch_distance 0x1
	.p2align	6
.LBB87_100:                             ;   Parent Loop BB87_37 Depth=1
                                        ; =>  This Inner Loop Header: Depth=2
	ds_load_2addr_b64 v[5:8], v4 offset1:4
	ds_load_2addr_b64 v[25:28], v4 offset0:8 offset1:12
	ds_load_2addr_b64 v[37:40], v4 offset0:16 offset1:20
	s_add_i32 s6, s6, 8
	s_delay_alu instid0(SALU_CYCLE_1) | instskip(SKIP_3) | instid1(VALU_DEP_2)
	s_cmp_eq_u32 s80, s6
	s_waitcnt lgkmcnt(2)
	v_add_co_u32 v2, vcc_lo, v5, v2
	v_add_co_ci_u32_e32 v3, vcc_lo, v6, v3, vcc_lo
	v_add_co_u32 v2, vcc_lo, v7, v2
	s_delay_alu instid0(VALU_DEP_2)
	v_add_co_ci_u32_e32 v3, vcc_lo, v8, v3, vcc_lo
	ds_load_2addr_b64 v[5:8], v4 offset0:24 offset1:28
	s_waitcnt lgkmcnt(2)
	v_add_co_u32 v2, vcc_lo, v25, v2
	v_add_co_ci_u32_e32 v3, vcc_lo, v26, v3, vcc_lo
	v_add_nc_u32_e32 v4, 0x100, v4
	s_delay_alu instid0(VALU_DEP_3) | instskip(NEXT) | instid1(VALU_DEP_3)
	v_add_co_u32 v2, vcc_lo, v27, v2
	v_add_co_ci_u32_e32 v3, vcc_lo, v28, v3, vcc_lo
	s_waitcnt lgkmcnt(1)
	s_delay_alu instid0(VALU_DEP_2) | instskip(NEXT) | instid1(VALU_DEP_2)
	v_add_co_u32 v2, vcc_lo, v37, v2
	v_add_co_ci_u32_e32 v3, vcc_lo, v38, v3, vcc_lo
	s_delay_alu instid0(VALU_DEP_2) | instskip(NEXT) | instid1(VALU_DEP_2)
	v_add_co_u32 v2, vcc_lo, v39, v2
	v_add_co_ci_u32_e32 v3, vcc_lo, v40, v3, vcc_lo
	s_waitcnt lgkmcnt(0)
	s_delay_alu instid0(VALU_DEP_2) | instskip(NEXT) | instid1(VALU_DEP_2)
	v_add_co_u32 v2, vcc_lo, v5, v2
	v_add_co_ci_u32_e32 v3, vcc_lo, v6, v3, vcc_lo
	s_delay_alu instid0(VALU_DEP_2) | instskip(NEXT) | instid1(VALU_DEP_2)
	v_add_co_u32 v2, vcc_lo, v7, v2
	v_add_co_ci_u32_e32 v3, vcc_lo, v8, v3, vcc_lo
	s_cbranch_scc0 .LBB87_100
; %bb.101:                              ;   in Loop: Header=BB87_37 Depth=1
	s_set_inst_prefetch_distance 0x2
	s_mov_b32 s6, s80
	s_and_not1_b32 vcc_lo, exec_lo, s81
	s_cbranch_vccz .LBB87_104
	s_branch .LBB87_106
.LBB87_102:                             ;   in Loop: Header=BB87_37 Depth=1
                                        ; implicit-def: $vgpr2_vgpr3
	s_branch .LBB87_70
.LBB87_103:                             ;   in Loop: Header=BB87_37 Depth=1
	s_mov_b32 s6, 0
	s_and_not1_b32 vcc_lo, exec_lo, s81
	s_cbranch_vccnz .LBB87_106
.LBB87_104:                             ;   in Loop: Header=BB87_37 Depth=1
	s_lshl_b32 s7, s89, 10
	s_lshl_b32 s6, s6, 5
	s_delay_alu instid0(SALU_CYCLE_1)
	v_add3_u32 v4, s7, s6, v35
	s_mov_b32 s6, s78
.LBB87_105:                             ;   Parent Loop BB87_37 Depth=1
                                        ; =>  This Inner Loop Header: Depth=2
	ds_load_b64 v[5:6], v4
	v_add_nc_u32_e32 v4, 32, v4
	s_add_i32 s6, s6, -1
	s_delay_alu instid0(SALU_CYCLE_1)
	s_cmp_lg_u32 s6, 0
	s_waitcnt lgkmcnt(0)
	v_add_co_u32 v2, vcc_lo, v5, v2
	v_add_co_ci_u32_e32 v3, vcc_lo, v6, v3, vcc_lo
	s_cbranch_scc1 .LBB87_105
.LBB87_106:                             ;   in Loop: Header=BB87_37 Depth=1
	v_add_lshl_u32 v4, s4, v31, 3
	ds_store_b64 v4, v[2:3] offset:3072
.LBB87_107:                             ;   in Loop: Header=BB87_37 Depth=1
	s_or_b32 exec_lo, exec_lo, s5
	s_lshl_b32 s4, s4, 3
	s_waitcnt lgkmcnt(0)
	v_mov_b32_e32 v6, s4
	s_barrier
	buffer_gl0_inv
	s_and_b32 s17, s82, 0xfe
	s_mov_b32 s19, -1
	ds_load_b128 v[2:5], v6 offset:3072
	ds_load_b128 v[6:9], v6 offset:3088
	s_lshl_b32 s16, 3, s17
	s_delay_alu instid0(SALU_CYCLE_1)
	s_not_b32 s18, s16
	s_waitcnt lgkmcnt(1)
	v_readfirstlane_b32 s13, v3
	v_readfirstlane_b32 s12, v2
	;; [unrolled: 1-line block ×4, first 2 shown]
	s_waitcnt lgkmcnt(0)
	v_readfirstlane_b32 s8, v6
	v_readfirstlane_b32 s9, v7
	s_cmp_eq_u64 s[12:13], 1
	v_readfirstlane_b32 s6, v8
	s_cselect_b32 s4, -1, 0
	s_cmp_eq_u64 s[46:47], 1
	v_readfirstlane_b32 s7, v9
	s_cselect_b32 s5, -1, 0
	s_delay_alu instid0(SALU_CYCLE_1) | instskip(NEXT) | instid1(SALU_CYCLE_1)
	s_and_b32 s20, s4, s5
	s_and_b32 vcc_lo, exec_lo, s20
	s_cbranch_vccz .LBB87_122
; %bb.108:                              ;   in Loop: Header=BB87_37 Depth=1
	ds_load_b64 v[2:3], v11 offset:5120
	s_waitcnt lgkmcnt(0)
	s_barrier
	buffer_gl0_inv
	v_readfirstlane_b32 s14, v2
	v_readfirstlane_b32 s15, v3
	s_and_saveexec_b32 s4, s3
	s_cbranch_execz .LBB87_110
; %bb.109:                              ;   in Loop: Header=BB87_37 Depth=1
	ds_store_b8 v0, v11 offset:3072
.LBB87_110:                             ;   in Loop: Header=BB87_37 Depth=1
	s_or_b32 exec_lo, exec_lo, s4
	s_and_b32 s91, s91, s18
	s_or_b32 s92, s92, s16
	s_cmp_eq_u64 s[14:15], 0
	s_waitcnt lgkmcnt(0)
	s_barrier
	buffer_gl0_inv
	s_cbranch_scc1 .LBB87_123
; %bb.111:                              ;   in Loop: Header=BB87_37 Depth=1
	s_add_u32 s21, s74, s14
	s_addc_u32 s5, s75, s15
	s_mov_b32 s4, s51
	s_delay_alu instid0(SALU_CYCLE_1)
	s_cmp_lg_u64 s[4:5], 0
	s_cbranch_scc0 .LBB87_168
; %bb.112:                              ;   in Loop: Header=BB87_37 Depth=1
	v_cvt_f32_u32_e32 v2, s33
	s_sub_u32 s23, 0, s33
	s_subb_u32 s50, 0, 0
	s_delay_alu instid0(VALU_DEP_1) | instskip(NEXT) | instid1(VALU_DEP_1)
	v_fmac_f32_e64 v2, 0, 0x4f800000
	v_rcp_f32_e32 v2, v2
	s_waitcnt_depctr 0xfff
	v_mul_f32_e32 v2, 0x5f7ffffc, v2
	s_delay_alu instid0(VALU_DEP_1) | instskip(NEXT) | instid1(VALU_DEP_1)
	v_mul_f32_e32 v3, 0x2f800000, v2
	v_trunc_f32_e32 v3, v3
	s_delay_alu instid0(VALU_DEP_1) | instskip(SKIP_1) | instid1(VALU_DEP_2)
	v_fmac_f32_e32 v2, 0xcf800000, v3
	v_cvt_u32_f32_e32 v3, v3
	v_cvt_u32_f32_e32 v2, v2
	s_delay_alu instid0(VALU_DEP_2) | instskip(NEXT) | instid1(VALU_DEP_2)
	v_readfirstlane_b32 s4, v3
	v_readfirstlane_b32 s22, v2
	s_delay_alu instid0(VALU_DEP_2) | instskip(NEXT) | instid1(VALU_DEP_1)
	s_mul_i32 s52, s23, s4
	s_mul_hi_u32 s61, s23, s22
	s_mul_i32 s60, s50, s22
	s_add_i32 s52, s61, s52
	s_mul_i32 s62, s23, s22
	s_add_i32 s52, s52, s60
	s_mul_hi_u32 s61, s22, s62
	s_mul_hi_u32 s63, s4, s62
	s_mul_i32 s60, s4, s62
	s_mul_hi_u32 s62, s22, s52
	s_mul_i32 s22, s22, s52
	s_mul_hi_u32 s64, s4, s52
	s_add_u32 s22, s61, s22
	s_addc_u32 s61, 0, s62
	s_add_u32 s22, s22, s60
	s_mul_i32 s52, s4, s52
	s_addc_u32 s22, s61, s63
	s_addc_u32 s60, s64, 0
	s_add_u32 s22, s22, s52
	s_addc_u32 s52, 0, s60
	v_add_co_u32 v2, s22, v2, s22
	s_delay_alu instid0(VALU_DEP_1) | instskip(SKIP_1) | instid1(VALU_DEP_1)
	s_cmp_lg_u32 s22, 0
	s_addc_u32 s4, s4, s52
	v_readfirstlane_b32 s22, v2
	s_mul_i32 s52, s23, s4
	s_delay_alu instid0(VALU_DEP_1)
	s_mul_hi_u32 s60, s23, s22
	s_mul_i32 s50, s50, s22
	s_add_i32 s52, s60, s52
	s_mul_i32 s23, s23, s22
	s_add_i32 s52, s52, s50
	s_mul_hi_u32 s60, s4, s23
	s_mul_i32 s61, s4, s23
	s_mul_hi_u32 s23, s22, s23
	s_mul_hi_u32 s62, s22, s52
	s_mul_i32 s22, s22, s52
	s_mul_hi_u32 s50, s4, s52
	s_add_u32 s22, s23, s22
	s_addc_u32 s23, 0, s62
	s_add_u32 s22, s22, s61
	s_mul_i32 s52, s4, s52
	s_addc_u32 s22, s23, s60
	s_addc_u32 s23, s50, 0
	s_add_u32 s22, s22, s52
	s_addc_u32 s23, 0, s23
	v_add_co_u32 v2, s22, v2, s22
	s_delay_alu instid0(VALU_DEP_1) | instskip(SKIP_1) | instid1(VALU_DEP_1)
	s_cmp_lg_u32 s22, 0
	s_addc_u32 s4, s4, s23
	v_readfirstlane_b32 s22, v2
	s_mul_i32 s50, s21, s4
	s_mul_hi_u32 s23, s21, s4
	s_mul_hi_u32 s52, s5, s4
	s_mul_i32 s4, s5, s4
	s_mul_hi_u32 s60, s21, s22
	s_mul_hi_u32 s61, s5, s22
	s_mul_i32 s22, s5, s22
	s_add_u32 s50, s60, s50
	s_addc_u32 s23, 0, s23
	s_add_u32 s22, s50, s22
	s_addc_u32 s22, s23, s61
	s_addc_u32 s23, s52, 0
	s_add_u32 s4, s22, s4
	s_addc_u32 s22, 0, s23
	s_mul_hi_u32 s23, s33, s4
	s_mul_i32 s4, s33, s4
	s_mul_i32 s22, s33, s22
	v_sub_co_u32 v2, s4, s21, s4
	s_add_i32 s23, s23, s22
	s_cmp_lg_u32 s4, 0
	s_delay_alu instid0(VALU_DEP_1) | instskip(SKIP_2) | instid1(VALU_DEP_1)
	v_sub_co_u32 v3, s4, v2, s33
	s_subb_u32 s22, s5, s23
	s_cmp_lg_u32 s4, 0
	v_cmp_le_u32_e32 vcc_lo, s33, v3
	v_sub_co_u32 v4, s4, v3, s33
	s_subb_u32 s23, s22, 0
	s_cmp_lg_u32 s4, 0
	v_cndmask_b32_e64 v5, 0, -1, vcc_lo
	s_subb_u32 s4, s23, 0
	s_cmp_eq_u32 s23, 0
	v_mov_b32_e32 v7, s4
	s_cselect_b32 vcc_lo, -1, 0
	s_cmp_eq_u32 s22, 0
	v_cndmask_b32_e32 v5, -1, v5, vcc_lo
	v_cmp_le_u32_e32 vcc_lo, s33, v2
	s_cselect_b32 s4, -1, 0
	v_cndmask_b32_e64 v6, 0, -1, vcc_lo
	s_delay_alu instid0(VALU_DEP_3) | instskip(NEXT) | instid1(VALU_DEP_2)
	v_cmp_ne_u32_e32 vcc_lo, 0, v5
	v_cndmask_b32_e64 v5, -1, v6, s4
	v_cndmask_b32_e32 v6, s23, v7, vcc_lo
	v_cndmask_b32_e32 v4, v3, v4, vcc_lo
	s_delay_alu instid0(VALU_DEP_3) | instskip(NEXT) | instid1(VALU_DEP_3)
	v_cmp_ne_u32_e32 vcc_lo, 0, v5
	v_cndmask_b32_e32 v3, s22, v6, vcc_lo
	s_delay_alu instid0(VALU_DEP_3)
	v_cndmask_b32_e32 v2, v2, v4, vcc_lo
	s_cbranch_execnz .LBB87_114
.LBB87_113:                             ;   in Loop: Header=BB87_37 Depth=1
	v_cvt_f32_u32_e32 v2, s33
	s_sub_i32 s4, 0, s33
	s_delay_alu instid0(VALU_DEP_1) | instskip(SKIP_2) | instid1(VALU_DEP_1)
	v_rcp_iflag_f32_e32 v2, v2
	s_waitcnt_depctr 0xfff
	v_mul_f32_e32 v2, 0x4f7ffffe, v2
	v_cvt_u32_f32_e32 v2, v2
	s_delay_alu instid0(VALU_DEP_1) | instskip(NEXT) | instid1(VALU_DEP_1)
	v_mul_lo_u32 v3, s4, v2
	v_mul_hi_u32 v3, v2, v3
	s_delay_alu instid0(VALU_DEP_1) | instskip(NEXT) | instid1(VALU_DEP_1)
	v_add_nc_u32_e32 v2, v2, v3
	v_mul_hi_u32 v2, s21, v2
	s_delay_alu instid0(VALU_DEP_1) | instskip(NEXT) | instid1(VALU_DEP_1)
	v_mul_lo_u32 v2, v2, s33
	v_sub_nc_u32_e32 v2, s21, v2
	s_delay_alu instid0(VALU_DEP_1) | instskip(SKIP_1) | instid1(VALU_DEP_2)
	v_subrev_nc_u32_e32 v3, s33, v2
	v_cmp_le_u32_e32 vcc_lo, s33, v2
	v_cndmask_b32_e32 v2, v2, v3, vcc_lo
	s_delay_alu instid0(VALU_DEP_1) | instskip(SKIP_1) | instid1(VALU_DEP_2)
	v_subrev_nc_u32_e32 v3, s33, v2
	v_cmp_le_u32_e32 vcc_lo, s33, v2
	v_cndmask_b32_e32 v10, v2, v3, vcc_lo
	s_delay_alu instid0(VALU_DEP_1)
	v_dual_mov_b32 v2, v10 :: v_dual_mov_b32 v3, v11
.LBB87_114:                             ;   in Loop: Header=BB87_37 Depth=1
	s_delay_alu instid0(VALU_DEP_1) | instskip(NEXT) | instid1(VALU_DEP_2)
	v_sub_co_u32 v2, vcc_lo, s21, v2
	v_sub_co_ci_u32_e32 v3, vcc_lo, s5, v3, vcc_lo
	s_mov_b32 s4, 0
	s_mov_b32 s5, exec_lo
                                        ; implicit-def: $vgpr36
	s_delay_alu instid0(VALU_DEP_1)
	v_cmpx_gt_u64_e64 v[2:3], v[0:1]
	s_cbranch_execz .LBB87_125
; %bb.115:                              ;   in Loop: Header=BB87_37 Depth=1
	v_dual_mov_b32 v6, v0 :: v_dual_mov_b32 v5, v1
	v_mov_b32_e32 v4, v0
	s_mov_b32 s21, 0
                                        ; implicit-def: $sgpr22
	s_set_inst_prefetch_distance 0x1
	s_branch .LBB87_117
	.p2align	6
.LBB87_116:                             ;   in Loop: Header=BB87_117 Depth=2
	s_or_b32 exec_lo, exec_lo, s4
	s_waitcnt lgkmcnt(0)
	s_barrier
	buffer_gl0_inv
	ds_load_u16 v7, v11 offset:3072
	v_add_co_u32 v4, vcc_lo, v4, s33
	v_add_co_ci_u32_e32 v5, vcc_lo, 0, v5, vcc_lo
	v_add_nc_u32_e32 v6, s33, v6
	s_waitcnt lgkmcnt(0)
	s_barrier
	s_delay_alu instid0(VALU_DEP_2) | instskip(SKIP_2) | instid1(VALU_DEP_1)
	v_cmp_ge_u64_e32 vcc_lo, v[4:5], v[2:3]
	buffer_gl0_inv
	v_and_b32_e32 v8, 0xff, v7
	v_cmp_ne_u16_e64 s4, 0, v8
	s_delay_alu instid0(VALU_DEP_1) | instskip(NEXT) | instid1(SALU_CYCLE_1)
	s_or_b32 s23, vcc_lo, s4
	s_and_b32 s23, exec_lo, s23
	s_delay_alu instid0(SALU_CYCLE_1) | instskip(SKIP_2) | instid1(SALU_CYCLE_1)
	s_or_b32 s21, s23, s21
	s_and_not1_b32 s22, s22, exec_lo
	s_and_b32 s4, s4, exec_lo
	s_or_b32 s22, s22, s4
	s_and_not1_b32 exec_lo, exec_lo, s21
	s_cbranch_execz .LBB87_124
.LBB87_117:                             ;   Parent Loop BB87_37 Depth=1
                                        ; =>  This Inner Loop Header: Depth=2
	s_delay_alu instid0(VALU_DEP_1)
	v_cmp_gt_u64_e32 vcc_lo, s[14:15], v[4:5]
	v_mov_b32_e32 v7, 0
	s_and_saveexec_b32 s4, vcc_lo
	s_cbranch_execz .LBB87_119
; %bb.118:                              ;   in Loop: Header=BB87_117 Depth=2
	ds_load_u8 v7, v6
.LBB87_119:                             ;   in Loop: Header=BB87_117 Depth=2
	s_or_b32 exec_lo, exec_lo, s4
	s_and_saveexec_b32 s4, vcc_lo
	s_cbranch_execz .LBB87_116
; %bb.120:                              ;   in Loop: Header=BB87_117 Depth=2
	s_waitcnt lgkmcnt(0)
	v_bfe_i32 v8, v7, 0, 8
	s_delay_alu instid0(VALU_DEP_1) | instskip(NEXT) | instid1(VALU_DEP_1)
	v_add_nc_u32_e32 v8, 0x80, v8
	v_and_b32_e32 v8, s92, v8
	s_delay_alu instid0(VALU_DEP_1)
	v_cmp_eq_u32_e32 vcc_lo, s91, v8
	s_and_b32 exec_lo, exec_lo, vcc_lo
	s_cbranch_execz .LBB87_116
; %bb.121:                              ;   in Loop: Header=BB87_117 Depth=2
	v_lshlrev_b16 v7, 8, v7
	s_delay_alu instid0(VALU_DEP_1)
	v_or_b32_e32 v7, 1, v7
	ds_store_b16 v11, v7 offset:3072
	s_branch .LBB87_116
.LBB87_122:                             ;   in Loop: Header=BB87_37 Depth=1
	s_mov_b32 s4, -1
                                        ; implicit-def: $sgpr5
                                        ; implicit-def: $sgpr15
                                        ; implicit-def: $sgpr14
	s_branch .LBB87_139
.LBB87_123:                             ;   in Loop: Header=BB87_37 Depth=1
	s_mov_b32 s5, -1
	s_mov_b32 s4, 0
                                        ; implicit-def: $sgpr14
                                        ; implicit-def: $vgpr36
	s_mov_b32 s15, s5
	s_cbranch_execnz .LBB87_126
	s_branch .LBB87_139
.LBB87_124:                             ;   in Loop: Header=BB87_37 Depth=1
	s_set_inst_prefetch_distance 0x2
	s_or_b32 exec_lo, exec_lo, s21
	v_lshrrev_b16 v36, 8, v7
	s_and_b32 s4, s22, exec_lo
.LBB87_125:                             ;   in Loop: Header=BB87_37 Depth=1
	s_or_b32 exec_lo, exec_lo, s5
	s_mov_b32 s14, -1
	s_mov_b32 s5, 0
	s_delay_alu instid0(SALU_CYCLE_1)
	s_mov_b32 s15, s5
	s_branch .LBB87_139
.LBB87_126:                             ;   in Loop: Header=BB87_37 Depth=1
	s_mov_b32 s52, s51
	s_delay_alu instid0(SALU_CYCLE_1)
	s_cmp_lg_u64 s[52:53], 0
	s_cbranch_scc0 .LBB87_169
; %bb.127:                              ;   in Loop: Header=BB87_37 Depth=1
	v_cvt_f32_u32_e32 v2, s33
	s_sub_u32 s14, 0, s33
	s_subb_u32 s15, 0, 0
	s_delay_alu instid0(VALU_DEP_1) | instskip(NEXT) | instid1(VALU_DEP_1)
	v_fmac_f32_e64 v2, 0, 0x4f800000
	v_rcp_f32_e32 v2, v2
	s_waitcnt_depctr 0xfff
	v_mul_f32_e32 v2, 0x5f7ffffc, v2
	s_delay_alu instid0(VALU_DEP_1) | instskip(NEXT) | instid1(VALU_DEP_1)
	v_mul_f32_e32 v3, 0x2f800000, v2
	v_trunc_f32_e32 v3, v3
	s_delay_alu instid0(VALU_DEP_1) | instskip(SKIP_1) | instid1(VALU_DEP_2)
	v_fmac_f32_e32 v2, 0xcf800000, v3
	v_cvt_u32_f32_e32 v3, v3
	v_cvt_u32_f32_e32 v2, v2
	s_delay_alu instid0(VALU_DEP_2) | instskip(NEXT) | instid1(VALU_DEP_2)
	v_readfirstlane_b32 s4, v3
	v_readfirstlane_b32 s5, v2
	s_delay_alu instid0(VALU_DEP_2) | instskip(NEXT) | instid1(VALU_DEP_1)
	s_mul_i32 s21, s14, s4
	s_mul_hi_u32 s23, s14, s5
	s_mul_i32 s22, s15, s5
	s_add_i32 s21, s23, s21
	s_mul_i32 s50, s14, s5
	s_add_i32 s21, s21, s22
	s_mul_hi_u32 s23, s5, s50
	s_mul_hi_u32 s52, s4, s50
	s_mul_i32 s22, s4, s50
	s_mul_hi_u32 s50, s5, s21
	s_mul_i32 s5, s5, s21
	s_mul_hi_u32 s60, s4, s21
	s_add_u32 s5, s23, s5
	s_addc_u32 s23, 0, s50
	s_add_u32 s5, s5, s22
	s_mul_i32 s21, s4, s21
	s_addc_u32 s5, s23, s52
	s_addc_u32 s22, s60, 0
	s_add_u32 s5, s5, s21
	s_addc_u32 s21, 0, s22
	v_add_co_u32 v2, s5, v2, s5
	s_delay_alu instid0(VALU_DEP_1) | instskip(SKIP_1) | instid1(VALU_DEP_1)
	s_cmp_lg_u32 s5, 0
	s_addc_u32 s4, s4, s21
	v_readfirstlane_b32 s5, v2
	s_mul_i32 s21, s14, s4
	s_delay_alu instid0(VALU_DEP_1)
	s_mul_hi_u32 s22, s14, s5
	s_mul_i32 s15, s15, s5
	s_add_i32 s21, s22, s21
	s_mul_i32 s14, s14, s5
	s_add_i32 s21, s21, s15
	s_mul_hi_u32 s22, s4, s14
	s_mul_i32 s23, s4, s14
	s_mul_hi_u32 s14, s5, s14
	s_mul_hi_u32 s50, s5, s21
	s_mul_i32 s5, s5, s21
	s_mul_hi_u32 s15, s4, s21
	s_add_u32 s5, s14, s5
	s_addc_u32 s14, 0, s50
	s_add_u32 s5, s5, s23
	s_mul_i32 s21, s4, s21
	s_addc_u32 s5, s14, s22
	s_addc_u32 s14, s15, 0
	s_add_u32 s5, s5, s21
	s_addc_u32 s14, 0, s14
	v_add_co_u32 v2, s5, v2, s5
	s_delay_alu instid0(VALU_DEP_1) | instskip(SKIP_1) | instid1(VALU_DEP_1)
	s_cmp_lg_u32 s5, 0
	s_addc_u32 s4, s4, s14
	v_readfirstlane_b32 s5, v2
	s_mul_i32 s15, s76, s4
	s_mul_hi_u32 s14, s76, s4
	s_mul_hi_u32 s21, s53, s4
	s_mul_i32 s4, s53, s4
	s_mul_hi_u32 s22, s76, s5
	s_mul_hi_u32 s23, s53, s5
	s_mul_i32 s5, s53, s5
	s_add_u32 s15, s22, s15
	s_addc_u32 s14, 0, s14
	s_add_u32 s5, s15, s5
	s_addc_u32 s5, s14, s23
	s_addc_u32 s14, s21, 0
	s_add_u32 s4, s5, s4
	s_addc_u32 s5, 0, s14
	s_mul_hi_u32 s14, s33, s4
	s_mul_i32 s4, s33, s4
	s_mul_i32 s5, s33, s5
	v_sub_co_u32 v2, s4, s76, s4
	s_add_i32 s14, s14, s5
	s_cmp_lg_u32 s4, 0
	s_delay_alu instid0(VALU_DEP_1) | instskip(SKIP_2) | instid1(VALU_DEP_1)
	v_sub_co_u32 v3, s4, v2, s33
	s_subb_u32 s5, s53, s14
	s_cmp_lg_u32 s4, 0
	v_cmp_le_u32_e32 vcc_lo, s33, v3
	v_sub_co_u32 v4, s4, v3, s33
	s_subb_u32 s14, s5, 0
	s_cmp_lg_u32 s4, 0
	v_cndmask_b32_e64 v5, 0, -1, vcc_lo
	s_subb_u32 s4, s14, 0
	s_cmp_eq_u32 s14, 0
	v_mov_b32_e32 v7, s4
	s_cselect_b32 vcc_lo, -1, 0
	s_cmp_eq_u32 s5, 0
	v_cndmask_b32_e32 v5, -1, v5, vcc_lo
	v_cmp_le_u32_e32 vcc_lo, s33, v2
	s_cselect_b32 s4, -1, 0
	v_cndmask_b32_e64 v6, 0, -1, vcc_lo
	s_delay_alu instid0(VALU_DEP_3) | instskip(NEXT) | instid1(VALU_DEP_2)
	v_cmp_ne_u32_e32 vcc_lo, 0, v5
	v_cndmask_b32_e64 v5, -1, v6, s4
	v_cndmask_b32_e32 v6, s14, v7, vcc_lo
	v_cndmask_b32_e32 v4, v3, v4, vcc_lo
	s_delay_alu instid0(VALU_DEP_3) | instskip(NEXT) | instid1(VALU_DEP_3)
	v_cmp_ne_u32_e32 vcc_lo, 0, v5
	v_cndmask_b32_e32 v3, s5, v6, vcc_lo
	s_delay_alu instid0(VALU_DEP_3)
	v_cndmask_b32_e32 v2, v2, v4, vcc_lo
	s_cbranch_execnz .LBB87_129
.LBB87_128:                             ;   in Loop: Header=BB87_37 Depth=1
	v_cvt_f32_u32_e32 v2, s33
	s_sub_i32 s4, 0, s33
	s_delay_alu instid0(VALU_DEP_1) | instskip(SKIP_2) | instid1(VALU_DEP_1)
	v_rcp_iflag_f32_e32 v2, v2
	s_waitcnt_depctr 0xfff
	v_mul_f32_e32 v2, 0x4f7ffffe, v2
	v_cvt_u32_f32_e32 v2, v2
	s_delay_alu instid0(VALU_DEP_1) | instskip(NEXT) | instid1(VALU_DEP_1)
	v_mul_lo_u32 v3, s4, v2
	v_mul_hi_u32 v3, v2, v3
	s_delay_alu instid0(VALU_DEP_1) | instskip(NEXT) | instid1(VALU_DEP_1)
	v_add_nc_u32_e32 v2, v2, v3
	v_mul_hi_u32 v2, s76, v2
	s_delay_alu instid0(VALU_DEP_1) | instskip(NEXT) | instid1(VALU_DEP_1)
	v_mul_lo_u32 v2, v2, s33
	v_sub_nc_u32_e32 v2, s76, v2
	s_delay_alu instid0(VALU_DEP_1) | instskip(SKIP_1) | instid1(VALU_DEP_2)
	v_subrev_nc_u32_e32 v3, s33, v2
	v_cmp_le_u32_e32 vcc_lo, s33, v2
	v_cndmask_b32_e32 v2, v2, v3, vcc_lo
	s_delay_alu instid0(VALU_DEP_1) | instskip(SKIP_1) | instid1(VALU_DEP_2)
	v_subrev_nc_u32_e32 v3, s33, v2
	v_cmp_le_u32_e32 vcc_lo, s33, v2
	v_cndmask_b32_e32 v10, v2, v3, vcc_lo
	s_delay_alu instid0(VALU_DEP_1)
	v_dual_mov_b32 v2, v10 :: v_dual_mov_b32 v3, v11
.LBB87_129:                             ;   in Loop: Header=BB87_37 Depth=1
	s_delay_alu instid0(VALU_DEP_1) | instskip(NEXT) | instid1(VALU_DEP_2)
	v_sub_co_u32 v2, vcc_lo, s76, v2
	v_sub_co_ci_u32_e32 v3, vcc_lo, s53, v3, vcc_lo
	s_mov_b32 s4, 0
	s_mov_b32 s5, exec_lo
                                        ; implicit-def: $vgpr36
	s_delay_alu instid0(VALU_DEP_1)
	v_cmpx_gt_u64_e64 v[2:3], v[0:1]
	s_cbranch_execz .LBB87_138
; %bb.130:                              ;   in Loop: Header=BB87_37 Depth=1
	v_dual_mov_b32 v4, v12 :: v_dual_mov_b32 v5, v13
	v_dual_mov_b32 v7, v1 :: v_dual_mov_b32 v6, v0
	s_mov_b32 s14, 0
                                        ; implicit-def: $sgpr15
	s_set_inst_prefetch_distance 0x1
	s_branch .LBB87_132
	.p2align	6
.LBB87_131:                             ;   in Loop: Header=BB87_132 Depth=2
	s_or_b32 exec_lo, exec_lo, s4
	s_waitcnt vmcnt(0) lgkmcnt(0)
	s_barrier
	buffer_gl0_inv
	ds_load_u16 v8, v11 offset:3072
	v_add_co_u32 v6, vcc_lo, v6, s33
	v_add_co_ci_u32_e32 v7, vcc_lo, 0, v7, vcc_lo
	s_waitcnt lgkmcnt(0)
	s_barrier
	buffer_gl0_inv
	v_cmp_ge_u64_e32 vcc_lo, v[6:7], v[2:3]
	v_and_b32_e32 v9, 0xff, v8
	s_delay_alu instid0(VALU_DEP_1) | instskip(NEXT) | instid1(VALU_DEP_1)
	v_cmp_ne_u16_e64 s4, 0, v9
	s_or_b32 s21, vcc_lo, s4
	v_add_co_u32 v4, vcc_lo, v4, s71
	s_and_b32 s21, exec_lo, s21
	v_add_co_ci_u32_e32 v5, vcc_lo, s70, v5, vcc_lo
	s_or_b32 s14, s21, s14
	s_and_not1_b32 s15, s15, exec_lo
	s_and_b32 s4, s4, exec_lo
	s_delay_alu instid0(SALU_CYCLE_1)
	s_or_b32 s15, s15, s4
	s_and_not1_b32 exec_lo, exec_lo, s14
	s_cbranch_execz .LBB87_137
.LBB87_132:                             ;   Parent Loop BB87_37 Depth=1
                                        ; =>  This Inner Loop Header: Depth=2
	s_delay_alu instid0(VALU_DEP_1)
	v_cmp_gt_u64_e32 vcc_lo, s[24:25], v[6:7]
	v_mov_b32_e32 v8, 0
	s_and_saveexec_b32 s4, vcc_lo
	s_cbranch_execz .LBB87_134
; %bb.133:                              ;   in Loop: Header=BB87_132 Depth=2
	global_load_u8 v8, v[4:5], off
.LBB87_134:                             ;   in Loop: Header=BB87_132 Depth=2
	s_or_b32 exec_lo, exec_lo, s4
	s_and_saveexec_b32 s4, vcc_lo
	s_cbranch_execz .LBB87_131
; %bb.135:                              ;   in Loop: Header=BB87_132 Depth=2
	s_waitcnt vmcnt(0)
	v_bfe_i32 v9, v8, 0, 8
	s_delay_alu instid0(VALU_DEP_1) | instskip(NEXT) | instid1(VALU_DEP_1)
	v_add_nc_u32_e32 v9, 0x80, v9
	v_and_b32_e32 v9, s92, v9
	s_delay_alu instid0(VALU_DEP_1)
	v_cmp_eq_u32_e32 vcc_lo, s91, v9
	s_and_b32 exec_lo, exec_lo, vcc_lo
	s_cbranch_execz .LBB87_131
; %bb.136:                              ;   in Loop: Header=BB87_132 Depth=2
	v_lshlrev_b16 v8, 8, v8
	s_delay_alu instid0(VALU_DEP_1)
	v_or_b32_e32 v8, 1, v8
	ds_store_b16 v11, v8 offset:3072
	s_branch .LBB87_131
.LBB87_137:                             ;   in Loop: Header=BB87_37 Depth=1
	s_set_inst_prefetch_distance 0x2
	s_or_b32 exec_lo, exec_lo, s14
	v_lshrrev_b16 v36, 8, v8
	s_and_b32 s4, s15, exec_lo
.LBB87_138:                             ;   in Loop: Header=BB87_37 Depth=1
	s_or_b32 exec_lo, exec_lo, s5
	s_mov_b32 s15, -1
	s_mov_b32 s5, 0
	s_mov_b32 s14, 0
.LBB87_139:                             ;   in Loop: Header=BB87_37 Depth=1
	s_and_not1_b32 s21, s87, exec_lo
	s_and_b32 s5, s5, exec_lo
	s_and_b32 s15, s15, exec_lo
	s_or_b32 s87, s21, s5
	s_and_not1_b32 s5, s90, exec_lo
	s_and_not1_b32 s21, s88, exec_lo
	s_and_b32 s14, s14, exec_lo
	s_or_b32 s90, s5, s15
	s_or_b32 s88, s21, s14
	s_and_saveexec_b32 s14, s4
	s_cbranch_execz .LBB87_36
; %bb.140:                              ;   in Loop: Header=BB87_37 Depth=1
	s_xor_b32 s4, s20, -1
	s_mov_b32 s50, 1
	s_and_not1_b32 vcc_lo, exec_lo, s4
	s_cbranch_vccnz .LBB87_151
; %bb.141:                              ;   in Loop: Header=BB87_37 Depth=1
	v_cmp_gt_u64_e64 s4, s[46:47], s[12:13]
                                        ; implicit-def: $sgpr50
                                        ; implicit-def: $sgpr5
                                        ; implicit-def: $sgpr15
	s_delay_alu instid0(VALU_DEP_1)
	s_and_b32 vcc_lo, exec_lo, s4
	s_mov_b32 s4, -1
	s_cbranch_vccnz .LBB87_147
; %bb.142:                              ;   in Loop: Header=BB87_37 Depth=1
	ds_load_b64 v[2:3], v11 offset:5120
	s_waitcnt lgkmcnt(0)
	v_cmp_ne_u64_e32 vcc_lo, 0, v[2:3]
	s_cbranch_vccnz .LBB87_146
; %bb.143:                              ;   in Loop: Header=BB87_37 Depth=1
	s_and_saveexec_b32 s4, s2
	s_cbranch_execz .LBB87_145
; %bb.144:                              ;   in Loop: Header=BB87_37 Depth=1
	v_dual_mov_b32 v2, s12 :: v_dual_mov_b32 v3, s13
	ds_store_b64 v11, v[2:3] offset:5128
.LBB87_145:                             ;   in Loop: Header=BB87_37 Depth=1
	s_or_b32 exec_lo, exec_lo, s4
	s_waitcnt lgkmcnt(0)
	s_barrier
	buffer_gl0_inv
.LBB87_146:                             ;   in Loop: Header=BB87_37 Depth=1
	s_and_b32 s5, s91, s18
	s_or_b32 s15, s92, s16
	s_mov_b32 s4, 0
	s_mov_b32 s50, 8
.LBB87_147:                             ;   in Loop: Header=BB87_37 Depth=1
	s_and_not1_b32 vcc_lo, exec_lo, s4
	s_cbranch_vccnz .LBB87_149
; %bb.148:                              ;   in Loop: Header=BB87_37 Depth=1
	s_sub_u32 s46, s46, s12
	s_subb_u32 s47, s47, s13
	s_mov_b32 s4, -1
	s_mov_b32 s50, 0
	s_mov_b32 s5, s91
	;; [unrolled: 1-line block ×3, first 2 shown]
.LBB87_149:                             ;   in Loop: Header=BB87_37 Depth=1
	s_delay_alu instid0(SALU_CYCLE_1)
	s_mov_b32 s92, s15
	s_mov_b32 s91, s5
	s_and_b32 vcc_lo, exec_lo, s4
	s_mov_b32 s15, -1
	s_cbranch_vccnz .LBB87_152
.LBB87_150:                             ;   in Loop: Header=BB87_37 Depth=1
	s_mov_b32 s5, -1
                                        ; implicit-def: $sgpr12
                                        ; implicit-def: $sgpr19
                                        ; implicit-def: $sgpr13
	s_delay_alu instid0(SALU_CYCLE_1) | instskip(NEXT) | instid1(SALU_CYCLE_1)
	s_and_saveexec_b32 s4, s5
	s_xor_b32 s4, exec_lo, s4
	s_cbranch_execz .LBB87_35
	s_branch .LBB87_298
.LBB87_151:                             ;   in Loop: Header=BB87_37 Depth=1
	s_mov_b64 s[46:47], 1
	s_mov_b32 s15, -1
	s_branch .LBB87_150
.LBB87_152:                             ;   in Loop: Header=BB87_37 Depth=1
	s_cmp_eq_u64 s[10:11], 1
	s_cselect_b32 s4, -1, 0
	s_cmp_eq_u64 s[46:47], 1
	s_cselect_b32 s5, -1, 0
	s_delay_alu instid0(SALU_CYCLE_1)
	s_and_b32 s21, s4, s5
	s_mov_b32 s4, -1
	s_and_b32 vcc_lo, exec_lo, s21
	s_cbranch_vccz .LBB87_167
; %bb.153:                              ;   in Loop: Header=BB87_37 Depth=1
	ds_load_b64 v[2:3], v11 offset:5120
	s_waitcnt lgkmcnt(0)
	s_barrier
	buffer_gl0_inv
	v_readfirstlane_b32 s12, v2
	v_readfirstlane_b32 s13, v3
	s_and_saveexec_b32 s4, s3
	s_cbranch_execz .LBB87_155
; %bb.154:                              ;   in Loop: Header=BB87_37 Depth=1
	ds_store_b8 v0, v11 offset:3072
.LBB87_155:                             ;   in Loop: Header=BB87_37 Depth=1
	s_or_b32 exec_lo, exec_lo, s4
	s_lshl_b32 s4, 1, s17
	s_and_b32 s5, s91, s18
	s_or_b32 s92, s92, s16
	s_or_b32 s91, s5, s4
	s_cmp_eq_u64 s[12:13], 0
	s_waitcnt lgkmcnt(0)
	s_barrier
	buffer_gl0_inv
	s_cbranch_scc1 .LBB87_170
; %bb.156:                              ;   in Loop: Header=BB87_37 Depth=1
	s_add_u32 s19, s74, s12
	s_addc_u32 s5, s75, s13
	s_mov_b32 s4, s51
	s_delay_alu instid0(SALU_CYCLE_1)
	s_cmp_lg_u64 s[4:5], 0
	s_cbranch_scc0 .LBB87_215
; %bb.157:                              ;   in Loop: Header=BB87_37 Depth=1
	v_cvt_f32_u32_e32 v2, s33
	s_sub_u32 s22, 0, s33
	s_subb_u32 s23, 0, 0
	s_delay_alu instid0(VALU_DEP_1) | instskip(NEXT) | instid1(VALU_DEP_1)
	v_fmac_f32_e64 v2, 0, 0x4f800000
	v_rcp_f32_e32 v2, v2
	s_waitcnt_depctr 0xfff
	v_mul_f32_e32 v2, 0x5f7ffffc, v2
	s_delay_alu instid0(VALU_DEP_1) | instskip(NEXT) | instid1(VALU_DEP_1)
	v_mul_f32_e32 v3, 0x2f800000, v2
	v_trunc_f32_e32 v3, v3
	s_delay_alu instid0(VALU_DEP_1) | instskip(SKIP_1) | instid1(VALU_DEP_2)
	v_fmac_f32_e32 v2, 0xcf800000, v3
	v_cvt_u32_f32_e32 v3, v3
	v_cvt_u32_f32_e32 v2, v2
	s_delay_alu instid0(VALU_DEP_2) | instskip(NEXT) | instid1(VALU_DEP_2)
	v_readfirstlane_b32 s4, v3
	v_readfirstlane_b32 s20, v2
	s_delay_alu instid0(VALU_DEP_2) | instskip(NEXT) | instid1(VALU_DEP_1)
	s_mul_i32 s50, s22, s4
	s_mul_hi_u32 s60, s22, s20
	s_mul_i32 s52, s23, s20
	s_add_i32 s50, s60, s50
	s_mul_i32 s61, s22, s20
	s_add_i32 s50, s50, s52
	s_mul_hi_u32 s60, s20, s61
	s_mul_hi_u32 s62, s4, s61
	s_mul_i32 s52, s4, s61
	s_mul_hi_u32 s61, s20, s50
	s_mul_i32 s20, s20, s50
	s_mul_hi_u32 s63, s4, s50
	s_add_u32 s20, s60, s20
	s_addc_u32 s60, 0, s61
	s_add_u32 s20, s20, s52
	s_mul_i32 s50, s4, s50
	s_addc_u32 s20, s60, s62
	s_addc_u32 s52, s63, 0
	s_add_u32 s20, s20, s50
	s_addc_u32 s50, 0, s52
	v_add_co_u32 v2, s20, v2, s20
	s_delay_alu instid0(VALU_DEP_1) | instskip(SKIP_1) | instid1(VALU_DEP_1)
	s_cmp_lg_u32 s20, 0
	s_addc_u32 s4, s4, s50
	v_readfirstlane_b32 s20, v2
	s_mul_i32 s50, s22, s4
	s_delay_alu instid0(VALU_DEP_1)
	s_mul_hi_u32 s52, s22, s20
	s_mul_i32 s23, s23, s20
	s_add_i32 s50, s52, s50
	s_mul_i32 s22, s22, s20
	s_add_i32 s50, s50, s23
	s_mul_hi_u32 s52, s4, s22
	s_mul_i32 s60, s4, s22
	s_mul_hi_u32 s22, s20, s22
	s_mul_hi_u32 s61, s20, s50
	s_mul_i32 s20, s20, s50
	s_mul_hi_u32 s23, s4, s50
	s_add_u32 s20, s22, s20
	s_addc_u32 s22, 0, s61
	s_add_u32 s20, s20, s60
	s_mul_i32 s50, s4, s50
	s_addc_u32 s20, s22, s52
	s_addc_u32 s22, s23, 0
	s_add_u32 s20, s20, s50
	s_addc_u32 s22, 0, s22
	v_add_co_u32 v2, s20, v2, s20
	s_delay_alu instid0(VALU_DEP_1) | instskip(SKIP_1) | instid1(VALU_DEP_1)
	s_cmp_lg_u32 s20, 0
	s_addc_u32 s4, s4, s22
	v_readfirstlane_b32 s20, v2
	s_mul_i32 s23, s19, s4
	s_mul_hi_u32 s22, s19, s4
	s_mul_hi_u32 s50, s5, s4
	s_mul_i32 s4, s5, s4
	s_mul_hi_u32 s52, s19, s20
	s_mul_hi_u32 s60, s5, s20
	s_mul_i32 s20, s5, s20
	s_add_u32 s23, s52, s23
	s_addc_u32 s22, 0, s22
	s_add_u32 s20, s23, s20
	s_addc_u32 s20, s22, s60
	s_addc_u32 s22, s50, 0
	s_add_u32 s4, s20, s4
	s_addc_u32 s20, 0, s22
	s_mul_hi_u32 s22, s33, s4
	s_mul_i32 s4, s33, s4
	s_mul_i32 s20, s33, s20
	v_sub_co_u32 v2, s4, s19, s4
	s_add_i32 s22, s22, s20
	s_cmp_lg_u32 s4, 0
	s_delay_alu instid0(VALU_DEP_1) | instskip(SKIP_2) | instid1(VALU_DEP_1)
	v_sub_co_u32 v3, s4, v2, s33
	s_subb_u32 s20, s5, s22
	s_cmp_lg_u32 s4, 0
	v_cmp_le_u32_e32 vcc_lo, s33, v3
	v_sub_co_u32 v4, s4, v3, s33
	s_subb_u32 s22, s20, 0
	s_cmp_lg_u32 s4, 0
	v_cndmask_b32_e64 v5, 0, -1, vcc_lo
	s_subb_u32 s4, s22, 0
	s_cmp_eq_u32 s22, 0
	v_mov_b32_e32 v7, s4
	s_cselect_b32 vcc_lo, -1, 0
	s_cmp_eq_u32 s20, 0
	v_cndmask_b32_e32 v5, -1, v5, vcc_lo
	v_cmp_le_u32_e32 vcc_lo, s33, v2
	s_cselect_b32 s4, -1, 0
	v_cndmask_b32_e64 v6, 0, -1, vcc_lo
	s_delay_alu instid0(VALU_DEP_3) | instskip(NEXT) | instid1(VALU_DEP_2)
	v_cmp_ne_u32_e32 vcc_lo, 0, v5
	v_cndmask_b32_e64 v5, -1, v6, s4
	v_cndmask_b32_e32 v6, s22, v7, vcc_lo
	v_cndmask_b32_e32 v4, v3, v4, vcc_lo
	s_delay_alu instid0(VALU_DEP_3) | instskip(NEXT) | instid1(VALU_DEP_3)
	v_cmp_ne_u32_e32 vcc_lo, 0, v5
	v_cndmask_b32_e32 v3, s20, v6, vcc_lo
	s_delay_alu instid0(VALU_DEP_3)
	v_cndmask_b32_e32 v2, v2, v4, vcc_lo
	s_cbranch_execnz .LBB87_159
.LBB87_158:                             ;   in Loop: Header=BB87_37 Depth=1
	v_cvt_f32_u32_e32 v2, s33
	s_sub_i32 s4, 0, s33
	s_delay_alu instid0(VALU_DEP_1) | instskip(SKIP_2) | instid1(VALU_DEP_1)
	v_rcp_iflag_f32_e32 v2, v2
	s_waitcnt_depctr 0xfff
	v_mul_f32_e32 v2, 0x4f7ffffe, v2
	v_cvt_u32_f32_e32 v2, v2
	s_delay_alu instid0(VALU_DEP_1) | instskip(NEXT) | instid1(VALU_DEP_1)
	v_mul_lo_u32 v3, s4, v2
	v_mul_hi_u32 v3, v2, v3
	s_delay_alu instid0(VALU_DEP_1) | instskip(NEXT) | instid1(VALU_DEP_1)
	v_add_nc_u32_e32 v2, v2, v3
	v_mul_hi_u32 v2, s19, v2
	s_delay_alu instid0(VALU_DEP_1) | instskip(NEXT) | instid1(VALU_DEP_1)
	v_mul_lo_u32 v2, v2, s33
	v_sub_nc_u32_e32 v2, s19, v2
	s_delay_alu instid0(VALU_DEP_1) | instskip(SKIP_1) | instid1(VALU_DEP_2)
	v_subrev_nc_u32_e32 v3, s33, v2
	v_cmp_le_u32_e32 vcc_lo, s33, v2
	v_cndmask_b32_e32 v2, v2, v3, vcc_lo
	s_delay_alu instid0(VALU_DEP_1) | instskip(SKIP_1) | instid1(VALU_DEP_2)
	v_subrev_nc_u32_e32 v3, s33, v2
	v_cmp_le_u32_e32 vcc_lo, s33, v2
	v_cndmask_b32_e32 v10, v2, v3, vcc_lo
	s_delay_alu instid0(VALU_DEP_1)
	v_dual_mov_b32 v2, v10 :: v_dual_mov_b32 v3, v11
.LBB87_159:                             ;   in Loop: Header=BB87_37 Depth=1
	s_delay_alu instid0(VALU_DEP_1) | instskip(NEXT) | instid1(VALU_DEP_2)
	v_sub_co_u32 v2, vcc_lo, s19, v2
	v_sub_co_ci_u32_e32 v3, vcc_lo, s5, v3, vcc_lo
	s_mov_b32 s4, 0
	s_mov_b32 s5, exec_lo
                                        ; implicit-def: $vgpr36
	s_delay_alu instid0(VALU_DEP_1)
	v_cmpx_gt_u64_e64 v[2:3], v[0:1]
	s_cbranch_execz .LBB87_172
; %bb.160:                              ;   in Loop: Header=BB87_37 Depth=1
	v_dual_mov_b32 v6, v0 :: v_dual_mov_b32 v5, v1
	v_mov_b32_e32 v4, v0
	s_mov_b32 s19, 0
                                        ; implicit-def: $sgpr20
	s_set_inst_prefetch_distance 0x1
	s_branch .LBB87_162
	.p2align	6
.LBB87_161:                             ;   in Loop: Header=BB87_162 Depth=2
	s_or_b32 exec_lo, exec_lo, s4
	s_waitcnt lgkmcnt(0)
	s_barrier
	buffer_gl0_inv
	ds_load_u16 v7, v11 offset:3072
	v_add_co_u32 v4, vcc_lo, v4, s33
	v_add_co_ci_u32_e32 v5, vcc_lo, 0, v5, vcc_lo
	v_add_nc_u32_e32 v6, s33, v6
	s_waitcnt lgkmcnt(0)
	s_barrier
	s_delay_alu instid0(VALU_DEP_2) | instskip(SKIP_2) | instid1(VALU_DEP_1)
	v_cmp_ge_u64_e32 vcc_lo, v[4:5], v[2:3]
	buffer_gl0_inv
	v_and_b32_e32 v8, 0xff, v7
	v_cmp_ne_u16_e64 s4, 0, v8
	s_delay_alu instid0(VALU_DEP_1) | instskip(NEXT) | instid1(SALU_CYCLE_1)
	s_or_b32 s22, vcc_lo, s4
	s_and_b32 s22, exec_lo, s22
	s_delay_alu instid0(SALU_CYCLE_1) | instskip(SKIP_2) | instid1(SALU_CYCLE_1)
	s_or_b32 s19, s22, s19
	s_and_not1_b32 s20, s20, exec_lo
	s_and_b32 s4, s4, exec_lo
	s_or_b32 s20, s20, s4
	s_and_not1_b32 exec_lo, exec_lo, s19
	s_cbranch_execz .LBB87_171
.LBB87_162:                             ;   Parent Loop BB87_37 Depth=1
                                        ; =>  This Inner Loop Header: Depth=2
	s_delay_alu instid0(VALU_DEP_1)
	v_cmp_gt_u64_e32 vcc_lo, s[12:13], v[4:5]
	v_mov_b32_e32 v7, 0
	s_and_saveexec_b32 s4, vcc_lo
	s_cbranch_execz .LBB87_164
; %bb.163:                              ;   in Loop: Header=BB87_162 Depth=2
	ds_load_u8 v7, v6
.LBB87_164:                             ;   in Loop: Header=BB87_162 Depth=2
	s_or_b32 exec_lo, exec_lo, s4
	s_and_saveexec_b32 s4, vcc_lo
	s_cbranch_execz .LBB87_161
; %bb.165:                              ;   in Loop: Header=BB87_162 Depth=2
	s_waitcnt lgkmcnt(0)
	v_bfe_i32 v8, v7, 0, 8
	s_delay_alu instid0(VALU_DEP_1) | instskip(NEXT) | instid1(VALU_DEP_1)
	v_add_nc_u32_e32 v8, 0x80, v8
	v_and_b32_e32 v8, s92, v8
	s_delay_alu instid0(VALU_DEP_1)
	v_cmp_eq_u32_e32 vcc_lo, s91, v8
	s_and_b32 exec_lo, exec_lo, vcc_lo
	s_cbranch_execz .LBB87_161
; %bb.166:                              ;   in Loop: Header=BB87_162 Depth=2
	v_lshlrev_b16 v7, 8, v7
	s_delay_alu instid0(VALU_DEP_1)
	v_or_b32_e32 v7, 1, v7
	ds_store_b16 v11, v7 offset:3072
	s_branch .LBB87_161
.LBB87_167:                             ;   in Loop: Header=BB87_37 Depth=1
                                        ; implicit-def: $sgpr13
                                        ; implicit-def: $sgpr19
                                        ; implicit-def: $sgpr12
	s_branch .LBB87_186
.LBB87_168:                             ;   in Loop: Header=BB87_37 Depth=1
                                        ; implicit-def: $vgpr2_vgpr3
	s_branch .LBB87_113
.LBB87_169:                             ;   in Loop: Header=BB87_37 Depth=1
                                        ; implicit-def: $vgpr2_vgpr3
	s_branch .LBB87_128
.LBB87_170:                             ;   in Loop: Header=BB87_37 Depth=1
	s_mov_b32 s13, -1
	s_mov_b32 s4, 0
                                        ; implicit-def: $sgpr12
                                        ; implicit-def: $vgpr36
	s_mov_b32 s19, s13
	s_cbranch_execnz .LBB87_173
	s_branch .LBB87_186
.LBB87_171:                             ;   in Loop: Header=BB87_37 Depth=1
	s_set_inst_prefetch_distance 0x2
	s_or_b32 exec_lo, exec_lo, s19
	v_lshrrev_b16 v36, 8, v7
	s_and_b32 s4, s20, exec_lo
.LBB87_172:                             ;   in Loop: Header=BB87_37 Depth=1
	s_or_b32 exec_lo, exec_lo, s5
	s_mov_b32 s12, -1
	s_mov_b32 s13, 0
	s_delay_alu instid0(SALU_CYCLE_1)
	s_mov_b32 s19, s13
	s_branch .LBB87_186
.LBB87_173:                             ;   in Loop: Header=BB87_37 Depth=1
	s_mov_b32 s52, s51
	s_delay_alu instid0(SALU_CYCLE_1)
	s_cmp_lg_u64 s[52:53], 0
	s_cbranch_scc0 .LBB87_216
; %bb.174:                              ;   in Loop: Header=BB87_37 Depth=1
	v_cvt_f32_u32_e32 v2, s33
	s_sub_u32 s12, 0, s33
	s_subb_u32 s13, 0, 0
	s_delay_alu instid0(VALU_DEP_1) | instskip(NEXT) | instid1(VALU_DEP_1)
	v_fmac_f32_e64 v2, 0, 0x4f800000
	v_rcp_f32_e32 v2, v2
	s_waitcnt_depctr 0xfff
	v_mul_f32_e32 v2, 0x5f7ffffc, v2
	s_delay_alu instid0(VALU_DEP_1) | instskip(NEXT) | instid1(VALU_DEP_1)
	v_mul_f32_e32 v3, 0x2f800000, v2
	v_trunc_f32_e32 v3, v3
	s_delay_alu instid0(VALU_DEP_1) | instskip(SKIP_1) | instid1(VALU_DEP_2)
	v_fmac_f32_e32 v2, 0xcf800000, v3
	v_cvt_u32_f32_e32 v3, v3
	v_cvt_u32_f32_e32 v2, v2
	s_delay_alu instid0(VALU_DEP_2) | instskip(NEXT) | instid1(VALU_DEP_2)
	v_readfirstlane_b32 s4, v3
	v_readfirstlane_b32 s5, v2
	s_delay_alu instid0(VALU_DEP_2) | instskip(NEXT) | instid1(VALU_DEP_1)
	s_mul_i32 s19, s12, s4
	s_mul_hi_u32 s22, s12, s5
	s_mul_i32 s20, s13, s5
	s_add_i32 s19, s22, s19
	s_mul_i32 s23, s12, s5
	s_add_i32 s19, s19, s20
	s_mul_hi_u32 s22, s5, s23
	s_mul_hi_u32 s50, s4, s23
	s_mul_i32 s20, s4, s23
	s_mul_hi_u32 s23, s5, s19
	s_mul_i32 s5, s5, s19
	s_mul_hi_u32 s52, s4, s19
	s_add_u32 s5, s22, s5
	s_addc_u32 s22, 0, s23
	s_add_u32 s5, s5, s20
	s_mul_i32 s19, s4, s19
	s_addc_u32 s5, s22, s50
	s_addc_u32 s20, s52, 0
	s_add_u32 s5, s5, s19
	s_addc_u32 s19, 0, s20
	v_add_co_u32 v2, s5, v2, s5
	s_delay_alu instid0(VALU_DEP_1) | instskip(SKIP_1) | instid1(VALU_DEP_1)
	s_cmp_lg_u32 s5, 0
	s_addc_u32 s4, s4, s19
	v_readfirstlane_b32 s5, v2
	s_mul_i32 s19, s12, s4
	s_delay_alu instid0(VALU_DEP_1)
	s_mul_hi_u32 s20, s12, s5
	s_mul_i32 s13, s13, s5
	s_add_i32 s19, s20, s19
	s_mul_i32 s12, s12, s5
	s_add_i32 s19, s19, s13
	s_mul_hi_u32 s20, s4, s12
	s_mul_i32 s22, s4, s12
	s_mul_hi_u32 s12, s5, s12
	s_mul_hi_u32 s23, s5, s19
	s_mul_i32 s5, s5, s19
	s_mul_hi_u32 s13, s4, s19
	s_add_u32 s5, s12, s5
	s_addc_u32 s12, 0, s23
	s_add_u32 s5, s5, s22
	s_mul_i32 s19, s4, s19
	s_addc_u32 s5, s12, s20
	s_addc_u32 s12, s13, 0
	s_add_u32 s5, s5, s19
	s_addc_u32 s12, 0, s12
	v_add_co_u32 v2, s5, v2, s5
	s_delay_alu instid0(VALU_DEP_1) | instskip(SKIP_1) | instid1(VALU_DEP_1)
	s_cmp_lg_u32 s5, 0
	s_addc_u32 s4, s4, s12
	v_readfirstlane_b32 s5, v2
	s_mul_i32 s13, s76, s4
	s_mul_hi_u32 s12, s76, s4
	s_mul_hi_u32 s19, s53, s4
	s_mul_i32 s4, s53, s4
	s_mul_hi_u32 s20, s76, s5
	s_mul_hi_u32 s22, s53, s5
	s_mul_i32 s5, s53, s5
	s_add_u32 s13, s20, s13
	s_addc_u32 s12, 0, s12
	s_add_u32 s5, s13, s5
	s_addc_u32 s5, s12, s22
	s_addc_u32 s12, s19, 0
	s_add_u32 s4, s5, s4
	s_addc_u32 s5, 0, s12
	s_mul_hi_u32 s12, s33, s4
	s_mul_i32 s4, s33, s4
	s_mul_i32 s5, s33, s5
	v_sub_co_u32 v2, s4, s76, s4
	s_add_i32 s12, s12, s5
	s_cmp_lg_u32 s4, 0
	s_delay_alu instid0(VALU_DEP_1) | instskip(SKIP_2) | instid1(VALU_DEP_1)
	v_sub_co_u32 v3, s4, v2, s33
	s_subb_u32 s5, s53, s12
	s_cmp_lg_u32 s4, 0
	v_cmp_le_u32_e32 vcc_lo, s33, v3
	v_sub_co_u32 v4, s4, v3, s33
	s_subb_u32 s12, s5, 0
	s_cmp_lg_u32 s4, 0
	v_cndmask_b32_e64 v5, 0, -1, vcc_lo
	s_subb_u32 s4, s12, 0
	s_cmp_eq_u32 s12, 0
	v_mov_b32_e32 v7, s4
	s_cselect_b32 vcc_lo, -1, 0
	s_cmp_eq_u32 s5, 0
	v_cndmask_b32_e32 v5, -1, v5, vcc_lo
	v_cmp_le_u32_e32 vcc_lo, s33, v2
	s_cselect_b32 s4, -1, 0
	v_cndmask_b32_e64 v6, 0, -1, vcc_lo
	s_delay_alu instid0(VALU_DEP_3) | instskip(NEXT) | instid1(VALU_DEP_2)
	v_cmp_ne_u32_e32 vcc_lo, 0, v5
	v_cndmask_b32_e64 v5, -1, v6, s4
	v_cndmask_b32_e32 v6, s12, v7, vcc_lo
	v_cndmask_b32_e32 v4, v3, v4, vcc_lo
	s_delay_alu instid0(VALU_DEP_3) | instskip(NEXT) | instid1(VALU_DEP_3)
	v_cmp_ne_u32_e32 vcc_lo, 0, v5
	v_cndmask_b32_e32 v3, s5, v6, vcc_lo
	s_delay_alu instid0(VALU_DEP_3)
	v_cndmask_b32_e32 v2, v2, v4, vcc_lo
	s_cbranch_execnz .LBB87_176
.LBB87_175:                             ;   in Loop: Header=BB87_37 Depth=1
	v_cvt_f32_u32_e32 v2, s33
	s_sub_i32 s4, 0, s33
	s_delay_alu instid0(VALU_DEP_1) | instskip(SKIP_2) | instid1(VALU_DEP_1)
	v_rcp_iflag_f32_e32 v2, v2
	s_waitcnt_depctr 0xfff
	v_mul_f32_e32 v2, 0x4f7ffffe, v2
	v_cvt_u32_f32_e32 v2, v2
	s_delay_alu instid0(VALU_DEP_1) | instskip(NEXT) | instid1(VALU_DEP_1)
	v_mul_lo_u32 v3, s4, v2
	v_mul_hi_u32 v3, v2, v3
	s_delay_alu instid0(VALU_DEP_1) | instskip(NEXT) | instid1(VALU_DEP_1)
	v_add_nc_u32_e32 v2, v2, v3
	v_mul_hi_u32 v2, s76, v2
	s_delay_alu instid0(VALU_DEP_1) | instskip(NEXT) | instid1(VALU_DEP_1)
	v_mul_lo_u32 v2, v2, s33
	v_sub_nc_u32_e32 v2, s76, v2
	s_delay_alu instid0(VALU_DEP_1) | instskip(SKIP_1) | instid1(VALU_DEP_2)
	v_subrev_nc_u32_e32 v3, s33, v2
	v_cmp_le_u32_e32 vcc_lo, s33, v2
	v_cndmask_b32_e32 v2, v2, v3, vcc_lo
	s_delay_alu instid0(VALU_DEP_1) | instskip(SKIP_1) | instid1(VALU_DEP_2)
	v_subrev_nc_u32_e32 v3, s33, v2
	v_cmp_le_u32_e32 vcc_lo, s33, v2
	v_cndmask_b32_e32 v10, v2, v3, vcc_lo
	s_delay_alu instid0(VALU_DEP_1)
	v_dual_mov_b32 v2, v10 :: v_dual_mov_b32 v3, v11
.LBB87_176:                             ;   in Loop: Header=BB87_37 Depth=1
	s_delay_alu instid0(VALU_DEP_1) | instskip(NEXT) | instid1(VALU_DEP_2)
	v_sub_co_u32 v2, vcc_lo, s76, v2
	v_sub_co_ci_u32_e32 v3, vcc_lo, s53, v3, vcc_lo
	s_mov_b32 s4, 0
	s_mov_b32 s5, exec_lo
                                        ; implicit-def: $vgpr36
	s_delay_alu instid0(VALU_DEP_1)
	v_cmpx_gt_u64_e64 v[2:3], v[0:1]
	s_cbranch_execz .LBB87_185
; %bb.177:                              ;   in Loop: Header=BB87_37 Depth=1
	v_dual_mov_b32 v4, v12 :: v_dual_mov_b32 v5, v13
	v_dual_mov_b32 v7, v1 :: v_dual_mov_b32 v6, v0
	s_mov_b32 s12, 0
                                        ; implicit-def: $sgpr13
	s_set_inst_prefetch_distance 0x1
	s_branch .LBB87_179
	.p2align	6
.LBB87_178:                             ;   in Loop: Header=BB87_179 Depth=2
	s_or_b32 exec_lo, exec_lo, s4
	s_waitcnt vmcnt(0) lgkmcnt(0)
	s_barrier
	buffer_gl0_inv
	ds_load_u16 v8, v11 offset:3072
	v_add_co_u32 v6, vcc_lo, v6, s33
	v_add_co_ci_u32_e32 v7, vcc_lo, 0, v7, vcc_lo
	s_waitcnt lgkmcnt(0)
	s_barrier
	buffer_gl0_inv
	v_cmp_ge_u64_e32 vcc_lo, v[6:7], v[2:3]
	v_and_b32_e32 v9, 0xff, v8
	s_delay_alu instid0(VALU_DEP_1) | instskip(NEXT) | instid1(VALU_DEP_1)
	v_cmp_ne_u16_e64 s4, 0, v9
	s_or_b32 s19, vcc_lo, s4
	v_add_co_u32 v4, vcc_lo, v4, s71
	s_and_b32 s19, exec_lo, s19
	v_add_co_ci_u32_e32 v5, vcc_lo, s70, v5, vcc_lo
	s_or_b32 s12, s19, s12
	s_and_not1_b32 s13, s13, exec_lo
	s_and_b32 s4, s4, exec_lo
	s_delay_alu instid0(SALU_CYCLE_1)
	s_or_b32 s13, s13, s4
	s_and_not1_b32 exec_lo, exec_lo, s12
	s_cbranch_execz .LBB87_184
.LBB87_179:                             ;   Parent Loop BB87_37 Depth=1
                                        ; =>  This Inner Loop Header: Depth=2
	s_delay_alu instid0(VALU_DEP_1)
	v_cmp_gt_u64_e32 vcc_lo, s[24:25], v[6:7]
	v_mov_b32_e32 v8, 0
	s_and_saveexec_b32 s4, vcc_lo
	s_cbranch_execz .LBB87_181
; %bb.180:                              ;   in Loop: Header=BB87_179 Depth=2
	global_load_u8 v8, v[4:5], off
.LBB87_181:                             ;   in Loop: Header=BB87_179 Depth=2
	s_or_b32 exec_lo, exec_lo, s4
	s_and_saveexec_b32 s4, vcc_lo
	s_cbranch_execz .LBB87_178
; %bb.182:                              ;   in Loop: Header=BB87_179 Depth=2
	s_waitcnt vmcnt(0)
	v_bfe_i32 v9, v8, 0, 8
	s_delay_alu instid0(VALU_DEP_1) | instskip(NEXT) | instid1(VALU_DEP_1)
	v_add_nc_u32_e32 v9, 0x80, v9
	v_and_b32_e32 v9, s92, v9
	s_delay_alu instid0(VALU_DEP_1)
	v_cmp_eq_u32_e32 vcc_lo, s91, v9
	s_and_b32 exec_lo, exec_lo, vcc_lo
	s_cbranch_execz .LBB87_178
; %bb.183:                              ;   in Loop: Header=BB87_179 Depth=2
	v_lshlrev_b16 v8, 8, v8
	s_delay_alu instid0(VALU_DEP_1)
	v_or_b32_e32 v8, 1, v8
	ds_store_b16 v11, v8 offset:3072
	s_branch .LBB87_178
.LBB87_184:                             ;   in Loop: Header=BB87_37 Depth=1
	s_set_inst_prefetch_distance 0x2
	s_or_b32 exec_lo, exec_lo, s12
	v_lshrrev_b16 v36, 8, v8
	s_and_b32 s4, s13, exec_lo
.LBB87_185:                             ;   in Loop: Header=BB87_37 Depth=1
	s_or_b32 exec_lo, exec_lo, s5
	s_mov_b32 s19, -1
	s_mov_b32 s13, 0
	s_mov_b32 s12, 0
.LBB87_186:                             ;   in Loop: Header=BB87_37 Depth=1
	s_mov_b32 s5, 0
                                        ; implicit-def: $sgpr50
	s_and_saveexec_b32 s20, s4
	s_cbranch_execz .LBB87_297
; %bb.187:                              ;   in Loop: Header=BB87_37 Depth=1
	s_xor_b32 s4, s21, -1
	s_mov_b32 s50, 1
	s_and_not1_b32 vcc_lo, exec_lo, s4
	s_cbranch_vccnz .LBB87_198
; %bb.188:                              ;   in Loop: Header=BB87_37 Depth=1
	v_cmp_gt_u64_e64 s4, s[46:47], s[10:11]
                                        ; implicit-def: $sgpr50
                                        ; implicit-def: $sgpr5
                                        ; implicit-def: $sgpr21
	s_delay_alu instid0(VALU_DEP_1)
	s_and_b32 vcc_lo, exec_lo, s4
	s_mov_b32 s4, -1
	s_cbranch_vccnz .LBB87_194
; %bb.189:                              ;   in Loop: Header=BB87_37 Depth=1
	ds_load_b64 v[2:3], v11 offset:5120
	s_waitcnt lgkmcnt(0)
	v_cmp_ne_u64_e32 vcc_lo, 0, v[2:3]
	s_cbranch_vccnz .LBB87_193
; %bb.190:                              ;   in Loop: Header=BB87_37 Depth=1
	s_and_saveexec_b32 s4, s2
	s_cbranch_execz .LBB87_192
; %bb.191:                              ;   in Loop: Header=BB87_37 Depth=1
	v_dual_mov_b32 v2, s10 :: v_dual_mov_b32 v3, s11
	ds_store_b64 v11, v[2:3] offset:5128
.LBB87_192:                             ;   in Loop: Header=BB87_37 Depth=1
	s_or_b32 exec_lo, exec_lo, s4
	s_waitcnt lgkmcnt(0)
	s_barrier
	buffer_gl0_inv
.LBB87_193:                             ;   in Loop: Header=BB87_37 Depth=1
	s_lshl_b32 s4, 1, s17
	s_and_b32 s5, s91, s18
	s_or_b32 s21, s92, s16
	s_or_b32 s5, s5, s4
	s_mov_b32 s4, 0
	s_mov_b32 s50, 8
.LBB87_194:                             ;   in Loop: Header=BB87_37 Depth=1
	s_and_not1_b32 vcc_lo, exec_lo, s4
	s_cbranch_vccnz .LBB87_196
; %bb.195:                              ;   in Loop: Header=BB87_37 Depth=1
	s_sub_u32 s46, s46, s10
	s_subb_u32 s47, s47, s11
	s_mov_b32 s4, -1
	s_mov_b32 s50, 0
	s_mov_b32 s5, s91
	;; [unrolled: 1-line block ×3, first 2 shown]
.LBB87_196:                             ;   in Loop: Header=BB87_37 Depth=1
	s_delay_alu instid0(SALU_CYCLE_1)
	s_mov_b32 s92, s21
	s_mov_b32 s91, s5
	s_and_not1_b32 vcc_lo, exec_lo, s4
	s_mov_b32 s5, -1
	s_cbranch_vccz .LBB87_199
.LBB87_197:                             ;   in Loop: Header=BB87_37 Depth=1
                                        ; implicit-def: $sgpr11
                                        ; implicit-def: $sgpr21
                                        ; implicit-def: $sgpr10
	s_branch .LBB87_296
.LBB87_198:                             ;   in Loop: Header=BB87_37 Depth=1
	s_mov_b64 s[46:47], 1
	s_mov_b32 s5, -1
	s_cbranch_execnz .LBB87_197
.LBB87_199:                             ;   in Loop: Header=BB87_37 Depth=1
	s_cmp_eq_u64 s[8:9], 1
	s_cselect_b32 s4, -1, 0
	s_cmp_eq_u64 s[46:47], 1
	s_cselect_b32 s5, -1, 0
	s_delay_alu instid0(SALU_CYCLE_1)
	s_and_b32 s23, s4, s5
	s_mov_b32 s4, -1
	s_and_b32 vcc_lo, exec_lo, s23
	s_cbranch_vccz .LBB87_214
; %bb.200:                              ;   in Loop: Header=BB87_37 Depth=1
	ds_load_b64 v[2:3], v11 offset:5120
	s_waitcnt lgkmcnt(0)
	s_barrier
	buffer_gl0_inv
	v_readfirstlane_b32 s10, v2
	v_readfirstlane_b32 s11, v3
	s_and_saveexec_b32 s4, s3
	s_cbranch_execz .LBB87_202
; %bb.201:                              ;   in Loop: Header=BB87_37 Depth=1
	ds_store_b8 v0, v11 offset:3072
.LBB87_202:                             ;   in Loop: Header=BB87_37 Depth=1
	s_or_b32 exec_lo, exec_lo, s4
	s_lshl_b32 s4, 2, s17
	s_and_b32 s5, s91, s18
	s_or_b32 s92, s92, s16
	s_or_b32 s91, s5, s4
	s_cmp_eq_u64 s[10:11], 0
	s_waitcnt lgkmcnt(0)
	s_barrier
	buffer_gl0_inv
	s_cbranch_scc1 .LBB87_217
; %bb.203:                              ;   in Loop: Header=BB87_37 Depth=1
	s_add_u32 s21, s74, s10
	s_addc_u32 s5, s75, s11
	s_mov_b32 s4, s51
	s_delay_alu instid0(SALU_CYCLE_1)
	s_cmp_lg_u64 s[4:5], 0
	s_cbranch_scc0 .LBB87_262
; %bb.204:                              ;   in Loop: Header=BB87_37 Depth=1
	v_cvt_f32_u32_e32 v2, s33
	s_sub_u32 s50, 0, s33
	s_subb_u32 s52, 0, 0
	s_delay_alu instid0(VALU_DEP_1) | instskip(NEXT) | instid1(VALU_DEP_1)
	v_fmac_f32_e64 v2, 0, 0x4f800000
	v_rcp_f32_e32 v2, v2
	s_waitcnt_depctr 0xfff
	v_mul_f32_e32 v2, 0x5f7ffffc, v2
	s_delay_alu instid0(VALU_DEP_1) | instskip(NEXT) | instid1(VALU_DEP_1)
	v_mul_f32_e32 v3, 0x2f800000, v2
	v_trunc_f32_e32 v3, v3
	s_delay_alu instid0(VALU_DEP_1) | instskip(SKIP_1) | instid1(VALU_DEP_2)
	v_fmac_f32_e32 v2, 0xcf800000, v3
	v_cvt_u32_f32_e32 v3, v3
	v_cvt_u32_f32_e32 v2, v2
	s_delay_alu instid0(VALU_DEP_2) | instskip(NEXT) | instid1(VALU_DEP_2)
	v_readfirstlane_b32 s4, v3
	v_readfirstlane_b32 s22, v2
	s_delay_alu instid0(VALU_DEP_2) | instskip(NEXT) | instid1(VALU_DEP_1)
	s_mul_i32 s60, s50, s4
	s_mul_hi_u32 s62, s50, s22
	s_mul_i32 s61, s52, s22
	s_add_i32 s60, s62, s60
	s_mul_i32 s63, s50, s22
	s_add_i32 s60, s60, s61
	s_mul_hi_u32 s62, s22, s63
	s_mul_hi_u32 s64, s4, s63
	s_mul_i32 s61, s4, s63
	s_mul_hi_u32 s63, s22, s60
	s_mul_i32 s22, s22, s60
	s_mul_hi_u32 s65, s4, s60
	s_add_u32 s22, s62, s22
	s_addc_u32 s62, 0, s63
	s_add_u32 s22, s22, s61
	s_mul_i32 s60, s4, s60
	s_addc_u32 s22, s62, s64
	s_addc_u32 s61, s65, 0
	s_add_u32 s22, s22, s60
	s_addc_u32 s60, 0, s61
	v_add_co_u32 v2, s22, v2, s22
	s_delay_alu instid0(VALU_DEP_1) | instskip(SKIP_1) | instid1(VALU_DEP_1)
	s_cmp_lg_u32 s22, 0
	s_addc_u32 s4, s4, s60
	v_readfirstlane_b32 s22, v2
	s_mul_i32 s60, s50, s4
	s_delay_alu instid0(VALU_DEP_1)
	s_mul_hi_u32 s61, s50, s22
	s_mul_i32 s52, s52, s22
	s_add_i32 s60, s61, s60
	s_mul_i32 s50, s50, s22
	s_add_i32 s60, s60, s52
	s_mul_hi_u32 s61, s4, s50
	s_mul_i32 s62, s4, s50
	s_mul_hi_u32 s50, s22, s50
	s_mul_hi_u32 s63, s22, s60
	s_mul_i32 s22, s22, s60
	s_mul_hi_u32 s52, s4, s60
	s_add_u32 s22, s50, s22
	s_addc_u32 s50, 0, s63
	s_add_u32 s22, s22, s62
	s_mul_i32 s60, s4, s60
	s_addc_u32 s22, s50, s61
	s_addc_u32 s50, s52, 0
	s_add_u32 s22, s22, s60
	s_addc_u32 s50, 0, s50
	v_add_co_u32 v2, s22, v2, s22
	s_delay_alu instid0(VALU_DEP_1) | instskip(SKIP_1) | instid1(VALU_DEP_1)
	s_cmp_lg_u32 s22, 0
	s_addc_u32 s4, s4, s50
	v_readfirstlane_b32 s22, v2
	s_mul_i32 s52, s21, s4
	s_mul_hi_u32 s50, s21, s4
	s_mul_hi_u32 s60, s5, s4
	s_mul_i32 s4, s5, s4
	s_mul_hi_u32 s61, s21, s22
	s_mul_hi_u32 s62, s5, s22
	s_mul_i32 s22, s5, s22
	s_add_u32 s52, s61, s52
	s_addc_u32 s50, 0, s50
	s_add_u32 s22, s52, s22
	s_addc_u32 s22, s50, s62
	s_addc_u32 s50, s60, 0
	s_add_u32 s4, s22, s4
	s_addc_u32 s22, 0, s50
	s_mul_hi_u32 s50, s33, s4
	s_mul_i32 s4, s33, s4
	s_mul_i32 s22, s33, s22
	v_sub_co_u32 v2, s4, s21, s4
	s_add_i32 s50, s50, s22
	s_cmp_lg_u32 s4, 0
	s_delay_alu instid0(VALU_DEP_1) | instskip(SKIP_2) | instid1(VALU_DEP_1)
	v_sub_co_u32 v3, s4, v2, s33
	s_subb_u32 s22, s5, s50
	s_cmp_lg_u32 s4, 0
	v_cmp_le_u32_e32 vcc_lo, s33, v3
	v_sub_co_u32 v4, s4, v3, s33
	s_subb_u32 s50, s22, 0
	s_cmp_lg_u32 s4, 0
	v_cndmask_b32_e64 v5, 0, -1, vcc_lo
	s_subb_u32 s4, s50, 0
	s_cmp_eq_u32 s50, 0
	v_mov_b32_e32 v7, s4
	s_cselect_b32 vcc_lo, -1, 0
	s_cmp_eq_u32 s22, 0
	v_cndmask_b32_e32 v5, -1, v5, vcc_lo
	v_cmp_le_u32_e32 vcc_lo, s33, v2
	s_cselect_b32 s4, -1, 0
	v_cndmask_b32_e64 v6, 0, -1, vcc_lo
	s_delay_alu instid0(VALU_DEP_3) | instskip(NEXT) | instid1(VALU_DEP_2)
	v_cmp_ne_u32_e32 vcc_lo, 0, v5
	v_cndmask_b32_e64 v5, -1, v6, s4
	v_cndmask_b32_e32 v6, s50, v7, vcc_lo
	v_cndmask_b32_e32 v4, v3, v4, vcc_lo
	s_delay_alu instid0(VALU_DEP_3) | instskip(NEXT) | instid1(VALU_DEP_3)
	v_cmp_ne_u32_e32 vcc_lo, 0, v5
	v_cndmask_b32_e32 v3, s22, v6, vcc_lo
	s_delay_alu instid0(VALU_DEP_3)
	v_cndmask_b32_e32 v2, v2, v4, vcc_lo
	s_cbranch_execnz .LBB87_206
.LBB87_205:                             ;   in Loop: Header=BB87_37 Depth=1
	v_cvt_f32_u32_e32 v2, s33
	s_sub_i32 s4, 0, s33
	s_delay_alu instid0(VALU_DEP_1) | instskip(SKIP_2) | instid1(VALU_DEP_1)
	v_rcp_iflag_f32_e32 v2, v2
	s_waitcnt_depctr 0xfff
	v_mul_f32_e32 v2, 0x4f7ffffe, v2
	v_cvt_u32_f32_e32 v2, v2
	s_delay_alu instid0(VALU_DEP_1) | instskip(NEXT) | instid1(VALU_DEP_1)
	v_mul_lo_u32 v3, s4, v2
	v_mul_hi_u32 v3, v2, v3
	s_delay_alu instid0(VALU_DEP_1) | instskip(NEXT) | instid1(VALU_DEP_1)
	v_add_nc_u32_e32 v2, v2, v3
	v_mul_hi_u32 v2, s21, v2
	s_delay_alu instid0(VALU_DEP_1) | instskip(NEXT) | instid1(VALU_DEP_1)
	v_mul_lo_u32 v2, v2, s33
	v_sub_nc_u32_e32 v2, s21, v2
	s_delay_alu instid0(VALU_DEP_1) | instskip(SKIP_1) | instid1(VALU_DEP_2)
	v_subrev_nc_u32_e32 v3, s33, v2
	v_cmp_le_u32_e32 vcc_lo, s33, v2
	v_cndmask_b32_e32 v2, v2, v3, vcc_lo
	s_delay_alu instid0(VALU_DEP_1) | instskip(SKIP_1) | instid1(VALU_DEP_2)
	v_subrev_nc_u32_e32 v3, s33, v2
	v_cmp_le_u32_e32 vcc_lo, s33, v2
	v_cndmask_b32_e32 v10, v2, v3, vcc_lo
	s_delay_alu instid0(VALU_DEP_1)
	v_dual_mov_b32 v2, v10 :: v_dual_mov_b32 v3, v11
.LBB87_206:                             ;   in Loop: Header=BB87_37 Depth=1
	s_delay_alu instid0(VALU_DEP_1) | instskip(NEXT) | instid1(VALU_DEP_2)
	v_sub_co_u32 v2, vcc_lo, s21, v2
	v_sub_co_ci_u32_e32 v3, vcc_lo, s5, v3, vcc_lo
	s_mov_b32 s4, 0
	s_mov_b32 s5, exec_lo
                                        ; implicit-def: $vgpr36
	s_delay_alu instid0(VALU_DEP_1)
	v_cmpx_gt_u64_e64 v[2:3], v[0:1]
	s_cbranch_execz .LBB87_219
; %bb.207:                              ;   in Loop: Header=BB87_37 Depth=1
	v_dual_mov_b32 v6, v0 :: v_dual_mov_b32 v5, v1
	v_mov_b32_e32 v4, v0
	s_mov_b32 s21, 0
                                        ; implicit-def: $sgpr22
	s_set_inst_prefetch_distance 0x1
	s_branch .LBB87_209
	.p2align	6
.LBB87_208:                             ;   in Loop: Header=BB87_209 Depth=2
	s_or_b32 exec_lo, exec_lo, s4
	s_waitcnt lgkmcnt(0)
	s_barrier
	buffer_gl0_inv
	ds_load_u16 v7, v11 offset:3072
	v_add_co_u32 v4, vcc_lo, v4, s33
	v_add_co_ci_u32_e32 v5, vcc_lo, 0, v5, vcc_lo
	v_add_nc_u32_e32 v6, s33, v6
	s_waitcnt lgkmcnt(0)
	s_barrier
	s_delay_alu instid0(VALU_DEP_2) | instskip(SKIP_2) | instid1(VALU_DEP_1)
	v_cmp_ge_u64_e32 vcc_lo, v[4:5], v[2:3]
	buffer_gl0_inv
	v_and_b32_e32 v8, 0xff, v7
	v_cmp_ne_u16_e64 s4, 0, v8
	s_delay_alu instid0(VALU_DEP_1) | instskip(NEXT) | instid1(SALU_CYCLE_1)
	s_or_b32 s50, vcc_lo, s4
	s_and_b32 s50, exec_lo, s50
	s_delay_alu instid0(SALU_CYCLE_1) | instskip(SKIP_2) | instid1(SALU_CYCLE_1)
	s_or_b32 s21, s50, s21
	s_and_not1_b32 s22, s22, exec_lo
	s_and_b32 s4, s4, exec_lo
	s_or_b32 s22, s22, s4
	s_and_not1_b32 exec_lo, exec_lo, s21
	s_cbranch_execz .LBB87_218
.LBB87_209:                             ;   Parent Loop BB87_37 Depth=1
                                        ; =>  This Inner Loop Header: Depth=2
	s_delay_alu instid0(VALU_DEP_1)
	v_cmp_gt_u64_e32 vcc_lo, s[10:11], v[4:5]
	v_mov_b32_e32 v7, 0
	s_and_saveexec_b32 s4, vcc_lo
	s_cbranch_execz .LBB87_211
; %bb.210:                              ;   in Loop: Header=BB87_209 Depth=2
	ds_load_u8 v7, v6
.LBB87_211:                             ;   in Loop: Header=BB87_209 Depth=2
	s_or_b32 exec_lo, exec_lo, s4
	s_and_saveexec_b32 s4, vcc_lo
	s_cbranch_execz .LBB87_208
; %bb.212:                              ;   in Loop: Header=BB87_209 Depth=2
	s_waitcnt lgkmcnt(0)
	v_bfe_i32 v8, v7, 0, 8
	s_delay_alu instid0(VALU_DEP_1) | instskip(NEXT) | instid1(VALU_DEP_1)
	v_add_nc_u32_e32 v8, 0x80, v8
	v_and_b32_e32 v8, s92, v8
	s_delay_alu instid0(VALU_DEP_1)
	v_cmp_eq_u32_e32 vcc_lo, s91, v8
	s_and_b32 exec_lo, exec_lo, vcc_lo
	s_cbranch_execz .LBB87_208
; %bb.213:                              ;   in Loop: Header=BB87_209 Depth=2
	v_lshlrev_b16 v7, 8, v7
	s_delay_alu instid0(VALU_DEP_1)
	v_or_b32_e32 v7, 1, v7
	ds_store_b16 v11, v7 offset:3072
	s_branch .LBB87_208
.LBB87_214:                             ;   in Loop: Header=BB87_37 Depth=1
                                        ; implicit-def: $sgpr10
                                        ; implicit-def: $sgpr21
                                        ; implicit-def: $sgpr11
	s_branch .LBB87_233
.LBB87_215:                             ;   in Loop: Header=BB87_37 Depth=1
                                        ; implicit-def: $vgpr2_vgpr3
	s_branch .LBB87_158
.LBB87_216:                             ;   in Loop: Header=BB87_37 Depth=1
                                        ; implicit-def: $vgpr2_vgpr3
	s_branch .LBB87_175
.LBB87_217:                             ;   in Loop: Header=BB87_37 Depth=1
	s_mov_b32 s10, -1
	s_mov_b32 s4, 0
                                        ; implicit-def: $sgpr11
                                        ; implicit-def: $vgpr36
	s_mov_b32 s21, s10
	s_cbranch_execnz .LBB87_220
	s_branch .LBB87_233
.LBB87_218:                             ;   in Loop: Header=BB87_37 Depth=1
	s_set_inst_prefetch_distance 0x2
	s_or_b32 exec_lo, exec_lo, s21
	v_lshrrev_b16 v36, 8, v7
	s_and_b32 s4, s22, exec_lo
.LBB87_219:                             ;   in Loop: Header=BB87_37 Depth=1
	s_or_b32 exec_lo, exec_lo, s5
	s_mov_b32 s11, -1
	s_mov_b32 s10, 0
	s_delay_alu instid0(SALU_CYCLE_1)
	s_mov_b32 s21, s10
	s_branch .LBB87_233
.LBB87_220:                             ;   in Loop: Header=BB87_37 Depth=1
	s_mov_b32 s52, s51
	s_delay_alu instid0(SALU_CYCLE_1)
	s_cmp_lg_u64 s[52:53], 0
	s_cbranch_scc0 .LBB87_263
; %bb.221:                              ;   in Loop: Header=BB87_37 Depth=1
	v_cvt_f32_u32_e32 v2, s33
	s_sub_u32 s10, 0, s33
	s_subb_u32 s11, 0, 0
	s_delay_alu instid0(VALU_DEP_1) | instskip(NEXT) | instid1(VALU_DEP_1)
	v_fmac_f32_e64 v2, 0, 0x4f800000
	v_rcp_f32_e32 v2, v2
	s_waitcnt_depctr 0xfff
	v_mul_f32_e32 v2, 0x5f7ffffc, v2
	s_delay_alu instid0(VALU_DEP_1) | instskip(NEXT) | instid1(VALU_DEP_1)
	v_mul_f32_e32 v3, 0x2f800000, v2
	v_trunc_f32_e32 v3, v3
	s_delay_alu instid0(VALU_DEP_1) | instskip(SKIP_1) | instid1(VALU_DEP_2)
	v_fmac_f32_e32 v2, 0xcf800000, v3
	v_cvt_u32_f32_e32 v3, v3
	v_cvt_u32_f32_e32 v2, v2
	s_delay_alu instid0(VALU_DEP_2) | instskip(NEXT) | instid1(VALU_DEP_2)
	v_readfirstlane_b32 s4, v3
	v_readfirstlane_b32 s5, v2
	s_delay_alu instid0(VALU_DEP_2) | instskip(NEXT) | instid1(VALU_DEP_1)
	s_mul_i32 s21, s10, s4
	s_mul_hi_u32 s50, s10, s5
	s_mul_i32 s22, s11, s5
	s_add_i32 s21, s50, s21
	s_mul_i32 s52, s10, s5
	s_add_i32 s21, s21, s22
	s_mul_hi_u32 s50, s5, s52
	s_mul_hi_u32 s60, s4, s52
	s_mul_i32 s22, s4, s52
	s_mul_hi_u32 s52, s5, s21
	s_mul_i32 s5, s5, s21
	s_mul_hi_u32 s61, s4, s21
	s_add_u32 s5, s50, s5
	s_addc_u32 s50, 0, s52
	s_add_u32 s5, s5, s22
	s_mul_i32 s21, s4, s21
	s_addc_u32 s5, s50, s60
	s_addc_u32 s22, s61, 0
	s_add_u32 s5, s5, s21
	s_addc_u32 s21, 0, s22
	v_add_co_u32 v2, s5, v2, s5
	s_delay_alu instid0(VALU_DEP_1) | instskip(SKIP_1) | instid1(VALU_DEP_1)
	s_cmp_lg_u32 s5, 0
	s_addc_u32 s4, s4, s21
	v_readfirstlane_b32 s5, v2
	s_mul_i32 s21, s10, s4
	s_delay_alu instid0(VALU_DEP_1)
	s_mul_hi_u32 s22, s10, s5
	s_mul_i32 s11, s11, s5
	s_add_i32 s21, s22, s21
	s_mul_i32 s10, s10, s5
	s_add_i32 s21, s21, s11
	s_mul_hi_u32 s22, s4, s10
	s_mul_i32 s50, s4, s10
	s_mul_hi_u32 s10, s5, s10
	s_mul_hi_u32 s52, s5, s21
	s_mul_i32 s5, s5, s21
	s_mul_hi_u32 s11, s4, s21
	s_add_u32 s5, s10, s5
	s_addc_u32 s10, 0, s52
	s_add_u32 s5, s5, s50
	s_mul_i32 s21, s4, s21
	s_addc_u32 s5, s10, s22
	s_addc_u32 s10, s11, 0
	s_add_u32 s5, s5, s21
	s_addc_u32 s10, 0, s10
	v_add_co_u32 v2, s5, v2, s5
	s_delay_alu instid0(VALU_DEP_1) | instskip(SKIP_1) | instid1(VALU_DEP_1)
	s_cmp_lg_u32 s5, 0
	s_addc_u32 s4, s4, s10
	v_readfirstlane_b32 s5, v2
	s_mul_i32 s11, s76, s4
	s_mul_hi_u32 s10, s76, s4
	s_mul_hi_u32 s21, s53, s4
	s_mul_i32 s4, s53, s4
	s_mul_hi_u32 s22, s76, s5
	s_mul_hi_u32 s50, s53, s5
	s_mul_i32 s5, s53, s5
	s_add_u32 s11, s22, s11
	s_addc_u32 s10, 0, s10
	s_add_u32 s5, s11, s5
	s_addc_u32 s5, s10, s50
	s_addc_u32 s10, s21, 0
	s_add_u32 s4, s5, s4
	s_addc_u32 s5, 0, s10
	s_mul_hi_u32 s10, s33, s4
	s_mul_i32 s4, s33, s4
	s_mul_i32 s5, s33, s5
	v_sub_co_u32 v2, s4, s76, s4
	s_add_i32 s10, s10, s5
	s_cmp_lg_u32 s4, 0
	s_delay_alu instid0(VALU_DEP_1) | instskip(SKIP_2) | instid1(VALU_DEP_1)
	v_sub_co_u32 v3, s4, v2, s33
	s_subb_u32 s5, s53, s10
	s_cmp_lg_u32 s4, 0
	v_cmp_le_u32_e32 vcc_lo, s33, v3
	v_sub_co_u32 v4, s4, v3, s33
	s_subb_u32 s10, s5, 0
	s_cmp_lg_u32 s4, 0
	v_cndmask_b32_e64 v5, 0, -1, vcc_lo
	s_subb_u32 s4, s10, 0
	s_cmp_eq_u32 s10, 0
	v_mov_b32_e32 v7, s4
	s_cselect_b32 vcc_lo, -1, 0
	s_cmp_eq_u32 s5, 0
	v_cndmask_b32_e32 v5, -1, v5, vcc_lo
	v_cmp_le_u32_e32 vcc_lo, s33, v2
	s_cselect_b32 s4, -1, 0
	v_cndmask_b32_e64 v6, 0, -1, vcc_lo
	s_delay_alu instid0(VALU_DEP_3) | instskip(NEXT) | instid1(VALU_DEP_2)
	v_cmp_ne_u32_e32 vcc_lo, 0, v5
	v_cndmask_b32_e64 v5, -1, v6, s4
	v_cndmask_b32_e32 v6, s10, v7, vcc_lo
	v_cndmask_b32_e32 v4, v3, v4, vcc_lo
	s_delay_alu instid0(VALU_DEP_3) | instskip(NEXT) | instid1(VALU_DEP_3)
	v_cmp_ne_u32_e32 vcc_lo, 0, v5
	v_cndmask_b32_e32 v3, s5, v6, vcc_lo
	s_delay_alu instid0(VALU_DEP_3)
	v_cndmask_b32_e32 v2, v2, v4, vcc_lo
	s_cbranch_execnz .LBB87_223
.LBB87_222:                             ;   in Loop: Header=BB87_37 Depth=1
	v_cvt_f32_u32_e32 v2, s33
	s_sub_i32 s4, 0, s33
	s_delay_alu instid0(VALU_DEP_1) | instskip(SKIP_2) | instid1(VALU_DEP_1)
	v_rcp_iflag_f32_e32 v2, v2
	s_waitcnt_depctr 0xfff
	v_mul_f32_e32 v2, 0x4f7ffffe, v2
	v_cvt_u32_f32_e32 v2, v2
	s_delay_alu instid0(VALU_DEP_1) | instskip(NEXT) | instid1(VALU_DEP_1)
	v_mul_lo_u32 v3, s4, v2
	v_mul_hi_u32 v3, v2, v3
	s_delay_alu instid0(VALU_DEP_1) | instskip(NEXT) | instid1(VALU_DEP_1)
	v_add_nc_u32_e32 v2, v2, v3
	v_mul_hi_u32 v2, s76, v2
	s_delay_alu instid0(VALU_DEP_1) | instskip(NEXT) | instid1(VALU_DEP_1)
	v_mul_lo_u32 v2, v2, s33
	v_sub_nc_u32_e32 v2, s76, v2
	s_delay_alu instid0(VALU_DEP_1) | instskip(SKIP_1) | instid1(VALU_DEP_2)
	v_subrev_nc_u32_e32 v3, s33, v2
	v_cmp_le_u32_e32 vcc_lo, s33, v2
	v_cndmask_b32_e32 v2, v2, v3, vcc_lo
	s_delay_alu instid0(VALU_DEP_1) | instskip(SKIP_1) | instid1(VALU_DEP_2)
	v_subrev_nc_u32_e32 v3, s33, v2
	v_cmp_le_u32_e32 vcc_lo, s33, v2
	v_cndmask_b32_e32 v10, v2, v3, vcc_lo
	s_delay_alu instid0(VALU_DEP_1)
	v_dual_mov_b32 v2, v10 :: v_dual_mov_b32 v3, v11
.LBB87_223:                             ;   in Loop: Header=BB87_37 Depth=1
	s_delay_alu instid0(VALU_DEP_1) | instskip(NEXT) | instid1(VALU_DEP_2)
	v_sub_co_u32 v2, vcc_lo, s76, v2
	v_sub_co_ci_u32_e32 v3, vcc_lo, s53, v3, vcc_lo
	s_mov_b32 s4, 0
	s_mov_b32 s5, exec_lo
                                        ; implicit-def: $vgpr36
	s_delay_alu instid0(VALU_DEP_1)
	v_cmpx_gt_u64_e64 v[2:3], v[0:1]
	s_cbranch_execz .LBB87_232
; %bb.224:                              ;   in Loop: Header=BB87_37 Depth=1
	v_dual_mov_b32 v4, v12 :: v_dual_mov_b32 v5, v13
	v_dual_mov_b32 v7, v1 :: v_dual_mov_b32 v6, v0
	s_mov_b32 s10, 0
                                        ; implicit-def: $sgpr11
	s_set_inst_prefetch_distance 0x1
	s_branch .LBB87_226
	.p2align	6
.LBB87_225:                             ;   in Loop: Header=BB87_226 Depth=2
	s_or_b32 exec_lo, exec_lo, s4
	s_waitcnt vmcnt(0) lgkmcnt(0)
	s_barrier
	buffer_gl0_inv
	ds_load_u16 v8, v11 offset:3072
	v_add_co_u32 v6, vcc_lo, v6, s33
	v_add_co_ci_u32_e32 v7, vcc_lo, 0, v7, vcc_lo
	s_waitcnt lgkmcnt(0)
	s_barrier
	buffer_gl0_inv
	v_cmp_ge_u64_e32 vcc_lo, v[6:7], v[2:3]
	v_and_b32_e32 v9, 0xff, v8
	s_delay_alu instid0(VALU_DEP_1) | instskip(NEXT) | instid1(VALU_DEP_1)
	v_cmp_ne_u16_e64 s4, 0, v9
	s_or_b32 s21, vcc_lo, s4
	v_add_co_u32 v4, vcc_lo, v4, s71
	s_and_b32 s21, exec_lo, s21
	v_add_co_ci_u32_e32 v5, vcc_lo, s70, v5, vcc_lo
	s_or_b32 s10, s21, s10
	s_and_not1_b32 s11, s11, exec_lo
	s_and_b32 s4, s4, exec_lo
	s_delay_alu instid0(SALU_CYCLE_1)
	s_or_b32 s11, s11, s4
	s_and_not1_b32 exec_lo, exec_lo, s10
	s_cbranch_execz .LBB87_231
.LBB87_226:                             ;   Parent Loop BB87_37 Depth=1
                                        ; =>  This Inner Loop Header: Depth=2
	s_delay_alu instid0(VALU_DEP_1)
	v_cmp_gt_u64_e32 vcc_lo, s[24:25], v[6:7]
	v_mov_b32_e32 v8, 0
	s_and_saveexec_b32 s4, vcc_lo
	s_cbranch_execz .LBB87_228
; %bb.227:                              ;   in Loop: Header=BB87_226 Depth=2
	global_load_u8 v8, v[4:5], off
.LBB87_228:                             ;   in Loop: Header=BB87_226 Depth=2
	s_or_b32 exec_lo, exec_lo, s4
	s_and_saveexec_b32 s4, vcc_lo
	s_cbranch_execz .LBB87_225
; %bb.229:                              ;   in Loop: Header=BB87_226 Depth=2
	s_waitcnt vmcnt(0)
	v_bfe_i32 v9, v8, 0, 8
	s_delay_alu instid0(VALU_DEP_1) | instskip(NEXT) | instid1(VALU_DEP_1)
	v_add_nc_u32_e32 v9, 0x80, v9
	v_and_b32_e32 v9, s92, v9
	s_delay_alu instid0(VALU_DEP_1)
	v_cmp_eq_u32_e32 vcc_lo, s91, v9
	s_and_b32 exec_lo, exec_lo, vcc_lo
	s_cbranch_execz .LBB87_225
; %bb.230:                              ;   in Loop: Header=BB87_226 Depth=2
	v_lshlrev_b16 v8, 8, v8
	s_delay_alu instid0(VALU_DEP_1)
	v_or_b32_e32 v8, 1, v8
	ds_store_b16 v11, v8 offset:3072
	s_branch .LBB87_225
.LBB87_231:                             ;   in Loop: Header=BB87_37 Depth=1
	s_set_inst_prefetch_distance 0x2
	s_or_b32 exec_lo, exec_lo, s10
	v_lshrrev_b16 v36, 8, v8
	s_and_b32 s4, s11, exec_lo
.LBB87_232:                             ;   in Loop: Header=BB87_37 Depth=1
	s_or_b32 exec_lo, exec_lo, s5
	s_mov_b32 s21, -1
	s_mov_b32 s10, 0
	s_mov_b32 s11, 0
.LBB87_233:                             ;   in Loop: Header=BB87_37 Depth=1
	s_mov_b32 s5, 0
                                        ; implicit-def: $sgpr50
	s_and_saveexec_b32 s22, s4
	s_cbranch_execz .LBB87_295
; %bb.234:                              ;   in Loop: Header=BB87_37 Depth=1
	s_xor_b32 s4, s23, -1
	s_mov_b32 s50, 1
	s_and_not1_b32 vcc_lo, exec_lo, s4
	s_cbranch_vccnz .LBB87_245
; %bb.235:                              ;   in Loop: Header=BB87_37 Depth=1
	v_cmp_gt_u64_e64 s4, s[46:47], s[8:9]
                                        ; implicit-def: $sgpr50
                                        ; implicit-def: $sgpr5
                                        ; implicit-def: $sgpr23
	s_delay_alu instid0(VALU_DEP_1)
	s_and_b32 vcc_lo, exec_lo, s4
	s_mov_b32 s4, -1
	s_cbranch_vccnz .LBB87_241
; %bb.236:                              ;   in Loop: Header=BB87_37 Depth=1
	ds_load_b64 v[2:3], v11 offset:5120
	s_waitcnt lgkmcnt(0)
	v_cmp_ne_u64_e32 vcc_lo, 0, v[2:3]
	s_cbranch_vccnz .LBB87_240
; %bb.237:                              ;   in Loop: Header=BB87_37 Depth=1
	s_and_saveexec_b32 s4, s2
	s_cbranch_execz .LBB87_239
; %bb.238:                              ;   in Loop: Header=BB87_37 Depth=1
	v_dual_mov_b32 v2, s8 :: v_dual_mov_b32 v3, s9
	ds_store_b64 v11, v[2:3] offset:5128
.LBB87_239:                             ;   in Loop: Header=BB87_37 Depth=1
	s_or_b32 exec_lo, exec_lo, s4
	s_waitcnt lgkmcnt(0)
	s_barrier
	buffer_gl0_inv
.LBB87_240:                             ;   in Loop: Header=BB87_37 Depth=1
	s_lshl_b32 s4, 2, s17
	s_and_b32 s5, s91, s18
	s_or_b32 s23, s92, s16
	s_or_b32 s5, s5, s4
	s_mov_b32 s4, 0
	s_mov_b32 s50, 8
.LBB87_241:                             ;   in Loop: Header=BB87_37 Depth=1
	s_and_not1_b32 vcc_lo, exec_lo, s4
	s_cbranch_vccnz .LBB87_243
; %bb.242:                              ;   in Loop: Header=BB87_37 Depth=1
	s_sub_u32 s46, s46, s8
	s_subb_u32 s47, s47, s9
	s_mov_b32 s4, -1
	s_mov_b32 s50, 0
	s_mov_b32 s5, s91
	;; [unrolled: 1-line block ×3, first 2 shown]
.LBB87_243:                             ;   in Loop: Header=BB87_37 Depth=1
	s_delay_alu instid0(SALU_CYCLE_1)
	s_mov_b32 s92, s23
	s_mov_b32 s91, s5
	s_and_not1_b32 vcc_lo, exec_lo, s4
	s_mov_b32 s60, -1
	s_cbranch_vccz .LBB87_246
.LBB87_244:                             ;   in Loop: Header=BB87_37 Depth=1
                                        ; implicit-def: $sgpr8
                                        ; implicit-def: $sgpr18
                                        ; implicit-def: $sgpr9
	s_branch .LBB87_294
.LBB87_245:                             ;   in Loop: Header=BB87_37 Depth=1
	s_mov_b64 s[46:47], 1
	s_mov_b32 s60, -1
	s_cbranch_execnz .LBB87_244
.LBB87_246:                             ;   in Loop: Header=BB87_37 Depth=1
	s_cmp_eq_u64 s[6:7], 1
	s_mov_b32 s23, -1
	s_cselect_b32 s4, -1, 0
	s_cmp_eq_u64 s[46:47], 1
	s_cselect_b32 s5, -1, 0
	s_delay_alu instid0(SALU_CYCLE_1) | instskip(NEXT) | instid1(SALU_CYCLE_1)
	s_and_b32 s17, s4, s5
	s_and_b32 vcc_lo, exec_lo, s17
	s_cbranch_vccz .LBB87_261
; %bb.247:                              ;   in Loop: Header=BB87_37 Depth=1
	ds_load_b64 v[2:3], v11 offset:5120
	s_waitcnt lgkmcnt(0)
	s_barrier
	buffer_gl0_inv
	v_readfirstlane_b32 s8, v2
	v_readfirstlane_b32 s9, v3
	s_and_saveexec_b32 s4, s3
	s_cbranch_execz .LBB87_249
; %bb.248:                              ;   in Loop: Header=BB87_37 Depth=1
	ds_store_b8 v0, v11 offset:3072
.LBB87_249:                             ;   in Loop: Header=BB87_37 Depth=1
	s_or_b32 exec_lo, exec_lo, s4
	s_or_b32 s91, s91, s16
	s_or_b32 s92, s92, s16
	s_cmp_eq_u64 s[8:9], 0
	s_waitcnt lgkmcnt(0)
	s_barrier
	buffer_gl0_inv
	s_cbranch_scc1 .LBB87_264
; %bb.250:                              ;   in Loop: Header=BB87_37 Depth=1
	s_add_u32 s18, s74, s8
	s_addc_u32 s5, s75, s9
	s_mov_b32 s4, s51
	s_delay_alu instid0(SALU_CYCLE_1)
	s_cmp_lg_u64 s[4:5], 0
	s_cbranch_scc0 .LBB87_300
; %bb.251:                              ;   in Loop: Header=BB87_37 Depth=1
	v_cvt_f32_u32_e32 v2, s33
	s_sub_u32 s50, 0, s33
	s_subb_u32 s52, 0, 0
	s_delay_alu instid0(VALU_DEP_1) | instskip(NEXT) | instid1(VALU_DEP_1)
	v_fmac_f32_e64 v2, 0, 0x4f800000
	v_rcp_f32_e32 v2, v2
	s_waitcnt_depctr 0xfff
	v_mul_f32_e32 v2, 0x5f7ffffc, v2
	s_delay_alu instid0(VALU_DEP_1) | instskip(NEXT) | instid1(VALU_DEP_1)
	v_mul_f32_e32 v3, 0x2f800000, v2
	v_trunc_f32_e32 v3, v3
	s_delay_alu instid0(VALU_DEP_1) | instskip(SKIP_1) | instid1(VALU_DEP_2)
	v_fmac_f32_e32 v2, 0xcf800000, v3
	v_cvt_u32_f32_e32 v3, v3
	v_cvt_u32_f32_e32 v2, v2
	s_delay_alu instid0(VALU_DEP_2) | instskip(NEXT) | instid1(VALU_DEP_2)
	v_readfirstlane_b32 s4, v3
	v_readfirstlane_b32 s23, v2
	s_delay_alu instid0(VALU_DEP_2) | instskip(NEXT) | instid1(VALU_DEP_1)
	s_mul_i32 s60, s50, s4
	s_mul_hi_u32 s62, s50, s23
	s_mul_i32 s61, s52, s23
	s_add_i32 s60, s62, s60
	s_mul_i32 s63, s50, s23
	s_add_i32 s60, s60, s61
	s_mul_hi_u32 s62, s23, s63
	s_mul_hi_u32 s64, s4, s63
	s_mul_i32 s61, s4, s63
	s_mul_hi_u32 s63, s23, s60
	s_mul_i32 s23, s23, s60
	s_mul_hi_u32 s65, s4, s60
	s_add_u32 s23, s62, s23
	s_addc_u32 s62, 0, s63
	s_add_u32 s23, s23, s61
	s_mul_i32 s60, s4, s60
	s_addc_u32 s23, s62, s64
	s_addc_u32 s61, s65, 0
	s_add_u32 s23, s23, s60
	s_addc_u32 s60, 0, s61
	v_add_co_u32 v2, s23, v2, s23
	s_delay_alu instid0(VALU_DEP_1) | instskip(SKIP_1) | instid1(VALU_DEP_1)
	s_cmp_lg_u32 s23, 0
	s_addc_u32 s4, s4, s60
	v_readfirstlane_b32 s23, v2
	s_mul_i32 s60, s50, s4
	s_delay_alu instid0(VALU_DEP_1)
	s_mul_hi_u32 s61, s50, s23
	s_mul_i32 s52, s52, s23
	s_add_i32 s60, s61, s60
	s_mul_i32 s50, s50, s23
	s_add_i32 s60, s60, s52
	s_mul_hi_u32 s61, s4, s50
	s_mul_i32 s62, s4, s50
	s_mul_hi_u32 s50, s23, s50
	s_mul_hi_u32 s63, s23, s60
	s_mul_i32 s23, s23, s60
	s_mul_hi_u32 s52, s4, s60
	s_add_u32 s23, s50, s23
	s_addc_u32 s50, 0, s63
	s_add_u32 s23, s23, s62
	s_mul_i32 s60, s4, s60
	s_addc_u32 s23, s50, s61
	s_addc_u32 s50, s52, 0
	s_add_u32 s23, s23, s60
	s_addc_u32 s50, 0, s50
	v_add_co_u32 v2, s23, v2, s23
	s_delay_alu instid0(VALU_DEP_1) | instskip(SKIP_1) | instid1(VALU_DEP_1)
	s_cmp_lg_u32 s23, 0
	s_addc_u32 s4, s4, s50
	v_readfirstlane_b32 s23, v2
	s_mul_i32 s52, s18, s4
	s_mul_hi_u32 s50, s18, s4
	s_mul_hi_u32 s60, s5, s4
	s_mul_i32 s4, s5, s4
	s_mul_hi_u32 s61, s18, s23
	s_mul_hi_u32 s62, s5, s23
	s_mul_i32 s23, s5, s23
	s_add_u32 s52, s61, s52
	s_addc_u32 s50, 0, s50
	s_add_u32 s23, s52, s23
	s_addc_u32 s23, s50, s62
	s_addc_u32 s50, s60, 0
	s_add_u32 s4, s23, s4
	s_addc_u32 s23, 0, s50
	s_mul_hi_u32 s50, s33, s4
	s_mul_i32 s4, s33, s4
	s_mul_i32 s23, s33, s23
	v_sub_co_u32 v2, s4, s18, s4
	s_add_i32 s50, s50, s23
	s_cmp_lg_u32 s4, 0
	s_delay_alu instid0(VALU_DEP_1) | instskip(SKIP_2) | instid1(VALU_DEP_1)
	v_sub_co_u32 v3, s4, v2, s33
	s_subb_u32 s23, s5, s50
	s_cmp_lg_u32 s4, 0
	v_cmp_le_u32_e32 vcc_lo, s33, v3
	v_sub_co_u32 v4, s4, v3, s33
	s_subb_u32 s50, s23, 0
	s_cmp_lg_u32 s4, 0
	v_cndmask_b32_e64 v5, 0, -1, vcc_lo
	s_subb_u32 s4, s50, 0
	s_cmp_eq_u32 s50, 0
	v_mov_b32_e32 v7, s4
	s_cselect_b32 vcc_lo, -1, 0
	s_cmp_eq_u32 s23, 0
	v_cndmask_b32_e32 v5, -1, v5, vcc_lo
	v_cmp_le_u32_e32 vcc_lo, s33, v2
	s_cselect_b32 s4, -1, 0
	v_cndmask_b32_e64 v6, 0, -1, vcc_lo
	s_delay_alu instid0(VALU_DEP_3) | instskip(NEXT) | instid1(VALU_DEP_2)
	v_cmp_ne_u32_e32 vcc_lo, 0, v5
	v_cndmask_b32_e64 v5, -1, v6, s4
	v_cndmask_b32_e32 v6, s50, v7, vcc_lo
	v_cndmask_b32_e32 v4, v3, v4, vcc_lo
	s_delay_alu instid0(VALU_DEP_3) | instskip(NEXT) | instid1(VALU_DEP_3)
	v_cmp_ne_u32_e32 vcc_lo, 0, v5
	v_cndmask_b32_e32 v3, s23, v6, vcc_lo
	s_delay_alu instid0(VALU_DEP_3)
	v_cndmask_b32_e32 v2, v2, v4, vcc_lo
	s_cbranch_execnz .LBB87_253
.LBB87_252:                             ;   in Loop: Header=BB87_37 Depth=1
	v_cvt_f32_u32_e32 v2, s33
	s_sub_i32 s4, 0, s33
	s_delay_alu instid0(VALU_DEP_1) | instskip(SKIP_2) | instid1(VALU_DEP_1)
	v_rcp_iflag_f32_e32 v2, v2
	s_waitcnt_depctr 0xfff
	v_mul_f32_e32 v2, 0x4f7ffffe, v2
	v_cvt_u32_f32_e32 v2, v2
	s_delay_alu instid0(VALU_DEP_1) | instskip(NEXT) | instid1(VALU_DEP_1)
	v_mul_lo_u32 v3, s4, v2
	v_mul_hi_u32 v3, v2, v3
	s_delay_alu instid0(VALU_DEP_1) | instskip(NEXT) | instid1(VALU_DEP_1)
	v_add_nc_u32_e32 v2, v2, v3
	v_mul_hi_u32 v2, s18, v2
	s_delay_alu instid0(VALU_DEP_1) | instskip(NEXT) | instid1(VALU_DEP_1)
	v_mul_lo_u32 v2, v2, s33
	v_sub_nc_u32_e32 v2, s18, v2
	s_delay_alu instid0(VALU_DEP_1) | instskip(SKIP_1) | instid1(VALU_DEP_2)
	v_subrev_nc_u32_e32 v3, s33, v2
	v_cmp_le_u32_e32 vcc_lo, s33, v2
	v_cndmask_b32_e32 v2, v2, v3, vcc_lo
	s_delay_alu instid0(VALU_DEP_1) | instskip(SKIP_1) | instid1(VALU_DEP_2)
	v_subrev_nc_u32_e32 v3, s33, v2
	v_cmp_le_u32_e32 vcc_lo, s33, v2
	v_cndmask_b32_e32 v10, v2, v3, vcc_lo
	s_delay_alu instid0(VALU_DEP_1)
	v_dual_mov_b32 v2, v10 :: v_dual_mov_b32 v3, v11
.LBB87_253:                             ;   in Loop: Header=BB87_37 Depth=1
	s_delay_alu instid0(VALU_DEP_1) | instskip(NEXT) | instid1(VALU_DEP_2)
	v_sub_co_u32 v2, vcc_lo, s18, v2
	v_sub_co_ci_u32_e32 v3, vcc_lo, s5, v3, vcc_lo
	s_mov_b32 s23, 0
	s_mov_b32 s5, exec_lo
                                        ; implicit-def: $vgpr36
	s_delay_alu instid0(VALU_DEP_1)
	v_cmpx_gt_u64_e64 v[2:3], v[0:1]
	s_cbranch_execz .LBB87_266
; %bb.254:                              ;   in Loop: Header=BB87_37 Depth=1
	v_dual_mov_b32 v6, v0 :: v_dual_mov_b32 v5, v1
	v_mov_b32_e32 v4, v0
	s_mov_b32 s18, 0
                                        ; implicit-def: $sgpr23
	s_set_inst_prefetch_distance 0x1
	s_branch .LBB87_256
	.p2align	6
.LBB87_255:                             ;   in Loop: Header=BB87_256 Depth=2
	s_or_b32 exec_lo, exec_lo, s4
	s_waitcnt lgkmcnt(0)
	s_barrier
	buffer_gl0_inv
	ds_load_u16 v7, v11 offset:3072
	v_add_co_u32 v4, vcc_lo, v4, s33
	v_add_co_ci_u32_e32 v5, vcc_lo, 0, v5, vcc_lo
	v_add_nc_u32_e32 v6, s33, v6
	s_waitcnt lgkmcnt(0)
	s_barrier
	s_delay_alu instid0(VALU_DEP_2) | instskip(SKIP_2) | instid1(VALU_DEP_1)
	v_cmp_ge_u64_e32 vcc_lo, v[4:5], v[2:3]
	buffer_gl0_inv
	v_and_b32_e32 v8, 0xff, v7
	v_cmp_ne_u16_e64 s4, 0, v8
	s_delay_alu instid0(VALU_DEP_1) | instskip(NEXT) | instid1(SALU_CYCLE_1)
	s_or_b32 s50, vcc_lo, s4
	s_and_b32 s50, exec_lo, s50
	s_delay_alu instid0(SALU_CYCLE_1) | instskip(SKIP_2) | instid1(SALU_CYCLE_1)
	s_or_b32 s18, s50, s18
	s_and_not1_b32 s23, s23, exec_lo
	s_and_b32 s4, s4, exec_lo
	s_or_b32 s23, s23, s4
	s_and_not1_b32 exec_lo, exec_lo, s18
	s_cbranch_execz .LBB87_265
.LBB87_256:                             ;   Parent Loop BB87_37 Depth=1
                                        ; =>  This Inner Loop Header: Depth=2
	s_delay_alu instid0(VALU_DEP_1)
	v_cmp_gt_u64_e32 vcc_lo, s[8:9], v[4:5]
	v_mov_b32_e32 v7, 0
	s_and_saveexec_b32 s4, vcc_lo
	s_cbranch_execz .LBB87_258
; %bb.257:                              ;   in Loop: Header=BB87_256 Depth=2
	ds_load_u8 v7, v6
.LBB87_258:                             ;   in Loop: Header=BB87_256 Depth=2
	s_or_b32 exec_lo, exec_lo, s4
	s_and_saveexec_b32 s4, vcc_lo
	s_cbranch_execz .LBB87_255
; %bb.259:                              ;   in Loop: Header=BB87_256 Depth=2
	s_waitcnt lgkmcnt(0)
	v_bfe_i32 v8, v7, 0, 8
	s_delay_alu instid0(VALU_DEP_1) | instskip(NEXT) | instid1(VALU_DEP_1)
	v_add_nc_u32_e32 v8, 0x80, v8
	v_and_b32_e32 v8, s92, v8
	s_delay_alu instid0(VALU_DEP_1)
	v_cmp_eq_u32_e32 vcc_lo, s91, v8
	s_and_b32 exec_lo, exec_lo, vcc_lo
	s_cbranch_execz .LBB87_255
; %bb.260:                              ;   in Loop: Header=BB87_256 Depth=2
	v_lshlrev_b16 v7, 8, v7
	s_delay_alu instid0(VALU_DEP_1)
	v_or_b32_e32 v7, 1, v7
	ds_store_b16 v11, v7 offset:3072
	s_branch .LBB87_255
.LBB87_261:                             ;   in Loop: Header=BB87_37 Depth=1
                                        ; implicit-def: $sgpr8
                                        ; implicit-def: $sgpr18
                                        ; implicit-def: $sgpr9
	s_branch .LBB87_280
.LBB87_262:                             ;   in Loop: Header=BB87_37 Depth=1
                                        ; implicit-def: $vgpr2_vgpr3
	s_branch .LBB87_205
.LBB87_263:                             ;   in Loop: Header=BB87_37 Depth=1
                                        ; implicit-def: $vgpr2_vgpr3
	s_branch .LBB87_222
.LBB87_264:                             ;   in Loop: Header=BB87_37 Depth=1
	s_mov_b32 s8, -1
	s_mov_b32 s23, 0
                                        ; implicit-def: $sgpr9
                                        ; implicit-def: $vgpr36
	s_mov_b32 s18, s8
	s_cbranch_execnz .LBB87_267
	s_branch .LBB87_280
.LBB87_265:                             ;   in Loop: Header=BB87_37 Depth=1
	s_set_inst_prefetch_distance 0x2
	s_or_b32 exec_lo, exec_lo, s18
	v_lshrrev_b16 v36, 8, v7
	s_and_b32 s23, s23, exec_lo
.LBB87_266:                             ;   in Loop: Header=BB87_37 Depth=1
	s_or_b32 exec_lo, exec_lo, s5
	s_mov_b32 s9, -1
	s_mov_b32 s8, 0
	s_delay_alu instid0(SALU_CYCLE_1)
	s_mov_b32 s18, s8
	s_branch .LBB87_280
.LBB87_267:                             ;   in Loop: Header=BB87_37 Depth=1
	s_mov_b32 s52, s51
	s_delay_alu instid0(SALU_CYCLE_1)
	s_cmp_lg_u64 s[52:53], 0
	s_cbranch_scc0 .LBB87_301
; %bb.268:                              ;   in Loop: Header=BB87_37 Depth=1
	v_cvt_f32_u32_e32 v2, s33
	s_sub_u32 s8, 0, s33
	s_subb_u32 s9, 0, 0
	s_delay_alu instid0(VALU_DEP_1) | instskip(NEXT) | instid1(VALU_DEP_1)
	v_fmac_f32_e64 v2, 0, 0x4f800000
	v_rcp_f32_e32 v2, v2
	s_waitcnt_depctr 0xfff
	v_mul_f32_e32 v2, 0x5f7ffffc, v2
	s_delay_alu instid0(VALU_DEP_1) | instskip(NEXT) | instid1(VALU_DEP_1)
	v_mul_f32_e32 v3, 0x2f800000, v2
	v_trunc_f32_e32 v3, v3
	s_delay_alu instid0(VALU_DEP_1) | instskip(SKIP_1) | instid1(VALU_DEP_2)
	v_fmac_f32_e32 v2, 0xcf800000, v3
	v_cvt_u32_f32_e32 v3, v3
	v_cvt_u32_f32_e32 v2, v2
	s_delay_alu instid0(VALU_DEP_2) | instskip(NEXT) | instid1(VALU_DEP_2)
	v_readfirstlane_b32 s4, v3
	v_readfirstlane_b32 s5, v2
	s_delay_alu instid0(VALU_DEP_2) | instskip(NEXT) | instid1(VALU_DEP_1)
	s_mul_i32 s18, s8, s4
	s_mul_hi_u32 s50, s8, s5
	s_mul_i32 s23, s9, s5
	s_add_i32 s18, s50, s18
	s_mul_i32 s52, s8, s5
	s_add_i32 s18, s18, s23
	s_mul_hi_u32 s50, s5, s52
	s_mul_hi_u32 s60, s4, s52
	s_mul_i32 s23, s4, s52
	s_mul_hi_u32 s52, s5, s18
	s_mul_i32 s5, s5, s18
	s_mul_hi_u32 s61, s4, s18
	s_add_u32 s5, s50, s5
	s_addc_u32 s50, 0, s52
	s_add_u32 s5, s5, s23
	s_mul_i32 s18, s4, s18
	s_addc_u32 s5, s50, s60
	s_addc_u32 s23, s61, 0
	s_add_u32 s5, s5, s18
	s_addc_u32 s18, 0, s23
	v_add_co_u32 v2, s5, v2, s5
	s_delay_alu instid0(VALU_DEP_1) | instskip(SKIP_1) | instid1(VALU_DEP_1)
	s_cmp_lg_u32 s5, 0
	s_addc_u32 s4, s4, s18
	v_readfirstlane_b32 s5, v2
	s_mul_i32 s18, s8, s4
	s_delay_alu instid0(VALU_DEP_1)
	s_mul_hi_u32 s23, s8, s5
	s_mul_i32 s9, s9, s5
	s_add_i32 s18, s23, s18
	s_mul_i32 s8, s8, s5
	s_add_i32 s18, s18, s9
	s_mul_hi_u32 s23, s4, s8
	s_mul_i32 s50, s4, s8
	s_mul_hi_u32 s8, s5, s8
	s_mul_hi_u32 s52, s5, s18
	s_mul_i32 s5, s5, s18
	s_mul_hi_u32 s9, s4, s18
	s_add_u32 s5, s8, s5
	s_addc_u32 s8, 0, s52
	s_add_u32 s5, s5, s50
	s_mul_i32 s18, s4, s18
	s_addc_u32 s5, s8, s23
	s_addc_u32 s8, s9, 0
	s_add_u32 s5, s5, s18
	s_addc_u32 s8, 0, s8
	v_add_co_u32 v2, s5, v2, s5
	s_delay_alu instid0(VALU_DEP_1) | instskip(SKIP_1) | instid1(VALU_DEP_1)
	s_cmp_lg_u32 s5, 0
	s_addc_u32 s4, s4, s8
	v_readfirstlane_b32 s5, v2
	s_mul_i32 s9, s76, s4
	s_mul_hi_u32 s8, s76, s4
	s_mul_hi_u32 s18, s53, s4
	s_mul_i32 s4, s53, s4
	s_mul_hi_u32 s23, s76, s5
	s_mul_hi_u32 s50, s53, s5
	s_mul_i32 s5, s53, s5
	s_add_u32 s9, s23, s9
	s_addc_u32 s8, 0, s8
	s_add_u32 s5, s9, s5
	s_addc_u32 s5, s8, s50
	s_addc_u32 s8, s18, 0
	s_add_u32 s4, s5, s4
	s_addc_u32 s5, 0, s8
	s_mul_hi_u32 s8, s33, s4
	s_mul_i32 s4, s33, s4
	s_mul_i32 s5, s33, s5
	v_sub_co_u32 v2, s4, s76, s4
	s_add_i32 s8, s8, s5
	s_cmp_lg_u32 s4, 0
	s_delay_alu instid0(VALU_DEP_1) | instskip(SKIP_2) | instid1(VALU_DEP_1)
	v_sub_co_u32 v3, s4, v2, s33
	s_subb_u32 s5, s53, s8
	s_cmp_lg_u32 s4, 0
	v_cmp_le_u32_e32 vcc_lo, s33, v3
	v_sub_co_u32 v4, s4, v3, s33
	s_subb_u32 s8, s5, 0
	s_cmp_lg_u32 s4, 0
	v_cndmask_b32_e64 v5, 0, -1, vcc_lo
	s_subb_u32 s4, s8, 0
	s_cmp_eq_u32 s8, 0
	v_mov_b32_e32 v7, s4
	s_cselect_b32 vcc_lo, -1, 0
	s_cmp_eq_u32 s5, 0
	v_cndmask_b32_e32 v5, -1, v5, vcc_lo
	v_cmp_le_u32_e32 vcc_lo, s33, v2
	s_cselect_b32 s4, -1, 0
	v_cndmask_b32_e64 v6, 0, -1, vcc_lo
	s_delay_alu instid0(VALU_DEP_3) | instskip(NEXT) | instid1(VALU_DEP_2)
	v_cmp_ne_u32_e32 vcc_lo, 0, v5
	v_cndmask_b32_e64 v5, -1, v6, s4
	v_cndmask_b32_e32 v6, s8, v7, vcc_lo
	v_cndmask_b32_e32 v4, v3, v4, vcc_lo
	s_delay_alu instid0(VALU_DEP_3) | instskip(NEXT) | instid1(VALU_DEP_3)
	v_cmp_ne_u32_e32 vcc_lo, 0, v5
	v_cndmask_b32_e32 v3, s5, v6, vcc_lo
	s_delay_alu instid0(VALU_DEP_3)
	v_cndmask_b32_e32 v2, v2, v4, vcc_lo
	s_cbranch_execnz .LBB87_270
.LBB87_269:                             ;   in Loop: Header=BB87_37 Depth=1
	v_cvt_f32_u32_e32 v2, s33
	s_sub_i32 s4, 0, s33
	s_delay_alu instid0(VALU_DEP_1) | instskip(SKIP_2) | instid1(VALU_DEP_1)
	v_rcp_iflag_f32_e32 v2, v2
	s_waitcnt_depctr 0xfff
	v_mul_f32_e32 v2, 0x4f7ffffe, v2
	v_cvt_u32_f32_e32 v2, v2
	s_delay_alu instid0(VALU_DEP_1) | instskip(NEXT) | instid1(VALU_DEP_1)
	v_mul_lo_u32 v3, s4, v2
	v_mul_hi_u32 v3, v2, v3
	s_delay_alu instid0(VALU_DEP_1) | instskip(NEXT) | instid1(VALU_DEP_1)
	v_add_nc_u32_e32 v2, v2, v3
	v_mul_hi_u32 v2, s76, v2
	s_delay_alu instid0(VALU_DEP_1) | instskip(NEXT) | instid1(VALU_DEP_1)
	v_mul_lo_u32 v2, v2, s33
	v_sub_nc_u32_e32 v2, s76, v2
	s_delay_alu instid0(VALU_DEP_1) | instskip(SKIP_1) | instid1(VALU_DEP_2)
	v_subrev_nc_u32_e32 v3, s33, v2
	v_cmp_le_u32_e32 vcc_lo, s33, v2
	v_cndmask_b32_e32 v2, v2, v3, vcc_lo
	s_delay_alu instid0(VALU_DEP_1) | instskip(SKIP_1) | instid1(VALU_DEP_2)
	v_subrev_nc_u32_e32 v3, s33, v2
	v_cmp_le_u32_e32 vcc_lo, s33, v2
	v_cndmask_b32_e32 v10, v2, v3, vcc_lo
	s_delay_alu instid0(VALU_DEP_1)
	v_dual_mov_b32 v2, v10 :: v_dual_mov_b32 v3, v11
.LBB87_270:                             ;   in Loop: Header=BB87_37 Depth=1
	s_delay_alu instid0(VALU_DEP_1) | instskip(NEXT) | instid1(VALU_DEP_2)
	v_sub_co_u32 v2, vcc_lo, s76, v2
	v_sub_co_ci_u32_e32 v3, vcc_lo, s53, v3, vcc_lo
	s_mov_b32 s23, 0
	s_mov_b32 s5, exec_lo
                                        ; implicit-def: $vgpr36
	s_delay_alu instid0(VALU_DEP_1)
	v_cmpx_gt_u64_e64 v[2:3], v[0:1]
	s_cbranch_execz .LBB87_279
; %bb.271:                              ;   in Loop: Header=BB87_37 Depth=1
	v_dual_mov_b32 v4, v12 :: v_dual_mov_b32 v5, v13
	v_dual_mov_b32 v7, v1 :: v_dual_mov_b32 v6, v0
	s_mov_b32 s8, 0
                                        ; implicit-def: $sgpr9
	s_set_inst_prefetch_distance 0x1
	s_branch .LBB87_273
	.p2align	6
.LBB87_272:                             ;   in Loop: Header=BB87_273 Depth=2
	s_or_b32 exec_lo, exec_lo, s4
	s_waitcnt vmcnt(0) lgkmcnt(0)
	s_barrier
	buffer_gl0_inv
	ds_load_u16 v8, v11 offset:3072
	v_add_co_u32 v6, vcc_lo, v6, s33
	v_add_co_ci_u32_e32 v7, vcc_lo, 0, v7, vcc_lo
	s_waitcnt lgkmcnt(0)
	s_barrier
	buffer_gl0_inv
	v_cmp_ge_u64_e32 vcc_lo, v[6:7], v[2:3]
	v_and_b32_e32 v9, 0xff, v8
	s_delay_alu instid0(VALU_DEP_1) | instskip(NEXT) | instid1(VALU_DEP_1)
	v_cmp_ne_u16_e64 s4, 0, v9
	s_or_b32 s18, vcc_lo, s4
	v_add_co_u32 v4, vcc_lo, v4, s71
	s_and_b32 s18, exec_lo, s18
	v_add_co_ci_u32_e32 v5, vcc_lo, s70, v5, vcc_lo
	s_or_b32 s8, s18, s8
	s_and_not1_b32 s9, s9, exec_lo
	s_and_b32 s4, s4, exec_lo
	s_delay_alu instid0(SALU_CYCLE_1)
	s_or_b32 s9, s9, s4
	s_and_not1_b32 exec_lo, exec_lo, s8
	s_cbranch_execz .LBB87_278
.LBB87_273:                             ;   Parent Loop BB87_37 Depth=1
                                        ; =>  This Inner Loop Header: Depth=2
	s_delay_alu instid0(VALU_DEP_1)
	v_cmp_gt_u64_e32 vcc_lo, s[24:25], v[6:7]
	v_mov_b32_e32 v8, 0
	s_and_saveexec_b32 s4, vcc_lo
	s_cbranch_execz .LBB87_275
; %bb.274:                              ;   in Loop: Header=BB87_273 Depth=2
	global_load_u8 v8, v[4:5], off
.LBB87_275:                             ;   in Loop: Header=BB87_273 Depth=2
	s_or_b32 exec_lo, exec_lo, s4
	s_and_saveexec_b32 s4, vcc_lo
	s_cbranch_execz .LBB87_272
; %bb.276:                              ;   in Loop: Header=BB87_273 Depth=2
	s_waitcnt vmcnt(0)
	v_bfe_i32 v9, v8, 0, 8
	s_delay_alu instid0(VALU_DEP_1) | instskip(NEXT) | instid1(VALU_DEP_1)
	v_add_nc_u32_e32 v9, 0x80, v9
	v_and_b32_e32 v9, s92, v9
	s_delay_alu instid0(VALU_DEP_1)
	v_cmp_eq_u32_e32 vcc_lo, s91, v9
	s_and_b32 exec_lo, exec_lo, vcc_lo
	s_cbranch_execz .LBB87_272
; %bb.277:                              ;   in Loop: Header=BB87_273 Depth=2
	v_lshlrev_b16 v8, 8, v8
	s_delay_alu instid0(VALU_DEP_1)
	v_or_b32_e32 v8, 1, v8
	ds_store_b16 v11, v8 offset:3072
	s_branch .LBB87_272
.LBB87_278:                             ;   in Loop: Header=BB87_37 Depth=1
	s_set_inst_prefetch_distance 0x2
	s_or_b32 exec_lo, exec_lo, s8
	v_lshrrev_b16 v36, 8, v8
	s_and_b32 s23, s9, exec_lo
.LBB87_279:                             ;   in Loop: Header=BB87_37 Depth=1
	s_or_b32 exec_lo, exec_lo, s5
	s_mov_b32 s18, -1
	s_mov_b32 s8, 0
	s_mov_b32 s9, 0
.LBB87_280:                             ;   in Loop: Header=BB87_37 Depth=1
	s_mov_b32 s60, 0
                                        ; implicit-def: $sgpr50
                                        ; implicit-def: $sgpr4_sgpr5
	s_and_saveexec_b32 s52, s23
	s_cbranch_execz .LBB87_293
; %bb.281:                              ;   in Loop: Header=BB87_37 Depth=1
	s_xor_b32 s17, s17, -1
	s_mov_b64 s[4:5], 1
	s_and_not1_b32 vcc_lo, exec_lo, s17
	s_mov_b32 s50, 1
	s_cbranch_vccnz .LBB87_292
; %bb.282:                              ;   in Loop: Header=BB87_37 Depth=1
	v_cmp_gt_u64_e64 s4, s[46:47], s[6:7]
	s_delay_alu instid0(VALU_DEP_1)
	s_and_b32 vcc_lo, exec_lo, s4
	s_cbranch_vccnz .LBB87_288
; %bb.283:                              ;   in Loop: Header=BB87_37 Depth=1
	ds_load_b64 v[2:3], v11 offset:5120
	s_waitcnt lgkmcnt(0)
	v_cmp_ne_u64_e32 vcc_lo, 0, v[2:3]
	s_cbranch_vccnz .LBB87_287
; %bb.284:                              ;   in Loop: Header=BB87_37 Depth=1
	s_and_saveexec_b32 s4, s2
	s_cbranch_execz .LBB87_286
; %bb.285:                              ;   in Loop: Header=BB87_37 Depth=1
	v_dual_mov_b32 v2, s6 :: v_dual_mov_b32 v3, s7
	ds_store_b64 v11, v[2:3] offset:5128
.LBB87_286:                             ;   in Loop: Header=BB87_37 Depth=1
	s_or_b32 exec_lo, exec_lo, s4
	s_waitcnt lgkmcnt(0)
	s_barrier
	buffer_gl0_inv
.LBB87_287:                             ;   in Loop: Header=BB87_37 Depth=1
	s_or_b32 s17, s91, s16
	s_or_b32 s16, s92, s16
	s_mov_b32 s4, 0
	s_mov_b32 s50, 8
	s_branch .LBB87_289
.LBB87_288:                             ;   in Loop: Header=BB87_37 Depth=1
	s_mov_b32 s4, -1
                                        ; implicit-def: $sgpr50
                                        ; implicit-def: $sgpr17
                                        ; implicit-def: $sgpr16
.LBB87_289:                             ;   in Loop: Header=BB87_37 Depth=1
	s_delay_alu instid0(SALU_CYCLE_1)
	s_and_not1_b32 vcc_lo, exec_lo, s4
	s_cbranch_vccnz .LBB87_291
; %bb.290:                              ;   in Loop: Header=BB87_37 Depth=1
	s_sub_u32 s46, s46, s6
	s_subb_u32 s47, s47, s7
	s_mov_b32 s50, 8
	s_mov_b32 s17, s91
	;; [unrolled: 1-line block ×3, first 2 shown]
.LBB87_291:                             ;   in Loop: Header=BB87_37 Depth=1
	s_mov_b64 s[4:5], s[46:47]
	s_mov_b32 s91, s17
	s_mov_b32 s92, s16
.LBB87_292:                             ;   in Loop: Header=BB87_37 Depth=1
	s_mov_b32 s60, exec_lo
.LBB87_293:                             ;   in Loop: Header=BB87_37 Depth=1
	s_or_b32 exec_lo, exec_lo, s52
	s_mov_b64 s[46:47], s[4:5]
.LBB87_294:                             ;   in Loop: Header=BB87_37 Depth=1
	s_and_not1_b32 s4, s10, exec_lo
	s_and_b32 s5, s8, exec_lo
	s_and_not1_b32 s6, s11, exec_lo
	s_or_b32 s10, s4, s5
	s_and_not1_b32 s4, s21, exec_lo
	s_and_b32 s5, s18, exec_lo
	s_and_b32 s7, s9, exec_lo
	s_or_b32 s21, s4, s5
	s_or_b32 s11, s6, s7
	s_and_b32 s5, s60, exec_lo
.LBB87_295:                             ;   in Loop: Header=BB87_37 Depth=1
	s_or_b32 exec_lo, exec_lo, s22
.LBB87_296:                             ;   in Loop: Header=BB87_37 Depth=1
	s_delay_alu instid0(SALU_CYCLE_1)
	s_and_not1_b32 s4, s13, exec_lo
	s_and_b32 s6, s10, exec_lo
	s_and_not1_b32 s7, s12, exec_lo
	s_or_b32 s13, s4, s6
	s_and_not1_b32 s4, s19, exec_lo
	s_and_b32 s6, s21, exec_lo
	s_and_b32 s8, s11, exec_lo
	s_or_b32 s19, s4, s6
	s_or_b32 s12, s7, s8
	s_and_b32 s5, s5, exec_lo
.LBB87_297:                             ;   in Loop: Header=BB87_37 Depth=1
	s_or_b32 exec_lo, exec_lo, s20
	s_and_saveexec_b32 s4, s5
	s_delay_alu instid0(SALU_CYCLE_1)
	s_xor_b32 s4, exec_lo, s4
	s_cbranch_execz .LBB87_35
.LBB87_298:                             ;   in Loop: Header=BB87_37 Depth=1
	s_and_b32 s5, s50, -9
	s_delay_alu instid0(SALU_CYCLE_1)
	s_cmp_eq_u32 s5, 0
	s_cbranch_scc1 .LBB87_33
; %bb.299:                              ;   in Loop: Header=BB87_37 Depth=1
	s_mov_b32 s5, -1
	s_mov_b32 s6, -1
                                        ; implicit-def: $sgpr92
                                        ; implicit-def: $sgpr46_sgpr47
                                        ; implicit-def: $sgpr82
                                        ; implicit-def: $sgpr89
	s_branch .LBB87_34
.LBB87_300:                             ;   in Loop: Header=BB87_37 Depth=1
                                        ; implicit-def: $vgpr2_vgpr3
	s_branch .LBB87_252
.LBB87_301:                             ;   in Loop: Header=BB87_37 Depth=1
                                        ; implicit-def: $vgpr2_vgpr3
	s_branch .LBB87_269
.LBB87_302:
	s_or_b32 exec_lo, exec_lo, s83
	s_xor_b32 s4, s86, -1
	s_xor_b32 s1, s84, -1
	;; [unrolled: 1-line block ×3, first 2 shown]
	s_mov_b32 s2, 0
	s_and_saveexec_b32 s5, s1
	s_delay_alu instid0(SALU_CYCLE_1)
	s_xor_b32 s1, exec_lo, s5
	s_cbranch_execz .LBB87_316
; %bb.303:
	s_and_saveexec_b32 s2, s4
	s_delay_alu instid0(SALU_CYCLE_1)
	s_xor_b32 s2, exec_lo, s2
	s_cbranch_execz .LBB87_314
; %bb.304:
	s_and_saveexec_b32 s4, s3
	s_delay_alu instid0(SALU_CYCLE_1)
	s_xor_b32 s3, exec_lo, s4
; %bb.305:
	v_xor_b32_e32 v36, 0xffffff80, v2
; %bb.306:
	s_or_b32 exec_lo, exec_lo, s3
	s_mul_i32 s3, s36, s35
	s_mul_hi_u32 s4, s36, s34
	s_mul_i32 s5, s36, s34
	s_add_i32 s3, s4, s3
	s_mul_i32 s4, s37, s34
	v_mov_b32_e32 v2, 0
	s_add_i32 s3, s3, s4
	s_add_u32 s4, s44, s5
	s_addc_u32 s3, s45, s3
	s_add_u32 s4, s4, s26
	s_addc_u32 s5, s3, s27
	global_store_b8 v2, v36, s[4:5]
	s_and_saveexec_b32 s3, s0
	s_cbranch_execz .LBB87_313
; %bb.307:
	v_and_b32_e32 v4, 0xff, v36
	s_mov_b32 s4, 0
                                        ; implicit-def: $sgpr5
                                        ; implicit-def: $sgpr7
                                        ; implicit-def: $sgpr6
	s_set_inst_prefetch_distance 0x1
	s_branch .LBB87_309
	.p2align	6
.LBB87_308:                             ;   in Loop: Header=BB87_309 Depth=1
	s_or_b32 exec_lo, exec_lo, s8
	s_delay_alu instid0(SALU_CYCLE_1) | instskip(NEXT) | instid1(SALU_CYCLE_1)
	s_and_b32 s0, exec_lo, s7
	s_or_b32 s4, s0, s4
	s_and_not1_b32 s0, s5, exec_lo
	s_and_b32 s5, s6, exec_lo
	s_delay_alu instid0(SALU_CYCLE_1)
	s_or_b32 s5, s0, s5
	s_and_not1_b32 exec_lo, exec_lo, s4
	s_cbranch_execz .LBB87_311
.LBB87_309:                             ; =>This Inner Loop Header: Depth=1
	global_load_u8 v5, v[12:13], off
	v_dual_mov_b32 v3, v1 :: v_dual_mov_b32 v2, v0
	s_or_b32 s6, s6, exec_lo
	s_or_b32 s7, s7, exec_lo
	s_mov_b32 s8, exec_lo
                                        ; implicit-def: $vgpr0_vgpr1
	s_waitcnt vmcnt(0)
	v_cmpx_ne_u16_e64 v5, v4
	s_cbranch_execz .LBB87_308
; %bb.310:                              ;   in Loop: Header=BB87_309 Depth=1
	v_add_co_u32 v0, vcc_lo, v2, s33
	v_add_co_ci_u32_e32 v1, vcc_lo, 0, v3, vcc_lo
	v_add_co_u32 v12, s0, v12, s71
	s_delay_alu instid0(VALU_DEP_1) | instskip(NEXT) | instid1(VALU_DEP_3)
	v_add_co_ci_u32_e64 v13, s0, s70, v13, s0
	v_cmp_le_u64_e32 vcc_lo, s[24:25], v[0:1]
	s_and_not1_b32 s0, s7, exec_lo
	s_and_not1_b32 s6, s6, exec_lo
	s_and_b32 s7, vcc_lo, exec_lo
	s_delay_alu instid0(SALU_CYCLE_1)
	s_or_b32 s7, s0, s7
	s_branch .LBB87_308
.LBB87_311:
	s_set_inst_prefetch_distance 0x2
	s_or_b32 exec_lo, exec_lo, s4
	s_and_saveexec_b32 s0, s5
	s_delay_alu instid0(SALU_CYCLE_1)
	s_xor_b32 s0, exec_lo, s0
	s_cbranch_execz .LBB87_313
; %bb.312:
	s_mul_i32 s0, s40, s39
	s_mul_hi_u32 s4, s40, s38
	s_mul_i32 s5, s41, s38
	s_add_i32 s0, s4, s0
	s_mul_i32 s4, s40, s38
	s_add_i32 s5, s0, s5
	v_mov_b32_e32 v0, 0
	s_lshl_b64 s[4:5], s[4:5], 3
	s_delay_alu instid0(SALU_CYCLE_1) | instskip(SKIP_2) | instid1(SALU_CYCLE_1)
	s_add_u32 s0, s42, s4
	s_addc_u32 s6, s43, s5
	s_lshl_b64 s[4:5], s[30:31], 3
	s_add_u32 s4, s0, s4
	s_addc_u32 s5, s6, s5
	global_store_b64 v0, v[2:3], s[4:5]
.LBB87_313:
	s_or_b32 exec_lo, exec_lo, s3
.LBB87_314:
	s_or_saveexec_b32 s0, s2
	s_mov_b32 s2, 0
	s_xor_b32 exec_lo, exec_lo, s0
	s_cbranch_execnz .LBB87_322
.LBB87_315:
	s_or_b32 exec_lo, exec_lo, s0
	s_delay_alu instid0(SALU_CYCLE_1)
	s_and_b32 s2, s2, exec_lo
.LBB87_316:
	s_and_not1_saveexec_b32 s0, s1
	s_cbranch_execnz .LBB87_320
; %bb.317:
	s_or_b32 exec_lo, exec_lo, s0
	s_and_saveexec_b32 s0, s2
.LBB87_318:
	; divergent unreachable
.LBB87_319:
	s_nop 0
	s_sendmsg sendmsg(MSG_DEALLOC_VGPRS)
	s_endpgm
.LBB87_320:
	s_cbranch_execnz .LBB87_324
; %bb.321:
	s_or_b32 s2, s2, exec_lo
	s_or_b32 exec_lo, exec_lo, s0
	s_and_saveexec_b32 s0, s2
	s_cbranch_execnz .LBB87_318
	s_branch .LBB87_319
.LBB87_322:
	s_cbranch_execnz .LBB87_326
; %bb.323:
	s_mov_b32 s2, exec_lo
	s_branch .LBB87_315
.LBB87_324:
	s_trap 2
	s_sendmsg_rtn_b32 s0, sendmsg(MSG_RTN_GET_DOORBELL)
	s_mov_b32 ttmp2, m0
	s_waitcnt lgkmcnt(0)
	s_and_b32 s0, s0, 0x3ff
	s_delay_alu instid0(SALU_CYCLE_1) | instskip(NEXT) | instid1(SALU_CYCLE_1)
	s_bitset1_b32 s0, 10
	s_mov_b32 m0, s0
	s_sendmsg sendmsg(MSG_INTERRUPT)
	s_mov_b32 m0, ttmp2
.LBB87_325:                             ; =>This Inner Loop Header: Depth=1
	s_sethalt 5
	s_branch .LBB87_325
.LBB87_326:
	s_trap 2
	s_sendmsg_rtn_b32 s0, sendmsg(MSG_RTN_GET_DOORBELL)
	s_mov_b32 ttmp2, m0
	s_waitcnt lgkmcnt(0)
	s_and_b32 s0, s0, 0x3ff
	s_delay_alu instid0(SALU_CYCLE_1) | instskip(NEXT) | instid1(SALU_CYCLE_1)
	s_bitset1_b32 s0, 10
	s_mov_b32 m0, s0
	s_sendmsg sendmsg(MSG_INTERRUPT)
	s_mov_b32 m0, ttmp2
.LBB87_327:                             ; =>This Inner Loop Header: Depth=1
	s_sethalt 5
	s_branch .LBB87_327
	.section	.rodata,"a",@progbits
	.p2align	6, 0x0
	.amdhsa_kernel _ZN2at6native12_GLOBAL__N_112gatherMedianIamLin1EEEvNS_4cuda6detail10TensorInfoIT_T0_EENS5_IlS7_EENS5_IKS6_S7_EES7_S7_S7_b
		.amdhsa_group_segment_fixed_size 5152
		.amdhsa_private_segment_fixed_size 0
		.amdhsa_kernarg_size 1536
		.amdhsa_user_sgpr_count 13
		.amdhsa_user_sgpr_dispatch_ptr 0
		.amdhsa_user_sgpr_queue_ptr 0
		.amdhsa_user_sgpr_kernarg_segment_ptr 1
		.amdhsa_user_sgpr_dispatch_id 0
		.amdhsa_user_sgpr_private_segment_size 0
		.amdhsa_wavefront_size32 1
		.amdhsa_uses_dynamic_stack 0
		.amdhsa_enable_private_segment 0
		.amdhsa_system_sgpr_workgroup_id_x 1
		.amdhsa_system_sgpr_workgroup_id_y 1
		.amdhsa_system_sgpr_workgroup_id_z 1
		.amdhsa_system_sgpr_workgroup_info 0
		.amdhsa_system_vgpr_workitem_id 0
		.amdhsa_next_free_vgpr 41
		.amdhsa_next_free_sgpr 95
		.amdhsa_reserve_vcc 1
		.amdhsa_float_round_mode_32 0
		.amdhsa_float_round_mode_16_64 0
		.amdhsa_float_denorm_mode_32 3
		.amdhsa_float_denorm_mode_16_64 3
		.amdhsa_dx10_clamp 1
		.amdhsa_ieee_mode 1
		.amdhsa_fp16_overflow 0
		.amdhsa_workgroup_processor_mode 1
		.amdhsa_memory_ordered 1
		.amdhsa_forward_progress 0
		.amdhsa_shared_vgpr_count 0
		.amdhsa_exception_fp_ieee_invalid_op 0
		.amdhsa_exception_fp_denorm_src 0
		.amdhsa_exception_fp_ieee_div_zero 0
		.amdhsa_exception_fp_ieee_overflow 0
		.amdhsa_exception_fp_ieee_underflow 0
		.amdhsa_exception_fp_ieee_inexact 0
		.amdhsa_exception_int_div_zero 0
	.end_amdhsa_kernel
	.section	.text._ZN2at6native12_GLOBAL__N_112gatherMedianIamLin1EEEvNS_4cuda6detail10TensorInfoIT_T0_EENS5_IlS7_EENS5_IKS6_S7_EES7_S7_S7_b,"axG",@progbits,_ZN2at6native12_GLOBAL__N_112gatherMedianIamLin1EEEvNS_4cuda6detail10TensorInfoIT_T0_EENS5_IlS7_EENS5_IKS6_S7_EES7_S7_S7_b,comdat
.Lfunc_end87:
	.size	_ZN2at6native12_GLOBAL__N_112gatherMedianIamLin1EEEvNS_4cuda6detail10TensorInfoIT_T0_EENS5_IlS7_EENS5_IKS6_S7_EES7_S7_S7_b, .Lfunc_end87-_ZN2at6native12_GLOBAL__N_112gatherMedianIamLin1EEEvNS_4cuda6detail10TensorInfoIT_T0_EENS5_IlS7_EENS5_IKS6_S7_EES7_S7_S7_b
                                        ; -- End function
	.section	.AMDGPU.csdata,"",@progbits
; Kernel info:
; codeLenInByte = 19328
; NumSgprs: 97
; NumVgprs: 41
; ScratchSize: 0
; MemoryBound: 0
; FloatMode: 240
; IeeeMode: 1
; LDSByteSize: 5152 bytes/workgroup (compile time only)
; SGPRBlocks: 12
; VGPRBlocks: 5
; NumSGPRsForWavesPerEU: 97
; NumVGPRsForWavesPerEU: 41
; Occupancy: 16
; WaveLimiterHint : 1
; COMPUTE_PGM_RSRC2:SCRATCH_EN: 0
; COMPUTE_PGM_RSRC2:USER_SGPR: 13
; COMPUTE_PGM_RSRC2:TRAP_HANDLER: 0
; COMPUTE_PGM_RSRC2:TGID_X_EN: 1
; COMPUTE_PGM_RSRC2:TGID_Y_EN: 1
; COMPUTE_PGM_RSRC2:TGID_Z_EN: 1
; COMPUTE_PGM_RSRC2:TIDIG_COMP_CNT: 0
	.section	.text._ZN2at6native12_GLOBAL__N_112gatherMedianIijLi1EEEvNS_4cuda6detail10TensorInfoIT_T0_EENS5_IlS7_EENS5_IKS6_S7_EES7_S7_S7_b,"axG",@progbits,_ZN2at6native12_GLOBAL__N_112gatherMedianIijLi1EEEvNS_4cuda6detail10TensorInfoIT_T0_EENS5_IlS7_EENS5_IKS6_S7_EES7_S7_S7_b,comdat
	.globl	_ZN2at6native12_GLOBAL__N_112gatherMedianIijLi1EEEvNS_4cuda6detail10TensorInfoIT_T0_EENS5_IlS7_EENS5_IKS6_S7_EES7_S7_S7_b ; -- Begin function _ZN2at6native12_GLOBAL__N_112gatherMedianIijLi1EEEvNS_4cuda6detail10TensorInfoIT_T0_EENS5_IlS7_EENS5_IKS6_S7_EES7_S7_S7_b
	.p2align	8
	.type	_ZN2at6native12_GLOBAL__N_112gatherMedianIijLi1EEEvNS_4cuda6detail10TensorInfoIT_T0_EENS5_IlS7_EENS5_IKS6_S7_EES7_S7_S7_b,@function
_ZN2at6native12_GLOBAL__N_112gatherMedianIijLi1EEEvNS_4cuda6detail10TensorInfoIT_T0_EENS5_IlS7_EENS5_IKS6_S7_EES7_S7_S7_b: ; @_ZN2at6native12_GLOBAL__N_112gatherMedianIijLi1EEEvNS_4cuda6detail10TensorInfoIT_T0_EENS5_IlS7_EENS5_IKS6_S7_EES7_S7_S7_b
; %bb.0:
	s_clause 0x1
	s_load_b64 s[6:7], s[0:1], 0x298
	s_load_b128 s[28:31], s[0:1], 0x288
	s_add_u32 s4, s0, 0x298
	s_addc_u32 s5, s1, 0
	s_waitcnt lgkmcnt(0)
	s_mul_i32 s2, s7, s15
	s_delay_alu instid0(SALU_CYCLE_1) | instskip(NEXT) | instid1(SALU_CYCLE_1)
	s_add_i32 s2, s2, s14
	s_mul_i32 s33, s2, s6
	s_delay_alu instid0(SALU_CYCLE_1) | instskip(NEXT) | instid1(SALU_CYCLE_1)
	s_add_i32 s33, s33, s13
	s_cmp_ge_u32 s33, s29
	s_cbranch_scc1 .LBB88_262
; %bb.1:
	v_cmp_eq_u32_e64 s2, 0, v0
	s_delay_alu instid0(VALU_DEP_1)
	s_and_saveexec_b32 s3, s2
	s_cbranch_execz .LBB88_3
; %bb.2:
	v_mov_b32_e32 v1, 0
	s_delay_alu instid0(VALU_DEP_1)
	v_mov_b32_e32 v2, v1
	ds_store_b64 v1, v[1:2] offset:4096
.LBB88_3:
	s_or_b32 exec_lo, exec_lo, s3
	v_mov_b32_e32 v1, 0
	s_waitcnt lgkmcnt(0)
	s_barrier
	buffer_gl0_inv
	s_barrier
	buffer_gl0_inv
	ds_load_b64 v[1:2], v1 offset:4096
	s_load_b64 s[8:9], s[0:1], 0x1b0
	s_bitcmp1_b32 s31, 0
	s_mov_b32 s69, s28
	s_cselect_b32 s3, -1, 0
	s_waitcnt lgkmcnt(0)
	v_cmp_gt_i64_e32 vcc_lo, 1, v[1:2]
	s_or_b32 s3, s3, vcc_lo
	s_delay_alu instid0(SALU_CYCLE_1)
	s_and_not1_b32 vcc_lo, exec_lo, s3
	s_cbranch_vccnz .LBB88_5
; %bb.4:
	v_not_b32_e32 v1, v1
	v_not_b32_e32 v2, v2
	s_delay_alu instid0(VALU_DEP_2) | instskip(NEXT) | instid1(VALU_DEP_2)
	v_add_co_u32 v1, vcc_lo, v1, s28
	v_add_co_ci_u32_e32 v2, vcc_lo, 0, v2, vcc_lo
	s_delay_alu instid0(VALU_DEP_1) | instskip(NEXT) | instid1(VALU_DEP_1)
	v_lshrrev_b32_e32 v3, 31, v2
	v_add_co_u32 v1, vcc_lo, v1, v3
	v_add_co_ci_u32_e32 v2, vcc_lo, 0, v2, vcc_lo
	s_delay_alu instid0(VALU_DEP_1) | instskip(NEXT) | instid1(VALU_DEP_1)
	v_alignbit_b32 v1, v2, v1, 1
	v_readfirstlane_b32 s3, v1
	s_delay_alu instid0(VALU_DEP_1)
	s_add_i32 s69, s3, 1
.LBB88_5:
	s_clause 0x2
	s_load_b32 s3, s[0:1], 0x21c
	s_load_b64 s[34:35], s[0:1], 0xd8
	s_load_b64 s[36:37], s[0:1], 0x0
	s_and_saveexec_b32 s7, s2
	s_cbranch_execz .LBB88_7
; %bb.6:
	v_dual_mov_b32 v1, 0 :: v_dual_mov_b32 v2, s28
	ds_store_b32 v1, v1 offset:4112
	ds_store_b64 v1, v[1:2] offset:4104
.LBB88_7:
	s_or_b32 exec_lo, exec_lo, s7
	s_waitcnt lgkmcnt(0)
	s_barrier
	buffer_gl0_inv
	s_load_b32 s7, s[4:5], 0xc
	s_mul_i32 s26, s3, s33
	s_mov_b32 s27, 0
	v_mbcnt_lo_u32_b32 v16, -1, 0
	s_lshl_b64 s[10:11], s[26:27], 2
	v_cmp_gt_u32_e32 vcc_lo, 32, v0
	s_add_u32 s31, s8, s10
	s_addc_u32 s40, s9, s11
	v_cmp_gt_i32_e64 s3, 4, v16
	s_clause 0x1
	s_load_b32 s29, s[0:1], 0x144
	s_load_b32 s42, s[0:1], 0x6c
	v_mul_lo_u32 v5, v0, s30
	v_cmp_gt_u32_e64 s0, s28, v0
	v_lshlrev_b32_e32 v26, 4, v0
	s_and_b32 s44, vcc_lo, s3
	v_lshl_or_b32 v27, v16, 2, 0xc00
	v_mov_b32_e32 v15, 0
	s_mov_b32 s62, 30
	s_mov_b32 s65, s27
	v_lshlrev_b32_e32 v24, 2, v5
	s_mov_b32 s67, s27
	s_waitcnt lgkmcnt(0)
	s_and_b32 s41, s7, 0xffff
	s_bfe_u32 s1, s7, 0xb0005
	s_lshl_b32 s43, s41, 2
	v_cvt_f32_u32_e32 v2, s41
	v_cvt_f32_u32_e32 v1, s43
	s_add_i32 s45, s41, -1
	s_mul_i32 s46, s30, s41
	s_add_i32 s7, s45, s28
	v_rcp_iflag_f32_e32 v2, v2
	v_rcp_iflag_f32_e32 v1, v1
	v_lshlrev_b32_e32 v17, 2, v0
	s_cmpk_gt_u32 s28, 0x300
	s_mov_b32 s68, s27
	s_cselect_b32 s47, -1, 0
	s_cmp_gt_u32 s41, 31
                                        ; implicit-def: $sgpr59
                                        ; implicit-def: $sgpr61
                                        ; implicit-def: $sgpr60
                                        ; implicit-def: $sgpr64
                                        ; implicit-def: $sgpr66
                                        ; implicit-def: $sgpr63
	s_cselect_b32 s48, -1, 0
	s_cmp_lt_u32 s13, s6
	s_waitcnt_depctr 0xfff
	v_dual_mul_f32 v2, 0x4f7ffffe, v2 :: v_dual_mov_b32 v7, 0
	v_add_nc_u32_e32 v18, 0xc00, v17
	v_mul_f32_e32 v1, 0x4f7ffffe, v1
	s_cselect_b32 s3, 12, 18
	s_delay_alu instid0(VALU_DEP_3)
	v_cvt_u32_f32_e32 v2, v2
	v_mov_b32_e32 v6, v7
	s_add_u32 s38, s4, s3
	v_cvt_u32_f32_e32 v1, v1
	s_addc_u32 s39, s5, 0
	s_add_i32 s3, s1, -1
	s_bfe_u32 s49, s41, 0x30005
	s_cmp_gt_u32 s3, 6
	v_readfirstlane_b32 s3, v1
	s_cselect_b32 s50, -1, 0
	s_and_b32 s51, s1, 0x7f8
	s_cmp_lg_u32 s49, 0
	v_lshrrev_b32_e32 v1, 3, v0
	s_cselect_b32 s52, -1, 0
	s_sub_i32 s4, 0, s43
	v_mad_u64_u32 v[12:13], null, s30, v17, s[30:31]
	s_mul_i32 s4, s4, s3
	v_and_b32_e32 v19, 0x7c, v1
	s_mul_hi_u32 s4, s3, s4
	v_cmp_gt_u32_e64 s1, 2, v0
	s_add_i32 s53, s3, s4
	v_cmp_eq_u32_e64 s3, 0, v16
	s_mul_hi_u32 s4, s28, s53
	v_mov_b32_e32 v13, 1
	s_mul_i32 s4, s4, s43
	s_delay_alu instid0(SALU_CYCLE_1) | instskip(NEXT) | instid1(SALU_CYCLE_1)
	s_sub_i32 s4, s28, s4
	s_sub_i32 s5, s4, s43
	s_cmp_ge_u32 s4, s43
	s_cselect_b32 s4, s5, s4
	v_readfirstlane_b32 s5, v2
	s_sub_i32 s6, s4, s43
	s_cmp_ge_u32 s4, s43
	v_lshlrev_b64 v[1:2], v16, -1
	s_cselect_b32 s8, s6, s4
	s_sub_i32 s4, 0, s41
	s_sub_i32 s54, s28, s8
	s_mul_i32 s4, s4, s5
	v_add_nc_u32_e32 v20, s54, v0
	v_lshlrev_b64 v[2:3], 2, v[5:6]
	s_mul_hi_u32 s4, s5, s4
	v_not_b32_e32 v21, v1
	s_add_i32 s55, s5, s4
	v_mul_lo_u32 v6, v20, s30
	s_mul_hi_u32 s4, s7, s55
	v_add_co_u32 v8, vcc_lo, s31, v2
	s_mul_i32 s4, s4, s41
	v_add_co_ci_u32_e32 v9, vcc_lo, s40, v3, vcc_lo
	s_sub_i32 s4, s7, s4
	s_delay_alu instid0(VALU_DEP_3) | instskip(SKIP_4) | instid1(VALU_DEP_2)
	v_lshlrev_b64 v[1:2], 2, v[6:7]
	v_add3_u32 v3, s41, s28, v0
	s_sub_i32 s5, s4, s41
	s_cmp_ge_u32 s4, s41
	s_cselect_b32 s5, s5, s4
	v_add_co_u32 v10, vcc_lo, s31, v1
	v_add_co_ci_u32_e32 v11, vcc_lo, s40, v2, vcc_lo
	v_or_b32_e32 v1, 2, v17
	v_or_b32_e32 v2, 3, v17
	v_subrev_nc_u32_e32 v3, s8, v3
	s_sub_i32 s6, s5, s41
	s_cmp_ge_u32 s5, s41
	v_mul_lo_u32 v22, s30, v1
	s_cselect_b32 s6, s6, s5
	v_mul_lo_u32 v23, s30, v2
	v_mul_lo_u32 v25, s30, v3
	s_sub_i32 s56, s7, s6
	v_cmp_gt_u32_e64 s4, s54, v17
	v_cmp_gt_u32_e64 s5, s28, v20
	;; [unrolled: 1-line block ×3, first 2 shown]
	s_lshl_b32 s57, s46, 2
	s_lshl_b32 s58, s41, 4
	s_branch .LBB88_12
.LBB88_8:                               ;   in Loop: Header=BB88_12 Depth=1
	s_xor_b32 s65, s65, 1
	s_add_i32 s11, s62, -2
	s_cmp_eq_u32 s62, 0
	s_mov_b32 s7, 0
	s_cselect_b32 s9, -1, 0
	s_mov_b32 s62, s11
.LBB88_9:                               ;   in Loop: Header=BB88_12 Depth=1
	s_and_not1_b32 s11, s13, exec_lo
	s_and_b32 s7, s7, exec_lo
	s_and_not1_b32 s15, s15, exec_lo
	s_or_b32 s13, s11, s7
	s_and_not1_b32 s12, s12, exec_lo
	s_or_not1_b32 s11, s9, exec_lo
	s_mov_b32 s69, s20
.LBB88_10:                              ;   in Loop: Header=BB88_12 Depth=1
	s_or_b32 exec_lo, exec_lo, s8
	s_delay_alu instid0(SALU_CYCLE_1)
	s_and_not1_b32 s7, s63, exec_lo
	s_and_b32 s8, s13, exec_lo
	s_and_not1_b32 s9, s64, exec_lo
	s_or_b32 s63, s7, s8
	s_and_not1_b32 s7, s66, exec_lo
	s_and_b32 s8, s15, exec_lo
	s_and_b32 s12, s12, exec_lo
	s_or_b32 s66, s7, s8
	s_or_b32 s64, s9, s12
	s_or_not1_b32 s12, s11, exec_lo
.LBB88_11:                              ;   in Loop: Header=BB88_12 Depth=1
	s_or_b32 exec_lo, exec_lo, s10
	s_delay_alu instid0(SALU_CYCLE_1)
	s_and_b32 s7, exec_lo, s12
	v_mov_b32_e32 v1, s67
	s_or_b32 s27, s7, s27
	s_and_not1_b32 s7, s60, exec_lo
	s_and_b32 s8, s63, exec_lo
	s_and_not1_b32 s9, s59, exec_lo
	s_or_b32 s60, s7, s8
	s_and_not1_b32 s7, s61, exec_lo
	s_and_b32 s8, s66, exec_lo
	s_and_b32 s10, s64, exec_lo
	s_or_b32 s61, s7, s8
	s_or_b32 s59, s9, s10
	s_and_not1_b32 exec_lo, exec_lo, s27
	s_cbranch_execz .LBB88_245
.LBB88_12:                              ; =>This Loop Header: Depth=1
                                        ;     Child Loop BB88_20 Depth 2
                                        ;     Child Loop BB88_35 Depth 2
	;; [unrolled: 1-line block ×16, first 2 shown]
	ds_load_b64 v[1:2], v7 offset:4104
	s_waitcnt lgkmcnt(0)
	v_readfirstlane_b32 s70, v1
	s_delay_alu instid0(VALU_DEP_1)
	s_cmp_lg_u32 s70, 0
	s_cbranch_scc1 .LBB88_42
; %bb.13:                               ;   in Loop: Header=BB88_12 Depth=1
	s_and_b32 vcc_lo, exec_lo, s47
	s_cbranch_vccz .LBB88_28
; %bb.14:                               ;   in Loop: Header=BB88_12 Depth=1
	v_cmp_gt_u32_e32 vcc_lo, 0x301, v2
	s_mov_b32 s70, 0
	s_mov_b32 s7, 0
	s_cbranch_vccz .LBB88_29
; %bb.15:                               ;   in Loop: Header=BB88_12 Depth=1
	v_mov_b32_e32 v1, 0
	s_and_saveexec_b32 s7, s0
	s_cbranch_execz .LBB88_17
; %bb.16:                               ;   in Loop: Header=BB88_12 Depth=1
	global_load_b32 v1, v[8:9], off
.LBB88_17:                              ;   in Loop: Header=BB88_12 Depth=1
	s_or_b32 exec_lo, exec_lo, s7
	s_and_saveexec_b32 s9, s0
	s_cbranch_execz .LBB88_130
; %bb.18:                               ;   in Loop: Header=BB88_12 Depth=1
	global_load_u16 v2, v7, s[38:39]
	v_mov_b32_e32 v4, v0
	s_mov_b32 s10, 0
	s_waitcnt vmcnt(0)
	v_add_nc_u32_e32 v3, v0, v2
	s_delay_alu instid0(VALU_DEP_1)
	v_mul_lo_u32 v6, s30, v3
	v_mul_lo_u32 v3, s30, v2
	s_branch .LBB88_20
.LBB88_19:                              ;   in Loop: Header=BB88_20 Depth=2
	s_or_b32 exec_lo, exec_lo, s8
	v_add_nc_u32_e32 v6, v6, v3
	s_waitcnt vmcnt(0)
	v_mov_b32_e32 v1, v14
	s_and_not1_b32 exec_lo, exec_lo, s10
	s_cbranch_execz .LBB88_130
.LBB88_20:                              ;   Parent Loop BB88_12 Depth=1
                                        ; =>  This Inner Loop Header: Depth=2
	v_add_nc_u32_e32 v4, v4, v2
	s_waitcnt lgkmcnt(0)
	v_mov_b32_e32 v28, 0
	v_mov_b32_e32 v14, 0
	s_mov_b32 s8, exec_lo
	v_cmp_le_u32_e32 vcc_lo, s28, v4
	v_cmpx_gt_u32_e64 s28, v4
	s_cbranch_execz .LBB88_22
; %bb.21:                               ;   in Loop: Header=BB88_20 Depth=2
	v_lshlrev_b64 v[29:30], 2, v[6:7]
	s_delay_alu instid0(VALU_DEP_1) | instskip(NEXT) | instid1(VALU_DEP_1)
	v_add_co_u32 v29, s7, s31, v29
	v_add_co_ci_u32_e64 v30, s7, s40, v30, s7
	global_load_b32 v14, v[29:30], off
.LBB88_22:                              ;   in Loop: Header=BB88_20 Depth=2
	s_or_b32 exec_lo, exec_lo, s8
	v_xor_b32_e32 v29, 0x80000000, v1
	s_delay_alu instid0(VALU_DEP_1) | instskip(NEXT) | instid1(VALU_DEP_1)
	v_and_b32_e32 v29, s68, v29
	v_cmp_eq_u32_e64 s7, s67, v29
	s_delay_alu instid0(VALU_DEP_1) | instskip(SKIP_1) | instid1(SALU_CYCLE_1)
	s_cmp_lg_u32 s7, 0
	s_cselect_b32 s8, -1, 0
	s_and_b32 s8, s3, s8
	s_delay_alu instid0(SALU_CYCLE_1)
	s_and_saveexec_b32 s11, s8
	s_cbranch_execz .LBB88_26
; %bb.23:                               ;   in Loop: Header=BB88_20 Depth=2
	s_mov_b32 s14, exec_lo
	s_bcnt1_i32_b32 s12, s7
	v_mbcnt_lo_u32_b32 v28, s14, 0
	s_mov_b32 s13, exec_lo
                                        ; implicit-def: $vgpr29
	s_delay_alu instid0(VALU_DEP_1)
	v_cmpx_eq_u32_e32 0, v28
	s_cbranch_execz .LBB88_25
; %bb.24:                               ;   in Loop: Header=BB88_20 Depth=2
	s_bcnt1_i32_b32 s8, s14
	s_delay_alu instid0(SALU_CYCLE_1) | instskip(NEXT) | instid1(SALU_CYCLE_1)
	s_mul_i32 s8, s12, s8
	v_mov_b32_e32 v29, s8
	ds_add_rtn_u32 v29, v7, v29 offset:4112
.LBB88_25:                              ;   in Loop: Header=BB88_20 Depth=2
	s_or_b32 exec_lo, exec_lo, s13
	s_waitcnt lgkmcnt(0)
	v_readfirstlane_b32 s8, v29
	s_delay_alu instid0(VALU_DEP_1)
	v_mad_u32_u24 v28, s12, v28, s8
.LBB88_26:                              ;   in Loop: Header=BB88_20 Depth=2
	s_or_b32 exec_lo, exec_lo, s11
	ds_bpermute_b32 v28, v7, v28
	s_and_b32 s8, exec_lo, vcc_lo
	s_delay_alu instid0(SALU_CYCLE_1)
	s_or_b32 s10, s8, s10
	s_and_saveexec_b32 s8, s7
	s_cbranch_execz .LBB88_19
; %bb.27:                               ;   in Loop: Header=BB88_20 Depth=2
	v_and_b32_e32 v29, s7, v21
	s_delay_alu instid0(VALU_DEP_1) | instskip(NEXT) | instid1(VALU_DEP_1)
	v_bcnt_u32_b32 v29, v29, 0
	v_lshlrev_b32_e32 v29, 2, v29
	s_waitcnt lgkmcnt(0)
	s_delay_alu instid0(VALU_DEP_1)
	v_lshl_add_u32 v28, v28, 2, v29
	ds_store_b32 v28, v1
	s_branch .LBB88_19
.LBB88_28:                              ;   in Loop: Header=BB88_12 Depth=1
	s_mov_b32 s70, -1
	s_mov_b32 s7, 0
.LBB88_29:                              ;   in Loop: Header=BB88_12 Depth=1
	s_and_b32 vcc_lo, exec_lo, s70
	s_cbranch_vccz .LBB88_40
.LBB88_30:                              ;   in Loop: Header=BB88_12 Depth=1
	v_mov_b32_e32 v1, 0
	s_and_saveexec_b32 s7, s0
	s_cbranch_execz .LBB88_32
; %bb.31:                               ;   in Loop: Header=BB88_12 Depth=1
	global_load_b32 v1, v[8:9], off
.LBB88_32:                              ;   in Loop: Header=BB88_12 Depth=1
	s_or_b32 exec_lo, exec_lo, s7
	s_and_saveexec_b32 s8, s0
	s_cbranch_execz .LBB88_37
; %bb.33:                               ;   in Loop: Header=BB88_12 Depth=1
	global_load_u16 v2, v7, s[38:39]
	v_mov_b32_e32 v28, v0
	s_mov_b32 s9, 0
	s_waitcnt vmcnt(0)
	v_dual_mov_b32 v14, v17 :: v_dual_add_nc_u32 v3, v0, v2
	v_lshlrev_b32_e32 v4, 2, v2
	s_delay_alu instid0(VALU_DEP_2)
	v_mul_lo_u32 v6, s30, v3
	v_mul_lo_u32 v3, s30, v2
	s_set_inst_prefetch_distance 0x1
	s_branch .LBB88_35
	.p2align	6
.LBB88_34:                              ;   in Loop: Header=BB88_35 Depth=2
	s_or_b32 exec_lo, exec_lo, s10
	ds_store_b32 v14, v1
	s_waitcnt vmcnt(0)
	v_dual_mov_b32 v1, v29 :: v_dual_add_nc_u32 v14, v14, v4
	v_add_nc_u32_e32 v6, v6, v3
	s_and_b32 s7, exec_lo, vcc_lo
	s_delay_alu instid0(SALU_CYCLE_1) | instskip(NEXT) | instid1(SALU_CYCLE_1)
	s_or_b32 s9, s7, s9
	s_and_not1_b32 exec_lo, exec_lo, s9
	s_cbranch_execz .LBB88_37
.LBB88_35:                              ;   Parent Loop BB88_12 Depth=1
                                        ; =>  This Inner Loop Header: Depth=2
	v_dual_mov_b32 v29, 0 :: v_dual_add_nc_u32 v28, v28, v2
	s_mov_b32 s10, exec_lo
	s_delay_alu instid0(VALU_DEP_1)
	v_cmp_le_u32_e32 vcc_lo, s28, v28
	v_cmpx_gt_u32_e64 s28, v28
	s_cbranch_execz .LBB88_34
; %bb.36:                               ;   in Loop: Header=BB88_35 Depth=2
	v_lshlrev_b64 v[29:30], 2, v[6:7]
	s_delay_alu instid0(VALU_DEP_1) | instskip(NEXT) | instid1(VALU_DEP_1)
	v_add_co_u32 v29, s7, s31, v29
	v_add_co_ci_u32_e64 v30, s7, s40, v30, s7
	global_load_b32 v29, v[29:30], off
	s_branch .LBB88_34
.LBB88_37:                              ;   in Loop: Header=BB88_12 Depth=1
	s_set_inst_prefetch_distance 0x2
	s_or_b32 exec_lo, exec_lo, s8
	s_waitcnt vmcnt(0) lgkmcnt(0)
	s_barrier
	buffer_gl0_inv
	s_and_saveexec_b32 s7, s2
	s_cbranch_execz .LBB88_39
; %bb.38:                               ;   in Loop: Header=BB88_12 Depth=1
	v_mov_b32_e32 v1, s28
	ds_store_b32 v7, v1 offset:4104
.LBB88_39:                              ;   in Loop: Header=BB88_12 Depth=1
	s_or_b32 exec_lo, exec_lo, s7
	s_mov_b32 s7, -1
	s_waitcnt lgkmcnt(0)
	s_barrier
                                        ; implicit-def: $sgpr70
.LBB88_40:                              ;   in Loop: Header=BB88_12 Depth=1
	s_and_b32 vcc_lo, exec_lo, s7
	s_cbranch_vccz .LBB88_42
; %bb.41:                               ;   in Loop: Header=BB88_12 Depth=1
	buffer_gl0_inv
	ds_load_b32 v1, v7 offset:4104
	s_waitcnt lgkmcnt(0)
	v_readfirstlane_b32 s70, v1
.LBB88_42:                              ;   in Loop: Header=BB88_12 Depth=1
	s_delay_alu instid0(VALU_DEP_1)
	s_cmp_lt_i32 s70, 1
	s_cbranch_scc0 .LBB88_46
; %bb.43:                               ;   in Loop: Header=BB88_12 Depth=1
	v_dual_mov_b32 v1, 0 :: v_dual_mov_b32 v2, 0
	v_dual_mov_b32 v3, 0 :: v_dual_mov_b32 v4, 0
	s_mov_b32 s19, 0
	s_and_saveexec_b32 s18, s4
	s_cbranch_execnz .LBB88_47
; %bb.44:                               ;   in Loop: Header=BB88_12 Depth=1
	s_or_b32 exec_lo, exec_lo, s18
	v_mov_b32_e32 v28, 0
	s_and_saveexec_b32 s7, s5
	s_cbranch_execnz .LBB88_50
.LBB88_45:                              ;   in Loop: Header=BB88_12 Depth=1
	s_or_b32 exec_lo, exec_lo, s7
	s_and_saveexec_b32 s11, s5
	s_cbranch_execnz .LBB88_51
	s_branch .LBB88_56
.LBB88_46:                              ;   in Loop: Header=BB88_12 Depth=1
                                        ; implicit-def: $vgpr4
	s_cbranch_execnz .LBB88_57
	s_branch .LBB88_66
.LBB88_47:                              ;   in Loop: Header=BB88_12 Depth=1
	v_mov_b32_e32 v14, v17
	s_and_b32 s20, s62, 0xfe
	s_mov_b32 s21, 0
	s_mov_b32 s22, 0
	;; [unrolled: 1-line block ×5, first 2 shown]
.LBB88_48:                              ;   Parent Loop BB88_12 Depth=1
                                        ; =>  This Inner Loop Header: Depth=2
	v_add_nc_u32_e32 v6, s21, v24
	v_add_nc_u32_e32 v14, s43, v14
	s_delay_alu instid0(VALU_DEP_2) | instskip(SKIP_1) | instid1(VALU_DEP_1)
	v_lshlrev_b64 v[1:2], 2, v[6:7]
	v_add_nc_u32_e32 v6, s21, v12
	v_lshlrev_b64 v[3:4], 2, v[6:7]
	v_add_nc_u32_e32 v6, s21, v22
	s_delay_alu instid0(VALU_DEP_4) | instskip(SKIP_1) | instid1(VALU_DEP_3)
	v_add_co_u32 v1, vcc_lo, s31, v1
	v_add_co_ci_u32_e32 v2, vcc_lo, s40, v2, vcc_lo
	v_lshlrev_b64 v[28:29], 2, v[6:7]
	v_add_nc_u32_e32 v6, s21, v23
	s_add_i32 s21, s21, s57
	global_load_b32 v30, v[1:2], off
	v_add_co_u32 v1, vcc_lo, s31, v3
	v_add_co_ci_u32_e32 v2, vcc_lo, s40, v4, vcc_lo
	v_add_co_u32 v28, vcc_lo, s31, v28
	v_add_co_ci_u32_e32 v29, vcc_lo, s40, v29, vcc_lo
	v_lshlrev_b64 v[3:4], 2, v[6:7]
	s_clause 0x1
	global_load_b32 v6, v[1:2], off
	global_load_b32 v28, v[28:29], off
	v_add_co_u32 v1, vcc_lo, s31, v3
	v_add_co_ci_u32_e32 v2, vcc_lo, s40, v4, vcc_lo
	v_cmp_le_u32_e32 vcc_lo, s54, v14
	global_load_b32 v1, v[1:2], off
	s_waitcnt vmcnt(3)
	v_xor_b32_e32 v2, 0x80000000, v30
	s_delay_alu instid0(VALU_DEP_1) | instskip(SKIP_3) | instid1(VALU_DEP_3)
	v_and_b32_e32 v3, s68, v2
	v_bfe_u32 v2, v2, s20, 2
	s_waitcnt vmcnt(2)
	v_xor_b32_e32 v4, 0x80000000, v6
	v_cmp_eq_u32_e64 s7, s67, v3
	s_delay_alu instid0(VALU_DEP_3)
	v_cmp_eq_u32_e64 s8, 0, v2
	s_waitcnt vmcnt(1)
	v_xor_b32_e32 v6, 0x80000000, v28
	v_cmp_eq_u32_e64 s9, 1, v2
	v_and_b32_e32 v3, s68, v4
	v_bfe_u32 v4, v4, s20, 2
	v_cmp_eq_u32_e64 s10, 2, v2
	s_and_b32 s8, s7, s8
	v_cmp_eq_u32_e64 s11, 3, v2
	v_cmp_eq_u32_e64 s12, s67, v3
	v_and_b32_e32 v2, s68, v6
	v_bfe_u32 v3, v6, s20, 2
	v_cmp_eq_u32_e64 s13, 0, v4
	v_cndmask_b32_e64 v6, 0, 1, s8
	v_cmp_eq_u32_e64 s8, 1, v4
	s_and_b32 s9, s7, s9
	s_and_b32 s10, s7, s10
	v_cndmask_b32_e64 v28, 0, 1, s9
	v_cmp_eq_u32_e64 s9, 2, v4
	s_waitcnt vmcnt(0)
	v_xor_b32_e32 v1, 0x80000000, v1
	v_cndmask_b32_e64 v29, 0, 1, s10
	s_and_b32 s7, s7, s11
	s_and_b32 s13, s12, s13
	s_and_b32 s8, s12, s8
	v_cmp_eq_u32_e64 s10, 3, v4
	v_cndmask_b32_e64 v4, 0, 1, s7
	v_cmp_eq_u32_e64 s7, s67, v2
	v_cmp_eq_u32_e64 s11, 0, v3
	v_cmp_ne_u32_e64 s14, 0, v6
	v_cndmask_b32_e64 v6, 0, 1, s13
	v_cmp_eq_u32_e64 s13, 1, v3
	v_cmp_ne_u32_e64 s15, 0, v28
	v_cndmask_b32_e64 v28, 0, 1, s8
	v_cmp_eq_u32_e64 s8, 2, v3
	s_and_b32 s9, s12, s9
	v_and_b32_e32 v2, s68, v1
	v_bfe_u32 v1, v1, s20, 2
	v_cmp_ne_u32_e64 s16, 0, v29
	v_cndmask_b32_e64 v29, 0, 1, s9
	v_cmp_eq_u32_e64 s9, 3, v3
	s_and_b32 s10, s12, s10
	s_and_b32 s11, s7, s11
	;; [unrolled: 1-line block ×4, first 2 shown]
	v_cmp_ne_u32_e64 s17, 0, v4
	v_cndmask_b32_e64 v3, 0, 1, s10
	v_cmp_eq_u32_e64 s10, s67, v2
	v_cmp_eq_u32_e64 s12, 0, v1
	s_bcnt1_i32_b32 s26, s14
	v_cmp_ne_u32_e64 s14, 0, v6
	v_cndmask_b32_e64 v2, 0, 1, s11
	v_cmp_eq_u32_e64 s11, 1, v1
	v_cndmask_b32_e64 v4, 0, 1, s13
	v_cmp_eq_u32_e64 s13, 2, v1
	;; [unrolled: 2-line block ×3, first 2 shown]
	s_and_b32 s7, s7, s9
	s_bcnt1_i32_b32 s73, s17
	v_cndmask_b32_e64 v1, 0, 1, s7
	v_cmp_ne_u32_e64 s17, 0, v3
	s_and_b32 s9, s10, s12
	s_and_b32 s11, s10, s11
	;; [unrolled: 1-line block ×4, first 2 shown]
	v_cmp_ne_u32_e64 s7, 0, v2
	v_cndmask_b32_e64 v2, 0, 1, s9
	v_cmp_ne_u32_e64 s9, 0, v4
	v_cndmask_b32_e64 v3, 0, 1, s11
	v_cndmask_b32_e64 v4, 0, 1, s12
	v_cmp_ne_u32_e64 s12, 0, v1
	v_cndmask_b32_e64 v1, 0, 1, s8
	s_bcnt1_i32_b32 s71, s15
	v_cmp_ne_u32_e64 s15, 0, v28
	s_bcnt1_i32_b32 s72, s16
	v_cmp_ne_u32_e64 s16, 0, v29
	s_add_i32 s22, s73, s22
	v_cmp_ne_u32_e64 s11, 0, v6
	s_bcnt1_i32_b32 s13, s17
	s_bcnt1_i32_b32 s17, s7
	s_add_i32 s13, s22, s13
	v_cmp_ne_u32_e64 s7, 0, v2
	s_bcnt1_i32_b32 s22, s9
	v_cmp_ne_u32_e64 s8, 0, v3
	v_cmp_ne_u32_e64 s9, 0, v4
	;; [unrolled: 1-line block ×3, first 2 shown]
	s_add_i32 s25, s26, s25
	s_add_i32 s24, s71, s24
	;; [unrolled: 1-line block ×3, first 2 shown]
	s_bcnt1_i32_b32 s14, s14
	s_bcnt1_i32_b32 s15, s15
	;; [unrolled: 1-line block ×3, first 2 shown]
	s_add_i32 s14, s25, s14
	s_add_i32 s15, s24, s15
	;; [unrolled: 1-line block ×3, first 2 shown]
	s_bcnt1_i32_b32 s11, s11
	s_bcnt1_i32_b32 s12, s12
	s_add_i32 s14, s14, s17
	s_add_i32 s15, s15, s22
	;; [unrolled: 1-line block ×4, first 2 shown]
	s_bcnt1_i32_b32 s7, s7
	s_bcnt1_i32_b32 s8, s8
	;; [unrolled: 1-line block ×4, first 2 shown]
	s_add_i32 s25, s14, s7
	s_add_i32 s24, s15, s8
	;; [unrolled: 1-line block ×4, first 2 shown]
	s_delay_alu instid0(SALU_CYCLE_1) | instskip(SKIP_2) | instid1(SALU_CYCLE_1)
	v_dual_mov_b32 v1, s25 :: v_dual_mov_b32 v4, s22
	v_dual_mov_b32 v2, s24 :: v_dual_mov_b32 v3, s23
	s_or_b32 s19, vcc_lo, s19
	s_and_not1_b32 exec_lo, exec_lo, s19
	s_cbranch_execnz .LBB88_48
; %bb.49:                               ;   in Loop: Header=BB88_12 Depth=1
	s_or_b32 exec_lo, exec_lo, s19
	s_delay_alu instid0(SALU_CYCLE_1)
	s_or_b32 exec_lo, exec_lo, s18
	v_mov_b32_e32 v28, 0
	s_and_saveexec_b32 s7, s5
	s_cbranch_execz .LBB88_45
.LBB88_50:                              ;   in Loop: Header=BB88_12 Depth=1
	global_load_b32 v28, v[10:11], off
	s_or_b32 exec_lo, exec_lo, s7
	s_and_saveexec_b32 s11, s5
	s_cbranch_execz .LBB88_56
.LBB88_51:                              ;   in Loop: Header=BB88_12 Depth=1
	v_mov_b32_e32 v6, v25
	v_mov_b32_e32 v14, v20
	s_and_b32 s13, s62, 0xfe
	s_mov_b32 s12, 0
	s_branch .LBB88_53
.LBB88_52:                              ;   in Loop: Header=BB88_53 Depth=2
	s_or_b32 exec_lo, exec_lo, s8
	s_waitcnt vmcnt(0)
	v_xor_b32_e32 v28, 0x80000000, v28
	s_and_b32 s8, exec_lo, vcc_lo
	v_add_nc_u32_e32 v6, s46, v6
	s_or_b32 s12, s8, s12
	s_delay_alu instid0(VALU_DEP_2) | instskip(SKIP_1) | instid1(VALU_DEP_2)
	v_and_b32_e32 v30, s68, v28
	v_bfe_u32 v28, v28, s13, 2
	v_cmp_eq_u32_e32 vcc_lo, s67, v30
	s_delay_alu instid0(VALU_DEP_2) | instskip(SKIP_3) | instid1(VALU_DEP_4)
	v_cmp_eq_u32_e64 s7, 0, v28
	v_cmp_eq_u32_e64 s8, 1, v28
	;; [unrolled: 1-line block ×4, first 2 shown]
	s_and_b32 s7, vcc_lo, s7
	s_delay_alu instid0(SALU_CYCLE_1) | instskip(SKIP_1) | instid1(SALU_CYCLE_1)
	v_cndmask_b32_e64 v28, 0, 1, s7
	s_and_b32 s7, vcc_lo, s8
	v_cndmask_b32_e64 v30, 0, 1, s7
	s_and_b32 s7, vcc_lo, s9
	s_delay_alu instid0(SALU_CYCLE_1)
	v_cndmask_b32_e64 v31, 0, 1, s7
	s_and_b32 s7, vcc_lo, s10
	v_cmp_ne_u32_e32 vcc_lo, 0, v28
	v_cndmask_b32_e64 v32, 0, 1, s7
	v_cmp_ne_u32_e64 s7, 0, v30
	v_cmp_ne_u32_e64 s8, 0, v31
	v_mov_b32_e32 v28, v29
	s_bcnt1_i32_b32 s10, vcc_lo
	v_cmp_ne_u32_e64 s9, 0, v32
	s_bcnt1_i32_b32 s7, s7
	s_bcnt1_i32_b32 s8, s8
	v_add_nc_u32_e32 v1, s10, v1
	v_add_nc_u32_e32 v2, s7, v2
	s_bcnt1_i32_b32 s9, s9
	v_add_nc_u32_e32 v3, s8, v3
	v_add_nc_u32_e32 v4, s9, v4
	s_and_not1_b32 exec_lo, exec_lo, s12
	s_cbranch_execz .LBB88_55
.LBB88_53:                              ;   Parent Loop BB88_12 Depth=1
                                        ; =>  This Inner Loop Header: Depth=2
	s_delay_alu instid0(VALU_DEP_1) | instskip(SKIP_1) | instid1(VALU_DEP_1)
	v_dual_mov_b32 v29, 0 :: v_dual_add_nc_u32 v14, s41, v14
	s_mov_b32 s8, exec_lo
	v_cmp_le_u32_e32 vcc_lo, s28, v14
	v_cmpx_gt_u32_e64 s28, v14
	s_cbranch_execz .LBB88_52
; %bb.54:                               ;   in Loop: Header=BB88_53 Depth=2
	v_lshlrev_b64 v[29:30], 2, v[6:7]
	s_delay_alu instid0(VALU_DEP_1) | instskip(NEXT) | instid1(VALU_DEP_1)
	v_add_co_u32 v29, s7, s31, v29
	v_add_co_ci_u32_e64 v30, s7, s40, v30, s7
	global_load_b32 v29, v[29:30], off
	s_branch .LBB88_52
.LBB88_55:                              ;   in Loop: Header=BB88_12 Depth=1
	s_or_b32 exec_lo, exec_lo, s12
.LBB88_56:                              ;   in Loop: Header=BB88_12 Depth=1
	s_delay_alu instid0(SALU_CYCLE_1)
	s_or_b32 exec_lo, exec_lo, s11
	s_branch .LBB88_66
.LBB88_57:                              ;   in Loop: Header=BB88_12 Depth=1
	s_mul_hi_u32 s7, s70, s53
	v_dual_mov_b32 v1, 0 :: v_dual_mov_b32 v2, 0
	s_mul_i32 s7, s7, s43
	v_dual_mov_b32 v3, 0 :: v_dual_mov_b32 v4, 0
	s_sub_i32 s7, s70, s7
	s_mov_b32 s73, 0
	s_sub_i32 s8, s7, s43
	s_cmp_ge_u32 s7, s43
	s_mov_b32 s72, exec_lo
	s_cselect_b32 s7, s8, s7
	s_delay_alu instid0(SALU_CYCLE_1) | instskip(SKIP_2) | instid1(SALU_CYCLE_1)
	s_sub_i32 s8, s7, s43
	s_cmp_ge_u32 s7, s43
	s_cselect_b32 s7, s8, s7
	s_sub_i32 s71, s70, s7
	s_delay_alu instid0(SALU_CYCLE_1)
	v_cmpx_gt_u32_e64 s71, v17
	s_cbranch_execz .LBB88_61
; %bb.58:                               ;   in Loop: Header=BB88_12 Depth=1
	v_mov_b32_e32 v6, v26
	v_mov_b32_e32 v14, v17
	s_and_b32 s74, s62, 0xfe
	s_mov_b32 s75, 0
	s_mov_b32 s76, 0
	;; [unrolled: 1-line block ×4, first 2 shown]
.LBB88_59:                              ;   Parent Loop BB88_12 Depth=1
                                        ; =>  This Inner Loop Header: Depth=2
	ds_load_b128 v[1:4], v6
	s_waitcnt lgkmcnt(0)
	v_xor_b32_e32 v1, 0x80000000, v1
	v_xor_b32_e32 v2, 0x80000000, v2
	;; [unrolled: 1-line block ×4, first 2 shown]
	s_waitcnt vmcnt(0)
	v_and_b32_e32 v28, s68, v1
	v_bfe_u32 v1, v1, s74, 2
	v_and_b32_e32 v29, s68, v2
	v_bfe_u32 v2, v2, s74, 2
	;; [unrolled: 2-line block ×3, first 2 shown]
	v_cmp_eq_u32_e64 s7, s67, v28
	v_cmp_eq_u32_e64 s11, 0, v1
	v_and_b32_e32 v31, s68, v4
	v_bfe_u32 v4, v4, s74, 2
	v_cmp_eq_u32_e64 s8, s67, v29
	v_cmp_eq_u32_e64 s12, 0, v2
	;; [unrolled: 1-line block ×4, first 2 shown]
	s_and_b32 s11, s7, s11
	v_cmp_eq_u32_e64 s10, s67, v31
	v_cmp_eq_u32_e64 s14, 0, v4
	;; [unrolled: 1-line block ×5, first 2 shown]
	v_cndmask_b32_e64 v1, 0, 1, s11
	s_and_b32 s11, s8, s12
	v_cmp_eq_u32_e64 s16, 1, v2
	v_cmp_eq_u32_e64 s20, 2, v2
	v_cmp_eq_u32_e64 s24, 3, v2
	v_cndmask_b32_e64 v2, 0, 1, s11
	s_and_b32 s11, s9, s13
	v_cmp_eq_u32_e64 s17, 1, v3
	v_cmp_eq_u32_e64 s21, 2, v3
	v_cmp_eq_u32_e64 s25, 3, v3
	;; [unrolled: 5-line block ×3, first 2 shown]
	v_cndmask_b32_e64 v4, 0, 1, s11
	s_and_b32 s11, s7, s15
	s_delay_alu instid0(SALU_CYCLE_1) | instskip(SKIP_1) | instid1(SALU_CYCLE_1)
	v_cndmask_b32_e64 v28, 0, 1, s11
	s_and_b32 s11, s8, s16
	v_cndmask_b32_e64 v29, 0, 1, s11
	s_and_b32 s11, s9, s17
	s_delay_alu instid0(SALU_CYCLE_1) | instskip(SKIP_1) | instid1(VALU_DEP_2)
	v_cndmask_b32_e64 v30, 0, 1, s11
	s_and_b32 s11, s10, s18
	v_cmp_ne_u32_e64 s12, 0, v29
	v_cndmask_b32_e64 v31, 0, 1, s11
	s_and_b32 s11, s7, s19
	s_and_b32 s7, s7, s23
	v_cndmask_b32_e64 v32, 0, 1, s11
	v_cndmask_b32_e64 v36, 0, 1, s7
	s_and_b32 s7, s8, s24
	s_and_b32 s11, s8, s20
	v_cndmask_b32_e64 v37, 0, 1, s7
	s_and_b32 s7, s9, s25
	v_cndmask_b32_e64 v33, 0, 1, s11
	v_cndmask_b32_e64 v38, 0, 1, s7
	s_and_b32 s7, s10, s26
	s_and_b32 s11, s9, s21
	v_cndmask_b32_e64 v39, 0, 1, s7
	v_cmp_ne_u32_e64 s7, 0, v1
	v_cmp_ne_u32_e64 s8, 0, v2
	v_cndmask_b32_e64 v34, 0, 1, s11
	s_and_b32 s11, s10, s22
	v_cmp_ne_u32_e64 s9, 0, v3
	v_cndmask_b32_e64 v35, 0, 1, s11
	v_cmp_ne_u32_e64 s11, 0, v28
	v_cmp_ne_u32_e64 s15, 0, v32
	;; [unrolled: 1-line block ×3, first 2 shown]
	s_bcnt1_i32_b32 s7, s7
	v_cmp_ne_u32_e64 s10, 0, v4
	v_cmp_ne_u32_e64 s16, 0, v33
	;; [unrolled: 1-line block ×3, first 2 shown]
	s_bcnt1_i32_b32 s8, s8
	s_add_i32 s7, s7, s78
	v_cmp_ne_u32_e64 s13, 0, v30
	v_cmp_ne_u32_e64 s17, 0, v34
	;; [unrolled: 1-line block ×3, first 2 shown]
	s_bcnt1_i32_b32 s9, s9
	s_add_i32 s7, s7, s8
	s_bcnt1_i32_b32 s11, s11
	s_bcnt1_i32_b32 s15, s15
	;; [unrolled: 1-line block ×3, first 2 shown]
	v_cmp_ne_u32_e64 s14, 0, v31
	v_cmp_ne_u32_e64 s18, 0, v35
	;; [unrolled: 1-line block ×3, first 2 shown]
	s_bcnt1_i32_b32 s10, s10
	s_add_i32 s7, s7, s9
	s_bcnt1_i32_b32 s12, s12
	s_bcnt1_i32_b32 s16, s16
	;; [unrolled: 1-line block ×3, first 2 shown]
	s_add_i32 s11, s11, s77
	s_add_i32 s15, s15, s76
	;; [unrolled: 1-line block ×4, first 2 shown]
	s_delay_alu instid0(SALU_CYCLE_1)
	v_dual_mov_b32 v1, s78 :: v_dual_add_nc_u32 v14, s43, v14
	s_bcnt1_i32_b32 s13, s13
	s_bcnt1_i32_b32 s17, s17
	;; [unrolled: 1-line block ×3, first 2 shown]
	s_add_i32 s8, s11, s12
	s_add_i32 s11, s15, s16
	;; [unrolled: 1-line block ×3, first 2 shown]
	s_bcnt1_i32_b32 s14, s14
	s_bcnt1_i32_b32 s18, s18
	;; [unrolled: 1-line block ×3, first 2 shown]
	s_add_i32 s8, s8, s13
	s_add_i32 s9, s11, s17
	;; [unrolled: 1-line block ×3, first 2 shown]
	v_cmp_le_u32_e32 vcc_lo, s71, v14
	s_add_i32 s77, s8, s14
	s_add_i32 s76, s9, s18
	;; [unrolled: 1-line block ×3, first 2 shown]
	v_dual_mov_b32 v3, s76 :: v_dual_add_nc_u32 v6, s58, v6
	v_mov_b32_e32 v2, s77
	v_mov_b32_e32 v4, s75
	s_or_b32 s73, vcc_lo, s73
	s_delay_alu instid0(SALU_CYCLE_1)
	s_and_not1_b32 exec_lo, exec_lo, s73
	s_cbranch_execnz .LBB88_59
; %bb.60:                               ;   in Loop: Header=BB88_12 Depth=1
	s_or_b32 exec_lo, exec_lo, s73
.LBB88_61:                              ;   in Loop: Header=BB88_12 Depth=1
	s_delay_alu instid0(SALU_CYCLE_1) | instskip(SKIP_2) | instid1(VALU_DEP_1)
	s_or_b32 exec_lo, exec_lo, s72
	v_add_nc_u32_e32 v6, s71, v0
	s_mov_b32 s12, exec_lo
	v_cmpx_gt_u32_e64 s70, v6
	s_cbranch_execz .LBB88_65
; %bb.62:                               ;   in Loop: Header=BB88_12 Depth=1
	v_lshlrev_b32_e32 v14, 2, v6
	s_and_b32 s14, s62, 0xfe
	s_mov_b32 s13, 0
.LBB88_63:                              ;   Parent Loop BB88_12 Depth=1
                                        ; =>  This Inner Loop Header: Depth=2
	s_waitcnt vmcnt(0)
	ds_load_b32 v28, v14
	v_add_nc_u32_e32 v6, s41, v6
	v_add_nc_u32_e32 v14, s43, v14
	s_delay_alu instid0(VALU_DEP_2) | instskip(SKIP_2) | instid1(VALU_DEP_1)
	v_cmp_le_u32_e32 vcc_lo, s70, v6
	s_waitcnt lgkmcnt(0)
	v_xor_b32_e32 v28, 0x80000000, v28
	v_and_b32_e32 v29, s68, v28
	v_bfe_u32 v28, v28, s14, 2
	s_delay_alu instid0(VALU_DEP_2) | instskip(NEXT) | instid1(VALU_DEP_2)
	v_cmp_eq_u32_e64 s7, s67, v29
	v_cmp_eq_u32_e64 s8, 0, v28
	;; [unrolled: 1-line block ×5, first 2 shown]
	s_delay_alu instid0(VALU_DEP_4) | instskip(NEXT) | instid1(SALU_CYCLE_1)
	s_and_b32 s8, s7, s8
	v_cndmask_b32_e64 v28, 0, 1, s8
	s_and_b32 s8, s7, s9
	s_delay_alu instid0(SALU_CYCLE_1)
	v_cndmask_b32_e64 v29, 0, 1, s8
	s_and_b32 s8, s7, s10
	s_and_b32 s7, s7, s11
	v_cndmask_b32_e64 v30, 0, 1, s8
	v_cndmask_b32_e64 v31, 0, 1, s7
	v_cmp_ne_u32_e64 s7, 0, v28
	v_cmp_ne_u32_e64 s8, 0, v29
	s_delay_alu instid0(VALU_DEP_4) | instskip(NEXT) | instid1(VALU_DEP_4)
	v_cmp_ne_u32_e64 s9, 0, v30
	v_cmp_ne_u32_e64 s10, 0, v31
	s_delay_alu instid0(VALU_DEP_4) | instskip(NEXT) | instid1(VALU_DEP_3)
	s_bcnt1_i32_b32 s7, s7
	s_bcnt1_i32_b32 s8, s8
	v_add_nc_u32_e32 v1, s7, v1
	s_bcnt1_i32_b32 s9, s9
	s_bcnt1_i32_b32 s10, s10
	v_add_nc_u32_e32 v2, s8, v2
	v_add_nc_u32_e32 v3, s9, v3
	;; [unrolled: 1-line block ×3, first 2 shown]
	s_or_b32 s13, vcc_lo, s13
	s_delay_alu instid0(SALU_CYCLE_1)
	s_and_not1_b32 exec_lo, exec_lo, s13
	s_cbranch_execnz .LBB88_63
; %bb.64:                               ;   in Loop: Header=BB88_12 Depth=1
	s_or_b32 exec_lo, exec_lo, s13
.LBB88_65:                              ;   in Loop: Header=BB88_12 Depth=1
	s_delay_alu instid0(SALU_CYCLE_1)
	s_or_b32 exec_lo, exec_lo, s12
.LBB88_66:                              ;   in Loop: Header=BB88_12 Depth=1
	s_lshl_b32 s7, s65, 7
	s_and_saveexec_b32 s8, s3
	s_cbranch_execz .LBB88_68
; %bb.67:                               ;   in Loop: Header=BB88_12 Depth=1
	v_or_b32_e32 v6, s7, v19
	s_delay_alu instid0(VALU_DEP_1)
	v_lshlrev_b32_e32 v6, 2, v6
	ds_store_b128 v6, v[1:4] offset:3072
.LBB88_68:                              ;   in Loop: Header=BB88_12 Depth=1
	s_or_b32 exec_lo, exec_lo, s8
	s_waitcnt vmcnt(0) lgkmcnt(0)
	s_barrier
	buffer_gl0_inv
	s_and_saveexec_b32 s8, s44
	s_cbranch_execz .LBB88_78
; %bb.69:                               ;   in Loop: Header=BB88_12 Depth=1
	v_mov_b32_e32 v1, 0
	s_and_not1_b32 vcc_lo, exec_lo, s48
	s_cbranch_vccnz .LBB88_77
; %bb.70:                               ;   in Loop: Header=BB88_12 Depth=1
	v_mov_b32_e32 v1, 0
	s_and_not1_b32 vcc_lo, exec_lo, s50
	s_mov_b32 s9, 0
	s_cbranch_vccnz .LBB88_74
; %bb.71:                               ;   in Loop: Header=BB88_12 Depth=1
	v_lshl_add_u32 v2, s65, 9, v27
	v_mov_b32_e32 v1, 0
	.p2align	6
.LBB88_72:                              ;   Parent Loop BB88_12 Depth=1
                                        ; =>  This Inner Loop Header: Depth=2
	ds_load_2addr_b32 v[3:4], v2 offset1:4
	ds_load_2addr_b32 v[28:29], v2 offset0:8 offset1:12
	ds_load_2addr_b32 v[30:31], v2 offset0:16 offset1:20
	;; [unrolled: 1-line block ×3, first 2 shown]
	v_add_nc_u32_e32 v2, 0x80, v2
	s_add_i32 s9, s9, 8
	s_delay_alu instid0(SALU_CYCLE_1) | instskip(SKIP_3) | instid1(VALU_DEP_1)
	s_cmp_eq_u32 s51, s9
	s_waitcnt lgkmcnt(3)
	v_add3_u32 v1, v3, v1, v4
	s_waitcnt lgkmcnt(2)
	v_add3_u32 v1, v28, v1, v29
	s_waitcnt lgkmcnt(1)
	s_delay_alu instid0(VALU_DEP_1) | instskip(SKIP_1) | instid1(VALU_DEP_1)
	v_add3_u32 v1, v30, v1, v31
	s_waitcnt lgkmcnt(0)
	v_add3_u32 v1, v32, v1, v33
	s_cbranch_scc0 .LBB88_72
; %bb.73:                               ;   in Loop: Header=BB88_12 Depth=1
	s_mov_b32 s9, s51
.LBB88_74:                              ;   in Loop: Header=BB88_12 Depth=1
	s_and_not1_b32 vcc_lo, exec_lo, s52
	s_cbranch_vccnz .LBB88_77
; %bb.75:                               ;   in Loop: Header=BB88_12 Depth=1
	s_lshl_b32 s10, s65, 9
	s_lshl_b32 s9, s9, 4
	s_delay_alu instid0(SALU_CYCLE_1)
	v_add3_u32 v2, s10, s9, v27
	s_mov_b32 s9, s49
.LBB88_76:                              ;   Parent Loop BB88_12 Depth=1
                                        ; =>  This Inner Loop Header: Depth=2
	ds_load_b32 v3, v2
	v_add_nc_u32_e32 v2, 16, v2
	s_add_i32 s9, s9, -1
	s_delay_alu instid0(SALU_CYCLE_1)
	s_cmp_lg_u32 s9, 0
	s_waitcnt lgkmcnt(0)
	v_add_nc_u32_e32 v1, v3, v1
	s_cbranch_scc1 .LBB88_76
.LBB88_77:                              ;   in Loop: Header=BB88_12 Depth=1
	v_add_lshl_u32 v2, s7, v16, 2
	ds_store_b32 v2, v1 offset:3072
.LBB88_78:                              ;   in Loop: Header=BB88_12 Depth=1
	s_or_b32 exec_lo, exec_lo, s8
	s_lshl_b32 s7, s7, 2
	s_waitcnt lgkmcnt(0)
	v_mov_b32_e32 v1, s7
	s_barrier
	buffer_gl0_inv
	s_and_b32 s16, s62, 0xfe
	s_mov_b32 s12, -1
	ds_load_b128 v[1:4], v1 offset:3072
	s_lshl_b32 s9, 3, s16
	s_delay_alu instid0(SALU_CYCLE_1) | instskip(SKIP_4) | instid1(VALU_DEP_3)
	s_not_b32 s17, s9
	s_waitcnt lgkmcnt(0)
	v_readfirstlane_b32 s11, v1
	v_readfirstlane_b32 s19, v2
	;; [unrolled: 1-line block ×3, first 2 shown]
	s_cmp_eq_u32 s11, 1
	s_cselect_b32 s7, -1, 0
	s_cmp_eq_u32 s69, 1
	s_cselect_b32 s8, -1, 0
	s_delay_alu instid0(SALU_CYCLE_1)
	s_and_b32 s13, s7, s8
	v_readfirstlane_b32 s8, v4
	s_and_b32 vcc_lo, exec_lo, s13
	s_cbranch_vccz .LBB88_90
; %bb.79:                               ;   in Loop: Header=BB88_12 Depth=1
	ds_load_b32 v1, v7 offset:4104
	s_waitcnt lgkmcnt(0)
	s_barrier
	buffer_gl0_inv
	v_readfirstlane_b32 s10, v1
	s_and_saveexec_b32 s7, s1
	s_cbranch_execz .LBB88_81
; %bb.80:                               ;   in Loop: Header=BB88_12 Depth=1
	ds_store_b32 v18, v7
.LBB88_81:                              ;   in Loop: Header=BB88_12 Depth=1
	s_or_b32 exec_lo, exec_lo, s7
	s_and_b32 s67, s67, s17
	s_or_b32 s68, s68, s9
	s_cmp_eq_u32 s10, 0
	s_waitcnt lgkmcnt(0)
	s_barrier
	buffer_gl0_inv
	s_cbranch_scc1 .LBB88_91
; %bb.82:                               ;   in Loop: Header=BB88_12 Depth=1
	s_add_i32 s7, s10, s45
                                        ; implicit-def: $vgpr15
	s_delay_alu instid0(SALU_CYCLE_1) | instskip(NEXT) | instid1(SALU_CYCLE_1)
	s_mul_hi_u32 s15, s7, s55
	s_mul_i32 s15, s15, s41
	s_delay_alu instid0(SALU_CYCLE_1) | instskip(NEXT) | instid1(SALU_CYCLE_1)
	s_sub_i32 s15, s7, s15
	s_sub_i32 s18, s15, s41
	s_cmp_ge_u32 s15, s41
	s_cselect_b32 s15, s18, s15
	s_delay_alu instid0(SALU_CYCLE_1) | instskip(SKIP_2) | instid1(SALU_CYCLE_1)
	s_sub_i32 s18, s15, s41
	s_cmp_ge_u32 s15, s41
	s_cselect_b32 s15, s18, s15
	s_sub_i32 s18, s7, s15
	s_mov_b32 s7, 0
	s_mov_b32 s15, exec_lo
	v_cmpx_gt_u32_e64 s18, v0
	s_cbranch_execz .LBB88_93
; %bb.83:                               ;   in Loop: Header=BB88_12 Depth=1
	v_dual_mov_b32 v1, v17 :: v_dual_mov_b32 v2, v0
                                        ; implicit-def: $sgpr20
	s_set_inst_prefetch_distance 0x1
	s_branch .LBB88_85
	.p2align	6
.LBB88_84:                              ;   in Loop: Header=BB88_85 Depth=2
	s_or_b32 exec_lo, exec_lo, s21
	s_waitcnt lgkmcnt(0)
	s_barrier
	buffer_gl0_inv
	ds_load_b64 v[14:15], v7 offset:3072
	v_add_nc_u32_e32 v2, s41, v2
	v_add_nc_u32_e32 v1, s43, v1
	s_waitcnt lgkmcnt(0)
	s_barrier
	buffer_gl0_inv
	v_cmp_le_u32_e32 vcc_lo, s18, v2
	v_readfirstlane_b32 s21, v14
	s_delay_alu instid0(VALU_DEP_1) | instskip(SKIP_1) | instid1(SALU_CYCLE_1)
	s_cmp_lg_u32 s21, 0
	s_cselect_b32 s21, -1, 0
	s_or_b32 s22, vcc_lo, s21
	s_delay_alu instid0(SALU_CYCLE_1) | instskip(NEXT) | instid1(SALU_CYCLE_1)
	s_and_b32 s22, exec_lo, s22
	s_or_b32 s7, s22, s7
	s_and_not1_b32 s20, s20, exec_lo
	s_and_b32 s21, s21, exec_lo
	s_delay_alu instid0(SALU_CYCLE_1)
	s_or_b32 s20, s20, s21
	s_and_not1_b32 exec_lo, exec_lo, s7
	s_cbranch_execz .LBB88_92
.LBB88_85:                              ;   Parent Loop BB88_12 Depth=1
                                        ; =>  This Inner Loop Header: Depth=2
	s_delay_alu instid0(VALU_DEP_1)
	v_cmp_gt_u32_e32 vcc_lo, s10, v2
	v_mov_b32_e32 v14, 0
	s_and_saveexec_b32 s21, vcc_lo
	s_cbranch_execz .LBB88_87
; %bb.86:                               ;   in Loop: Header=BB88_85 Depth=2
	ds_load_b32 v14, v1
.LBB88_87:                              ;   in Loop: Header=BB88_85 Depth=2
	s_or_b32 exec_lo, exec_lo, s21
	s_and_saveexec_b32 s21, vcc_lo
	s_cbranch_execz .LBB88_84
; %bb.88:                               ;   in Loop: Header=BB88_85 Depth=2
	s_waitcnt lgkmcnt(0)
	v_xor_b32_e32 v3, 0x80000000, v14
	s_delay_alu instid0(VALU_DEP_1) | instskip(NEXT) | instid1(VALU_DEP_1)
	v_and_b32_e32 v3, s68, v3
	v_cmp_eq_u32_e32 vcc_lo, s67, v3
	s_and_b32 exec_lo, exec_lo, vcc_lo
	s_cbranch_execz .LBB88_84
; %bb.89:                               ;   in Loop: Header=BB88_85 Depth=2
	ds_store_b64 v7, v[13:14] offset:3072
	s_branch .LBB88_84
.LBB88_90:                              ;   in Loop: Header=BB88_12 Depth=1
	s_mov_b32 s7, -1
                                        ; implicit-def: $sgpr10
                                        ; implicit-def: $sgpr18
                                        ; implicit-def: $sgpr15
	s_branch .LBB88_104
.LBB88_91:                              ;   in Loop: Header=BB88_12 Depth=1
	s_mov_b32 s10, -1
	s_mov_b32 s7, 0
                                        ; implicit-def: $sgpr15
                                        ; implicit-def: $vgpr15
	s_mov_b32 s18, s10
	s_cbranch_execnz .LBB88_94
	s_branch .LBB88_104
.LBB88_92:                              ;   in Loop: Header=BB88_12 Depth=1
	s_set_inst_prefetch_distance 0x2
	s_or_b32 exec_lo, exec_lo, s7
	s_delay_alu instid0(SALU_CYCLE_1)
	s_and_b32 s7, s20, exec_lo
.LBB88_93:                              ;   in Loop: Header=BB88_12 Depth=1
	s_or_b32 exec_lo, exec_lo, s15
	s_mov_b32 s15, -1
	s_mov_b32 s10, 0
	s_delay_alu instid0(SALU_CYCLE_1)
	s_mov_b32 s18, s10
	s_branch .LBB88_104
.LBB88_94:                              ;   in Loop: Header=BB88_12 Depth=1
	s_mov_b32 s7, 0
                                        ; implicit-def: $vgpr15
	s_and_saveexec_b32 s10, s6
	s_cbranch_execz .LBB88_103
; %bb.95:                               ;   in Loop: Header=BB88_12 Depth=1
	v_dual_mov_b32 v6, v5 :: v_dual_mov_b32 v1, v0
	s_mov_b32 s15, 0
                                        ; implicit-def: $sgpr18
	s_set_inst_prefetch_distance 0x1
	s_branch .LBB88_97
	.p2align	6
.LBB88_96:                              ;   in Loop: Header=BB88_97 Depth=2
	s_or_b32 exec_lo, exec_lo, s7
	s_waitcnt vmcnt(0) lgkmcnt(0)
	s_barrier
	buffer_gl0_inv
	ds_load_b64 v[14:15], v7 offset:3072
	v_add_nc_u32_e32 v1, s41, v1
	v_add_nc_u32_e32 v6, s46, v6
	s_waitcnt lgkmcnt(0)
	s_barrier
	buffer_gl0_inv
	v_cmp_le_u32_e32 vcc_lo, s56, v1
	v_readfirstlane_b32 s7, v14
	s_delay_alu instid0(VALU_DEP_1) | instskip(SKIP_1) | instid1(SALU_CYCLE_1)
	s_cmp_lg_u32 s7, 0
	s_cselect_b32 s7, -1, 0
	s_or_b32 s20, vcc_lo, s7
	s_delay_alu instid0(SALU_CYCLE_1) | instskip(NEXT) | instid1(SALU_CYCLE_1)
	s_and_b32 s20, exec_lo, s20
	s_or_b32 s15, s20, s15
	s_and_not1_b32 s18, s18, exec_lo
	s_and_b32 s7, s7, exec_lo
	s_delay_alu instid0(SALU_CYCLE_1)
	s_or_b32 s18, s18, s7
	s_and_not1_b32 exec_lo, exec_lo, s15
	s_cbranch_execz .LBB88_102
.LBB88_97:                              ;   Parent Loop BB88_12 Depth=1
                                        ; =>  This Inner Loop Header: Depth=2
	s_delay_alu instid0(VALU_DEP_1)
	v_cmp_gt_u32_e32 vcc_lo, s28, v1
	v_mov_b32_e32 v14, 0
	s_and_saveexec_b32 s20, vcc_lo
	s_cbranch_execz .LBB88_99
; %bb.98:                               ;   in Loop: Header=BB88_97 Depth=2
	v_lshlrev_b64 v[2:3], 2, v[6:7]
	s_delay_alu instid0(VALU_DEP_1) | instskip(NEXT) | instid1(VALU_DEP_1)
	v_add_co_u32 v2, s7, s31, v2
	v_add_co_ci_u32_e64 v3, s7, s40, v3, s7
	global_load_b32 v14, v[2:3], off
.LBB88_99:                              ;   in Loop: Header=BB88_97 Depth=2
	s_or_b32 exec_lo, exec_lo, s20
	s_and_saveexec_b32 s7, vcc_lo
	s_cbranch_execz .LBB88_96
; %bb.100:                              ;   in Loop: Header=BB88_97 Depth=2
	s_waitcnt vmcnt(0)
	v_xor_b32_e32 v2, 0x80000000, v14
	s_delay_alu instid0(VALU_DEP_1) | instskip(NEXT) | instid1(VALU_DEP_1)
	v_and_b32_e32 v2, s68, v2
	v_cmp_eq_u32_e32 vcc_lo, s67, v2
	s_and_b32 exec_lo, exec_lo, vcc_lo
	s_cbranch_execz .LBB88_96
; %bb.101:                              ;   in Loop: Header=BB88_97 Depth=2
	ds_store_b64 v7, v[13:14] offset:3072
	s_branch .LBB88_96
.LBB88_102:                             ;   in Loop: Header=BB88_12 Depth=1
	s_set_inst_prefetch_distance 0x2
	s_or_b32 exec_lo, exec_lo, s15
	s_delay_alu instid0(SALU_CYCLE_1)
	s_and_b32 s7, s18, exec_lo
.LBB88_103:                             ;   in Loop: Header=BB88_12 Depth=1
	s_or_b32 exec_lo, exec_lo, s10
	s_mov_b32 s18, -1
	s_mov_b32 s10, 0
	s_mov_b32 s15, 0
.LBB88_104:                             ;   in Loop: Header=BB88_12 Depth=1
	s_and_not1_b32 s20, s63, exec_lo
	s_and_b32 s10, s10, exec_lo
	s_and_b32 s18, s18, exec_lo
	s_or_b32 s63, s20, s10
	s_and_not1_b32 s10, s66, exec_lo
	s_and_not1_b32 s20, s64, exec_lo
	s_and_b32 s15, s15, exec_lo
	s_or_b32 s66, s10, s18
	s_or_b32 s64, s20, s15
	s_and_saveexec_b32 s10, s7
	s_cbranch_execz .LBB88_11
; %bb.105:                              ;   in Loop: Header=BB88_12 Depth=1
	s_xor_b32 s7, s13, -1
	s_mov_b32 s12, 0
	s_and_not1_b32 vcc_lo, exec_lo, s7
	s_mov_b32 s20, 1
	s_cbranch_vccnz .LBB88_116
; %bb.106:                              ;   in Loop: Header=BB88_12 Depth=1
	s_cmp_gt_u32 s69, s11
	s_mov_b32 s12, -1
                                        ; implicit-def: $sgpr7
                                        ; implicit-def: $sgpr13
                                        ; implicit-def: $sgpr15
	s_cbranch_scc1 .LBB88_112
; %bb.107:                              ;   in Loop: Header=BB88_12 Depth=1
	ds_load_b32 v1, v7 offset:4104
	s_waitcnt lgkmcnt(0)
	v_cmp_ne_u32_e32 vcc_lo, 0, v1
	s_cbranch_vccnz .LBB88_111
; %bb.108:                              ;   in Loop: Header=BB88_12 Depth=1
	s_and_saveexec_b32 s7, s2
	s_cbranch_execz .LBB88_110
; %bb.109:                              ;   in Loop: Header=BB88_12 Depth=1
	v_mov_b32_e32 v1, s11
	ds_store_b32 v7, v1 offset:4108
.LBB88_110:                             ;   in Loop: Header=BB88_12 Depth=1
	s_or_b32 exec_lo, exec_lo, s7
	s_waitcnt lgkmcnt(0)
	s_barrier
	buffer_gl0_inv
.LBB88_111:                             ;   in Loop: Header=BB88_12 Depth=1
	s_and_b32 s13, s67, s17
	s_or_b32 s15, s68, s9
	s_mov_b32 s12, 0
	s_mov_b32 s7, 8
.LBB88_112:                             ;   in Loop: Header=BB88_12 Depth=1
	s_and_not1_b32 vcc_lo, exec_lo, s12
	s_cbranch_vccnz .LBB88_114
; %bb.113:                              ;   in Loop: Header=BB88_12 Depth=1
	s_sub_i32 s69, s69, s11
	s_mov_b32 s12, -1
	s_mov_b32 s7, 0
	s_mov_b32 s13, s67
	;; [unrolled: 1-line block ×3, first 2 shown]
.LBB88_114:                             ;   in Loop: Header=BB88_12 Depth=1
	s_delay_alu instid0(SALU_CYCLE_1)
	s_mov_b32 s68, s15
	s_mov_b32 s67, s13
	;; [unrolled: 1-line block ×3, first 2 shown]
	s_and_b32 vcc_lo, exec_lo, s12
	s_mov_b32 s11, -1
	s_cbranch_vccnz .LBB88_117
.LBB88_115:                             ;   in Loop: Header=BB88_12 Depth=1
	s_mov_b32 s23, -1
                                        ; implicit-def: $sgpr12
                                        ; implicit-def: $sgpr15
                                        ; implicit-def: $sgpr13
                                        ; implicit-def: $sgpr69
	s_delay_alu instid0(SALU_CYCLE_1) | instskip(NEXT) | instid1(SALU_CYCLE_1)
	s_and_saveexec_b32 s8, s23
	s_xor_b32 s8, exec_lo, s8
	s_cbranch_execz .LBB88_10
	s_branch .LBB88_243
.LBB88_116:                             ;   in Loop: Header=BB88_12 Depth=1
	s_mov_b32 s7, 1
	s_and_b32 vcc_lo, exec_lo, s12
	s_mov_b32 s11, -1
	s_cbranch_vccz .LBB88_115
.LBB88_117:                             ;   in Loop: Header=BB88_12 Depth=1
	s_cmp_eq_u32 s19, 1
	s_mov_b32 s22, -1
	s_cselect_b32 s7, -1, 0
	s_cmp_eq_u32 s20, 1
	s_cselect_b32 s12, -1, 0
	s_delay_alu instid0(SALU_CYCLE_1) | instskip(NEXT) | instid1(SALU_CYCLE_1)
	s_and_b32 s21, s7, s12
	s_and_b32 vcc_lo, exec_lo, s21
	s_cbranch_vccz .LBB88_129
; %bb.118:                              ;   in Loop: Header=BB88_12 Depth=1
	ds_load_b32 v1, v7 offset:4104
	s_waitcnt lgkmcnt(0)
	s_barrier
	buffer_gl0_inv
	v_readfirstlane_b32 s7, v1
	s_and_saveexec_b32 s12, s1
	s_cbranch_execz .LBB88_120
; %bb.119:                              ;   in Loop: Header=BB88_12 Depth=1
	ds_store_b32 v18, v7
.LBB88_120:                             ;   in Loop: Header=BB88_12 Depth=1
	s_or_b32 exec_lo, exec_lo, s12
	s_lshl_b32 s12, 1, s16
	s_and_b32 s13, s67, s17
	s_or_b32 s68, s68, s9
	s_or_b32 s67, s13, s12
	s_cmp_eq_u32 s7, 0
	s_waitcnt lgkmcnt(0)
	s_barrier
	buffer_gl0_inv
	s_cbranch_scc1 .LBB88_133
; %bb.121:                              ;   in Loop: Header=BB88_12 Depth=1
	s_add_i32 s12, s7, s45
	s_mov_b32 s22, 0
	s_mul_hi_u32 s13, s12, s55
                                        ; implicit-def: $vgpr15
	s_delay_alu instid0(SALU_CYCLE_1) | instskip(NEXT) | instid1(SALU_CYCLE_1)
	s_mul_i32 s13, s13, s41
	s_sub_i32 s13, s12, s13
	s_delay_alu instid0(SALU_CYCLE_1) | instskip(SKIP_2) | instid1(SALU_CYCLE_1)
	s_sub_i32 s15, s13, s41
	s_cmp_ge_u32 s13, s41
	s_cselect_b32 s13, s15, s13
	s_sub_i32 s15, s13, s41
	s_cmp_ge_u32 s13, s41
	s_cselect_b32 s13, s15, s13
	s_delay_alu instid0(SALU_CYCLE_1)
	s_sub_i32 s13, s12, s13
	s_mov_b32 s12, exec_lo
	v_cmpx_gt_u32_e64 s13, v0
	s_cbranch_execz .LBB88_135
; %bb.122:                              ;   in Loop: Header=BB88_12 Depth=1
	v_dual_mov_b32 v1, v17 :: v_dual_mov_b32 v2, v0
	s_mov_b32 s15, 0
                                        ; implicit-def: $sgpr18
	s_set_inst_prefetch_distance 0x1
	s_branch .LBB88_124
	.p2align	6
.LBB88_123:                             ;   in Loop: Header=BB88_124 Depth=2
	s_or_b32 exec_lo, exec_lo, s22
	s_waitcnt lgkmcnt(0)
	s_barrier
	buffer_gl0_inv
	ds_load_b64 v[14:15], v7 offset:3072
	v_add_nc_u32_e32 v2, s41, v2
	v_add_nc_u32_e32 v1, s43, v1
	s_waitcnt lgkmcnt(0)
	s_barrier
	buffer_gl0_inv
	v_cmp_le_u32_e32 vcc_lo, s13, v2
	v_readfirstlane_b32 s22, v14
	s_delay_alu instid0(VALU_DEP_1) | instskip(SKIP_1) | instid1(SALU_CYCLE_1)
	s_cmp_lg_u32 s22, 0
	s_cselect_b32 s22, -1, 0
	s_or_b32 s23, vcc_lo, s22
	s_delay_alu instid0(SALU_CYCLE_1) | instskip(NEXT) | instid1(SALU_CYCLE_1)
	s_and_b32 s23, exec_lo, s23
	s_or_b32 s15, s23, s15
	s_and_not1_b32 s18, s18, exec_lo
	s_and_b32 s22, s22, exec_lo
	s_delay_alu instid0(SALU_CYCLE_1)
	s_or_b32 s18, s18, s22
	s_and_not1_b32 exec_lo, exec_lo, s15
	s_cbranch_execz .LBB88_134
.LBB88_124:                             ;   Parent Loop BB88_12 Depth=1
                                        ; =>  This Inner Loop Header: Depth=2
	s_delay_alu instid0(VALU_DEP_1)
	v_cmp_gt_u32_e32 vcc_lo, s7, v2
	v_mov_b32_e32 v14, 0
	s_and_saveexec_b32 s22, vcc_lo
	s_cbranch_execz .LBB88_126
; %bb.125:                              ;   in Loop: Header=BB88_124 Depth=2
	ds_load_b32 v14, v1
.LBB88_126:                             ;   in Loop: Header=BB88_124 Depth=2
	s_or_b32 exec_lo, exec_lo, s22
	s_and_saveexec_b32 s22, vcc_lo
	s_cbranch_execz .LBB88_123
; %bb.127:                              ;   in Loop: Header=BB88_124 Depth=2
	s_waitcnt lgkmcnt(0)
	v_xor_b32_e32 v3, 0x80000000, v14
	s_delay_alu instid0(VALU_DEP_1) | instskip(NEXT) | instid1(VALU_DEP_1)
	v_and_b32_e32 v3, s68, v3
	v_cmp_eq_u32_e32 vcc_lo, s67, v3
	s_and_b32 exec_lo, exec_lo, vcc_lo
	s_cbranch_execz .LBB88_123
; %bb.128:                              ;   in Loop: Header=BB88_124 Depth=2
	ds_store_b64 v7, v[13:14] offset:3072
	s_branch .LBB88_123
.LBB88_129:                             ;   in Loop: Header=BB88_12 Depth=1
                                        ; implicit-def: $sgpr13
                                        ; implicit-def: $sgpr15
                                        ; implicit-def: $sgpr12
	s_branch .LBB88_146
.LBB88_130:                             ;   in Loop: Header=BB88_12 Depth=1
	s_or_b32 exec_lo, exec_lo, s9
	s_waitcnt vmcnt(0) lgkmcnt(0)
	s_barrier
	buffer_gl0_inv
	s_and_saveexec_b32 s7, s2
	s_cbranch_execz .LBB88_132
; %bb.131:                              ;   in Loop: Header=BB88_12 Depth=1
	ds_load_b32 v1, v7 offset:4112
	s_waitcnt lgkmcnt(0)
	ds_store_b32 v7, v1 offset:4104
.LBB88_132:                             ;   in Loop: Header=BB88_12 Depth=1
	s_or_b32 exec_lo, exec_lo, s7
	s_waitcnt lgkmcnt(0)
	s_mov_b32 s7, -1
	s_barrier
	s_and_b32 vcc_lo, exec_lo, s70
	s_cbranch_vccnz .LBB88_30
	s_branch .LBB88_40
.LBB88_133:                             ;   in Loop: Header=BB88_12 Depth=1
	s_mov_b32 s13, -1
	s_mov_b32 s22, 0
                                        ; implicit-def: $sgpr12
                                        ; implicit-def: $vgpr15
	s_mov_b32 s15, s13
	s_cbranch_execnz .LBB88_136
	s_branch .LBB88_146
.LBB88_134:                             ;   in Loop: Header=BB88_12 Depth=1
	s_set_inst_prefetch_distance 0x2
	s_or_b32 exec_lo, exec_lo, s15
	s_delay_alu instid0(SALU_CYCLE_1)
	s_and_b32 s22, s18, exec_lo
.LBB88_135:                             ;   in Loop: Header=BB88_12 Depth=1
	s_or_b32 exec_lo, exec_lo, s12
	s_mov_b32 s12, -1
	s_mov_b32 s13, 0
	s_delay_alu instid0(SALU_CYCLE_1)
	s_mov_b32 s15, s13
	s_branch .LBB88_146
.LBB88_136:                             ;   in Loop: Header=BB88_12 Depth=1
	s_mov_b32 s22, 0
                                        ; implicit-def: $vgpr15
	s_and_saveexec_b32 s12, s6
	s_cbranch_execz .LBB88_145
; %bb.137:                              ;   in Loop: Header=BB88_12 Depth=1
	v_dual_mov_b32 v6, v5 :: v_dual_mov_b32 v1, v0
	s_mov_b32 s13, 0
                                        ; implicit-def: $sgpr15
	s_set_inst_prefetch_distance 0x1
	s_branch .LBB88_139
	.p2align	6
.LBB88_138:                             ;   in Loop: Header=BB88_139 Depth=2
	s_or_b32 exec_lo, exec_lo, s7
	s_waitcnt vmcnt(0) lgkmcnt(0)
	s_barrier
	buffer_gl0_inv
	ds_load_b64 v[14:15], v7 offset:3072
	v_add_nc_u32_e32 v1, s41, v1
	v_add_nc_u32_e32 v6, s46, v6
	s_waitcnt lgkmcnt(0)
	s_barrier
	buffer_gl0_inv
	v_cmp_le_u32_e32 vcc_lo, s56, v1
	v_readfirstlane_b32 s7, v14
	s_delay_alu instid0(VALU_DEP_1) | instskip(SKIP_1) | instid1(SALU_CYCLE_1)
	s_cmp_lg_u32 s7, 0
	s_cselect_b32 s7, -1, 0
	s_or_b32 s18, vcc_lo, s7
	s_delay_alu instid0(SALU_CYCLE_1) | instskip(NEXT) | instid1(SALU_CYCLE_1)
	s_and_b32 s18, exec_lo, s18
	s_or_b32 s13, s18, s13
	s_and_not1_b32 s15, s15, exec_lo
	s_and_b32 s7, s7, exec_lo
	s_delay_alu instid0(SALU_CYCLE_1)
	s_or_b32 s15, s15, s7
	s_and_not1_b32 exec_lo, exec_lo, s13
	s_cbranch_execz .LBB88_144
.LBB88_139:                             ;   Parent Loop BB88_12 Depth=1
                                        ; =>  This Inner Loop Header: Depth=2
	s_delay_alu instid0(VALU_DEP_1)
	v_cmp_gt_u32_e32 vcc_lo, s28, v1
	v_mov_b32_e32 v14, 0
	s_and_saveexec_b32 s18, vcc_lo
	s_cbranch_execz .LBB88_141
; %bb.140:                              ;   in Loop: Header=BB88_139 Depth=2
	v_lshlrev_b64 v[2:3], 2, v[6:7]
	s_delay_alu instid0(VALU_DEP_1) | instskip(NEXT) | instid1(VALU_DEP_1)
	v_add_co_u32 v2, s7, s31, v2
	v_add_co_ci_u32_e64 v3, s7, s40, v3, s7
	global_load_b32 v14, v[2:3], off
.LBB88_141:                             ;   in Loop: Header=BB88_139 Depth=2
	s_or_b32 exec_lo, exec_lo, s18
	s_and_saveexec_b32 s7, vcc_lo
	s_cbranch_execz .LBB88_138
; %bb.142:                              ;   in Loop: Header=BB88_139 Depth=2
	s_waitcnt vmcnt(0)
	v_xor_b32_e32 v2, 0x80000000, v14
	s_delay_alu instid0(VALU_DEP_1) | instskip(NEXT) | instid1(VALU_DEP_1)
	v_and_b32_e32 v2, s68, v2
	v_cmp_eq_u32_e32 vcc_lo, s67, v2
	s_and_b32 exec_lo, exec_lo, vcc_lo
	s_cbranch_execz .LBB88_138
; %bb.143:                              ;   in Loop: Header=BB88_139 Depth=2
	ds_store_b64 v7, v[13:14] offset:3072
	s_branch .LBB88_138
.LBB88_144:                             ;   in Loop: Header=BB88_12 Depth=1
	s_set_inst_prefetch_distance 0x2
	s_or_b32 exec_lo, exec_lo, s13
	s_delay_alu instid0(SALU_CYCLE_1)
	s_and_b32 s22, s15, exec_lo
.LBB88_145:                             ;   in Loop: Header=BB88_12 Depth=1
	s_or_b32 exec_lo, exec_lo, s12
	s_mov_b32 s15, -1
	s_mov_b32 s13, 0
	s_mov_b32 s12, 0
.LBB88_146:                             ;   in Loop: Header=BB88_12 Depth=1
	s_mov_b32 s23, 0
                                        ; implicit-def: $sgpr7
	s_and_saveexec_b32 s18, s22
	s_cbranch_execz .LBB88_242
; %bb.147:                              ;   in Loop: Header=BB88_12 Depth=1
	s_xor_b32 s7, s21, -1
	s_mov_b32 s21, 0
	s_and_not1_b32 vcc_lo, exec_lo, s7
	s_mov_b32 s24, 1
	s_cbranch_vccnz .LBB88_158
; %bb.148:                              ;   in Loop: Header=BB88_12 Depth=1
	s_cmp_gt_u32 s20, s19
	s_mov_b32 s21, -1
                                        ; implicit-def: $sgpr7
                                        ; implicit-def: $sgpr22
                                        ; implicit-def: $sgpr23
	s_cbranch_scc1 .LBB88_154
; %bb.149:                              ;   in Loop: Header=BB88_12 Depth=1
	ds_load_b32 v1, v7 offset:4104
	s_waitcnt lgkmcnt(0)
	v_cmp_ne_u32_e32 vcc_lo, 0, v1
	s_cbranch_vccnz .LBB88_153
; %bb.150:                              ;   in Loop: Header=BB88_12 Depth=1
	s_and_saveexec_b32 s7, s2
	s_cbranch_execz .LBB88_152
; %bb.151:                              ;   in Loop: Header=BB88_12 Depth=1
	v_mov_b32_e32 v1, s19
	ds_store_b32 v7, v1 offset:4108
.LBB88_152:                             ;   in Loop: Header=BB88_12 Depth=1
	s_or_b32 exec_lo, exec_lo, s7
	s_waitcnt lgkmcnt(0)
	s_barrier
	buffer_gl0_inv
.LBB88_153:                             ;   in Loop: Header=BB88_12 Depth=1
	s_lshl_b32 s7, 1, s16
	s_and_b32 s21, s67, s17
	s_or_b32 s23, s68, s9
	s_or_b32 s22, s21, s7
	s_mov_b32 s21, 0
	s_mov_b32 s7, 8
.LBB88_154:                             ;   in Loop: Header=BB88_12 Depth=1
	s_and_not1_b32 vcc_lo, exec_lo, s21
	s_cbranch_vccnz .LBB88_156
; %bb.155:                              ;   in Loop: Header=BB88_12 Depth=1
	s_sub_i32 s20, s20, s19
	s_mov_b32 s21, -1
	s_mov_b32 s7, 0
	s_mov_b32 s22, s67
	;; [unrolled: 1-line block ×3, first 2 shown]
.LBB88_156:                             ;   in Loop: Header=BB88_12 Depth=1
	s_delay_alu instid0(SALU_CYCLE_1)
	s_mov_b32 s68, s23
	s_mov_b32 s67, s22
	;; [unrolled: 1-line block ×3, first 2 shown]
	s_and_not1_b32 vcc_lo, exec_lo, s21
	s_mov_b32 s26, -1
	s_cbranch_vccz .LBB88_159
.LBB88_157:                             ;   in Loop: Header=BB88_12 Depth=1
                                        ; implicit-def: $sgpr20
                                        ; implicit-def: $sgpr21
                                        ; implicit-def: $sgpr19
	s_branch .LBB88_241
.LBB88_158:                             ;   in Loop: Header=BB88_12 Depth=1
	s_mov_b32 s7, 1
	s_and_not1_b32 vcc_lo, exec_lo, s21
	s_mov_b32 s26, -1
	s_cbranch_vccnz .LBB88_157
.LBB88_159:                             ;   in Loop: Header=BB88_12 Depth=1
	s_cmp_eq_u32 s14, 1
	s_mov_b32 s25, -1
	s_cselect_b32 s7, -1, 0
	s_cmp_eq_u32 s24, 1
	s_cselect_b32 s19, -1, 0
	s_delay_alu instid0(SALU_CYCLE_1) | instskip(NEXT) | instid1(SALU_CYCLE_1)
	s_and_b32 s23, s7, s19
	s_and_b32 vcc_lo, exec_lo, s23
	s_cbranch_vccz .LBB88_171
; %bb.160:                              ;   in Loop: Header=BB88_12 Depth=1
	ds_load_b32 v1, v7 offset:4104
	s_waitcnt lgkmcnt(0)
	s_barrier
	buffer_gl0_inv
	v_readfirstlane_b32 s7, v1
	s_and_saveexec_b32 s19, s1
	s_cbranch_execz .LBB88_162
; %bb.161:                              ;   in Loop: Header=BB88_12 Depth=1
	ds_store_b32 v18, v7
.LBB88_162:                             ;   in Loop: Header=BB88_12 Depth=1
	s_or_b32 exec_lo, exec_lo, s19
	s_lshl_b32 s19, 2, s16
	s_and_b32 s20, s67, s17
	s_or_b32 s68, s68, s9
	s_or_b32 s67, s20, s19
	s_cmp_eq_u32 s7, 0
	s_waitcnt lgkmcnt(0)
	s_barrier
	buffer_gl0_inv
	s_cbranch_scc1 .LBB88_172
; %bb.163:                              ;   in Loop: Header=BB88_12 Depth=1
	s_add_i32 s19, s7, s45
	s_mov_b32 s25, 0
	s_mul_hi_u32 s20, s19, s55
                                        ; implicit-def: $vgpr15
	s_delay_alu instid0(SALU_CYCLE_1) | instskip(NEXT) | instid1(SALU_CYCLE_1)
	s_mul_i32 s20, s20, s41
	s_sub_i32 s20, s19, s20
	s_delay_alu instid0(SALU_CYCLE_1) | instskip(SKIP_2) | instid1(SALU_CYCLE_1)
	s_sub_i32 s21, s20, s41
	s_cmp_ge_u32 s20, s41
	s_cselect_b32 s20, s21, s20
	s_sub_i32 s21, s20, s41
	s_cmp_ge_u32 s20, s41
	s_cselect_b32 s20, s21, s20
	s_delay_alu instid0(SALU_CYCLE_1)
	s_sub_i32 s20, s19, s20
	s_mov_b32 s19, exec_lo
	v_cmpx_gt_u32_e64 s20, v0
	s_cbranch_execz .LBB88_174
; %bb.164:                              ;   in Loop: Header=BB88_12 Depth=1
	v_dual_mov_b32 v1, v17 :: v_dual_mov_b32 v2, v0
	s_mov_b32 s21, 0
                                        ; implicit-def: $sgpr22
	s_set_inst_prefetch_distance 0x1
	s_branch .LBB88_166
	.p2align	6
.LBB88_165:                             ;   in Loop: Header=BB88_166 Depth=2
	s_or_b32 exec_lo, exec_lo, s25
	s_waitcnt lgkmcnt(0)
	s_barrier
	buffer_gl0_inv
	ds_load_b64 v[14:15], v7 offset:3072
	v_add_nc_u32_e32 v2, s41, v2
	v_add_nc_u32_e32 v1, s43, v1
	s_waitcnt lgkmcnt(0)
	s_barrier
	buffer_gl0_inv
	v_cmp_le_u32_e32 vcc_lo, s20, v2
	v_readfirstlane_b32 s25, v14
	s_delay_alu instid0(VALU_DEP_1) | instskip(SKIP_1) | instid1(SALU_CYCLE_1)
	s_cmp_lg_u32 s25, 0
	s_cselect_b32 s25, -1, 0
	s_or_b32 s26, vcc_lo, s25
	s_delay_alu instid0(SALU_CYCLE_1) | instskip(NEXT) | instid1(SALU_CYCLE_1)
	s_and_b32 s26, exec_lo, s26
	s_or_b32 s21, s26, s21
	s_and_not1_b32 s22, s22, exec_lo
	s_and_b32 s25, s25, exec_lo
	s_delay_alu instid0(SALU_CYCLE_1)
	s_or_b32 s22, s22, s25
	s_and_not1_b32 exec_lo, exec_lo, s21
	s_cbranch_execz .LBB88_173
.LBB88_166:                             ;   Parent Loop BB88_12 Depth=1
                                        ; =>  This Inner Loop Header: Depth=2
	s_delay_alu instid0(VALU_DEP_1)
	v_cmp_gt_u32_e32 vcc_lo, s7, v2
	v_mov_b32_e32 v14, 0
	s_and_saveexec_b32 s25, vcc_lo
	s_cbranch_execz .LBB88_168
; %bb.167:                              ;   in Loop: Header=BB88_166 Depth=2
	ds_load_b32 v14, v1
.LBB88_168:                             ;   in Loop: Header=BB88_166 Depth=2
	s_or_b32 exec_lo, exec_lo, s25
	s_and_saveexec_b32 s25, vcc_lo
	s_cbranch_execz .LBB88_165
; %bb.169:                              ;   in Loop: Header=BB88_166 Depth=2
	s_waitcnt lgkmcnt(0)
	v_xor_b32_e32 v3, 0x80000000, v14
	s_delay_alu instid0(VALU_DEP_1) | instskip(NEXT) | instid1(VALU_DEP_1)
	v_and_b32_e32 v3, s68, v3
	v_cmp_eq_u32_e32 vcc_lo, s67, v3
	s_and_b32 exec_lo, exec_lo, vcc_lo
	s_cbranch_execz .LBB88_165
; %bb.170:                              ;   in Loop: Header=BB88_166 Depth=2
	ds_store_b64 v7, v[13:14] offset:3072
	s_branch .LBB88_165
.LBB88_171:                             ;   in Loop: Header=BB88_12 Depth=1
                                        ; implicit-def: $sgpr19
                                        ; implicit-def: $sgpr21
                                        ; implicit-def: $sgpr20
	s_branch .LBB88_185
.LBB88_172:                             ;   in Loop: Header=BB88_12 Depth=1
	s_mov_b32 s19, -1
	s_mov_b32 s25, 0
                                        ; implicit-def: $sgpr20
                                        ; implicit-def: $vgpr15
	s_mov_b32 s21, s19
	s_cbranch_execnz .LBB88_175
	s_branch .LBB88_185
.LBB88_173:                             ;   in Loop: Header=BB88_12 Depth=1
	s_set_inst_prefetch_distance 0x2
	s_or_b32 exec_lo, exec_lo, s21
	s_delay_alu instid0(SALU_CYCLE_1)
	s_and_b32 s25, s22, exec_lo
.LBB88_174:                             ;   in Loop: Header=BB88_12 Depth=1
	s_or_b32 exec_lo, exec_lo, s19
	s_mov_b32 s20, -1
	s_mov_b32 s19, 0
	s_delay_alu instid0(SALU_CYCLE_1)
	s_mov_b32 s21, s19
	s_branch .LBB88_185
.LBB88_175:                             ;   in Loop: Header=BB88_12 Depth=1
	s_mov_b32 s25, 0
                                        ; implicit-def: $vgpr15
	s_and_saveexec_b32 s19, s6
	s_cbranch_execz .LBB88_184
; %bb.176:                              ;   in Loop: Header=BB88_12 Depth=1
	v_dual_mov_b32 v6, v5 :: v_dual_mov_b32 v1, v0
	s_mov_b32 s20, 0
                                        ; implicit-def: $sgpr21
	s_set_inst_prefetch_distance 0x1
	s_branch .LBB88_178
	.p2align	6
.LBB88_177:                             ;   in Loop: Header=BB88_178 Depth=2
	s_or_b32 exec_lo, exec_lo, s7
	s_waitcnt vmcnt(0) lgkmcnt(0)
	s_barrier
	buffer_gl0_inv
	ds_load_b64 v[14:15], v7 offset:3072
	v_add_nc_u32_e32 v1, s41, v1
	v_add_nc_u32_e32 v6, s46, v6
	s_waitcnt lgkmcnt(0)
	s_barrier
	buffer_gl0_inv
	v_cmp_le_u32_e32 vcc_lo, s56, v1
	v_readfirstlane_b32 s7, v14
	s_delay_alu instid0(VALU_DEP_1) | instskip(SKIP_1) | instid1(SALU_CYCLE_1)
	s_cmp_lg_u32 s7, 0
	s_cselect_b32 s7, -1, 0
	s_or_b32 s22, vcc_lo, s7
	s_delay_alu instid0(SALU_CYCLE_1) | instskip(NEXT) | instid1(SALU_CYCLE_1)
	s_and_b32 s22, exec_lo, s22
	s_or_b32 s20, s22, s20
	s_and_not1_b32 s21, s21, exec_lo
	s_and_b32 s7, s7, exec_lo
	s_delay_alu instid0(SALU_CYCLE_1)
	s_or_b32 s21, s21, s7
	s_and_not1_b32 exec_lo, exec_lo, s20
	s_cbranch_execz .LBB88_183
.LBB88_178:                             ;   Parent Loop BB88_12 Depth=1
                                        ; =>  This Inner Loop Header: Depth=2
	s_delay_alu instid0(VALU_DEP_1)
	v_cmp_gt_u32_e32 vcc_lo, s28, v1
	v_mov_b32_e32 v14, 0
	s_and_saveexec_b32 s22, vcc_lo
	s_cbranch_execz .LBB88_180
; %bb.179:                              ;   in Loop: Header=BB88_178 Depth=2
	v_lshlrev_b64 v[2:3], 2, v[6:7]
	s_delay_alu instid0(VALU_DEP_1) | instskip(NEXT) | instid1(VALU_DEP_1)
	v_add_co_u32 v2, s7, s31, v2
	v_add_co_ci_u32_e64 v3, s7, s40, v3, s7
	global_load_b32 v14, v[2:3], off
.LBB88_180:                             ;   in Loop: Header=BB88_178 Depth=2
	s_or_b32 exec_lo, exec_lo, s22
	s_and_saveexec_b32 s7, vcc_lo
	s_cbranch_execz .LBB88_177
; %bb.181:                              ;   in Loop: Header=BB88_178 Depth=2
	s_waitcnt vmcnt(0)
	v_xor_b32_e32 v2, 0x80000000, v14
	s_delay_alu instid0(VALU_DEP_1) | instskip(NEXT) | instid1(VALU_DEP_1)
	v_and_b32_e32 v2, s68, v2
	v_cmp_eq_u32_e32 vcc_lo, s67, v2
	s_and_b32 exec_lo, exec_lo, vcc_lo
	s_cbranch_execz .LBB88_177
; %bb.182:                              ;   in Loop: Header=BB88_178 Depth=2
	ds_store_b64 v7, v[13:14] offset:3072
	s_branch .LBB88_177
.LBB88_183:                             ;   in Loop: Header=BB88_12 Depth=1
	s_set_inst_prefetch_distance 0x2
	s_or_b32 exec_lo, exec_lo, s20
	s_delay_alu instid0(SALU_CYCLE_1)
	s_and_b32 s25, s21, exec_lo
.LBB88_184:                             ;   in Loop: Header=BB88_12 Depth=1
	s_or_b32 exec_lo, exec_lo, s19
	s_mov_b32 s21, -1
	s_mov_b32 s19, 0
	s_mov_b32 s20, 0
.LBB88_185:                             ;   in Loop: Header=BB88_12 Depth=1
	s_mov_b32 s26, 0
                                        ; implicit-def: $sgpr7
	s_and_saveexec_b32 s22, s25
	s_cbranch_execz .LBB88_240
; %bb.186:                              ;   in Loop: Header=BB88_12 Depth=1
	s_xor_b32 s7, s23, -1
	s_mov_b32 s25, 0
	s_and_not1_b32 vcc_lo, exec_lo, s7
	s_mov_b32 s23, 1
	s_cbranch_vccnz .LBB88_197
; %bb.187:                              ;   in Loop: Header=BB88_12 Depth=1
	s_cmp_gt_u32 s24, s14
	s_mov_b32 s25, -1
                                        ; implicit-def: $sgpr7
                                        ; implicit-def: $sgpr23
                                        ; implicit-def: $sgpr26
	s_cbranch_scc1 .LBB88_193
; %bb.188:                              ;   in Loop: Header=BB88_12 Depth=1
	ds_load_b32 v1, v7 offset:4104
	s_waitcnt lgkmcnt(0)
	v_cmp_ne_u32_e32 vcc_lo, 0, v1
	s_cbranch_vccnz .LBB88_192
; %bb.189:                              ;   in Loop: Header=BB88_12 Depth=1
	s_and_saveexec_b32 s7, s2
	s_cbranch_execz .LBB88_191
; %bb.190:                              ;   in Loop: Header=BB88_12 Depth=1
	v_mov_b32_e32 v1, s14
	ds_store_b32 v7, v1 offset:4108
.LBB88_191:                             ;   in Loop: Header=BB88_12 Depth=1
	s_or_b32 exec_lo, exec_lo, s7
	s_waitcnt lgkmcnt(0)
	s_barrier
	buffer_gl0_inv
.LBB88_192:                             ;   in Loop: Header=BB88_12 Depth=1
	s_lshl_b32 s7, 2, s16
	s_and_b32 s16, s67, s17
	s_or_b32 s26, s68, s9
	s_or_b32 s23, s16, s7
	s_mov_b32 s25, 0
	s_mov_b32 s7, 8
.LBB88_193:                             ;   in Loop: Header=BB88_12 Depth=1
	s_and_not1_b32 vcc_lo, exec_lo, s25
	s_cbranch_vccnz .LBB88_195
; %bb.194:                              ;   in Loop: Header=BB88_12 Depth=1
	s_sub_i32 s24, s24, s14
	s_mov_b32 s25, -1
	s_mov_b32 s7, 0
	s_mov_b32 s23, s67
	;; [unrolled: 1-line block ×3, first 2 shown]
.LBB88_195:                             ;   in Loop: Header=BB88_12 Depth=1
	s_delay_alu instid0(SALU_CYCLE_1)
	s_mov_b32 s68, s26
	s_mov_b32 s67, s23
	;; [unrolled: 1-line block ×3, first 2 shown]
	s_and_not1_b32 vcc_lo, exec_lo, s25
	s_mov_b32 s69, -1
	s_cbranch_vccz .LBB88_198
.LBB88_196:                             ;   in Loop: Header=BB88_12 Depth=1
                                        ; implicit-def: $sgpr16
                                        ; implicit-def: $sgpr24
                                        ; implicit-def: $sgpr17
	s_branch .LBB88_239
.LBB88_197:                             ;   in Loop: Header=BB88_12 Depth=1
	s_mov_b32 s7, 1
	s_and_not1_b32 vcc_lo, exec_lo, s25
	s_mov_b32 s69, -1
	s_cbranch_vccnz .LBB88_196
.LBB88_198:                             ;   in Loop: Header=BB88_12 Depth=1
	s_cmp_eq_u32 s8, 1
	s_mov_b32 s25, -1
	s_cselect_b32 s7, -1, 0
	s_cmp_eq_u32 s23, 1
	s_cselect_b32 s14, -1, 0
	s_delay_alu instid0(SALU_CYCLE_1) | instskip(NEXT) | instid1(SALU_CYCLE_1)
	s_and_b32 s14, s7, s14
	s_and_b32 vcc_lo, exec_lo, s14
	s_cbranch_vccz .LBB88_210
; %bb.199:                              ;   in Loop: Header=BB88_12 Depth=1
	ds_load_b32 v1, v7 offset:4104
	s_waitcnt lgkmcnt(0)
	s_barrier
	buffer_gl0_inv
	v_readfirstlane_b32 s7, v1
	s_and_saveexec_b32 s16, s1
	s_cbranch_execz .LBB88_201
; %bb.200:                              ;   in Loop: Header=BB88_12 Depth=1
	ds_store_b32 v18, v7
.LBB88_201:                             ;   in Loop: Header=BB88_12 Depth=1
	s_or_b32 exec_lo, exec_lo, s16
	s_or_b32 s67, s67, s9
	s_or_b32 s68, s68, s9
	s_cmp_eq_u32 s7, 0
	s_waitcnt lgkmcnt(0)
	s_barrier
	buffer_gl0_inv
	s_cbranch_scc1 .LBB88_211
; %bb.202:                              ;   in Loop: Header=BB88_12 Depth=1
	s_add_i32 s16, s7, s45
	s_mov_b32 s25, 0
	s_mul_hi_u32 s17, s16, s55
                                        ; implicit-def: $vgpr15
	s_delay_alu instid0(SALU_CYCLE_1) | instskip(NEXT) | instid1(SALU_CYCLE_1)
	s_mul_i32 s17, s17, s41
	s_sub_i32 s17, s16, s17
	s_delay_alu instid0(SALU_CYCLE_1) | instskip(SKIP_2) | instid1(SALU_CYCLE_1)
	s_sub_i32 s24, s17, s41
	s_cmp_ge_u32 s17, s41
	s_cselect_b32 s17, s24, s17
	s_sub_i32 s24, s17, s41
	s_cmp_ge_u32 s17, s41
	s_cselect_b32 s17, s24, s17
	s_delay_alu instid0(SALU_CYCLE_1)
	s_sub_i32 s17, s16, s17
	s_mov_b32 s16, exec_lo
	v_cmpx_gt_u32_e64 s17, v0
	s_cbranch_execz .LBB88_213
; %bb.203:                              ;   in Loop: Header=BB88_12 Depth=1
	v_dual_mov_b32 v1, v17 :: v_dual_mov_b32 v2, v0
	s_mov_b32 s24, 0
                                        ; implicit-def: $sgpr25
	s_set_inst_prefetch_distance 0x1
	s_branch .LBB88_205
	.p2align	6
.LBB88_204:                             ;   in Loop: Header=BB88_205 Depth=2
	s_or_b32 exec_lo, exec_lo, s26
	s_waitcnt lgkmcnt(0)
	s_barrier
	buffer_gl0_inv
	ds_load_b64 v[14:15], v7 offset:3072
	v_add_nc_u32_e32 v2, s41, v2
	v_add_nc_u32_e32 v1, s43, v1
	s_waitcnt lgkmcnt(0)
	s_barrier
	buffer_gl0_inv
	v_cmp_le_u32_e32 vcc_lo, s17, v2
	v_readfirstlane_b32 s26, v14
	s_delay_alu instid0(VALU_DEP_1) | instskip(SKIP_1) | instid1(SALU_CYCLE_1)
	s_cmp_lg_u32 s26, 0
	s_cselect_b32 s26, -1, 0
	s_or_b32 s69, vcc_lo, s26
	s_delay_alu instid0(SALU_CYCLE_1) | instskip(NEXT) | instid1(SALU_CYCLE_1)
	s_and_b32 s69, exec_lo, s69
	s_or_b32 s24, s69, s24
	s_and_not1_b32 s25, s25, exec_lo
	s_and_b32 s26, s26, exec_lo
	s_delay_alu instid0(SALU_CYCLE_1)
	s_or_b32 s25, s25, s26
	s_and_not1_b32 exec_lo, exec_lo, s24
	s_cbranch_execz .LBB88_212
.LBB88_205:                             ;   Parent Loop BB88_12 Depth=1
                                        ; =>  This Inner Loop Header: Depth=2
	s_delay_alu instid0(VALU_DEP_1)
	v_cmp_gt_u32_e32 vcc_lo, s7, v2
	v_mov_b32_e32 v14, 0
	s_and_saveexec_b32 s26, vcc_lo
	s_cbranch_execz .LBB88_207
; %bb.206:                              ;   in Loop: Header=BB88_205 Depth=2
	ds_load_b32 v14, v1
.LBB88_207:                             ;   in Loop: Header=BB88_205 Depth=2
	s_or_b32 exec_lo, exec_lo, s26
	s_and_saveexec_b32 s26, vcc_lo
	s_cbranch_execz .LBB88_204
; %bb.208:                              ;   in Loop: Header=BB88_205 Depth=2
	s_waitcnt lgkmcnt(0)
	v_xor_b32_e32 v3, 0x80000000, v14
	s_delay_alu instid0(VALU_DEP_1) | instskip(NEXT) | instid1(VALU_DEP_1)
	v_and_b32_e32 v3, s68, v3
	v_cmp_eq_u32_e32 vcc_lo, s67, v3
	s_and_b32 exec_lo, exec_lo, vcc_lo
	s_cbranch_execz .LBB88_204
; %bb.209:                              ;   in Loop: Header=BB88_205 Depth=2
	ds_store_b64 v7, v[13:14] offset:3072
	s_branch .LBB88_204
.LBB88_210:                             ;   in Loop: Header=BB88_12 Depth=1
                                        ; implicit-def: $sgpr16
                                        ; implicit-def: $sgpr24
                                        ; implicit-def: $sgpr17
	s_branch .LBB88_224
.LBB88_211:                             ;   in Loop: Header=BB88_12 Depth=1
	s_mov_b32 s16, -1
	s_mov_b32 s25, 0
                                        ; implicit-def: $sgpr17
                                        ; implicit-def: $vgpr15
	s_mov_b32 s24, s16
	s_cbranch_execnz .LBB88_214
	s_branch .LBB88_224
.LBB88_212:                             ;   in Loop: Header=BB88_12 Depth=1
	s_set_inst_prefetch_distance 0x2
	s_or_b32 exec_lo, exec_lo, s24
	s_delay_alu instid0(SALU_CYCLE_1)
	s_and_b32 s25, s25, exec_lo
.LBB88_213:                             ;   in Loop: Header=BB88_12 Depth=1
	s_or_b32 exec_lo, exec_lo, s16
	s_mov_b32 s17, -1
	s_mov_b32 s16, 0
	s_delay_alu instid0(SALU_CYCLE_1)
	s_mov_b32 s24, s16
	s_branch .LBB88_224
.LBB88_214:                             ;   in Loop: Header=BB88_12 Depth=1
	s_mov_b32 s25, 0
                                        ; implicit-def: $vgpr15
	s_and_saveexec_b32 s16, s6
	s_cbranch_execz .LBB88_223
; %bb.215:                              ;   in Loop: Header=BB88_12 Depth=1
	v_dual_mov_b32 v6, v5 :: v_dual_mov_b32 v1, v0
	s_mov_b32 s17, 0
                                        ; implicit-def: $sgpr24
	s_set_inst_prefetch_distance 0x1
	s_branch .LBB88_217
	.p2align	6
.LBB88_216:                             ;   in Loop: Header=BB88_217 Depth=2
	s_or_b32 exec_lo, exec_lo, s7
	s_waitcnt vmcnt(0) lgkmcnt(0)
	s_barrier
	buffer_gl0_inv
	ds_load_b64 v[14:15], v7 offset:3072
	v_add_nc_u32_e32 v1, s41, v1
	v_add_nc_u32_e32 v6, s46, v6
	s_waitcnt lgkmcnt(0)
	s_barrier
	buffer_gl0_inv
	v_cmp_le_u32_e32 vcc_lo, s56, v1
	v_readfirstlane_b32 s7, v14
	s_delay_alu instid0(VALU_DEP_1) | instskip(SKIP_1) | instid1(SALU_CYCLE_1)
	s_cmp_lg_u32 s7, 0
	s_cselect_b32 s7, -1, 0
	s_or_b32 s25, vcc_lo, s7
	s_delay_alu instid0(SALU_CYCLE_1) | instskip(NEXT) | instid1(SALU_CYCLE_1)
	s_and_b32 s25, exec_lo, s25
	s_or_b32 s17, s25, s17
	s_and_not1_b32 s24, s24, exec_lo
	s_and_b32 s7, s7, exec_lo
	s_delay_alu instid0(SALU_CYCLE_1)
	s_or_b32 s24, s24, s7
	s_and_not1_b32 exec_lo, exec_lo, s17
	s_cbranch_execz .LBB88_222
.LBB88_217:                             ;   Parent Loop BB88_12 Depth=1
                                        ; =>  This Inner Loop Header: Depth=2
	s_delay_alu instid0(VALU_DEP_1)
	v_cmp_gt_u32_e32 vcc_lo, s28, v1
	v_mov_b32_e32 v14, 0
	s_and_saveexec_b32 s25, vcc_lo
	s_cbranch_execz .LBB88_219
; %bb.218:                              ;   in Loop: Header=BB88_217 Depth=2
	v_lshlrev_b64 v[2:3], 2, v[6:7]
	s_delay_alu instid0(VALU_DEP_1) | instskip(NEXT) | instid1(VALU_DEP_1)
	v_add_co_u32 v2, s7, s31, v2
	v_add_co_ci_u32_e64 v3, s7, s40, v3, s7
	global_load_b32 v14, v[2:3], off
.LBB88_219:                             ;   in Loop: Header=BB88_217 Depth=2
	s_or_b32 exec_lo, exec_lo, s25
	s_and_saveexec_b32 s7, vcc_lo
	s_cbranch_execz .LBB88_216
; %bb.220:                              ;   in Loop: Header=BB88_217 Depth=2
	s_waitcnt vmcnt(0)
	v_xor_b32_e32 v2, 0x80000000, v14
	s_delay_alu instid0(VALU_DEP_1) | instskip(NEXT) | instid1(VALU_DEP_1)
	v_and_b32_e32 v2, s68, v2
	v_cmp_eq_u32_e32 vcc_lo, s67, v2
	s_and_b32 exec_lo, exec_lo, vcc_lo
	s_cbranch_execz .LBB88_216
; %bb.221:                              ;   in Loop: Header=BB88_217 Depth=2
	ds_store_b64 v7, v[13:14] offset:3072
	s_branch .LBB88_216
.LBB88_222:                             ;   in Loop: Header=BB88_12 Depth=1
	s_set_inst_prefetch_distance 0x2
	s_or_b32 exec_lo, exec_lo, s17
	s_delay_alu instid0(SALU_CYCLE_1)
	s_and_b32 s25, s24, exec_lo
.LBB88_223:                             ;   in Loop: Header=BB88_12 Depth=1
	s_or_b32 exec_lo, exec_lo, s16
	s_mov_b32 s24, -1
	s_mov_b32 s16, 0
	s_mov_b32 s17, 0
.LBB88_224:                             ;   in Loop: Header=BB88_12 Depth=1
	s_mov_b32 s69, 0
                                        ; implicit-def: $sgpr7
	s_and_saveexec_b32 s26, s25
	s_cbranch_execz .LBB88_238
; %bb.225:                              ;   in Loop: Header=BB88_12 Depth=1
	s_xor_b32 s7, s14, -1
	s_delay_alu instid0(SALU_CYCLE_1)
	s_and_not1_b32 vcc_lo, exec_lo, s7
	s_mov_b32 s7, 1
	s_cbranch_vccnz .LBB88_232
; %bb.226:                              ;   in Loop: Header=BB88_12 Depth=1
	s_cmp_gt_u32 s23, s8
	s_cbranch_scc1 .LBB88_233
; %bb.227:                              ;   in Loop: Header=BB88_12 Depth=1
	ds_load_b32 v1, v7 offset:4104
	s_waitcnt lgkmcnt(0)
	v_cmp_ne_u32_e32 vcc_lo, 0, v1
	s_cbranch_vccnz .LBB88_231
; %bb.228:                              ;   in Loop: Header=BB88_12 Depth=1
	s_and_saveexec_b32 s7, s2
	s_cbranch_execz .LBB88_230
; %bb.229:                              ;   in Loop: Header=BB88_12 Depth=1
	v_mov_b32_e32 v1, s8
	ds_store_b32 v7, v1 offset:4108
.LBB88_230:                             ;   in Loop: Header=BB88_12 Depth=1
	s_or_b32 exec_lo, exec_lo, s7
	s_waitcnt lgkmcnt(0)
	s_barrier
	buffer_gl0_inv
.LBB88_231:                             ;   in Loop: Header=BB88_12 Depth=1
	s_or_b32 s14, s67, s9
	s_or_b32 s9, s68, s9
	s_mov_b32 s25, 0
	s_mov_b32 s7, 8
	s_branch .LBB88_234
.LBB88_232:                             ;   in Loop: Header=BB88_12 Depth=1
	s_mov_b32 s23, 1
	s_branch .LBB88_237
.LBB88_233:                             ;   in Loop: Header=BB88_12 Depth=1
	s_mov_b32 s25, -1
                                        ; implicit-def: $sgpr7
                                        ; implicit-def: $sgpr14
                                        ; implicit-def: $sgpr9
.LBB88_234:                             ;   in Loop: Header=BB88_12 Depth=1
	s_delay_alu instid0(SALU_CYCLE_1)
	s_and_not1_b32 vcc_lo, exec_lo, s25
	s_cbranch_vccnz .LBB88_236
; %bb.235:                              ;   in Loop: Header=BB88_12 Depth=1
	s_sub_i32 s23, s23, s8
	s_mov_b32 s7, 8
	s_mov_b32 s14, s67
	;; [unrolled: 1-line block ×3, first 2 shown]
.LBB88_236:                             ;   in Loop: Header=BB88_12 Depth=1
	s_mov_b32 s67, s14
	s_mov_b32 s68, s9
.LBB88_237:                             ;   in Loop: Header=BB88_12 Depth=1
	s_mov_b32 s69, exec_lo
.LBB88_238:                             ;   in Loop: Header=BB88_12 Depth=1
	s_or_b32 exec_lo, exec_lo, s26
.LBB88_239:                             ;   in Loop: Header=BB88_12 Depth=1
	s_delay_alu instid0(SALU_CYCLE_1)
	s_and_not1_b32 s8, s19, exec_lo
	s_and_b32 s9, s16, exec_lo
	s_and_not1_b32 s14, s20, exec_lo
	s_or_b32 s19, s8, s9
	s_and_not1_b32 s8, s21, exec_lo
	s_and_b32 s9, s24, exec_lo
	s_and_b32 s16, s17, exec_lo
	s_or_b32 s21, s8, s9
	s_or_b32 s20, s14, s16
	s_and_b32 s26, s69, exec_lo
	s_mov_b32 s24, s23
.LBB88_240:                             ;   in Loop: Header=BB88_12 Depth=1
	s_or_b32 exec_lo, exec_lo, s22
.LBB88_241:                             ;   in Loop: Header=BB88_12 Depth=1
	s_delay_alu instid0(SALU_CYCLE_1)
	s_and_not1_b32 s8, s13, exec_lo
	s_and_b32 s9, s19, exec_lo
	s_and_not1_b32 s12, s12, exec_lo
	s_or_b32 s13, s8, s9
	s_and_not1_b32 s8, s15, exec_lo
	s_and_b32 s9, s21, exec_lo
	s_and_b32 s14, s20, exec_lo
	s_or_b32 s15, s8, s9
	s_or_b32 s12, s12, s14
	s_and_b32 s23, s26, exec_lo
	s_mov_b32 s20, s24
.LBB88_242:                             ;   in Loop: Header=BB88_12 Depth=1
	s_or_b32 exec_lo, exec_lo, s18
                                        ; implicit-def: $sgpr69
	s_and_saveexec_b32 s8, s23
	s_delay_alu instid0(SALU_CYCLE_1)
	s_xor_b32 s8, exec_lo, s8
	s_cbranch_execz .LBB88_10
.LBB88_243:                             ;   in Loop: Header=BB88_12 Depth=1
	s_and_b32 s7, s7, -9
	s_delay_alu instid0(SALU_CYCLE_1)
	s_cmp_eq_u32 s7, 0
	s_cbranch_scc1 .LBB88_8
; %bb.244:                              ;   in Loop: Header=BB88_12 Depth=1
	s_mov_b32 s7, -1
	s_mov_b32 s9, -1
                                        ; implicit-def: $sgpr68
                                        ; implicit-def: $sgpr20
                                        ; implicit-def: $sgpr62
                                        ; implicit-def: $sgpr65
	s_branch .LBB88_9
.LBB88_245:
	s_or_b32 exec_lo, exec_lo, s27
	s_xor_b32 s4, s61, -1
	s_xor_b32 s1, s59, -1
	;; [unrolled: 1-line block ×3, first 2 shown]
	s_mov_b32 s2, 0
	s_and_saveexec_b32 s5, s1
	s_delay_alu instid0(SALU_CYCLE_1)
	s_xor_b32 s1, exec_lo, s5
	s_cbranch_execz .LBB88_259
; %bb.246:
	s_and_saveexec_b32 s2, s4
	s_delay_alu instid0(SALU_CYCLE_1)
	s_xor_b32 s4, exec_lo, s2
	s_cbranch_execz .LBB88_257
; %bb.247:
	s_and_saveexec_b32 s2, s3
	s_delay_alu instid0(SALU_CYCLE_1)
	s_xor_b32 s2, exec_lo, s2
; %bb.248:
	v_xor_b32_e32 v15, 0x80000000, v1
; %bb.249:
	s_or_b32 exec_lo, exec_lo, s2
	s_mul_i32 s2, s42, s33
	s_mov_b32 s3, 0
	v_mov_b32_e32 v6, 0
	s_lshl_b64 s[6:7], s[2:3], 2
	s_delay_alu instid0(SALU_CYCLE_1)
	s_add_u32 s6, s36, s6
	s_addc_u32 s7, s37, s7
	global_store_b32 v6, v15, s[6:7]
	s_and_saveexec_b32 s2, s0
	s_cbranch_execz .LBB88_256
; %bb.250:
                                        ; implicit-def: $sgpr0
                                        ; implicit-def: $sgpr6
                                        ; implicit-def: $sgpr5
	s_set_inst_prefetch_distance 0x1
	s_branch .LBB88_252
	.p2align	6
.LBB88_251:                             ;   in Loop: Header=BB88_252 Depth=1
	s_or_b32 exec_lo, exec_lo, s7
	s_delay_alu instid0(SALU_CYCLE_1) | instskip(NEXT) | instid1(SALU_CYCLE_1)
	s_and_b32 s7, exec_lo, s6
	s_or_b32 s3, s7, s3
	s_and_not1_b32 s0, s0, exec_lo
	s_and_b32 s7, s5, exec_lo
	s_delay_alu instid0(SALU_CYCLE_1)
	s_or_b32 s0, s0, s7
	s_and_not1_b32 exec_lo, exec_lo, s3
	s_cbranch_execz .LBB88_254
.LBB88_252:                             ; =>This Inner Loop Header: Depth=1
	v_lshlrev_b64 v[1:2], 2, v[5:6]
	s_or_b32 s5, s5, exec_lo
	s_or_b32 s6, s6, exec_lo
	s_mov_b32 s7, exec_lo
	s_delay_alu instid0(VALU_DEP_1) | instskip(NEXT) | instid1(VALU_DEP_2)
	v_add_co_u32 v1, vcc_lo, s31, v1
	v_add_co_ci_u32_e32 v2, vcc_lo, s40, v2, vcc_lo
	global_load_b32 v2, v[1:2], off
	v_mov_b32_e32 v1, v0
                                        ; implicit-def: $vgpr0
	s_waitcnt vmcnt(0)
	v_cmpx_ne_u32_e64 v2, v15
	s_cbranch_execz .LBB88_251
; %bb.253:                              ;   in Loop: Header=BB88_252 Depth=1
	s_delay_alu instid0(VALU_DEP_2) | instskip(SKIP_3) | instid1(VALU_DEP_2)
	v_add_nc_u32_e32 v0, s41, v1
	s_and_not1_b32 s6, s6, exec_lo
	v_add_nc_u32_e32 v5, s46, v5
	s_and_not1_b32 s5, s5, exec_lo
	v_cmp_le_u32_e32 vcc_lo, s28, v0
	s_and_b32 s8, vcc_lo, exec_lo
	s_delay_alu instid0(SALU_CYCLE_1)
	s_or_b32 s6, s6, s8
	s_branch .LBB88_251
.LBB88_254:
	s_set_inst_prefetch_distance 0x2
	s_or_b32 exec_lo, exec_lo, s3
	s_and_saveexec_b32 s3, s0
	s_delay_alu instid0(SALU_CYCLE_1)
	s_xor_b32 s3, exec_lo, s3
	s_cbranch_execz .LBB88_256
; %bb.255:
	s_mul_i32 s6, s29, s33
	s_mov_b32 s7, 0
	v_mov_b32_e32 v2, 0
	s_lshl_b64 s[6:7], s[6:7], 3
	s_delay_alu instid0(SALU_CYCLE_1)
	s_add_u32 s6, s34, s6
	s_addc_u32 s7, s35, s7
	global_store_b64 v2, v[1:2], s[6:7]
.LBB88_256:
	s_or_b32 exec_lo, exec_lo, s2
.LBB88_257:
	s_or_saveexec_b32 s0, s4
	s_mov_b32 s2, 0
	s_xor_b32 exec_lo, exec_lo, s0
	s_cbranch_execnz .LBB88_265
.LBB88_258:
	s_or_b32 exec_lo, exec_lo, s0
	s_delay_alu instid0(SALU_CYCLE_1)
	s_and_b32 s2, s2, exec_lo
.LBB88_259:
	s_and_not1_saveexec_b32 s0, s1
	s_cbranch_execnz .LBB88_263
; %bb.260:
	s_or_b32 exec_lo, exec_lo, s0
	s_and_saveexec_b32 s0, s2
.LBB88_261:
	; divergent unreachable
.LBB88_262:
	s_nop 0
	s_sendmsg sendmsg(MSG_DEALLOC_VGPRS)
	s_endpgm
.LBB88_263:
	s_cbranch_execnz .LBB88_267
; %bb.264:
	s_or_b32 s2, s2, exec_lo
	s_or_b32 exec_lo, exec_lo, s0
	s_and_saveexec_b32 s0, s2
	s_cbranch_execnz .LBB88_261
	s_branch .LBB88_262
.LBB88_265:
	s_cbranch_execnz .LBB88_269
; %bb.266:
	s_mov_b32 s2, exec_lo
	s_branch .LBB88_258
.LBB88_267:
	s_trap 2
	s_sendmsg_rtn_b32 s0, sendmsg(MSG_RTN_GET_DOORBELL)
	s_mov_b32 ttmp2, m0
	s_waitcnt lgkmcnt(0)
	s_and_b32 s0, s0, 0x3ff
	s_delay_alu instid0(SALU_CYCLE_1) | instskip(NEXT) | instid1(SALU_CYCLE_1)
	s_bitset1_b32 s0, 10
	s_mov_b32 m0, s0
	s_sendmsg sendmsg(MSG_INTERRUPT)
	s_mov_b32 m0, ttmp2
.LBB88_268:                             ; =>This Inner Loop Header: Depth=1
	s_sethalt 5
	s_branch .LBB88_268
.LBB88_269:
	s_trap 2
	s_sendmsg_rtn_b32 s0, sendmsg(MSG_RTN_GET_DOORBELL)
	s_mov_b32 ttmp2, m0
	s_waitcnt lgkmcnt(0)
	s_and_b32 s0, s0, 0x3ff
	s_delay_alu instid0(SALU_CYCLE_1) | instskip(NEXT) | instid1(SALU_CYCLE_1)
	s_bitset1_b32 s0, 10
	s_mov_b32 m0, s0
	s_sendmsg sendmsg(MSG_INTERRUPT)
	s_mov_b32 m0, ttmp2
.LBB88_270:                             ; =>This Inner Loop Header: Depth=1
	s_sethalt 5
	s_branch .LBB88_270
	.section	.rodata,"a",@progbits
	.p2align	6, 0x0
	.amdhsa_kernel _ZN2at6native12_GLOBAL__N_112gatherMedianIijLi1EEEvNS_4cuda6detail10TensorInfoIT_T0_EENS5_IlS7_EENS5_IKS6_S7_EES7_S7_S7_b
		.amdhsa_group_segment_fixed_size 4120
		.amdhsa_private_segment_fixed_size 0
		.amdhsa_kernarg_size 920
		.amdhsa_user_sgpr_count 13
		.amdhsa_user_sgpr_dispatch_ptr 0
		.amdhsa_user_sgpr_queue_ptr 0
		.amdhsa_user_sgpr_kernarg_segment_ptr 1
		.amdhsa_user_sgpr_dispatch_id 0
		.amdhsa_user_sgpr_private_segment_size 0
		.amdhsa_wavefront_size32 1
		.amdhsa_uses_dynamic_stack 0
		.amdhsa_enable_private_segment 0
		.amdhsa_system_sgpr_workgroup_id_x 1
		.amdhsa_system_sgpr_workgroup_id_y 1
		.amdhsa_system_sgpr_workgroup_id_z 1
		.amdhsa_system_sgpr_workgroup_info 0
		.amdhsa_system_vgpr_workitem_id 0
		.amdhsa_next_free_vgpr 40
		.amdhsa_next_free_sgpr 79
		.amdhsa_reserve_vcc 1
		.amdhsa_float_round_mode_32 0
		.amdhsa_float_round_mode_16_64 0
		.amdhsa_float_denorm_mode_32 3
		.amdhsa_float_denorm_mode_16_64 3
		.amdhsa_dx10_clamp 1
		.amdhsa_ieee_mode 1
		.amdhsa_fp16_overflow 0
		.amdhsa_workgroup_processor_mode 1
		.amdhsa_memory_ordered 1
		.amdhsa_forward_progress 0
		.amdhsa_shared_vgpr_count 0
		.amdhsa_exception_fp_ieee_invalid_op 0
		.amdhsa_exception_fp_denorm_src 0
		.amdhsa_exception_fp_ieee_div_zero 0
		.amdhsa_exception_fp_ieee_overflow 0
		.amdhsa_exception_fp_ieee_underflow 0
		.amdhsa_exception_fp_ieee_inexact 0
		.amdhsa_exception_int_div_zero 0
	.end_amdhsa_kernel
	.section	.text._ZN2at6native12_GLOBAL__N_112gatherMedianIijLi1EEEvNS_4cuda6detail10TensorInfoIT_T0_EENS5_IlS7_EENS5_IKS6_S7_EES7_S7_S7_b,"axG",@progbits,_ZN2at6native12_GLOBAL__N_112gatherMedianIijLi1EEEvNS_4cuda6detail10TensorInfoIT_T0_EENS5_IlS7_EENS5_IKS6_S7_EES7_S7_S7_b,comdat
.Lfunc_end88:
	.size	_ZN2at6native12_GLOBAL__N_112gatherMedianIijLi1EEEvNS_4cuda6detail10TensorInfoIT_T0_EENS5_IlS7_EENS5_IKS6_S7_EES7_S7_S7_b, .Lfunc_end88-_ZN2at6native12_GLOBAL__N_112gatherMedianIijLi1EEEvNS_4cuda6detail10TensorInfoIT_T0_EENS5_IlS7_EENS5_IKS6_S7_EES7_S7_S7_b
                                        ; -- End function
	.section	.AMDGPU.csdata,"",@progbits
; Kernel info:
; codeLenInByte = 9456
; NumSgprs: 81
; NumVgprs: 40
; ScratchSize: 0
; MemoryBound: 0
; FloatMode: 240
; IeeeMode: 1
; LDSByteSize: 4120 bytes/workgroup (compile time only)
; SGPRBlocks: 10
; VGPRBlocks: 4
; NumSGPRsForWavesPerEU: 81
; NumVGPRsForWavesPerEU: 40
; Occupancy: 16
; WaveLimiterHint : 1
; COMPUTE_PGM_RSRC2:SCRATCH_EN: 0
; COMPUTE_PGM_RSRC2:USER_SGPR: 13
; COMPUTE_PGM_RSRC2:TRAP_HANDLER: 0
; COMPUTE_PGM_RSRC2:TGID_X_EN: 1
; COMPUTE_PGM_RSRC2:TGID_Y_EN: 1
; COMPUTE_PGM_RSRC2:TGID_Z_EN: 1
; COMPUTE_PGM_RSRC2:TIDIG_COMP_CNT: 0
	.section	.text._ZN2at6native12_GLOBAL__N_112gatherMedianIijLi2EEEvNS_4cuda6detail10TensorInfoIT_T0_EENS5_IlS7_EENS5_IKS6_S7_EES7_S7_S7_b,"axG",@progbits,_ZN2at6native12_GLOBAL__N_112gatherMedianIijLi2EEEvNS_4cuda6detail10TensorInfoIT_T0_EENS5_IlS7_EENS5_IKS6_S7_EES7_S7_S7_b,comdat
	.globl	_ZN2at6native12_GLOBAL__N_112gatherMedianIijLi2EEEvNS_4cuda6detail10TensorInfoIT_T0_EENS5_IlS7_EENS5_IKS6_S7_EES7_S7_S7_b ; -- Begin function _ZN2at6native12_GLOBAL__N_112gatherMedianIijLi2EEEvNS_4cuda6detail10TensorInfoIT_T0_EENS5_IlS7_EENS5_IKS6_S7_EES7_S7_S7_b
	.p2align	8
	.type	_ZN2at6native12_GLOBAL__N_112gatherMedianIijLi2EEEvNS_4cuda6detail10TensorInfoIT_T0_EENS5_IlS7_EENS5_IKS6_S7_EES7_S7_S7_b,@function
_ZN2at6native12_GLOBAL__N_112gatherMedianIijLi2EEEvNS_4cuda6detail10TensorInfoIT_T0_EENS5_IlS7_EENS5_IKS6_S7_EES7_S7_S7_b: ; @_ZN2at6native12_GLOBAL__N_112gatherMedianIijLi2EEEvNS_4cuda6detail10TensorInfoIT_T0_EENS5_IlS7_EENS5_IKS6_S7_EES7_S7_S7_b
; %bb.0:
	s_clause 0x1
	s_load_b64 s[6:7], s[0:1], 0x298
	s_load_b128 s[28:31], s[0:1], 0x288
	s_add_u32 s4, s0, 0x298
	s_addc_u32 s5, s1, 0
	s_waitcnt lgkmcnt(0)
	s_mul_i32 s2, s7, s15
	s_delay_alu instid0(SALU_CYCLE_1) | instskip(NEXT) | instid1(SALU_CYCLE_1)
	s_add_i32 s2, s2, s14
	s_mul_i32 s33, s2, s6
	s_delay_alu instid0(SALU_CYCLE_1) | instskip(NEXT) | instid1(SALU_CYCLE_1)
	s_add_i32 s33, s33, s13
	s_cmp_ge_u32 s33, s29
	s_cbranch_scc1 .LBB89_262
; %bb.1:
	s_clause 0x2
	s_load_b32 s44, s[0:1], 0xc
	s_load_b32 s29, s[0:1], 0xe4
	s_load_b32 s3, s[0:1], 0x1bc
	v_cmp_eq_u32_e64 s2, 0, v0
	s_waitcnt lgkmcnt(0)
	v_cvt_f32_u32_e32 v1, s44
	v_cvt_f32_u32_e32 v2, s29
	;; [unrolled: 1-line block ×3, first 2 shown]
	s_sub_i32 s11, 0, s3
	s_sub_i32 s9, 0, s44
	v_rcp_iflag_f32_e32 v1, v1
	v_rcp_iflag_f32_e32 v2, v2
	;; [unrolled: 1-line block ×3, first 2 shown]
	s_sub_i32 s10, 0, s29
	s_waitcnt_depctr 0xfff
	v_dual_mul_f32 v1, 0x4f7ffffe, v1 :: v_dual_mul_f32 v2, 0x4f7ffffe, v2
	v_mul_f32_e32 v3, 0x4f7ffffe, v3
	s_delay_alu instid0(VALU_DEP_2) | instskip(NEXT) | instid1(VALU_DEP_3)
	v_cvt_u32_f32_e32 v1, v1
	v_cvt_u32_f32_e32 v2, v2
	s_delay_alu instid0(VALU_DEP_3) | instskip(NEXT) | instid1(VALU_DEP_3)
	v_cvt_u32_f32_e32 v3, v3
	v_readfirstlane_b32 s8, v1
	s_delay_alu instid0(VALU_DEP_3) | instskip(NEXT) | instid1(VALU_DEP_3)
	v_readfirstlane_b32 s7, v2
	v_readfirstlane_b32 s12, v3
	s_delay_alu instid0(VALU_DEP_3) | instskip(NEXT) | instid1(VALU_DEP_2)
	s_mul_i32 s9, s9, s8
	s_mul_i32 s10, s10, s7
	s_delay_alu instid0(VALU_DEP_1)
	s_mul_i32 s11, s11, s12
	s_mul_hi_u32 s9, s8, s9
	s_mul_hi_u32 s11, s12, s11
	;; [unrolled: 1-line block ×3, first 2 shown]
	s_add_i32 s12, s12, s11
	s_and_saveexec_b32 s10, s2
	s_cbranch_execz .LBB89_3
; %bb.2:
	v_mov_b32_e32 v1, 0
	s_delay_alu instid0(VALU_DEP_1)
	v_mov_b32_e32 v2, v1
	ds_store_b64 v1, v[1:2] offset:4096
.LBB89_3:
	s_or_b32 exec_lo, exec_lo, s10
	v_mov_b32_e32 v1, 0
	s_waitcnt lgkmcnt(0)
	s_barrier
	buffer_gl0_inv
	s_barrier
	buffer_gl0_inv
	ds_load_b64 v[1:2], v1 offset:4096
	s_add_i32 s15, s8, s9
	s_clause 0x1
	s_load_b64 s[10:11], s[0:1], 0x21c
	s_load_b64 s[8:9], s[0:1], 0x1b0
	s_add_i32 s14, s7, s14
	s_bitcmp1_b32 s31, 0
	s_mov_b32 s75, s28
	s_cselect_b32 s7, -1, 0
	s_waitcnt lgkmcnt(0)
	v_cmp_gt_i64_e32 vcc_lo, 1, v[1:2]
	s_or_b32 s16, s7, vcc_lo
	s_mul_hi_u32 s7, s33, s12
	s_and_not1_b32 vcc_lo, exec_lo, s16
	s_cbranch_vccnz .LBB89_5
; %bb.4:
	v_not_b32_e32 v1, v1
	v_not_b32_e32 v2, v2
	s_delay_alu instid0(VALU_DEP_2) | instskip(NEXT) | instid1(VALU_DEP_2)
	v_add_co_u32 v1, vcc_lo, v1, s28
	v_add_co_ci_u32_e32 v2, vcc_lo, 0, v2, vcc_lo
	s_delay_alu instid0(VALU_DEP_1) | instskip(NEXT) | instid1(VALU_DEP_1)
	v_lshrrev_b32_e32 v3, 31, v2
	v_add_co_u32 v1, vcc_lo, v1, v3
	v_add_co_ci_u32_e32 v2, vcc_lo, 0, v2, vcc_lo
	s_delay_alu instid0(VALU_DEP_1) | instskip(NEXT) | instid1(VALU_DEP_1)
	v_alignbit_b32 v1, v2, v1, 1
	v_readfirstlane_b32 s12, v1
	s_delay_alu instid0(VALU_DEP_1)
	s_add_i32 s75, s12, 1
.LBB89_5:
	s_clause 0x3
	s_load_b64 s[36:37], s[0:1], 0x144
	s_load_b64 s[34:35], s[0:1], 0xd8
	;; [unrolled: 1-line block ×4, first 2 shown]
	s_mul_hi_u32 s48, s33, s15
	s_mul_hi_u32 s31, s33, s14
	s_and_saveexec_b32 s0, s2
	s_cbranch_execz .LBB89_7
; %bb.6:
	v_dual_mov_b32 v1, 0 :: v_dual_mov_b32 v2, s28
	ds_store_b32 v1, v1 offset:4112
	ds_store_b64 v1, v[1:2] offset:4104
.LBB89_7:
	s_or_b32 exec_lo, exec_lo, s0
	s_mul_i32 s0, s7, s3
	s_add_i32 s1, s7, 1
	s_sub_i32 s0, s33, s0
	s_waitcnt lgkmcnt(0)
	s_sub_i32 s12, s0, s3
	s_cmp_ge_u32 s0, s3
	s_barrier
	buffer_gl0_inv
	s_load_b32 s14, s[4:5], 0xc
	s_cselect_b32 s1, s1, s7
	s_cselect_b32 s0, s12, s0
	s_add_i32 s7, s1, 1
	s_cmp_ge_u32 s0, s3
	s_mov_b32 s27, 0
	s_cselect_b32 s0, s7, s1
	v_mbcnt_lo_u32_b32 v16, -1, 0
	s_mul_i32 s1, s0, s3
	s_mul_i32 s0, s0, s10
	s_sub_i32 s1, s33, s1
	v_cmp_gt_u32_e32 vcc_lo, 32, v0
	s_mul_i32 s1, s1, s11
	v_lshlrev_b32_e32 v17, 2, v0
	s_add_i32 s26, s0, s1
	v_mov_b32_e32 v7, 0
	s_lshl_b64 s[0:1], s[26:27], 2
	v_mul_lo_u32 v5, v0, s30
	v_add_nc_u32_e32 v18, 0xc00, v17
	s_add_u32 s45, s8, s0
	s_addc_u32 s46, s9, s1
	s_waitcnt lgkmcnt(0)
	s_and_b32 s47, s14, 0xffff
	v_cmp_gt_i32_e64 s0, 4, v16
	s_lshl_b32 s49, s47, 2
	s_add_i32 s51, s47, -1
	v_cvt_f32_u32_e32 v1, s49
	s_bfe_u32 s1, s14, 0xb0005
	s_and_b32 s52, vcc_lo, s0
	s_add_i32 s7, s51, s28
	s_cmpk_gt_u32 s28, 0x300
	v_rcp_iflag_f32_e32 v1, v1
	s_cselect_b32 s53, -1, 0
	s_cmp_gt_u32 s47, 31
	v_cvt_f32_u32_e32 v2, s47
	s_cselect_b32 s54, -1, 0
	s_cmp_lt_u32 s13, s6
	v_mov_b32_e32 v6, v7
	s_cselect_b32 s3, 12, 18
	v_rcp_iflag_f32_e32 v2, v2
	s_add_u32 s42, s4, s3
	s_waitcnt_depctr 0xfff
	v_mul_f32_e32 v1, 0x4f7ffffe, v1
	s_addc_u32 s43, s5, 0
	s_add_i32 s3, s1, -1
	s_bfe_u32 s55, s47, 0x30005
	s_cmp_gt_u32 s3, 6
	v_cvt_u32_f32_e32 v1, v1
	s_cselect_b32 s56, -1, 0
	s_and_b32 s57, s1, 0x7f8
	s_cmp_lg_u32 s55, 0
	v_lshlrev_b32_e32 v24, 2, v5
	v_readfirstlane_b32 s3, v1
	s_cselect_b32 s58, -1, 0
	s_sub_i32 s4, 0, s49
	v_mul_f32_e32 v1, 0x4f7ffffe, v2
	v_lshrrev_b32_e32 v10, 3, v0
	s_mul_i32 s4, s4, s3
	v_lshlrev_b64 v[3:4], v16, -1
	s_mul_hi_u32 s4, s3, s4
	v_cvt_u32_f32_e32 v1, v1
	s_add_i32 s59, s3, s4
	v_and_b32_e32 v20, 0x7c, v10
	s_mul_hi_u32 s3, s28, s59
	v_not_b32_e32 v21, v3
	s_mul_i32 s4, s3, s49
	v_or_b32_e32 v3, 3, v17
	s_sub_i32 s4, s28, s4
	v_mad_u64_u32 v[12:13], null, s30, v17, s[30:31]
	v_mov_b32_e32 v13, 1
	s_sub_i32 s5, s4, s49
	s_cmp_ge_u32 s4, s49
	v_mul_lo_u32 v23, s30, v3
	s_cselect_b32 s4, s5, s4
	v_readfirstlane_b32 s5, v1
	s_sub_i32 s6, s4, s49
	s_cmp_ge_u32 s4, s49
	v_lshlrev_b64 v[1:2], 2, v[5:6]
	s_cselect_b32 s8, s6, s4
	s_sub_i32 s4, 0, s47
	s_sub_i32 s60, s28, s8
	s_mul_i32 s4, s4, s5
	v_add_nc_u32_e32 v19, s60, v0
	s_mul_hi_u32 s4, s5, s4
	v_add_co_u32 v8, vcc_lo, s45, v1
	s_add_i32 s61, s5, s4
	s_delay_alu instid0(VALU_DEP_2)
	v_mul_lo_u32 v6, v19, s30
	v_add_co_ci_u32_e32 v9, vcc_lo, s46, v2, vcc_lo
	s_mul_hi_u32 s4, s7, s61
	v_cmp_gt_u32_e64 s0, s28, v0
	s_mul_i32 s4, s4, s47
	v_cmp_gt_u32_e64 s1, 2, v0
	s_sub_i32 s4, s7, s4
	s_delay_alu instid0(VALU_DEP_4)
	v_lshlrev_b64 v[1:2], 2, v[6:7]
	s_sub_i32 s5, s4, s47
	s_cmp_ge_u32 s4, s47
	v_cmp_eq_u32_e64 s3, 0, v16
	s_cselect_b32 s5, s5, s4
	v_cmp_gt_u32_e64 s4, s60, v17
	v_add_co_u32 v10, vcc_lo, s45, v1
	v_add3_u32 v1, s47, s28, v0
	v_add_co_ci_u32_e32 v11, vcc_lo, s46, v2, vcc_lo
	v_or_b32_e32 v2, 2, v17
	s_sub_i32 s6, s5, s47
	s_delay_alu instid0(VALU_DEP_3)
	v_subrev_nc_u32_e32 v1, s8, v1
	s_cmp_ge_u32 s5, s47
	v_dual_mov_b32 v15, 0 :: v_dual_lshlrev_b32 v26, 4, v0
	s_cselect_b32 s6, s6, s5
	v_mul_lo_u32 v22, s30, v2
	v_mul_lo_u32 v25, s30, v1
	s_sub_i32 s62, s7, s6
	v_cmp_gt_u32_e64 s5, s28, v19
	v_cmp_gt_u32_e64 s6, s62, v0
	v_lshl_or_b32 v27, v16, 2, 0xc00
	s_mul_i32 s50, s30, s47
	s_lshl_b32 s64, s47, 4
	s_lshl_b32 s63, s50, 2
	s_mov_b32 s68, 30
	s_mov_b32 s71, s27
	;; [unrolled: 1-line block ×4, first 2 shown]
                                        ; implicit-def: $sgpr65
                                        ; implicit-def: $sgpr67
                                        ; implicit-def: $sgpr66
                                        ; implicit-def: $sgpr70
                                        ; implicit-def: $sgpr72
                                        ; implicit-def: $sgpr69
	s_branch .LBB89_12
.LBB89_8:                               ;   in Loop: Header=BB89_12 Depth=1
	s_xor_b32 s71, s71, 1
	s_add_i32 s11, s68, -2
	s_cmp_eq_u32 s68, 0
	s_mov_b32 s7, 0
	s_cselect_b32 s9, -1, 0
	s_mov_b32 s68, s11
.LBB89_9:                               ;   in Loop: Header=BB89_12 Depth=1
	s_and_not1_b32 s11, s13, exec_lo
	s_and_b32 s7, s7, exec_lo
	s_and_not1_b32 s15, s15, exec_lo
	s_or_b32 s13, s11, s7
	s_and_not1_b32 s12, s12, exec_lo
	s_or_not1_b32 s11, s9, exec_lo
	s_mov_b32 s75, s20
.LBB89_10:                              ;   in Loop: Header=BB89_12 Depth=1
	s_or_b32 exec_lo, exec_lo, s8
	s_delay_alu instid0(SALU_CYCLE_1)
	s_and_not1_b32 s7, s69, exec_lo
	s_and_b32 s8, s13, exec_lo
	s_and_not1_b32 s9, s70, exec_lo
	s_or_b32 s69, s7, s8
	s_and_not1_b32 s7, s72, exec_lo
	s_and_b32 s8, s15, exec_lo
	s_and_b32 s12, s12, exec_lo
	s_or_b32 s72, s7, s8
	s_or_b32 s70, s9, s12
	s_or_not1_b32 s12, s11, exec_lo
.LBB89_11:                              ;   in Loop: Header=BB89_12 Depth=1
	s_or_b32 exec_lo, exec_lo, s10
	s_delay_alu instid0(SALU_CYCLE_1)
	s_and_b32 s7, exec_lo, s12
	v_mov_b32_e32 v1, s73
	s_or_b32 s27, s7, s27
	s_and_not1_b32 s7, s66, exec_lo
	s_and_b32 s8, s69, exec_lo
	s_and_not1_b32 s9, s65, exec_lo
	s_or_b32 s66, s7, s8
	s_and_not1_b32 s7, s67, exec_lo
	s_and_b32 s8, s72, exec_lo
	s_and_b32 s10, s70, exec_lo
	s_or_b32 s67, s7, s8
	s_or_b32 s65, s9, s10
	s_and_not1_b32 exec_lo, exec_lo, s27
	s_cbranch_execz .LBB89_245
.LBB89_12:                              ; =>This Loop Header: Depth=1
                                        ;     Child Loop BB89_20 Depth 2
                                        ;     Child Loop BB89_35 Depth 2
	;; [unrolled: 1-line block ×16, first 2 shown]
	ds_load_b64 v[1:2], v7 offset:4104
	s_waitcnt lgkmcnt(0)
	v_readfirstlane_b32 s76, v1
	s_delay_alu instid0(VALU_DEP_1)
	s_cmp_lg_u32 s76, 0
	s_cbranch_scc1 .LBB89_42
; %bb.13:                               ;   in Loop: Header=BB89_12 Depth=1
	s_and_b32 vcc_lo, exec_lo, s53
	s_cbranch_vccz .LBB89_28
; %bb.14:                               ;   in Loop: Header=BB89_12 Depth=1
	v_cmp_gt_u32_e32 vcc_lo, 0x301, v2
	s_mov_b32 s76, 0
	s_mov_b32 s7, 0
	s_cbranch_vccz .LBB89_29
; %bb.15:                               ;   in Loop: Header=BB89_12 Depth=1
	v_mov_b32_e32 v1, 0
	s_and_saveexec_b32 s7, s0
	s_cbranch_execz .LBB89_17
; %bb.16:                               ;   in Loop: Header=BB89_12 Depth=1
	global_load_b32 v1, v[8:9], off
.LBB89_17:                              ;   in Loop: Header=BB89_12 Depth=1
	s_or_b32 exec_lo, exec_lo, s7
	s_and_saveexec_b32 s9, s0
	s_cbranch_execz .LBB89_130
; %bb.18:                               ;   in Loop: Header=BB89_12 Depth=1
	global_load_u16 v2, v7, s[42:43]
	v_mov_b32_e32 v4, v0
	s_mov_b32 s10, 0
	s_waitcnt vmcnt(0)
	v_add_nc_u32_e32 v3, v0, v2
	s_delay_alu instid0(VALU_DEP_1)
	v_mul_lo_u32 v6, s30, v3
	v_mul_lo_u32 v3, s30, v2
	s_branch .LBB89_20
.LBB89_19:                              ;   in Loop: Header=BB89_20 Depth=2
	s_or_b32 exec_lo, exec_lo, s8
	v_add_nc_u32_e32 v6, v6, v3
	s_waitcnt vmcnt(0)
	v_mov_b32_e32 v1, v14
	s_and_not1_b32 exec_lo, exec_lo, s10
	s_cbranch_execz .LBB89_130
.LBB89_20:                              ;   Parent Loop BB89_12 Depth=1
                                        ; =>  This Inner Loop Header: Depth=2
	v_add_nc_u32_e32 v4, v4, v2
	s_waitcnt lgkmcnt(0)
	v_mov_b32_e32 v28, 0
	v_mov_b32_e32 v14, 0
	s_mov_b32 s8, exec_lo
	v_cmp_le_u32_e32 vcc_lo, s28, v4
	v_cmpx_gt_u32_e64 s28, v4
	s_cbranch_execz .LBB89_22
; %bb.21:                               ;   in Loop: Header=BB89_20 Depth=2
	v_lshlrev_b64 v[29:30], 2, v[6:7]
	s_delay_alu instid0(VALU_DEP_1) | instskip(NEXT) | instid1(VALU_DEP_1)
	v_add_co_u32 v29, s7, s45, v29
	v_add_co_ci_u32_e64 v30, s7, s46, v30, s7
	global_load_b32 v14, v[29:30], off
.LBB89_22:                              ;   in Loop: Header=BB89_20 Depth=2
	s_or_b32 exec_lo, exec_lo, s8
	v_xor_b32_e32 v29, 0x80000000, v1
	s_delay_alu instid0(VALU_DEP_1) | instskip(NEXT) | instid1(VALU_DEP_1)
	v_and_b32_e32 v29, s74, v29
	v_cmp_eq_u32_e64 s7, s73, v29
	s_delay_alu instid0(VALU_DEP_1) | instskip(SKIP_1) | instid1(SALU_CYCLE_1)
	s_cmp_lg_u32 s7, 0
	s_cselect_b32 s8, -1, 0
	s_and_b32 s8, s3, s8
	s_delay_alu instid0(SALU_CYCLE_1)
	s_and_saveexec_b32 s11, s8
	s_cbranch_execz .LBB89_26
; %bb.23:                               ;   in Loop: Header=BB89_20 Depth=2
	s_mov_b32 s14, exec_lo
	s_bcnt1_i32_b32 s12, s7
	v_mbcnt_lo_u32_b32 v28, s14, 0
	s_mov_b32 s13, exec_lo
                                        ; implicit-def: $vgpr29
	s_delay_alu instid0(VALU_DEP_1)
	v_cmpx_eq_u32_e32 0, v28
	s_cbranch_execz .LBB89_25
; %bb.24:                               ;   in Loop: Header=BB89_20 Depth=2
	s_bcnt1_i32_b32 s8, s14
	s_delay_alu instid0(SALU_CYCLE_1) | instskip(NEXT) | instid1(SALU_CYCLE_1)
	s_mul_i32 s8, s12, s8
	v_mov_b32_e32 v29, s8
	ds_add_rtn_u32 v29, v7, v29 offset:4112
.LBB89_25:                              ;   in Loop: Header=BB89_20 Depth=2
	s_or_b32 exec_lo, exec_lo, s13
	s_waitcnt lgkmcnt(0)
	v_readfirstlane_b32 s8, v29
	s_delay_alu instid0(VALU_DEP_1)
	v_mad_u32_u24 v28, s12, v28, s8
.LBB89_26:                              ;   in Loop: Header=BB89_20 Depth=2
	s_or_b32 exec_lo, exec_lo, s11
	ds_bpermute_b32 v28, v7, v28
	s_and_b32 s8, exec_lo, vcc_lo
	s_delay_alu instid0(SALU_CYCLE_1)
	s_or_b32 s10, s8, s10
	s_and_saveexec_b32 s8, s7
	s_cbranch_execz .LBB89_19
; %bb.27:                               ;   in Loop: Header=BB89_20 Depth=2
	v_and_b32_e32 v29, s7, v21
	s_delay_alu instid0(VALU_DEP_1) | instskip(NEXT) | instid1(VALU_DEP_1)
	v_bcnt_u32_b32 v29, v29, 0
	v_lshlrev_b32_e32 v29, 2, v29
	s_waitcnt lgkmcnt(0)
	s_delay_alu instid0(VALU_DEP_1)
	v_lshl_add_u32 v28, v28, 2, v29
	ds_store_b32 v28, v1
	s_branch .LBB89_19
.LBB89_28:                              ;   in Loop: Header=BB89_12 Depth=1
	s_mov_b32 s76, -1
	s_mov_b32 s7, 0
.LBB89_29:                              ;   in Loop: Header=BB89_12 Depth=1
	s_and_b32 vcc_lo, exec_lo, s76
	s_cbranch_vccz .LBB89_40
.LBB89_30:                              ;   in Loop: Header=BB89_12 Depth=1
	v_mov_b32_e32 v1, 0
	s_and_saveexec_b32 s7, s0
	s_cbranch_execz .LBB89_32
; %bb.31:                               ;   in Loop: Header=BB89_12 Depth=1
	global_load_b32 v1, v[8:9], off
.LBB89_32:                              ;   in Loop: Header=BB89_12 Depth=1
	s_or_b32 exec_lo, exec_lo, s7
	s_and_saveexec_b32 s8, s0
	s_cbranch_execz .LBB89_37
; %bb.33:                               ;   in Loop: Header=BB89_12 Depth=1
	global_load_u16 v2, v7, s[42:43]
	v_mov_b32_e32 v28, v0
	s_mov_b32 s9, 0
	s_waitcnt vmcnt(0)
	v_dual_mov_b32 v14, v17 :: v_dual_add_nc_u32 v3, v0, v2
	v_lshlrev_b32_e32 v4, 2, v2
	s_delay_alu instid0(VALU_DEP_2)
	v_mul_lo_u32 v6, s30, v3
	v_mul_lo_u32 v3, s30, v2
	s_set_inst_prefetch_distance 0x1
	s_branch .LBB89_35
	.p2align	6
.LBB89_34:                              ;   in Loop: Header=BB89_35 Depth=2
	s_or_b32 exec_lo, exec_lo, s10
	ds_store_b32 v14, v1
	s_waitcnt vmcnt(0)
	v_dual_mov_b32 v1, v29 :: v_dual_add_nc_u32 v14, v14, v4
	v_add_nc_u32_e32 v6, v6, v3
	s_and_b32 s7, exec_lo, vcc_lo
	s_delay_alu instid0(SALU_CYCLE_1) | instskip(NEXT) | instid1(SALU_CYCLE_1)
	s_or_b32 s9, s7, s9
	s_and_not1_b32 exec_lo, exec_lo, s9
	s_cbranch_execz .LBB89_37
.LBB89_35:                              ;   Parent Loop BB89_12 Depth=1
                                        ; =>  This Inner Loop Header: Depth=2
	v_dual_mov_b32 v29, 0 :: v_dual_add_nc_u32 v28, v28, v2
	s_mov_b32 s10, exec_lo
	s_delay_alu instid0(VALU_DEP_1)
	v_cmp_le_u32_e32 vcc_lo, s28, v28
	v_cmpx_gt_u32_e64 s28, v28
	s_cbranch_execz .LBB89_34
; %bb.36:                               ;   in Loop: Header=BB89_35 Depth=2
	v_lshlrev_b64 v[29:30], 2, v[6:7]
	s_delay_alu instid0(VALU_DEP_1) | instskip(NEXT) | instid1(VALU_DEP_1)
	v_add_co_u32 v29, s7, s45, v29
	v_add_co_ci_u32_e64 v30, s7, s46, v30, s7
	global_load_b32 v29, v[29:30], off
	s_branch .LBB89_34
.LBB89_37:                              ;   in Loop: Header=BB89_12 Depth=1
	s_set_inst_prefetch_distance 0x2
	s_or_b32 exec_lo, exec_lo, s8
	s_waitcnt vmcnt(0) lgkmcnt(0)
	s_barrier
	buffer_gl0_inv
	s_and_saveexec_b32 s7, s2
	s_cbranch_execz .LBB89_39
; %bb.38:                               ;   in Loop: Header=BB89_12 Depth=1
	v_mov_b32_e32 v1, s28
	ds_store_b32 v7, v1 offset:4104
.LBB89_39:                              ;   in Loop: Header=BB89_12 Depth=1
	s_or_b32 exec_lo, exec_lo, s7
	s_mov_b32 s7, -1
	s_waitcnt lgkmcnt(0)
	s_barrier
                                        ; implicit-def: $sgpr76
.LBB89_40:                              ;   in Loop: Header=BB89_12 Depth=1
	s_and_b32 vcc_lo, exec_lo, s7
	s_cbranch_vccz .LBB89_42
; %bb.41:                               ;   in Loop: Header=BB89_12 Depth=1
	buffer_gl0_inv
	ds_load_b32 v1, v7 offset:4104
	s_waitcnt lgkmcnt(0)
	v_readfirstlane_b32 s76, v1
.LBB89_42:                              ;   in Loop: Header=BB89_12 Depth=1
	s_delay_alu instid0(VALU_DEP_1)
	s_cmp_lt_i32 s76, 1
	s_cbranch_scc0 .LBB89_46
; %bb.43:                               ;   in Loop: Header=BB89_12 Depth=1
	v_dual_mov_b32 v1, 0 :: v_dual_mov_b32 v2, 0
	v_dual_mov_b32 v3, 0 :: v_dual_mov_b32 v4, 0
	s_mov_b32 s19, 0
	s_and_saveexec_b32 s18, s4
	s_cbranch_execnz .LBB89_47
; %bb.44:                               ;   in Loop: Header=BB89_12 Depth=1
	s_or_b32 exec_lo, exec_lo, s18
	v_mov_b32_e32 v28, 0
	s_and_saveexec_b32 s7, s5
	s_cbranch_execnz .LBB89_50
.LBB89_45:                              ;   in Loop: Header=BB89_12 Depth=1
	s_or_b32 exec_lo, exec_lo, s7
	s_and_saveexec_b32 s11, s5
	s_cbranch_execnz .LBB89_51
	s_branch .LBB89_56
.LBB89_46:                              ;   in Loop: Header=BB89_12 Depth=1
                                        ; implicit-def: $vgpr4
	s_cbranch_execnz .LBB89_57
	s_branch .LBB89_66
.LBB89_47:                              ;   in Loop: Header=BB89_12 Depth=1
	v_mov_b32_e32 v14, v17
	s_and_b32 s20, s68, 0xfe
	s_mov_b32 s21, 0
	s_mov_b32 s22, 0
	;; [unrolled: 1-line block ×5, first 2 shown]
.LBB89_48:                              ;   Parent Loop BB89_12 Depth=1
                                        ; =>  This Inner Loop Header: Depth=2
	v_add_nc_u32_e32 v6, s21, v24
	v_add_nc_u32_e32 v14, s49, v14
	s_delay_alu instid0(VALU_DEP_2) | instskip(SKIP_1) | instid1(VALU_DEP_1)
	v_lshlrev_b64 v[1:2], 2, v[6:7]
	v_add_nc_u32_e32 v6, s21, v12
	v_lshlrev_b64 v[3:4], 2, v[6:7]
	v_add_nc_u32_e32 v6, s21, v22
	s_delay_alu instid0(VALU_DEP_4) | instskip(SKIP_1) | instid1(VALU_DEP_3)
	v_add_co_u32 v1, vcc_lo, s45, v1
	v_add_co_ci_u32_e32 v2, vcc_lo, s46, v2, vcc_lo
	v_lshlrev_b64 v[28:29], 2, v[6:7]
	v_add_nc_u32_e32 v6, s21, v23
	s_add_i32 s21, s21, s63
	global_load_b32 v30, v[1:2], off
	v_add_co_u32 v1, vcc_lo, s45, v3
	v_add_co_ci_u32_e32 v2, vcc_lo, s46, v4, vcc_lo
	v_add_co_u32 v28, vcc_lo, s45, v28
	v_add_co_ci_u32_e32 v29, vcc_lo, s46, v29, vcc_lo
	v_lshlrev_b64 v[3:4], 2, v[6:7]
	s_clause 0x1
	global_load_b32 v6, v[1:2], off
	global_load_b32 v28, v[28:29], off
	v_add_co_u32 v1, vcc_lo, s45, v3
	v_add_co_ci_u32_e32 v2, vcc_lo, s46, v4, vcc_lo
	v_cmp_le_u32_e32 vcc_lo, s60, v14
	global_load_b32 v1, v[1:2], off
	s_waitcnt vmcnt(3)
	v_xor_b32_e32 v2, 0x80000000, v30
	s_delay_alu instid0(VALU_DEP_1) | instskip(SKIP_3) | instid1(VALU_DEP_3)
	v_and_b32_e32 v3, s74, v2
	v_bfe_u32 v2, v2, s20, 2
	s_waitcnt vmcnt(2)
	v_xor_b32_e32 v4, 0x80000000, v6
	v_cmp_eq_u32_e64 s7, s73, v3
	s_delay_alu instid0(VALU_DEP_3)
	v_cmp_eq_u32_e64 s8, 0, v2
	s_waitcnt vmcnt(1)
	v_xor_b32_e32 v6, 0x80000000, v28
	v_cmp_eq_u32_e64 s9, 1, v2
	v_and_b32_e32 v3, s74, v4
	v_bfe_u32 v4, v4, s20, 2
	v_cmp_eq_u32_e64 s10, 2, v2
	s_and_b32 s8, s7, s8
	v_cmp_eq_u32_e64 s11, 3, v2
	v_cmp_eq_u32_e64 s12, s73, v3
	v_and_b32_e32 v2, s74, v6
	v_bfe_u32 v3, v6, s20, 2
	v_cmp_eq_u32_e64 s13, 0, v4
	v_cndmask_b32_e64 v6, 0, 1, s8
	v_cmp_eq_u32_e64 s8, 1, v4
	s_and_b32 s9, s7, s9
	s_and_b32 s10, s7, s10
	v_cndmask_b32_e64 v28, 0, 1, s9
	v_cmp_eq_u32_e64 s9, 2, v4
	s_waitcnt vmcnt(0)
	v_xor_b32_e32 v1, 0x80000000, v1
	v_cndmask_b32_e64 v29, 0, 1, s10
	s_and_b32 s7, s7, s11
	s_and_b32 s13, s12, s13
	;; [unrolled: 1-line block ×3, first 2 shown]
	v_cmp_eq_u32_e64 s10, 3, v4
	v_cndmask_b32_e64 v4, 0, 1, s7
	v_cmp_eq_u32_e64 s7, s73, v2
	v_cmp_eq_u32_e64 s11, 0, v3
	v_cmp_ne_u32_e64 s14, 0, v6
	v_cndmask_b32_e64 v6, 0, 1, s13
	v_cmp_eq_u32_e64 s13, 1, v3
	v_cmp_ne_u32_e64 s15, 0, v28
	v_cndmask_b32_e64 v28, 0, 1, s8
	v_cmp_eq_u32_e64 s8, 2, v3
	s_and_b32 s9, s12, s9
	v_and_b32_e32 v2, s74, v1
	v_bfe_u32 v1, v1, s20, 2
	v_cmp_ne_u32_e64 s16, 0, v29
	v_cndmask_b32_e64 v29, 0, 1, s9
	v_cmp_eq_u32_e64 s9, 3, v3
	s_and_b32 s10, s12, s10
	s_and_b32 s11, s7, s11
	;; [unrolled: 1-line block ×4, first 2 shown]
	v_cmp_ne_u32_e64 s17, 0, v4
	v_cndmask_b32_e64 v3, 0, 1, s10
	v_cmp_eq_u32_e64 s10, s73, v2
	v_cmp_eq_u32_e64 s12, 0, v1
	s_bcnt1_i32_b32 s26, s14
	v_cmp_ne_u32_e64 s14, 0, v6
	v_cndmask_b32_e64 v2, 0, 1, s11
	v_cmp_eq_u32_e64 s11, 1, v1
	v_cndmask_b32_e64 v4, 0, 1, s13
	v_cmp_eq_u32_e64 s13, 2, v1
	;; [unrolled: 2-line block ×3, first 2 shown]
	s_and_b32 s7, s7, s9
	s_bcnt1_i32_b32 s79, s17
	v_cndmask_b32_e64 v1, 0, 1, s7
	v_cmp_ne_u32_e64 s17, 0, v3
	s_and_b32 s9, s10, s12
	s_and_b32 s11, s10, s11
	;; [unrolled: 1-line block ×4, first 2 shown]
	v_cmp_ne_u32_e64 s7, 0, v2
	v_cndmask_b32_e64 v2, 0, 1, s9
	v_cmp_ne_u32_e64 s9, 0, v4
	v_cndmask_b32_e64 v3, 0, 1, s11
	v_cndmask_b32_e64 v4, 0, 1, s12
	v_cmp_ne_u32_e64 s12, 0, v1
	v_cndmask_b32_e64 v1, 0, 1, s8
	s_bcnt1_i32_b32 s77, s15
	v_cmp_ne_u32_e64 s15, 0, v28
	s_bcnt1_i32_b32 s78, s16
	v_cmp_ne_u32_e64 s16, 0, v29
	s_add_i32 s22, s79, s22
	v_cmp_ne_u32_e64 s11, 0, v6
	s_bcnt1_i32_b32 s13, s17
	s_bcnt1_i32_b32 s17, s7
	s_add_i32 s13, s22, s13
	v_cmp_ne_u32_e64 s7, 0, v2
	s_bcnt1_i32_b32 s22, s9
	v_cmp_ne_u32_e64 s8, 0, v3
	v_cmp_ne_u32_e64 s9, 0, v4
	;; [unrolled: 1-line block ×3, first 2 shown]
	s_add_i32 s25, s26, s25
	s_add_i32 s24, s77, s24
	;; [unrolled: 1-line block ×3, first 2 shown]
	s_bcnt1_i32_b32 s14, s14
	s_bcnt1_i32_b32 s15, s15
	;; [unrolled: 1-line block ×3, first 2 shown]
	s_add_i32 s14, s25, s14
	s_add_i32 s15, s24, s15
	;; [unrolled: 1-line block ×3, first 2 shown]
	s_bcnt1_i32_b32 s11, s11
	s_bcnt1_i32_b32 s12, s12
	s_add_i32 s14, s14, s17
	s_add_i32 s15, s15, s22
	;; [unrolled: 1-line block ×4, first 2 shown]
	s_bcnt1_i32_b32 s7, s7
	s_bcnt1_i32_b32 s8, s8
	;; [unrolled: 1-line block ×4, first 2 shown]
	s_add_i32 s25, s14, s7
	s_add_i32 s24, s15, s8
	;; [unrolled: 1-line block ×4, first 2 shown]
	s_delay_alu instid0(SALU_CYCLE_1) | instskip(SKIP_2) | instid1(SALU_CYCLE_1)
	v_dual_mov_b32 v1, s25 :: v_dual_mov_b32 v4, s22
	v_dual_mov_b32 v2, s24 :: v_dual_mov_b32 v3, s23
	s_or_b32 s19, vcc_lo, s19
	s_and_not1_b32 exec_lo, exec_lo, s19
	s_cbranch_execnz .LBB89_48
; %bb.49:                               ;   in Loop: Header=BB89_12 Depth=1
	s_or_b32 exec_lo, exec_lo, s19
	s_delay_alu instid0(SALU_CYCLE_1)
	s_or_b32 exec_lo, exec_lo, s18
	v_mov_b32_e32 v28, 0
	s_and_saveexec_b32 s7, s5
	s_cbranch_execz .LBB89_45
.LBB89_50:                              ;   in Loop: Header=BB89_12 Depth=1
	global_load_b32 v28, v[10:11], off
	s_or_b32 exec_lo, exec_lo, s7
	s_and_saveexec_b32 s11, s5
	s_cbranch_execz .LBB89_56
.LBB89_51:                              ;   in Loop: Header=BB89_12 Depth=1
	v_mov_b32_e32 v6, v25
	v_mov_b32_e32 v14, v19
	s_and_b32 s13, s68, 0xfe
	s_mov_b32 s12, 0
	s_branch .LBB89_53
.LBB89_52:                              ;   in Loop: Header=BB89_53 Depth=2
	s_or_b32 exec_lo, exec_lo, s8
	s_waitcnt vmcnt(0)
	v_xor_b32_e32 v28, 0x80000000, v28
	s_and_b32 s8, exec_lo, vcc_lo
	v_add_nc_u32_e32 v6, s50, v6
	s_or_b32 s12, s8, s12
	s_delay_alu instid0(VALU_DEP_2) | instskip(SKIP_1) | instid1(VALU_DEP_2)
	v_and_b32_e32 v30, s74, v28
	v_bfe_u32 v28, v28, s13, 2
	v_cmp_eq_u32_e32 vcc_lo, s73, v30
	s_delay_alu instid0(VALU_DEP_2) | instskip(SKIP_3) | instid1(VALU_DEP_4)
	v_cmp_eq_u32_e64 s7, 0, v28
	v_cmp_eq_u32_e64 s8, 1, v28
	;; [unrolled: 1-line block ×4, first 2 shown]
	s_and_b32 s7, vcc_lo, s7
	s_delay_alu instid0(SALU_CYCLE_1) | instskip(SKIP_1) | instid1(SALU_CYCLE_1)
	v_cndmask_b32_e64 v28, 0, 1, s7
	s_and_b32 s7, vcc_lo, s8
	v_cndmask_b32_e64 v30, 0, 1, s7
	s_and_b32 s7, vcc_lo, s9
	s_delay_alu instid0(SALU_CYCLE_1)
	v_cndmask_b32_e64 v31, 0, 1, s7
	s_and_b32 s7, vcc_lo, s10
	v_cmp_ne_u32_e32 vcc_lo, 0, v28
	v_cndmask_b32_e64 v32, 0, 1, s7
	v_cmp_ne_u32_e64 s7, 0, v30
	v_cmp_ne_u32_e64 s8, 0, v31
	v_mov_b32_e32 v28, v29
	s_bcnt1_i32_b32 s10, vcc_lo
	v_cmp_ne_u32_e64 s9, 0, v32
	s_bcnt1_i32_b32 s7, s7
	s_bcnt1_i32_b32 s8, s8
	v_add_nc_u32_e32 v1, s10, v1
	v_add_nc_u32_e32 v2, s7, v2
	s_bcnt1_i32_b32 s9, s9
	v_add_nc_u32_e32 v3, s8, v3
	v_add_nc_u32_e32 v4, s9, v4
	s_and_not1_b32 exec_lo, exec_lo, s12
	s_cbranch_execz .LBB89_55
.LBB89_53:                              ;   Parent Loop BB89_12 Depth=1
                                        ; =>  This Inner Loop Header: Depth=2
	s_delay_alu instid0(VALU_DEP_1) | instskip(SKIP_1) | instid1(VALU_DEP_1)
	v_dual_mov_b32 v29, 0 :: v_dual_add_nc_u32 v14, s47, v14
	s_mov_b32 s8, exec_lo
	v_cmp_le_u32_e32 vcc_lo, s28, v14
	v_cmpx_gt_u32_e64 s28, v14
	s_cbranch_execz .LBB89_52
; %bb.54:                               ;   in Loop: Header=BB89_53 Depth=2
	v_lshlrev_b64 v[29:30], 2, v[6:7]
	s_delay_alu instid0(VALU_DEP_1) | instskip(NEXT) | instid1(VALU_DEP_1)
	v_add_co_u32 v29, s7, s45, v29
	v_add_co_ci_u32_e64 v30, s7, s46, v30, s7
	global_load_b32 v29, v[29:30], off
	s_branch .LBB89_52
.LBB89_55:                              ;   in Loop: Header=BB89_12 Depth=1
	s_or_b32 exec_lo, exec_lo, s12
.LBB89_56:                              ;   in Loop: Header=BB89_12 Depth=1
	s_delay_alu instid0(SALU_CYCLE_1)
	s_or_b32 exec_lo, exec_lo, s11
	s_branch .LBB89_66
.LBB89_57:                              ;   in Loop: Header=BB89_12 Depth=1
	s_mul_hi_u32 s7, s76, s59
	v_dual_mov_b32 v1, 0 :: v_dual_mov_b32 v2, 0
	s_mul_i32 s7, s7, s49
	v_dual_mov_b32 v3, 0 :: v_dual_mov_b32 v4, 0
	s_sub_i32 s7, s76, s7
	s_mov_b32 s79, 0
	s_sub_i32 s8, s7, s49
	s_cmp_ge_u32 s7, s49
	s_mov_b32 s78, exec_lo
	s_cselect_b32 s7, s8, s7
	s_delay_alu instid0(SALU_CYCLE_1) | instskip(SKIP_2) | instid1(SALU_CYCLE_1)
	s_sub_i32 s8, s7, s49
	s_cmp_ge_u32 s7, s49
	s_cselect_b32 s7, s8, s7
	s_sub_i32 s77, s76, s7
	s_delay_alu instid0(SALU_CYCLE_1)
	v_cmpx_gt_u32_e64 s77, v17
	s_cbranch_execz .LBB89_61
; %bb.58:                               ;   in Loop: Header=BB89_12 Depth=1
	v_mov_b32_e32 v6, v26
	v_mov_b32_e32 v14, v17
	s_and_b32 s80, s68, 0xfe
	s_mov_b32 s81, 0
	s_mov_b32 s82, 0
	;; [unrolled: 1-line block ×4, first 2 shown]
.LBB89_59:                              ;   Parent Loop BB89_12 Depth=1
                                        ; =>  This Inner Loop Header: Depth=2
	ds_load_b128 v[1:4], v6
	s_waitcnt lgkmcnt(0)
	v_xor_b32_e32 v1, 0x80000000, v1
	v_xor_b32_e32 v2, 0x80000000, v2
	;; [unrolled: 1-line block ×4, first 2 shown]
	s_waitcnt vmcnt(0)
	v_and_b32_e32 v28, s74, v1
	v_bfe_u32 v1, v1, s80, 2
	v_and_b32_e32 v29, s74, v2
	v_bfe_u32 v2, v2, s80, 2
	;; [unrolled: 2-line block ×3, first 2 shown]
	v_cmp_eq_u32_e64 s7, s73, v28
	v_cmp_eq_u32_e64 s11, 0, v1
	v_and_b32_e32 v31, s74, v4
	v_bfe_u32 v4, v4, s80, 2
	v_cmp_eq_u32_e64 s8, s73, v29
	v_cmp_eq_u32_e64 s12, 0, v2
	;; [unrolled: 1-line block ×4, first 2 shown]
	s_and_b32 s11, s7, s11
	v_cmp_eq_u32_e64 s10, s73, v31
	v_cmp_eq_u32_e64 s14, 0, v4
	;; [unrolled: 1-line block ×5, first 2 shown]
	v_cndmask_b32_e64 v1, 0, 1, s11
	s_and_b32 s11, s8, s12
	v_cmp_eq_u32_e64 s16, 1, v2
	v_cmp_eq_u32_e64 s20, 2, v2
	v_cmp_eq_u32_e64 s24, 3, v2
	v_cndmask_b32_e64 v2, 0, 1, s11
	s_and_b32 s11, s9, s13
	v_cmp_eq_u32_e64 s17, 1, v3
	v_cmp_eq_u32_e64 s21, 2, v3
	v_cmp_eq_u32_e64 s25, 3, v3
	;; [unrolled: 5-line block ×3, first 2 shown]
	v_cndmask_b32_e64 v4, 0, 1, s11
	s_and_b32 s11, s7, s15
	s_delay_alu instid0(SALU_CYCLE_1) | instskip(SKIP_1) | instid1(SALU_CYCLE_1)
	v_cndmask_b32_e64 v28, 0, 1, s11
	s_and_b32 s11, s8, s16
	v_cndmask_b32_e64 v29, 0, 1, s11
	s_and_b32 s11, s9, s17
	s_delay_alu instid0(SALU_CYCLE_1) | instskip(SKIP_1) | instid1(VALU_DEP_2)
	v_cndmask_b32_e64 v30, 0, 1, s11
	s_and_b32 s11, s10, s18
	v_cmp_ne_u32_e64 s12, 0, v29
	v_cndmask_b32_e64 v31, 0, 1, s11
	s_and_b32 s11, s7, s19
	s_and_b32 s7, s7, s23
	v_cndmask_b32_e64 v32, 0, 1, s11
	v_cndmask_b32_e64 v36, 0, 1, s7
	s_and_b32 s7, s8, s24
	s_and_b32 s11, s8, s20
	v_cndmask_b32_e64 v37, 0, 1, s7
	s_and_b32 s7, s9, s25
	v_cndmask_b32_e64 v33, 0, 1, s11
	v_cndmask_b32_e64 v38, 0, 1, s7
	s_and_b32 s7, s10, s26
	s_and_b32 s11, s9, s21
	v_cndmask_b32_e64 v39, 0, 1, s7
	v_cmp_ne_u32_e64 s7, 0, v1
	v_cmp_ne_u32_e64 s8, 0, v2
	v_cndmask_b32_e64 v34, 0, 1, s11
	s_and_b32 s11, s10, s22
	v_cmp_ne_u32_e64 s9, 0, v3
	v_cndmask_b32_e64 v35, 0, 1, s11
	v_cmp_ne_u32_e64 s11, 0, v28
	v_cmp_ne_u32_e64 s15, 0, v32
	;; [unrolled: 1-line block ×3, first 2 shown]
	s_bcnt1_i32_b32 s7, s7
	v_cmp_ne_u32_e64 s10, 0, v4
	v_cmp_ne_u32_e64 s16, 0, v33
	;; [unrolled: 1-line block ×3, first 2 shown]
	s_bcnt1_i32_b32 s8, s8
	s_add_i32 s7, s7, s84
	v_cmp_ne_u32_e64 s13, 0, v30
	v_cmp_ne_u32_e64 s17, 0, v34
	;; [unrolled: 1-line block ×3, first 2 shown]
	s_bcnt1_i32_b32 s9, s9
	s_add_i32 s7, s7, s8
	s_bcnt1_i32_b32 s11, s11
	s_bcnt1_i32_b32 s15, s15
	;; [unrolled: 1-line block ×3, first 2 shown]
	v_cmp_ne_u32_e64 s14, 0, v31
	v_cmp_ne_u32_e64 s18, 0, v35
	;; [unrolled: 1-line block ×3, first 2 shown]
	s_bcnt1_i32_b32 s10, s10
	s_add_i32 s7, s7, s9
	s_bcnt1_i32_b32 s12, s12
	s_bcnt1_i32_b32 s16, s16
	;; [unrolled: 1-line block ×3, first 2 shown]
	s_add_i32 s11, s11, s83
	s_add_i32 s15, s15, s82
	;; [unrolled: 1-line block ×4, first 2 shown]
	s_delay_alu instid0(SALU_CYCLE_1)
	v_dual_mov_b32 v1, s84 :: v_dual_add_nc_u32 v14, s49, v14
	s_bcnt1_i32_b32 s13, s13
	s_bcnt1_i32_b32 s17, s17
	;; [unrolled: 1-line block ×3, first 2 shown]
	s_add_i32 s8, s11, s12
	s_add_i32 s11, s15, s16
	;; [unrolled: 1-line block ×3, first 2 shown]
	s_bcnt1_i32_b32 s14, s14
	s_bcnt1_i32_b32 s18, s18
	;; [unrolled: 1-line block ×3, first 2 shown]
	s_add_i32 s8, s8, s13
	s_add_i32 s9, s11, s17
	;; [unrolled: 1-line block ×3, first 2 shown]
	v_cmp_le_u32_e32 vcc_lo, s77, v14
	s_add_i32 s83, s8, s14
	s_add_i32 s82, s9, s18
	;; [unrolled: 1-line block ×3, first 2 shown]
	v_dual_mov_b32 v3, s82 :: v_dual_add_nc_u32 v6, s64, v6
	v_mov_b32_e32 v2, s83
	v_mov_b32_e32 v4, s81
	s_or_b32 s79, vcc_lo, s79
	s_delay_alu instid0(SALU_CYCLE_1)
	s_and_not1_b32 exec_lo, exec_lo, s79
	s_cbranch_execnz .LBB89_59
; %bb.60:                               ;   in Loop: Header=BB89_12 Depth=1
	s_or_b32 exec_lo, exec_lo, s79
.LBB89_61:                              ;   in Loop: Header=BB89_12 Depth=1
	s_delay_alu instid0(SALU_CYCLE_1) | instskip(SKIP_2) | instid1(VALU_DEP_1)
	s_or_b32 exec_lo, exec_lo, s78
	v_add_nc_u32_e32 v6, s77, v0
	s_mov_b32 s12, exec_lo
	v_cmpx_gt_u32_e64 s76, v6
	s_cbranch_execz .LBB89_65
; %bb.62:                               ;   in Loop: Header=BB89_12 Depth=1
	v_lshlrev_b32_e32 v14, 2, v6
	s_and_b32 s14, s68, 0xfe
	s_mov_b32 s13, 0
.LBB89_63:                              ;   Parent Loop BB89_12 Depth=1
                                        ; =>  This Inner Loop Header: Depth=2
	s_waitcnt vmcnt(0)
	ds_load_b32 v28, v14
	v_add_nc_u32_e32 v6, s47, v6
	v_add_nc_u32_e32 v14, s49, v14
	s_delay_alu instid0(VALU_DEP_2) | instskip(SKIP_2) | instid1(VALU_DEP_1)
	v_cmp_le_u32_e32 vcc_lo, s76, v6
	s_waitcnt lgkmcnt(0)
	v_xor_b32_e32 v28, 0x80000000, v28
	v_and_b32_e32 v29, s74, v28
	v_bfe_u32 v28, v28, s14, 2
	s_delay_alu instid0(VALU_DEP_2) | instskip(NEXT) | instid1(VALU_DEP_2)
	v_cmp_eq_u32_e64 s7, s73, v29
	v_cmp_eq_u32_e64 s8, 0, v28
	v_cmp_eq_u32_e64 s9, 1, v28
	v_cmp_eq_u32_e64 s10, 2, v28
	v_cmp_eq_u32_e64 s11, 3, v28
	s_delay_alu instid0(VALU_DEP_4) | instskip(NEXT) | instid1(SALU_CYCLE_1)
	s_and_b32 s8, s7, s8
	v_cndmask_b32_e64 v28, 0, 1, s8
	s_and_b32 s8, s7, s9
	s_delay_alu instid0(SALU_CYCLE_1)
	v_cndmask_b32_e64 v29, 0, 1, s8
	s_and_b32 s8, s7, s10
	s_and_b32 s7, s7, s11
	v_cndmask_b32_e64 v30, 0, 1, s8
	v_cndmask_b32_e64 v31, 0, 1, s7
	v_cmp_ne_u32_e64 s7, 0, v28
	v_cmp_ne_u32_e64 s8, 0, v29
	s_delay_alu instid0(VALU_DEP_4) | instskip(NEXT) | instid1(VALU_DEP_4)
	v_cmp_ne_u32_e64 s9, 0, v30
	v_cmp_ne_u32_e64 s10, 0, v31
	s_delay_alu instid0(VALU_DEP_4) | instskip(NEXT) | instid1(VALU_DEP_3)
	s_bcnt1_i32_b32 s7, s7
	s_bcnt1_i32_b32 s8, s8
	v_add_nc_u32_e32 v1, s7, v1
	s_bcnt1_i32_b32 s9, s9
	s_bcnt1_i32_b32 s10, s10
	v_add_nc_u32_e32 v2, s8, v2
	v_add_nc_u32_e32 v3, s9, v3
	;; [unrolled: 1-line block ×3, first 2 shown]
	s_or_b32 s13, vcc_lo, s13
	s_delay_alu instid0(SALU_CYCLE_1)
	s_and_not1_b32 exec_lo, exec_lo, s13
	s_cbranch_execnz .LBB89_63
; %bb.64:                               ;   in Loop: Header=BB89_12 Depth=1
	s_or_b32 exec_lo, exec_lo, s13
.LBB89_65:                              ;   in Loop: Header=BB89_12 Depth=1
	s_delay_alu instid0(SALU_CYCLE_1)
	s_or_b32 exec_lo, exec_lo, s12
.LBB89_66:                              ;   in Loop: Header=BB89_12 Depth=1
	s_lshl_b32 s7, s71, 7
	s_and_saveexec_b32 s8, s3
	s_cbranch_execz .LBB89_68
; %bb.67:                               ;   in Loop: Header=BB89_12 Depth=1
	v_or_b32_e32 v6, s7, v20
	s_delay_alu instid0(VALU_DEP_1)
	v_lshlrev_b32_e32 v6, 2, v6
	ds_store_b128 v6, v[1:4] offset:3072
.LBB89_68:                              ;   in Loop: Header=BB89_12 Depth=1
	s_or_b32 exec_lo, exec_lo, s8
	s_waitcnt vmcnt(0) lgkmcnt(0)
	s_barrier
	buffer_gl0_inv
	s_and_saveexec_b32 s8, s52
	s_cbranch_execz .LBB89_78
; %bb.69:                               ;   in Loop: Header=BB89_12 Depth=1
	v_mov_b32_e32 v1, 0
	s_and_not1_b32 vcc_lo, exec_lo, s54
	s_cbranch_vccnz .LBB89_77
; %bb.70:                               ;   in Loop: Header=BB89_12 Depth=1
	v_mov_b32_e32 v1, 0
	s_and_not1_b32 vcc_lo, exec_lo, s56
	s_mov_b32 s9, 0
	s_cbranch_vccnz .LBB89_74
; %bb.71:                               ;   in Loop: Header=BB89_12 Depth=1
	v_lshl_add_u32 v2, s71, 9, v27
	v_mov_b32_e32 v1, 0
	.p2align	6
.LBB89_72:                              ;   Parent Loop BB89_12 Depth=1
                                        ; =>  This Inner Loop Header: Depth=2
	ds_load_2addr_b32 v[3:4], v2 offset1:4
	ds_load_2addr_b32 v[28:29], v2 offset0:8 offset1:12
	ds_load_2addr_b32 v[30:31], v2 offset0:16 offset1:20
	;; [unrolled: 1-line block ×3, first 2 shown]
	v_add_nc_u32_e32 v2, 0x80, v2
	s_add_i32 s9, s9, 8
	s_delay_alu instid0(SALU_CYCLE_1) | instskip(SKIP_3) | instid1(VALU_DEP_1)
	s_cmp_eq_u32 s57, s9
	s_waitcnt lgkmcnt(3)
	v_add3_u32 v1, v3, v1, v4
	s_waitcnt lgkmcnt(2)
	v_add3_u32 v1, v28, v1, v29
	s_waitcnt lgkmcnt(1)
	s_delay_alu instid0(VALU_DEP_1) | instskip(SKIP_1) | instid1(VALU_DEP_1)
	v_add3_u32 v1, v30, v1, v31
	s_waitcnt lgkmcnt(0)
	v_add3_u32 v1, v32, v1, v33
	s_cbranch_scc0 .LBB89_72
; %bb.73:                               ;   in Loop: Header=BB89_12 Depth=1
	s_mov_b32 s9, s57
.LBB89_74:                              ;   in Loop: Header=BB89_12 Depth=1
	s_and_not1_b32 vcc_lo, exec_lo, s58
	s_cbranch_vccnz .LBB89_77
; %bb.75:                               ;   in Loop: Header=BB89_12 Depth=1
	s_lshl_b32 s10, s71, 9
	s_lshl_b32 s9, s9, 4
	s_delay_alu instid0(SALU_CYCLE_1)
	v_add3_u32 v2, s10, s9, v27
	s_mov_b32 s9, s55
.LBB89_76:                              ;   Parent Loop BB89_12 Depth=1
                                        ; =>  This Inner Loop Header: Depth=2
	ds_load_b32 v3, v2
	v_add_nc_u32_e32 v2, 16, v2
	s_add_i32 s9, s9, -1
	s_delay_alu instid0(SALU_CYCLE_1)
	s_cmp_lg_u32 s9, 0
	s_waitcnt lgkmcnt(0)
	v_add_nc_u32_e32 v1, v3, v1
	s_cbranch_scc1 .LBB89_76
.LBB89_77:                              ;   in Loop: Header=BB89_12 Depth=1
	v_add_lshl_u32 v2, s7, v16, 2
	ds_store_b32 v2, v1 offset:3072
.LBB89_78:                              ;   in Loop: Header=BB89_12 Depth=1
	s_or_b32 exec_lo, exec_lo, s8
	s_lshl_b32 s7, s7, 2
	s_waitcnt lgkmcnt(0)
	v_mov_b32_e32 v1, s7
	s_barrier
	buffer_gl0_inv
	s_and_b32 s16, s68, 0xfe
	s_mov_b32 s12, -1
	ds_load_b128 v[1:4], v1 offset:3072
	s_lshl_b32 s9, 3, s16
	s_delay_alu instid0(SALU_CYCLE_1) | instskip(SKIP_4) | instid1(VALU_DEP_3)
	s_not_b32 s17, s9
	s_waitcnt lgkmcnt(0)
	v_readfirstlane_b32 s11, v1
	v_readfirstlane_b32 s19, v2
	;; [unrolled: 1-line block ×3, first 2 shown]
	s_cmp_eq_u32 s11, 1
	s_cselect_b32 s7, -1, 0
	s_cmp_eq_u32 s75, 1
	s_cselect_b32 s8, -1, 0
	s_delay_alu instid0(SALU_CYCLE_1)
	s_and_b32 s13, s7, s8
	v_readfirstlane_b32 s8, v4
	s_and_b32 vcc_lo, exec_lo, s13
	s_cbranch_vccz .LBB89_90
; %bb.79:                               ;   in Loop: Header=BB89_12 Depth=1
	ds_load_b32 v1, v7 offset:4104
	s_waitcnt lgkmcnt(0)
	s_barrier
	buffer_gl0_inv
	v_readfirstlane_b32 s10, v1
	s_and_saveexec_b32 s7, s1
	s_cbranch_execz .LBB89_81
; %bb.80:                               ;   in Loop: Header=BB89_12 Depth=1
	ds_store_b32 v18, v7
.LBB89_81:                              ;   in Loop: Header=BB89_12 Depth=1
	s_or_b32 exec_lo, exec_lo, s7
	s_and_b32 s73, s73, s17
	s_or_b32 s74, s74, s9
	s_cmp_eq_u32 s10, 0
	s_waitcnt lgkmcnt(0)
	s_barrier
	buffer_gl0_inv
	s_cbranch_scc1 .LBB89_91
; %bb.82:                               ;   in Loop: Header=BB89_12 Depth=1
	s_add_i32 s7, s10, s51
                                        ; implicit-def: $vgpr15
	s_delay_alu instid0(SALU_CYCLE_1) | instskip(NEXT) | instid1(SALU_CYCLE_1)
	s_mul_hi_u32 s15, s7, s61
	s_mul_i32 s15, s15, s47
	s_delay_alu instid0(SALU_CYCLE_1) | instskip(NEXT) | instid1(SALU_CYCLE_1)
	s_sub_i32 s15, s7, s15
	s_sub_i32 s18, s15, s47
	s_cmp_ge_u32 s15, s47
	s_cselect_b32 s15, s18, s15
	s_delay_alu instid0(SALU_CYCLE_1) | instskip(SKIP_2) | instid1(SALU_CYCLE_1)
	s_sub_i32 s18, s15, s47
	s_cmp_ge_u32 s15, s47
	s_cselect_b32 s15, s18, s15
	s_sub_i32 s18, s7, s15
	s_mov_b32 s7, 0
	s_mov_b32 s15, exec_lo
	v_cmpx_gt_u32_e64 s18, v0
	s_cbranch_execz .LBB89_93
; %bb.83:                               ;   in Loop: Header=BB89_12 Depth=1
	v_dual_mov_b32 v1, v17 :: v_dual_mov_b32 v2, v0
                                        ; implicit-def: $sgpr20
	s_set_inst_prefetch_distance 0x1
	s_branch .LBB89_85
	.p2align	6
.LBB89_84:                              ;   in Loop: Header=BB89_85 Depth=2
	s_or_b32 exec_lo, exec_lo, s21
	s_waitcnt lgkmcnt(0)
	s_barrier
	buffer_gl0_inv
	ds_load_b64 v[14:15], v7 offset:3072
	v_add_nc_u32_e32 v2, s47, v2
	v_add_nc_u32_e32 v1, s49, v1
	s_waitcnt lgkmcnt(0)
	s_barrier
	buffer_gl0_inv
	v_cmp_le_u32_e32 vcc_lo, s18, v2
	v_readfirstlane_b32 s21, v14
	s_delay_alu instid0(VALU_DEP_1) | instskip(SKIP_1) | instid1(SALU_CYCLE_1)
	s_cmp_lg_u32 s21, 0
	s_cselect_b32 s21, -1, 0
	s_or_b32 s22, vcc_lo, s21
	s_delay_alu instid0(SALU_CYCLE_1) | instskip(NEXT) | instid1(SALU_CYCLE_1)
	s_and_b32 s22, exec_lo, s22
	s_or_b32 s7, s22, s7
	s_and_not1_b32 s20, s20, exec_lo
	s_and_b32 s21, s21, exec_lo
	s_delay_alu instid0(SALU_CYCLE_1)
	s_or_b32 s20, s20, s21
	s_and_not1_b32 exec_lo, exec_lo, s7
	s_cbranch_execz .LBB89_92
.LBB89_85:                              ;   Parent Loop BB89_12 Depth=1
                                        ; =>  This Inner Loop Header: Depth=2
	s_delay_alu instid0(VALU_DEP_1)
	v_cmp_gt_u32_e32 vcc_lo, s10, v2
	v_mov_b32_e32 v14, 0
	s_and_saveexec_b32 s21, vcc_lo
	s_cbranch_execz .LBB89_87
; %bb.86:                               ;   in Loop: Header=BB89_85 Depth=2
	ds_load_b32 v14, v1
.LBB89_87:                              ;   in Loop: Header=BB89_85 Depth=2
	s_or_b32 exec_lo, exec_lo, s21
	s_and_saveexec_b32 s21, vcc_lo
	s_cbranch_execz .LBB89_84
; %bb.88:                               ;   in Loop: Header=BB89_85 Depth=2
	s_waitcnt lgkmcnt(0)
	v_xor_b32_e32 v3, 0x80000000, v14
	s_delay_alu instid0(VALU_DEP_1) | instskip(NEXT) | instid1(VALU_DEP_1)
	v_and_b32_e32 v3, s74, v3
	v_cmp_eq_u32_e32 vcc_lo, s73, v3
	s_and_b32 exec_lo, exec_lo, vcc_lo
	s_cbranch_execz .LBB89_84
; %bb.89:                               ;   in Loop: Header=BB89_85 Depth=2
	ds_store_b64 v7, v[13:14] offset:3072
	s_branch .LBB89_84
.LBB89_90:                              ;   in Loop: Header=BB89_12 Depth=1
	s_mov_b32 s7, -1
                                        ; implicit-def: $sgpr10
                                        ; implicit-def: $sgpr18
                                        ; implicit-def: $sgpr15
	s_branch .LBB89_104
.LBB89_91:                              ;   in Loop: Header=BB89_12 Depth=1
	s_mov_b32 s10, -1
	s_mov_b32 s7, 0
                                        ; implicit-def: $sgpr15
                                        ; implicit-def: $vgpr15
	s_mov_b32 s18, s10
	s_cbranch_execnz .LBB89_94
	s_branch .LBB89_104
.LBB89_92:                              ;   in Loop: Header=BB89_12 Depth=1
	s_set_inst_prefetch_distance 0x2
	s_or_b32 exec_lo, exec_lo, s7
	s_delay_alu instid0(SALU_CYCLE_1)
	s_and_b32 s7, s20, exec_lo
.LBB89_93:                              ;   in Loop: Header=BB89_12 Depth=1
	s_or_b32 exec_lo, exec_lo, s15
	s_mov_b32 s15, -1
	s_mov_b32 s10, 0
	s_delay_alu instid0(SALU_CYCLE_1)
	s_mov_b32 s18, s10
	s_branch .LBB89_104
.LBB89_94:                              ;   in Loop: Header=BB89_12 Depth=1
	s_mov_b32 s7, 0
                                        ; implicit-def: $vgpr15
	s_and_saveexec_b32 s10, s6
	s_cbranch_execz .LBB89_103
; %bb.95:                               ;   in Loop: Header=BB89_12 Depth=1
	v_dual_mov_b32 v6, v5 :: v_dual_mov_b32 v1, v0
	s_mov_b32 s15, 0
                                        ; implicit-def: $sgpr18
	s_set_inst_prefetch_distance 0x1
	s_branch .LBB89_97
	.p2align	6
.LBB89_96:                              ;   in Loop: Header=BB89_97 Depth=2
	s_or_b32 exec_lo, exec_lo, s7
	s_waitcnt vmcnt(0) lgkmcnt(0)
	s_barrier
	buffer_gl0_inv
	ds_load_b64 v[14:15], v7 offset:3072
	v_add_nc_u32_e32 v1, s47, v1
	v_add_nc_u32_e32 v6, s50, v6
	s_waitcnt lgkmcnt(0)
	s_barrier
	buffer_gl0_inv
	v_cmp_le_u32_e32 vcc_lo, s62, v1
	v_readfirstlane_b32 s7, v14
	s_delay_alu instid0(VALU_DEP_1) | instskip(SKIP_1) | instid1(SALU_CYCLE_1)
	s_cmp_lg_u32 s7, 0
	s_cselect_b32 s7, -1, 0
	s_or_b32 s20, vcc_lo, s7
	s_delay_alu instid0(SALU_CYCLE_1) | instskip(NEXT) | instid1(SALU_CYCLE_1)
	s_and_b32 s20, exec_lo, s20
	s_or_b32 s15, s20, s15
	s_and_not1_b32 s18, s18, exec_lo
	s_and_b32 s7, s7, exec_lo
	s_delay_alu instid0(SALU_CYCLE_1)
	s_or_b32 s18, s18, s7
	s_and_not1_b32 exec_lo, exec_lo, s15
	s_cbranch_execz .LBB89_102
.LBB89_97:                              ;   Parent Loop BB89_12 Depth=1
                                        ; =>  This Inner Loop Header: Depth=2
	s_delay_alu instid0(VALU_DEP_1)
	v_cmp_gt_u32_e32 vcc_lo, s28, v1
	v_mov_b32_e32 v14, 0
	s_and_saveexec_b32 s20, vcc_lo
	s_cbranch_execz .LBB89_99
; %bb.98:                               ;   in Loop: Header=BB89_97 Depth=2
	v_lshlrev_b64 v[2:3], 2, v[6:7]
	s_delay_alu instid0(VALU_DEP_1) | instskip(NEXT) | instid1(VALU_DEP_1)
	v_add_co_u32 v2, s7, s45, v2
	v_add_co_ci_u32_e64 v3, s7, s46, v3, s7
	global_load_b32 v14, v[2:3], off
.LBB89_99:                              ;   in Loop: Header=BB89_97 Depth=2
	s_or_b32 exec_lo, exec_lo, s20
	s_and_saveexec_b32 s7, vcc_lo
	s_cbranch_execz .LBB89_96
; %bb.100:                              ;   in Loop: Header=BB89_97 Depth=2
	s_waitcnt vmcnt(0)
	v_xor_b32_e32 v2, 0x80000000, v14
	s_delay_alu instid0(VALU_DEP_1) | instskip(NEXT) | instid1(VALU_DEP_1)
	v_and_b32_e32 v2, s74, v2
	v_cmp_eq_u32_e32 vcc_lo, s73, v2
	s_and_b32 exec_lo, exec_lo, vcc_lo
	s_cbranch_execz .LBB89_96
; %bb.101:                              ;   in Loop: Header=BB89_97 Depth=2
	ds_store_b64 v7, v[13:14] offset:3072
	s_branch .LBB89_96
.LBB89_102:                             ;   in Loop: Header=BB89_12 Depth=1
	s_set_inst_prefetch_distance 0x2
	s_or_b32 exec_lo, exec_lo, s15
	s_delay_alu instid0(SALU_CYCLE_1)
	s_and_b32 s7, s18, exec_lo
.LBB89_103:                             ;   in Loop: Header=BB89_12 Depth=1
	s_or_b32 exec_lo, exec_lo, s10
	s_mov_b32 s18, -1
	s_mov_b32 s10, 0
	s_mov_b32 s15, 0
.LBB89_104:                             ;   in Loop: Header=BB89_12 Depth=1
	s_and_not1_b32 s20, s69, exec_lo
	s_and_b32 s10, s10, exec_lo
	s_and_b32 s18, s18, exec_lo
	s_or_b32 s69, s20, s10
	s_and_not1_b32 s10, s72, exec_lo
	s_and_not1_b32 s20, s70, exec_lo
	s_and_b32 s15, s15, exec_lo
	s_or_b32 s72, s10, s18
	s_or_b32 s70, s20, s15
	s_and_saveexec_b32 s10, s7
	s_cbranch_execz .LBB89_11
; %bb.105:                              ;   in Loop: Header=BB89_12 Depth=1
	s_xor_b32 s7, s13, -1
	s_mov_b32 s12, 0
	s_and_not1_b32 vcc_lo, exec_lo, s7
	s_mov_b32 s20, 1
	s_cbranch_vccnz .LBB89_116
; %bb.106:                              ;   in Loop: Header=BB89_12 Depth=1
	s_cmp_gt_u32 s75, s11
	s_mov_b32 s12, -1
                                        ; implicit-def: $sgpr7
                                        ; implicit-def: $sgpr13
                                        ; implicit-def: $sgpr15
	s_cbranch_scc1 .LBB89_112
; %bb.107:                              ;   in Loop: Header=BB89_12 Depth=1
	ds_load_b32 v1, v7 offset:4104
	s_waitcnt lgkmcnt(0)
	v_cmp_ne_u32_e32 vcc_lo, 0, v1
	s_cbranch_vccnz .LBB89_111
; %bb.108:                              ;   in Loop: Header=BB89_12 Depth=1
	s_and_saveexec_b32 s7, s2
	s_cbranch_execz .LBB89_110
; %bb.109:                              ;   in Loop: Header=BB89_12 Depth=1
	v_mov_b32_e32 v1, s11
	ds_store_b32 v7, v1 offset:4108
.LBB89_110:                             ;   in Loop: Header=BB89_12 Depth=1
	s_or_b32 exec_lo, exec_lo, s7
	s_waitcnt lgkmcnt(0)
	s_barrier
	buffer_gl0_inv
.LBB89_111:                             ;   in Loop: Header=BB89_12 Depth=1
	s_and_b32 s13, s73, s17
	s_or_b32 s15, s74, s9
	s_mov_b32 s12, 0
	s_mov_b32 s7, 8
.LBB89_112:                             ;   in Loop: Header=BB89_12 Depth=1
	s_and_not1_b32 vcc_lo, exec_lo, s12
	s_cbranch_vccnz .LBB89_114
; %bb.113:                              ;   in Loop: Header=BB89_12 Depth=1
	s_sub_i32 s75, s75, s11
	s_mov_b32 s12, -1
	s_mov_b32 s7, 0
	s_mov_b32 s13, s73
	;; [unrolled: 1-line block ×3, first 2 shown]
.LBB89_114:                             ;   in Loop: Header=BB89_12 Depth=1
	s_delay_alu instid0(SALU_CYCLE_1)
	s_mov_b32 s74, s15
	s_mov_b32 s73, s13
	;; [unrolled: 1-line block ×3, first 2 shown]
	s_and_b32 vcc_lo, exec_lo, s12
	s_mov_b32 s11, -1
	s_cbranch_vccnz .LBB89_117
.LBB89_115:                             ;   in Loop: Header=BB89_12 Depth=1
	s_mov_b32 s23, -1
                                        ; implicit-def: $sgpr12
                                        ; implicit-def: $sgpr15
                                        ; implicit-def: $sgpr13
                                        ; implicit-def: $sgpr75
	s_delay_alu instid0(SALU_CYCLE_1) | instskip(NEXT) | instid1(SALU_CYCLE_1)
	s_and_saveexec_b32 s8, s23
	s_xor_b32 s8, exec_lo, s8
	s_cbranch_execz .LBB89_10
	s_branch .LBB89_243
.LBB89_116:                             ;   in Loop: Header=BB89_12 Depth=1
	s_mov_b32 s7, 1
	s_and_b32 vcc_lo, exec_lo, s12
	s_mov_b32 s11, -1
	s_cbranch_vccz .LBB89_115
.LBB89_117:                             ;   in Loop: Header=BB89_12 Depth=1
	s_cmp_eq_u32 s19, 1
	s_mov_b32 s22, -1
	s_cselect_b32 s7, -1, 0
	s_cmp_eq_u32 s20, 1
	s_cselect_b32 s12, -1, 0
	s_delay_alu instid0(SALU_CYCLE_1) | instskip(NEXT) | instid1(SALU_CYCLE_1)
	s_and_b32 s21, s7, s12
	s_and_b32 vcc_lo, exec_lo, s21
	s_cbranch_vccz .LBB89_129
; %bb.118:                              ;   in Loop: Header=BB89_12 Depth=1
	ds_load_b32 v1, v7 offset:4104
	s_waitcnt lgkmcnt(0)
	s_barrier
	buffer_gl0_inv
	v_readfirstlane_b32 s7, v1
	s_and_saveexec_b32 s12, s1
	s_cbranch_execz .LBB89_120
; %bb.119:                              ;   in Loop: Header=BB89_12 Depth=1
	ds_store_b32 v18, v7
.LBB89_120:                             ;   in Loop: Header=BB89_12 Depth=1
	s_or_b32 exec_lo, exec_lo, s12
	s_lshl_b32 s12, 1, s16
	s_and_b32 s13, s73, s17
	s_or_b32 s74, s74, s9
	s_or_b32 s73, s13, s12
	s_cmp_eq_u32 s7, 0
	s_waitcnt lgkmcnt(0)
	s_barrier
	buffer_gl0_inv
	s_cbranch_scc1 .LBB89_133
; %bb.121:                              ;   in Loop: Header=BB89_12 Depth=1
	s_add_i32 s12, s7, s51
	s_mov_b32 s22, 0
	s_mul_hi_u32 s13, s12, s61
                                        ; implicit-def: $vgpr15
	s_delay_alu instid0(SALU_CYCLE_1) | instskip(NEXT) | instid1(SALU_CYCLE_1)
	s_mul_i32 s13, s13, s47
	s_sub_i32 s13, s12, s13
	s_delay_alu instid0(SALU_CYCLE_1) | instskip(SKIP_2) | instid1(SALU_CYCLE_1)
	s_sub_i32 s15, s13, s47
	s_cmp_ge_u32 s13, s47
	s_cselect_b32 s13, s15, s13
	s_sub_i32 s15, s13, s47
	s_cmp_ge_u32 s13, s47
	s_cselect_b32 s13, s15, s13
	s_delay_alu instid0(SALU_CYCLE_1)
	s_sub_i32 s13, s12, s13
	s_mov_b32 s12, exec_lo
	v_cmpx_gt_u32_e64 s13, v0
	s_cbranch_execz .LBB89_135
; %bb.122:                              ;   in Loop: Header=BB89_12 Depth=1
	v_dual_mov_b32 v1, v17 :: v_dual_mov_b32 v2, v0
	s_mov_b32 s15, 0
                                        ; implicit-def: $sgpr18
	s_set_inst_prefetch_distance 0x1
	s_branch .LBB89_124
	.p2align	6
.LBB89_123:                             ;   in Loop: Header=BB89_124 Depth=2
	s_or_b32 exec_lo, exec_lo, s22
	s_waitcnt lgkmcnt(0)
	s_barrier
	buffer_gl0_inv
	ds_load_b64 v[14:15], v7 offset:3072
	v_add_nc_u32_e32 v2, s47, v2
	v_add_nc_u32_e32 v1, s49, v1
	s_waitcnt lgkmcnt(0)
	s_barrier
	buffer_gl0_inv
	v_cmp_le_u32_e32 vcc_lo, s13, v2
	v_readfirstlane_b32 s22, v14
	s_delay_alu instid0(VALU_DEP_1) | instskip(SKIP_1) | instid1(SALU_CYCLE_1)
	s_cmp_lg_u32 s22, 0
	s_cselect_b32 s22, -1, 0
	s_or_b32 s23, vcc_lo, s22
	s_delay_alu instid0(SALU_CYCLE_1) | instskip(NEXT) | instid1(SALU_CYCLE_1)
	s_and_b32 s23, exec_lo, s23
	s_or_b32 s15, s23, s15
	s_and_not1_b32 s18, s18, exec_lo
	s_and_b32 s22, s22, exec_lo
	s_delay_alu instid0(SALU_CYCLE_1)
	s_or_b32 s18, s18, s22
	s_and_not1_b32 exec_lo, exec_lo, s15
	s_cbranch_execz .LBB89_134
.LBB89_124:                             ;   Parent Loop BB89_12 Depth=1
                                        ; =>  This Inner Loop Header: Depth=2
	s_delay_alu instid0(VALU_DEP_1)
	v_cmp_gt_u32_e32 vcc_lo, s7, v2
	v_mov_b32_e32 v14, 0
	s_and_saveexec_b32 s22, vcc_lo
	s_cbranch_execz .LBB89_126
; %bb.125:                              ;   in Loop: Header=BB89_124 Depth=2
	ds_load_b32 v14, v1
.LBB89_126:                             ;   in Loop: Header=BB89_124 Depth=2
	s_or_b32 exec_lo, exec_lo, s22
	s_and_saveexec_b32 s22, vcc_lo
	s_cbranch_execz .LBB89_123
; %bb.127:                              ;   in Loop: Header=BB89_124 Depth=2
	s_waitcnt lgkmcnt(0)
	v_xor_b32_e32 v3, 0x80000000, v14
	s_delay_alu instid0(VALU_DEP_1) | instskip(NEXT) | instid1(VALU_DEP_1)
	v_and_b32_e32 v3, s74, v3
	v_cmp_eq_u32_e32 vcc_lo, s73, v3
	s_and_b32 exec_lo, exec_lo, vcc_lo
	s_cbranch_execz .LBB89_123
; %bb.128:                              ;   in Loop: Header=BB89_124 Depth=2
	ds_store_b64 v7, v[13:14] offset:3072
	s_branch .LBB89_123
.LBB89_129:                             ;   in Loop: Header=BB89_12 Depth=1
                                        ; implicit-def: $sgpr13
                                        ; implicit-def: $sgpr15
                                        ; implicit-def: $sgpr12
	s_branch .LBB89_146
.LBB89_130:                             ;   in Loop: Header=BB89_12 Depth=1
	s_or_b32 exec_lo, exec_lo, s9
	s_waitcnt vmcnt(0) lgkmcnt(0)
	s_barrier
	buffer_gl0_inv
	s_and_saveexec_b32 s7, s2
	s_cbranch_execz .LBB89_132
; %bb.131:                              ;   in Loop: Header=BB89_12 Depth=1
	ds_load_b32 v1, v7 offset:4112
	s_waitcnt lgkmcnt(0)
	ds_store_b32 v7, v1 offset:4104
.LBB89_132:                             ;   in Loop: Header=BB89_12 Depth=1
	s_or_b32 exec_lo, exec_lo, s7
	s_waitcnt lgkmcnt(0)
	s_mov_b32 s7, -1
	s_barrier
	s_and_b32 vcc_lo, exec_lo, s76
	s_cbranch_vccnz .LBB89_30
	s_branch .LBB89_40
.LBB89_133:                             ;   in Loop: Header=BB89_12 Depth=1
	s_mov_b32 s13, -1
	s_mov_b32 s22, 0
                                        ; implicit-def: $sgpr12
                                        ; implicit-def: $vgpr15
	s_mov_b32 s15, s13
	s_cbranch_execnz .LBB89_136
	s_branch .LBB89_146
.LBB89_134:                             ;   in Loop: Header=BB89_12 Depth=1
	s_set_inst_prefetch_distance 0x2
	s_or_b32 exec_lo, exec_lo, s15
	s_delay_alu instid0(SALU_CYCLE_1)
	s_and_b32 s22, s18, exec_lo
.LBB89_135:                             ;   in Loop: Header=BB89_12 Depth=1
	s_or_b32 exec_lo, exec_lo, s12
	s_mov_b32 s12, -1
	s_mov_b32 s13, 0
	s_delay_alu instid0(SALU_CYCLE_1)
	s_mov_b32 s15, s13
	s_branch .LBB89_146
.LBB89_136:                             ;   in Loop: Header=BB89_12 Depth=1
	s_mov_b32 s22, 0
                                        ; implicit-def: $vgpr15
	s_and_saveexec_b32 s12, s6
	s_cbranch_execz .LBB89_145
; %bb.137:                              ;   in Loop: Header=BB89_12 Depth=1
	v_dual_mov_b32 v6, v5 :: v_dual_mov_b32 v1, v0
	s_mov_b32 s13, 0
                                        ; implicit-def: $sgpr15
	s_set_inst_prefetch_distance 0x1
	s_branch .LBB89_139
	.p2align	6
.LBB89_138:                             ;   in Loop: Header=BB89_139 Depth=2
	s_or_b32 exec_lo, exec_lo, s7
	s_waitcnt vmcnt(0) lgkmcnt(0)
	s_barrier
	buffer_gl0_inv
	ds_load_b64 v[14:15], v7 offset:3072
	v_add_nc_u32_e32 v1, s47, v1
	v_add_nc_u32_e32 v6, s50, v6
	s_waitcnt lgkmcnt(0)
	s_barrier
	buffer_gl0_inv
	v_cmp_le_u32_e32 vcc_lo, s62, v1
	v_readfirstlane_b32 s7, v14
	s_delay_alu instid0(VALU_DEP_1) | instskip(SKIP_1) | instid1(SALU_CYCLE_1)
	s_cmp_lg_u32 s7, 0
	s_cselect_b32 s7, -1, 0
	s_or_b32 s18, vcc_lo, s7
	s_delay_alu instid0(SALU_CYCLE_1) | instskip(NEXT) | instid1(SALU_CYCLE_1)
	s_and_b32 s18, exec_lo, s18
	s_or_b32 s13, s18, s13
	s_and_not1_b32 s15, s15, exec_lo
	s_and_b32 s7, s7, exec_lo
	s_delay_alu instid0(SALU_CYCLE_1)
	s_or_b32 s15, s15, s7
	s_and_not1_b32 exec_lo, exec_lo, s13
	s_cbranch_execz .LBB89_144
.LBB89_139:                             ;   Parent Loop BB89_12 Depth=1
                                        ; =>  This Inner Loop Header: Depth=2
	s_delay_alu instid0(VALU_DEP_1)
	v_cmp_gt_u32_e32 vcc_lo, s28, v1
	v_mov_b32_e32 v14, 0
	s_and_saveexec_b32 s18, vcc_lo
	s_cbranch_execz .LBB89_141
; %bb.140:                              ;   in Loop: Header=BB89_139 Depth=2
	v_lshlrev_b64 v[2:3], 2, v[6:7]
	s_delay_alu instid0(VALU_DEP_1) | instskip(NEXT) | instid1(VALU_DEP_1)
	v_add_co_u32 v2, s7, s45, v2
	v_add_co_ci_u32_e64 v3, s7, s46, v3, s7
	global_load_b32 v14, v[2:3], off
.LBB89_141:                             ;   in Loop: Header=BB89_139 Depth=2
	s_or_b32 exec_lo, exec_lo, s18
	s_and_saveexec_b32 s7, vcc_lo
	s_cbranch_execz .LBB89_138
; %bb.142:                              ;   in Loop: Header=BB89_139 Depth=2
	s_waitcnt vmcnt(0)
	v_xor_b32_e32 v2, 0x80000000, v14
	s_delay_alu instid0(VALU_DEP_1) | instskip(NEXT) | instid1(VALU_DEP_1)
	v_and_b32_e32 v2, s74, v2
	v_cmp_eq_u32_e32 vcc_lo, s73, v2
	s_and_b32 exec_lo, exec_lo, vcc_lo
	s_cbranch_execz .LBB89_138
; %bb.143:                              ;   in Loop: Header=BB89_139 Depth=2
	ds_store_b64 v7, v[13:14] offset:3072
	s_branch .LBB89_138
.LBB89_144:                             ;   in Loop: Header=BB89_12 Depth=1
	s_set_inst_prefetch_distance 0x2
	s_or_b32 exec_lo, exec_lo, s13
	s_delay_alu instid0(SALU_CYCLE_1)
	s_and_b32 s22, s15, exec_lo
.LBB89_145:                             ;   in Loop: Header=BB89_12 Depth=1
	s_or_b32 exec_lo, exec_lo, s12
	s_mov_b32 s15, -1
	s_mov_b32 s13, 0
	s_mov_b32 s12, 0
.LBB89_146:                             ;   in Loop: Header=BB89_12 Depth=1
	s_mov_b32 s23, 0
                                        ; implicit-def: $sgpr7
	s_and_saveexec_b32 s18, s22
	s_cbranch_execz .LBB89_242
; %bb.147:                              ;   in Loop: Header=BB89_12 Depth=1
	s_xor_b32 s7, s21, -1
	s_mov_b32 s21, 0
	s_and_not1_b32 vcc_lo, exec_lo, s7
	s_mov_b32 s24, 1
	s_cbranch_vccnz .LBB89_158
; %bb.148:                              ;   in Loop: Header=BB89_12 Depth=1
	s_cmp_gt_u32 s20, s19
	s_mov_b32 s21, -1
                                        ; implicit-def: $sgpr7
                                        ; implicit-def: $sgpr22
                                        ; implicit-def: $sgpr23
	s_cbranch_scc1 .LBB89_154
; %bb.149:                              ;   in Loop: Header=BB89_12 Depth=1
	ds_load_b32 v1, v7 offset:4104
	s_waitcnt lgkmcnt(0)
	v_cmp_ne_u32_e32 vcc_lo, 0, v1
	s_cbranch_vccnz .LBB89_153
; %bb.150:                              ;   in Loop: Header=BB89_12 Depth=1
	s_and_saveexec_b32 s7, s2
	s_cbranch_execz .LBB89_152
; %bb.151:                              ;   in Loop: Header=BB89_12 Depth=1
	v_mov_b32_e32 v1, s19
	ds_store_b32 v7, v1 offset:4108
.LBB89_152:                             ;   in Loop: Header=BB89_12 Depth=1
	s_or_b32 exec_lo, exec_lo, s7
	s_waitcnt lgkmcnt(0)
	s_barrier
	buffer_gl0_inv
.LBB89_153:                             ;   in Loop: Header=BB89_12 Depth=1
	s_lshl_b32 s7, 1, s16
	s_and_b32 s21, s73, s17
	s_or_b32 s23, s74, s9
	s_or_b32 s22, s21, s7
	s_mov_b32 s21, 0
	s_mov_b32 s7, 8
.LBB89_154:                             ;   in Loop: Header=BB89_12 Depth=1
	s_and_not1_b32 vcc_lo, exec_lo, s21
	s_cbranch_vccnz .LBB89_156
; %bb.155:                              ;   in Loop: Header=BB89_12 Depth=1
	s_sub_i32 s20, s20, s19
	s_mov_b32 s21, -1
	s_mov_b32 s7, 0
	s_mov_b32 s22, s73
	;; [unrolled: 1-line block ×3, first 2 shown]
.LBB89_156:                             ;   in Loop: Header=BB89_12 Depth=1
	s_delay_alu instid0(SALU_CYCLE_1)
	s_mov_b32 s74, s23
	s_mov_b32 s73, s22
	;; [unrolled: 1-line block ×3, first 2 shown]
	s_and_not1_b32 vcc_lo, exec_lo, s21
	s_mov_b32 s26, -1
	s_cbranch_vccz .LBB89_159
.LBB89_157:                             ;   in Loop: Header=BB89_12 Depth=1
                                        ; implicit-def: $sgpr20
                                        ; implicit-def: $sgpr21
                                        ; implicit-def: $sgpr19
	s_branch .LBB89_241
.LBB89_158:                             ;   in Loop: Header=BB89_12 Depth=1
	s_mov_b32 s7, 1
	s_and_not1_b32 vcc_lo, exec_lo, s21
	s_mov_b32 s26, -1
	s_cbranch_vccnz .LBB89_157
.LBB89_159:                             ;   in Loop: Header=BB89_12 Depth=1
	s_cmp_eq_u32 s14, 1
	s_mov_b32 s25, -1
	s_cselect_b32 s7, -1, 0
	s_cmp_eq_u32 s24, 1
	s_cselect_b32 s19, -1, 0
	s_delay_alu instid0(SALU_CYCLE_1) | instskip(NEXT) | instid1(SALU_CYCLE_1)
	s_and_b32 s23, s7, s19
	s_and_b32 vcc_lo, exec_lo, s23
	s_cbranch_vccz .LBB89_171
; %bb.160:                              ;   in Loop: Header=BB89_12 Depth=1
	ds_load_b32 v1, v7 offset:4104
	s_waitcnt lgkmcnt(0)
	s_barrier
	buffer_gl0_inv
	v_readfirstlane_b32 s7, v1
	s_and_saveexec_b32 s19, s1
	s_cbranch_execz .LBB89_162
; %bb.161:                              ;   in Loop: Header=BB89_12 Depth=1
	ds_store_b32 v18, v7
.LBB89_162:                             ;   in Loop: Header=BB89_12 Depth=1
	s_or_b32 exec_lo, exec_lo, s19
	s_lshl_b32 s19, 2, s16
	s_and_b32 s20, s73, s17
	s_or_b32 s74, s74, s9
	s_or_b32 s73, s20, s19
	s_cmp_eq_u32 s7, 0
	s_waitcnt lgkmcnt(0)
	s_barrier
	buffer_gl0_inv
	s_cbranch_scc1 .LBB89_172
; %bb.163:                              ;   in Loop: Header=BB89_12 Depth=1
	s_add_i32 s19, s7, s51
	s_mov_b32 s25, 0
	s_mul_hi_u32 s20, s19, s61
                                        ; implicit-def: $vgpr15
	s_delay_alu instid0(SALU_CYCLE_1) | instskip(NEXT) | instid1(SALU_CYCLE_1)
	s_mul_i32 s20, s20, s47
	s_sub_i32 s20, s19, s20
	s_delay_alu instid0(SALU_CYCLE_1) | instskip(SKIP_2) | instid1(SALU_CYCLE_1)
	s_sub_i32 s21, s20, s47
	s_cmp_ge_u32 s20, s47
	s_cselect_b32 s20, s21, s20
	s_sub_i32 s21, s20, s47
	s_cmp_ge_u32 s20, s47
	s_cselect_b32 s20, s21, s20
	s_delay_alu instid0(SALU_CYCLE_1)
	s_sub_i32 s20, s19, s20
	s_mov_b32 s19, exec_lo
	v_cmpx_gt_u32_e64 s20, v0
	s_cbranch_execz .LBB89_174
; %bb.164:                              ;   in Loop: Header=BB89_12 Depth=1
	v_dual_mov_b32 v1, v17 :: v_dual_mov_b32 v2, v0
	s_mov_b32 s21, 0
                                        ; implicit-def: $sgpr22
	s_set_inst_prefetch_distance 0x1
	s_branch .LBB89_166
	.p2align	6
.LBB89_165:                             ;   in Loop: Header=BB89_166 Depth=2
	s_or_b32 exec_lo, exec_lo, s25
	s_waitcnt lgkmcnt(0)
	s_barrier
	buffer_gl0_inv
	ds_load_b64 v[14:15], v7 offset:3072
	v_add_nc_u32_e32 v2, s47, v2
	v_add_nc_u32_e32 v1, s49, v1
	s_waitcnt lgkmcnt(0)
	s_barrier
	buffer_gl0_inv
	v_cmp_le_u32_e32 vcc_lo, s20, v2
	v_readfirstlane_b32 s25, v14
	s_delay_alu instid0(VALU_DEP_1) | instskip(SKIP_1) | instid1(SALU_CYCLE_1)
	s_cmp_lg_u32 s25, 0
	s_cselect_b32 s25, -1, 0
	s_or_b32 s26, vcc_lo, s25
	s_delay_alu instid0(SALU_CYCLE_1) | instskip(NEXT) | instid1(SALU_CYCLE_1)
	s_and_b32 s26, exec_lo, s26
	s_or_b32 s21, s26, s21
	s_and_not1_b32 s22, s22, exec_lo
	s_and_b32 s25, s25, exec_lo
	s_delay_alu instid0(SALU_CYCLE_1)
	s_or_b32 s22, s22, s25
	s_and_not1_b32 exec_lo, exec_lo, s21
	s_cbranch_execz .LBB89_173
.LBB89_166:                             ;   Parent Loop BB89_12 Depth=1
                                        ; =>  This Inner Loop Header: Depth=2
	s_delay_alu instid0(VALU_DEP_1)
	v_cmp_gt_u32_e32 vcc_lo, s7, v2
	v_mov_b32_e32 v14, 0
	s_and_saveexec_b32 s25, vcc_lo
	s_cbranch_execz .LBB89_168
; %bb.167:                              ;   in Loop: Header=BB89_166 Depth=2
	ds_load_b32 v14, v1
.LBB89_168:                             ;   in Loop: Header=BB89_166 Depth=2
	s_or_b32 exec_lo, exec_lo, s25
	s_and_saveexec_b32 s25, vcc_lo
	s_cbranch_execz .LBB89_165
; %bb.169:                              ;   in Loop: Header=BB89_166 Depth=2
	s_waitcnt lgkmcnt(0)
	v_xor_b32_e32 v3, 0x80000000, v14
	s_delay_alu instid0(VALU_DEP_1) | instskip(NEXT) | instid1(VALU_DEP_1)
	v_and_b32_e32 v3, s74, v3
	v_cmp_eq_u32_e32 vcc_lo, s73, v3
	s_and_b32 exec_lo, exec_lo, vcc_lo
	s_cbranch_execz .LBB89_165
; %bb.170:                              ;   in Loop: Header=BB89_166 Depth=2
	ds_store_b64 v7, v[13:14] offset:3072
	s_branch .LBB89_165
.LBB89_171:                             ;   in Loop: Header=BB89_12 Depth=1
                                        ; implicit-def: $sgpr19
                                        ; implicit-def: $sgpr21
                                        ; implicit-def: $sgpr20
	s_branch .LBB89_185
.LBB89_172:                             ;   in Loop: Header=BB89_12 Depth=1
	s_mov_b32 s19, -1
	s_mov_b32 s25, 0
                                        ; implicit-def: $sgpr20
                                        ; implicit-def: $vgpr15
	s_mov_b32 s21, s19
	s_cbranch_execnz .LBB89_175
	s_branch .LBB89_185
.LBB89_173:                             ;   in Loop: Header=BB89_12 Depth=1
	s_set_inst_prefetch_distance 0x2
	s_or_b32 exec_lo, exec_lo, s21
	s_delay_alu instid0(SALU_CYCLE_1)
	s_and_b32 s25, s22, exec_lo
.LBB89_174:                             ;   in Loop: Header=BB89_12 Depth=1
	s_or_b32 exec_lo, exec_lo, s19
	s_mov_b32 s20, -1
	s_mov_b32 s19, 0
	s_delay_alu instid0(SALU_CYCLE_1)
	s_mov_b32 s21, s19
	s_branch .LBB89_185
.LBB89_175:                             ;   in Loop: Header=BB89_12 Depth=1
	s_mov_b32 s25, 0
                                        ; implicit-def: $vgpr15
	s_and_saveexec_b32 s19, s6
	s_cbranch_execz .LBB89_184
; %bb.176:                              ;   in Loop: Header=BB89_12 Depth=1
	v_dual_mov_b32 v6, v5 :: v_dual_mov_b32 v1, v0
	s_mov_b32 s20, 0
                                        ; implicit-def: $sgpr21
	s_set_inst_prefetch_distance 0x1
	s_branch .LBB89_178
	.p2align	6
.LBB89_177:                             ;   in Loop: Header=BB89_178 Depth=2
	s_or_b32 exec_lo, exec_lo, s7
	s_waitcnt vmcnt(0) lgkmcnt(0)
	s_barrier
	buffer_gl0_inv
	ds_load_b64 v[14:15], v7 offset:3072
	v_add_nc_u32_e32 v1, s47, v1
	v_add_nc_u32_e32 v6, s50, v6
	s_waitcnt lgkmcnt(0)
	s_barrier
	buffer_gl0_inv
	v_cmp_le_u32_e32 vcc_lo, s62, v1
	v_readfirstlane_b32 s7, v14
	s_delay_alu instid0(VALU_DEP_1) | instskip(SKIP_1) | instid1(SALU_CYCLE_1)
	s_cmp_lg_u32 s7, 0
	s_cselect_b32 s7, -1, 0
	s_or_b32 s22, vcc_lo, s7
	s_delay_alu instid0(SALU_CYCLE_1) | instskip(NEXT) | instid1(SALU_CYCLE_1)
	s_and_b32 s22, exec_lo, s22
	s_or_b32 s20, s22, s20
	s_and_not1_b32 s21, s21, exec_lo
	s_and_b32 s7, s7, exec_lo
	s_delay_alu instid0(SALU_CYCLE_1)
	s_or_b32 s21, s21, s7
	s_and_not1_b32 exec_lo, exec_lo, s20
	s_cbranch_execz .LBB89_183
.LBB89_178:                             ;   Parent Loop BB89_12 Depth=1
                                        ; =>  This Inner Loop Header: Depth=2
	s_delay_alu instid0(VALU_DEP_1)
	v_cmp_gt_u32_e32 vcc_lo, s28, v1
	v_mov_b32_e32 v14, 0
	s_and_saveexec_b32 s22, vcc_lo
	s_cbranch_execz .LBB89_180
; %bb.179:                              ;   in Loop: Header=BB89_178 Depth=2
	v_lshlrev_b64 v[2:3], 2, v[6:7]
	s_delay_alu instid0(VALU_DEP_1) | instskip(NEXT) | instid1(VALU_DEP_1)
	v_add_co_u32 v2, s7, s45, v2
	v_add_co_ci_u32_e64 v3, s7, s46, v3, s7
	global_load_b32 v14, v[2:3], off
.LBB89_180:                             ;   in Loop: Header=BB89_178 Depth=2
	s_or_b32 exec_lo, exec_lo, s22
	s_and_saveexec_b32 s7, vcc_lo
	s_cbranch_execz .LBB89_177
; %bb.181:                              ;   in Loop: Header=BB89_178 Depth=2
	s_waitcnt vmcnt(0)
	v_xor_b32_e32 v2, 0x80000000, v14
	s_delay_alu instid0(VALU_DEP_1) | instskip(NEXT) | instid1(VALU_DEP_1)
	v_and_b32_e32 v2, s74, v2
	v_cmp_eq_u32_e32 vcc_lo, s73, v2
	s_and_b32 exec_lo, exec_lo, vcc_lo
	s_cbranch_execz .LBB89_177
; %bb.182:                              ;   in Loop: Header=BB89_178 Depth=2
	ds_store_b64 v7, v[13:14] offset:3072
	s_branch .LBB89_177
.LBB89_183:                             ;   in Loop: Header=BB89_12 Depth=1
	s_set_inst_prefetch_distance 0x2
	s_or_b32 exec_lo, exec_lo, s20
	s_delay_alu instid0(SALU_CYCLE_1)
	s_and_b32 s25, s21, exec_lo
.LBB89_184:                             ;   in Loop: Header=BB89_12 Depth=1
	s_or_b32 exec_lo, exec_lo, s19
	s_mov_b32 s21, -1
	s_mov_b32 s19, 0
	s_mov_b32 s20, 0
.LBB89_185:                             ;   in Loop: Header=BB89_12 Depth=1
	s_mov_b32 s26, 0
                                        ; implicit-def: $sgpr7
	s_and_saveexec_b32 s22, s25
	s_cbranch_execz .LBB89_240
; %bb.186:                              ;   in Loop: Header=BB89_12 Depth=1
	s_xor_b32 s7, s23, -1
	s_mov_b32 s25, 0
	s_and_not1_b32 vcc_lo, exec_lo, s7
	s_mov_b32 s23, 1
	s_cbranch_vccnz .LBB89_197
; %bb.187:                              ;   in Loop: Header=BB89_12 Depth=1
	s_cmp_gt_u32 s24, s14
	s_mov_b32 s25, -1
                                        ; implicit-def: $sgpr7
                                        ; implicit-def: $sgpr23
                                        ; implicit-def: $sgpr26
	s_cbranch_scc1 .LBB89_193
; %bb.188:                              ;   in Loop: Header=BB89_12 Depth=1
	ds_load_b32 v1, v7 offset:4104
	s_waitcnt lgkmcnt(0)
	v_cmp_ne_u32_e32 vcc_lo, 0, v1
	s_cbranch_vccnz .LBB89_192
; %bb.189:                              ;   in Loop: Header=BB89_12 Depth=1
	s_and_saveexec_b32 s7, s2
	s_cbranch_execz .LBB89_191
; %bb.190:                              ;   in Loop: Header=BB89_12 Depth=1
	v_mov_b32_e32 v1, s14
	ds_store_b32 v7, v1 offset:4108
.LBB89_191:                             ;   in Loop: Header=BB89_12 Depth=1
	s_or_b32 exec_lo, exec_lo, s7
	s_waitcnt lgkmcnt(0)
	s_barrier
	buffer_gl0_inv
.LBB89_192:                             ;   in Loop: Header=BB89_12 Depth=1
	s_lshl_b32 s7, 2, s16
	s_and_b32 s16, s73, s17
	s_or_b32 s26, s74, s9
	s_or_b32 s23, s16, s7
	s_mov_b32 s25, 0
	s_mov_b32 s7, 8
.LBB89_193:                             ;   in Loop: Header=BB89_12 Depth=1
	s_and_not1_b32 vcc_lo, exec_lo, s25
	s_cbranch_vccnz .LBB89_195
; %bb.194:                              ;   in Loop: Header=BB89_12 Depth=1
	s_sub_i32 s24, s24, s14
	s_mov_b32 s25, -1
	s_mov_b32 s7, 0
	s_mov_b32 s23, s73
	;; [unrolled: 1-line block ×3, first 2 shown]
.LBB89_195:                             ;   in Loop: Header=BB89_12 Depth=1
	s_delay_alu instid0(SALU_CYCLE_1)
	s_mov_b32 s74, s26
	s_mov_b32 s73, s23
	;; [unrolled: 1-line block ×3, first 2 shown]
	s_and_not1_b32 vcc_lo, exec_lo, s25
	s_mov_b32 s75, -1
	s_cbranch_vccz .LBB89_198
.LBB89_196:                             ;   in Loop: Header=BB89_12 Depth=1
                                        ; implicit-def: $sgpr16
                                        ; implicit-def: $sgpr24
                                        ; implicit-def: $sgpr17
	s_branch .LBB89_239
.LBB89_197:                             ;   in Loop: Header=BB89_12 Depth=1
	s_mov_b32 s7, 1
	s_and_not1_b32 vcc_lo, exec_lo, s25
	s_mov_b32 s75, -1
	s_cbranch_vccnz .LBB89_196
.LBB89_198:                             ;   in Loop: Header=BB89_12 Depth=1
	s_cmp_eq_u32 s8, 1
	s_mov_b32 s25, -1
	s_cselect_b32 s7, -1, 0
	s_cmp_eq_u32 s23, 1
	s_cselect_b32 s14, -1, 0
	s_delay_alu instid0(SALU_CYCLE_1) | instskip(NEXT) | instid1(SALU_CYCLE_1)
	s_and_b32 s14, s7, s14
	s_and_b32 vcc_lo, exec_lo, s14
	s_cbranch_vccz .LBB89_210
; %bb.199:                              ;   in Loop: Header=BB89_12 Depth=1
	ds_load_b32 v1, v7 offset:4104
	s_waitcnt lgkmcnt(0)
	s_barrier
	buffer_gl0_inv
	v_readfirstlane_b32 s7, v1
	s_and_saveexec_b32 s16, s1
	s_cbranch_execz .LBB89_201
; %bb.200:                              ;   in Loop: Header=BB89_12 Depth=1
	ds_store_b32 v18, v7
.LBB89_201:                             ;   in Loop: Header=BB89_12 Depth=1
	s_or_b32 exec_lo, exec_lo, s16
	s_or_b32 s73, s73, s9
	s_or_b32 s74, s74, s9
	s_cmp_eq_u32 s7, 0
	s_waitcnt lgkmcnt(0)
	s_barrier
	buffer_gl0_inv
	s_cbranch_scc1 .LBB89_211
; %bb.202:                              ;   in Loop: Header=BB89_12 Depth=1
	s_add_i32 s16, s7, s51
	s_mov_b32 s25, 0
	s_mul_hi_u32 s17, s16, s61
                                        ; implicit-def: $vgpr15
	s_delay_alu instid0(SALU_CYCLE_1) | instskip(NEXT) | instid1(SALU_CYCLE_1)
	s_mul_i32 s17, s17, s47
	s_sub_i32 s17, s16, s17
	s_delay_alu instid0(SALU_CYCLE_1) | instskip(SKIP_2) | instid1(SALU_CYCLE_1)
	s_sub_i32 s24, s17, s47
	s_cmp_ge_u32 s17, s47
	s_cselect_b32 s17, s24, s17
	s_sub_i32 s24, s17, s47
	s_cmp_ge_u32 s17, s47
	s_cselect_b32 s17, s24, s17
	s_delay_alu instid0(SALU_CYCLE_1)
	s_sub_i32 s17, s16, s17
	s_mov_b32 s16, exec_lo
	v_cmpx_gt_u32_e64 s17, v0
	s_cbranch_execz .LBB89_213
; %bb.203:                              ;   in Loop: Header=BB89_12 Depth=1
	v_dual_mov_b32 v1, v17 :: v_dual_mov_b32 v2, v0
	s_mov_b32 s24, 0
                                        ; implicit-def: $sgpr25
	s_set_inst_prefetch_distance 0x1
	s_branch .LBB89_205
	.p2align	6
.LBB89_204:                             ;   in Loop: Header=BB89_205 Depth=2
	s_or_b32 exec_lo, exec_lo, s26
	s_waitcnt lgkmcnt(0)
	s_barrier
	buffer_gl0_inv
	ds_load_b64 v[14:15], v7 offset:3072
	v_add_nc_u32_e32 v2, s47, v2
	v_add_nc_u32_e32 v1, s49, v1
	s_waitcnt lgkmcnt(0)
	s_barrier
	buffer_gl0_inv
	v_cmp_le_u32_e32 vcc_lo, s17, v2
	v_readfirstlane_b32 s26, v14
	s_delay_alu instid0(VALU_DEP_1) | instskip(SKIP_1) | instid1(SALU_CYCLE_1)
	s_cmp_lg_u32 s26, 0
	s_cselect_b32 s26, -1, 0
	s_or_b32 s75, vcc_lo, s26
	s_delay_alu instid0(SALU_CYCLE_1) | instskip(NEXT) | instid1(SALU_CYCLE_1)
	s_and_b32 s75, exec_lo, s75
	s_or_b32 s24, s75, s24
	s_and_not1_b32 s25, s25, exec_lo
	s_and_b32 s26, s26, exec_lo
	s_delay_alu instid0(SALU_CYCLE_1)
	s_or_b32 s25, s25, s26
	s_and_not1_b32 exec_lo, exec_lo, s24
	s_cbranch_execz .LBB89_212
.LBB89_205:                             ;   Parent Loop BB89_12 Depth=1
                                        ; =>  This Inner Loop Header: Depth=2
	s_delay_alu instid0(VALU_DEP_1)
	v_cmp_gt_u32_e32 vcc_lo, s7, v2
	v_mov_b32_e32 v14, 0
	s_and_saveexec_b32 s26, vcc_lo
	s_cbranch_execz .LBB89_207
; %bb.206:                              ;   in Loop: Header=BB89_205 Depth=2
	ds_load_b32 v14, v1
.LBB89_207:                             ;   in Loop: Header=BB89_205 Depth=2
	s_or_b32 exec_lo, exec_lo, s26
	s_and_saveexec_b32 s26, vcc_lo
	s_cbranch_execz .LBB89_204
; %bb.208:                              ;   in Loop: Header=BB89_205 Depth=2
	s_waitcnt lgkmcnt(0)
	v_xor_b32_e32 v3, 0x80000000, v14
	s_delay_alu instid0(VALU_DEP_1) | instskip(NEXT) | instid1(VALU_DEP_1)
	v_and_b32_e32 v3, s74, v3
	v_cmp_eq_u32_e32 vcc_lo, s73, v3
	s_and_b32 exec_lo, exec_lo, vcc_lo
	s_cbranch_execz .LBB89_204
; %bb.209:                              ;   in Loop: Header=BB89_205 Depth=2
	ds_store_b64 v7, v[13:14] offset:3072
	s_branch .LBB89_204
.LBB89_210:                             ;   in Loop: Header=BB89_12 Depth=1
                                        ; implicit-def: $sgpr16
                                        ; implicit-def: $sgpr24
                                        ; implicit-def: $sgpr17
	s_branch .LBB89_224
.LBB89_211:                             ;   in Loop: Header=BB89_12 Depth=1
	s_mov_b32 s16, -1
	s_mov_b32 s25, 0
                                        ; implicit-def: $sgpr17
                                        ; implicit-def: $vgpr15
	s_mov_b32 s24, s16
	s_cbranch_execnz .LBB89_214
	s_branch .LBB89_224
.LBB89_212:                             ;   in Loop: Header=BB89_12 Depth=1
	s_set_inst_prefetch_distance 0x2
	s_or_b32 exec_lo, exec_lo, s24
	s_delay_alu instid0(SALU_CYCLE_1)
	s_and_b32 s25, s25, exec_lo
.LBB89_213:                             ;   in Loop: Header=BB89_12 Depth=1
	s_or_b32 exec_lo, exec_lo, s16
	s_mov_b32 s17, -1
	s_mov_b32 s16, 0
	s_delay_alu instid0(SALU_CYCLE_1)
	s_mov_b32 s24, s16
	s_branch .LBB89_224
.LBB89_214:                             ;   in Loop: Header=BB89_12 Depth=1
	s_mov_b32 s25, 0
                                        ; implicit-def: $vgpr15
	s_and_saveexec_b32 s16, s6
	s_cbranch_execz .LBB89_223
; %bb.215:                              ;   in Loop: Header=BB89_12 Depth=1
	v_dual_mov_b32 v6, v5 :: v_dual_mov_b32 v1, v0
	s_mov_b32 s17, 0
                                        ; implicit-def: $sgpr24
	s_set_inst_prefetch_distance 0x1
	s_branch .LBB89_217
	.p2align	6
.LBB89_216:                             ;   in Loop: Header=BB89_217 Depth=2
	s_or_b32 exec_lo, exec_lo, s7
	s_waitcnt vmcnt(0) lgkmcnt(0)
	s_barrier
	buffer_gl0_inv
	ds_load_b64 v[14:15], v7 offset:3072
	v_add_nc_u32_e32 v1, s47, v1
	v_add_nc_u32_e32 v6, s50, v6
	s_waitcnt lgkmcnt(0)
	s_barrier
	buffer_gl0_inv
	v_cmp_le_u32_e32 vcc_lo, s62, v1
	v_readfirstlane_b32 s7, v14
	s_delay_alu instid0(VALU_DEP_1) | instskip(SKIP_1) | instid1(SALU_CYCLE_1)
	s_cmp_lg_u32 s7, 0
	s_cselect_b32 s7, -1, 0
	s_or_b32 s25, vcc_lo, s7
	s_delay_alu instid0(SALU_CYCLE_1) | instskip(NEXT) | instid1(SALU_CYCLE_1)
	s_and_b32 s25, exec_lo, s25
	s_or_b32 s17, s25, s17
	s_and_not1_b32 s24, s24, exec_lo
	s_and_b32 s7, s7, exec_lo
	s_delay_alu instid0(SALU_CYCLE_1)
	s_or_b32 s24, s24, s7
	s_and_not1_b32 exec_lo, exec_lo, s17
	s_cbranch_execz .LBB89_222
.LBB89_217:                             ;   Parent Loop BB89_12 Depth=1
                                        ; =>  This Inner Loop Header: Depth=2
	s_delay_alu instid0(VALU_DEP_1)
	v_cmp_gt_u32_e32 vcc_lo, s28, v1
	v_mov_b32_e32 v14, 0
	s_and_saveexec_b32 s25, vcc_lo
	s_cbranch_execz .LBB89_219
; %bb.218:                              ;   in Loop: Header=BB89_217 Depth=2
	v_lshlrev_b64 v[2:3], 2, v[6:7]
	s_delay_alu instid0(VALU_DEP_1) | instskip(NEXT) | instid1(VALU_DEP_1)
	v_add_co_u32 v2, s7, s45, v2
	v_add_co_ci_u32_e64 v3, s7, s46, v3, s7
	global_load_b32 v14, v[2:3], off
.LBB89_219:                             ;   in Loop: Header=BB89_217 Depth=2
	s_or_b32 exec_lo, exec_lo, s25
	s_and_saveexec_b32 s7, vcc_lo
	s_cbranch_execz .LBB89_216
; %bb.220:                              ;   in Loop: Header=BB89_217 Depth=2
	s_waitcnt vmcnt(0)
	v_xor_b32_e32 v2, 0x80000000, v14
	s_delay_alu instid0(VALU_DEP_1) | instskip(NEXT) | instid1(VALU_DEP_1)
	v_and_b32_e32 v2, s74, v2
	v_cmp_eq_u32_e32 vcc_lo, s73, v2
	s_and_b32 exec_lo, exec_lo, vcc_lo
	s_cbranch_execz .LBB89_216
; %bb.221:                              ;   in Loop: Header=BB89_217 Depth=2
	ds_store_b64 v7, v[13:14] offset:3072
	s_branch .LBB89_216
.LBB89_222:                             ;   in Loop: Header=BB89_12 Depth=1
	s_set_inst_prefetch_distance 0x2
	s_or_b32 exec_lo, exec_lo, s17
	s_delay_alu instid0(SALU_CYCLE_1)
	s_and_b32 s25, s24, exec_lo
.LBB89_223:                             ;   in Loop: Header=BB89_12 Depth=1
	s_or_b32 exec_lo, exec_lo, s16
	s_mov_b32 s24, -1
	s_mov_b32 s16, 0
	s_mov_b32 s17, 0
.LBB89_224:                             ;   in Loop: Header=BB89_12 Depth=1
	s_mov_b32 s75, 0
                                        ; implicit-def: $sgpr7
	s_and_saveexec_b32 s26, s25
	s_cbranch_execz .LBB89_238
; %bb.225:                              ;   in Loop: Header=BB89_12 Depth=1
	s_xor_b32 s7, s14, -1
	s_delay_alu instid0(SALU_CYCLE_1)
	s_and_not1_b32 vcc_lo, exec_lo, s7
	s_mov_b32 s7, 1
	s_cbranch_vccnz .LBB89_232
; %bb.226:                              ;   in Loop: Header=BB89_12 Depth=1
	s_cmp_gt_u32 s23, s8
	s_cbranch_scc1 .LBB89_233
; %bb.227:                              ;   in Loop: Header=BB89_12 Depth=1
	ds_load_b32 v1, v7 offset:4104
	s_waitcnt lgkmcnt(0)
	v_cmp_ne_u32_e32 vcc_lo, 0, v1
	s_cbranch_vccnz .LBB89_231
; %bb.228:                              ;   in Loop: Header=BB89_12 Depth=1
	s_and_saveexec_b32 s7, s2
	s_cbranch_execz .LBB89_230
; %bb.229:                              ;   in Loop: Header=BB89_12 Depth=1
	v_mov_b32_e32 v1, s8
	ds_store_b32 v7, v1 offset:4108
.LBB89_230:                             ;   in Loop: Header=BB89_12 Depth=1
	s_or_b32 exec_lo, exec_lo, s7
	s_waitcnt lgkmcnt(0)
	s_barrier
	buffer_gl0_inv
.LBB89_231:                             ;   in Loop: Header=BB89_12 Depth=1
	s_or_b32 s14, s73, s9
	s_or_b32 s9, s74, s9
	s_mov_b32 s25, 0
	s_mov_b32 s7, 8
	s_branch .LBB89_234
.LBB89_232:                             ;   in Loop: Header=BB89_12 Depth=1
	s_mov_b32 s23, 1
	s_branch .LBB89_237
.LBB89_233:                             ;   in Loop: Header=BB89_12 Depth=1
	s_mov_b32 s25, -1
                                        ; implicit-def: $sgpr7
                                        ; implicit-def: $sgpr14
                                        ; implicit-def: $sgpr9
.LBB89_234:                             ;   in Loop: Header=BB89_12 Depth=1
	s_delay_alu instid0(SALU_CYCLE_1)
	s_and_not1_b32 vcc_lo, exec_lo, s25
	s_cbranch_vccnz .LBB89_236
; %bb.235:                              ;   in Loop: Header=BB89_12 Depth=1
	s_sub_i32 s23, s23, s8
	s_mov_b32 s7, 8
	s_mov_b32 s14, s73
	;; [unrolled: 1-line block ×3, first 2 shown]
.LBB89_236:                             ;   in Loop: Header=BB89_12 Depth=1
	s_mov_b32 s73, s14
	s_mov_b32 s74, s9
.LBB89_237:                             ;   in Loop: Header=BB89_12 Depth=1
	s_mov_b32 s75, exec_lo
.LBB89_238:                             ;   in Loop: Header=BB89_12 Depth=1
	s_or_b32 exec_lo, exec_lo, s26
.LBB89_239:                             ;   in Loop: Header=BB89_12 Depth=1
	s_delay_alu instid0(SALU_CYCLE_1)
	s_and_not1_b32 s8, s19, exec_lo
	s_and_b32 s9, s16, exec_lo
	s_and_not1_b32 s14, s20, exec_lo
	s_or_b32 s19, s8, s9
	s_and_not1_b32 s8, s21, exec_lo
	s_and_b32 s9, s24, exec_lo
	s_and_b32 s16, s17, exec_lo
	s_or_b32 s21, s8, s9
	s_or_b32 s20, s14, s16
	s_and_b32 s26, s75, exec_lo
	s_mov_b32 s24, s23
.LBB89_240:                             ;   in Loop: Header=BB89_12 Depth=1
	s_or_b32 exec_lo, exec_lo, s22
.LBB89_241:                             ;   in Loop: Header=BB89_12 Depth=1
	s_delay_alu instid0(SALU_CYCLE_1)
	s_and_not1_b32 s8, s13, exec_lo
	s_and_b32 s9, s19, exec_lo
	s_and_not1_b32 s12, s12, exec_lo
	s_or_b32 s13, s8, s9
	s_and_not1_b32 s8, s15, exec_lo
	s_and_b32 s9, s21, exec_lo
	s_and_b32 s14, s20, exec_lo
	s_or_b32 s15, s8, s9
	s_or_b32 s12, s12, s14
	s_and_b32 s23, s26, exec_lo
	s_mov_b32 s20, s24
.LBB89_242:                             ;   in Loop: Header=BB89_12 Depth=1
	s_or_b32 exec_lo, exec_lo, s18
                                        ; implicit-def: $sgpr75
	s_and_saveexec_b32 s8, s23
	s_delay_alu instid0(SALU_CYCLE_1)
	s_xor_b32 s8, exec_lo, s8
	s_cbranch_execz .LBB89_10
.LBB89_243:                             ;   in Loop: Header=BB89_12 Depth=1
	s_and_b32 s7, s7, -9
	s_delay_alu instid0(SALU_CYCLE_1)
	s_cmp_eq_u32 s7, 0
	s_cbranch_scc1 .LBB89_8
; %bb.244:                              ;   in Loop: Header=BB89_12 Depth=1
	s_mov_b32 s7, -1
	s_mov_b32 s9, -1
                                        ; implicit-def: $sgpr74
                                        ; implicit-def: $sgpr20
                                        ; implicit-def: $sgpr68
                                        ; implicit-def: $sgpr71
	s_branch .LBB89_9
.LBB89_245:
	s_or_b32 exec_lo, exec_lo, s27
	s_xor_b32 s4, s67, -1
	s_xor_b32 s1, s65, -1
	;; [unrolled: 1-line block ×3, first 2 shown]
	s_mov_b32 s2, 0
	s_and_saveexec_b32 s5, s1
	s_delay_alu instid0(SALU_CYCLE_1)
	s_xor_b32 s1, exec_lo, s5
	s_cbranch_execz .LBB89_259
; %bb.246:
	s_and_saveexec_b32 s2, s4
	s_delay_alu instid0(SALU_CYCLE_1)
	s_xor_b32 s4, exec_lo, s2
	s_cbranch_execz .LBB89_257
; %bb.247:
	s_and_saveexec_b32 s2, s3
	s_delay_alu instid0(SALU_CYCLE_1)
	s_xor_b32 s2, exec_lo, s2
; %bb.248:
	v_xor_b32_e32 v15, 0x80000000, v1
; %bb.249:
	s_or_b32 exec_lo, exec_lo, s2
	s_mul_i32 s2, s48, s44
	s_add_i32 s3, s48, 1
	s_sub_i32 s2, s33, s2
	v_mov_b32_e32 v6, 0
	s_sub_i32 s5, s2, s44
	s_cmp_ge_u32 s2, s44
	s_cselect_b32 s3, s3, s48
	s_cselect_b32 s2, s5, s2
	s_add_i32 s5, s3, 1
	s_cmp_ge_u32 s2, s44
	s_cselect_b32 s2, s5, s3
	s_delay_alu instid0(SALU_CYCLE_1) | instskip(SKIP_2) | instid1(SALU_CYCLE_1)
	s_mul_i32 s3, s2, s44
	s_mul_i32 s2, s2, s40
	s_sub_i32 s3, s33, s3
	s_mul_i32 s5, s3, s41
	s_mov_b32 s3, 0
	s_add_i32 s2, s2, s5
	s_delay_alu instid0(SALU_CYCLE_1) | instskip(NEXT) | instid1(SALU_CYCLE_1)
	s_lshl_b64 s[6:7], s[2:3], 2
	s_add_u32 s6, s38, s6
	s_addc_u32 s7, s39, s7
	global_store_b32 v6, v15, s[6:7]
	s_and_saveexec_b32 s2, s0
	s_cbranch_execz .LBB89_256
; %bb.250:
                                        ; implicit-def: $sgpr0
                                        ; implicit-def: $sgpr6
                                        ; implicit-def: $sgpr5
	s_set_inst_prefetch_distance 0x1
	s_branch .LBB89_252
	.p2align	6
.LBB89_251:                             ;   in Loop: Header=BB89_252 Depth=1
	s_or_b32 exec_lo, exec_lo, s7
	s_delay_alu instid0(SALU_CYCLE_1) | instskip(NEXT) | instid1(SALU_CYCLE_1)
	s_and_b32 s7, exec_lo, s6
	s_or_b32 s3, s7, s3
	s_and_not1_b32 s0, s0, exec_lo
	s_and_b32 s7, s5, exec_lo
	s_delay_alu instid0(SALU_CYCLE_1)
	s_or_b32 s0, s0, s7
	s_and_not1_b32 exec_lo, exec_lo, s3
	s_cbranch_execz .LBB89_254
.LBB89_252:                             ; =>This Inner Loop Header: Depth=1
	v_lshlrev_b64 v[1:2], 2, v[5:6]
	s_or_b32 s5, s5, exec_lo
	s_or_b32 s6, s6, exec_lo
	s_mov_b32 s7, exec_lo
	s_delay_alu instid0(VALU_DEP_1) | instskip(NEXT) | instid1(VALU_DEP_2)
	v_add_co_u32 v1, vcc_lo, s45, v1
	v_add_co_ci_u32_e32 v2, vcc_lo, s46, v2, vcc_lo
	global_load_b32 v2, v[1:2], off
	v_mov_b32_e32 v1, v0
                                        ; implicit-def: $vgpr0
	s_waitcnt vmcnt(0)
	v_cmpx_ne_u32_e64 v2, v15
	s_cbranch_execz .LBB89_251
; %bb.253:                              ;   in Loop: Header=BB89_252 Depth=1
	s_delay_alu instid0(VALU_DEP_2) | instskip(SKIP_3) | instid1(VALU_DEP_2)
	v_add_nc_u32_e32 v0, s47, v1
	s_and_not1_b32 s6, s6, exec_lo
	v_add_nc_u32_e32 v5, s50, v5
	s_and_not1_b32 s5, s5, exec_lo
	v_cmp_le_u32_e32 vcc_lo, s28, v0
	s_and_b32 s8, vcc_lo, exec_lo
	s_delay_alu instid0(SALU_CYCLE_1)
	s_or_b32 s6, s6, s8
	s_branch .LBB89_251
.LBB89_254:
	s_set_inst_prefetch_distance 0x2
	s_or_b32 exec_lo, exec_lo, s3
	s_and_saveexec_b32 s3, s0
	s_delay_alu instid0(SALU_CYCLE_1)
	s_xor_b32 s3, exec_lo, s3
	s_cbranch_execz .LBB89_256
; %bb.255:
	s_mul_i32 s0, s31, s29
	s_add_i32 s3, s31, 1
	s_sub_i32 s0, s33, s0
	s_mov_b32 s7, 0
	s_sub_i32 s5, s0, s29
	s_cmp_ge_u32 s0, s29
	v_mov_b32_e32 v2, 0
	s_cselect_b32 s3, s3, s31
	s_cselect_b32 s0, s5, s0
	s_add_i32 s5, s3, 1
	s_cmp_ge_u32 s0, s29
	s_cselect_b32 s0, s5, s3
	s_delay_alu instid0(SALU_CYCLE_1) | instskip(SKIP_2) | instid1(SALU_CYCLE_1)
	s_mul_i32 s3, s0, s29
	s_mul_i32 s0, s0, s36
	s_sub_i32 s3, s33, s3
	s_mul_i32 s3, s3, s37
	s_delay_alu instid0(SALU_CYCLE_1) | instskip(NEXT) | instid1(SALU_CYCLE_1)
	s_add_i32 s6, s0, s3
	s_lshl_b64 s[6:7], s[6:7], 3
	s_delay_alu instid0(SALU_CYCLE_1)
	s_add_u32 s6, s34, s6
	s_addc_u32 s7, s35, s7
	global_store_b64 v2, v[1:2], s[6:7]
.LBB89_256:
	s_or_b32 exec_lo, exec_lo, s2
.LBB89_257:
	s_or_saveexec_b32 s0, s4
	s_mov_b32 s2, 0
	s_xor_b32 exec_lo, exec_lo, s0
	s_cbranch_execnz .LBB89_265
.LBB89_258:
	s_or_b32 exec_lo, exec_lo, s0
	s_delay_alu instid0(SALU_CYCLE_1)
	s_and_b32 s2, s2, exec_lo
.LBB89_259:
	s_and_not1_saveexec_b32 s0, s1
	s_cbranch_execnz .LBB89_263
; %bb.260:
	s_or_b32 exec_lo, exec_lo, s0
	s_and_saveexec_b32 s0, s2
.LBB89_261:
	; divergent unreachable
.LBB89_262:
	s_nop 0
	s_sendmsg sendmsg(MSG_DEALLOC_VGPRS)
	s_endpgm
.LBB89_263:
	s_cbranch_execnz .LBB89_267
; %bb.264:
	s_or_b32 s2, s2, exec_lo
	s_or_b32 exec_lo, exec_lo, s0
	s_and_saveexec_b32 s0, s2
	s_cbranch_execnz .LBB89_261
	s_branch .LBB89_262
.LBB89_265:
	s_cbranch_execnz .LBB89_269
; %bb.266:
	s_mov_b32 s2, exec_lo
	s_branch .LBB89_258
.LBB89_267:
	s_trap 2
	s_sendmsg_rtn_b32 s0, sendmsg(MSG_RTN_GET_DOORBELL)
	s_mov_b32 ttmp2, m0
	s_waitcnt lgkmcnt(0)
	s_and_b32 s0, s0, 0x3ff
	s_delay_alu instid0(SALU_CYCLE_1) | instskip(NEXT) | instid1(SALU_CYCLE_1)
	s_bitset1_b32 s0, 10
	s_mov_b32 m0, s0
	s_sendmsg sendmsg(MSG_INTERRUPT)
	s_mov_b32 m0, ttmp2
.LBB89_268:                             ; =>This Inner Loop Header: Depth=1
	s_sethalt 5
	s_branch .LBB89_268
.LBB89_269:
	s_trap 2
	s_sendmsg_rtn_b32 s0, sendmsg(MSG_RTN_GET_DOORBELL)
	s_mov_b32 ttmp2, m0
	s_waitcnt lgkmcnt(0)
	s_and_b32 s0, s0, 0x3ff
	s_delay_alu instid0(SALU_CYCLE_1) | instskip(NEXT) | instid1(SALU_CYCLE_1)
	s_bitset1_b32 s0, 10
	s_mov_b32 m0, s0
	s_sendmsg sendmsg(MSG_INTERRUPT)
	s_mov_b32 m0, ttmp2
.LBB89_270:                             ; =>This Inner Loop Header: Depth=1
	s_sethalt 5
	s_branch .LBB89_270
	.section	.rodata,"a",@progbits
	.p2align	6, 0x0
	.amdhsa_kernel _ZN2at6native12_GLOBAL__N_112gatherMedianIijLi2EEEvNS_4cuda6detail10TensorInfoIT_T0_EENS5_IlS7_EENS5_IKS6_S7_EES7_S7_S7_b
		.amdhsa_group_segment_fixed_size 4120
		.amdhsa_private_segment_fixed_size 0
		.amdhsa_kernarg_size 920
		.amdhsa_user_sgpr_count 13
		.amdhsa_user_sgpr_dispatch_ptr 0
		.amdhsa_user_sgpr_queue_ptr 0
		.amdhsa_user_sgpr_kernarg_segment_ptr 1
		.amdhsa_user_sgpr_dispatch_id 0
		.amdhsa_user_sgpr_private_segment_size 0
		.amdhsa_wavefront_size32 1
		.amdhsa_uses_dynamic_stack 0
		.amdhsa_enable_private_segment 0
		.amdhsa_system_sgpr_workgroup_id_x 1
		.amdhsa_system_sgpr_workgroup_id_y 1
		.amdhsa_system_sgpr_workgroup_id_z 1
		.amdhsa_system_sgpr_workgroup_info 0
		.amdhsa_system_vgpr_workitem_id 0
		.amdhsa_next_free_vgpr 40
		.amdhsa_next_free_sgpr 85
		.amdhsa_reserve_vcc 1
		.amdhsa_float_round_mode_32 0
		.amdhsa_float_round_mode_16_64 0
		.amdhsa_float_denorm_mode_32 3
		.amdhsa_float_denorm_mode_16_64 3
		.amdhsa_dx10_clamp 1
		.amdhsa_ieee_mode 1
		.amdhsa_fp16_overflow 0
		.amdhsa_workgroup_processor_mode 1
		.amdhsa_memory_ordered 1
		.amdhsa_forward_progress 0
		.amdhsa_shared_vgpr_count 0
		.amdhsa_exception_fp_ieee_invalid_op 0
		.amdhsa_exception_fp_denorm_src 0
		.amdhsa_exception_fp_ieee_div_zero 0
		.amdhsa_exception_fp_ieee_overflow 0
		.amdhsa_exception_fp_ieee_underflow 0
		.amdhsa_exception_fp_ieee_inexact 0
		.amdhsa_exception_int_div_zero 0
	.end_amdhsa_kernel
	.section	.text._ZN2at6native12_GLOBAL__N_112gatherMedianIijLi2EEEvNS_4cuda6detail10TensorInfoIT_T0_EENS5_IlS7_EENS5_IKS6_S7_EES7_S7_S7_b,"axG",@progbits,_ZN2at6native12_GLOBAL__N_112gatherMedianIijLi2EEEvNS_4cuda6detail10TensorInfoIT_T0_EENS5_IlS7_EENS5_IKS6_S7_EES7_S7_S7_b,comdat
.Lfunc_end89:
	.size	_ZN2at6native12_GLOBAL__N_112gatherMedianIijLi2EEEvNS_4cuda6detail10TensorInfoIT_T0_EENS5_IlS7_EENS5_IKS6_S7_EES7_S7_S7_b, .Lfunc_end89-_ZN2at6native12_GLOBAL__N_112gatherMedianIijLi2EEEvNS_4cuda6detail10TensorInfoIT_T0_EENS5_IlS7_EENS5_IKS6_S7_EES7_S7_S7_b
                                        ; -- End function
	.section	.AMDGPU.csdata,"",@progbits
; Kernel info:
; codeLenInByte = 9812
; NumSgprs: 87
; NumVgprs: 40
; ScratchSize: 0
; MemoryBound: 0
; FloatMode: 240
; IeeeMode: 1
; LDSByteSize: 4120 bytes/workgroup (compile time only)
; SGPRBlocks: 10
; VGPRBlocks: 4
; NumSGPRsForWavesPerEU: 87
; NumVGPRsForWavesPerEU: 40
; Occupancy: 16
; WaveLimiterHint : 1
; COMPUTE_PGM_RSRC2:SCRATCH_EN: 0
; COMPUTE_PGM_RSRC2:USER_SGPR: 13
; COMPUTE_PGM_RSRC2:TRAP_HANDLER: 0
; COMPUTE_PGM_RSRC2:TGID_X_EN: 1
; COMPUTE_PGM_RSRC2:TGID_Y_EN: 1
; COMPUTE_PGM_RSRC2:TGID_Z_EN: 1
; COMPUTE_PGM_RSRC2:TIDIG_COMP_CNT: 0
	.section	.text._ZN2at6native12_GLOBAL__N_112gatherMedianIijLi3EEEvNS_4cuda6detail10TensorInfoIT_T0_EENS5_IlS7_EENS5_IKS6_S7_EES7_S7_S7_b,"axG",@progbits,_ZN2at6native12_GLOBAL__N_112gatherMedianIijLi3EEEvNS_4cuda6detail10TensorInfoIT_T0_EENS5_IlS7_EENS5_IKS6_S7_EES7_S7_S7_b,comdat
	.globl	_ZN2at6native12_GLOBAL__N_112gatherMedianIijLi3EEEvNS_4cuda6detail10TensorInfoIT_T0_EENS5_IlS7_EENS5_IKS6_S7_EES7_S7_S7_b ; -- Begin function _ZN2at6native12_GLOBAL__N_112gatherMedianIijLi3EEEvNS_4cuda6detail10TensorInfoIT_T0_EENS5_IlS7_EENS5_IKS6_S7_EES7_S7_S7_b
	.p2align	8
	.type	_ZN2at6native12_GLOBAL__N_112gatherMedianIijLi3EEEvNS_4cuda6detail10TensorInfoIT_T0_EENS5_IlS7_EENS5_IKS6_S7_EES7_S7_S7_b,@function
_ZN2at6native12_GLOBAL__N_112gatherMedianIijLi3EEEvNS_4cuda6detail10TensorInfoIT_T0_EENS5_IlS7_EENS5_IKS6_S7_EES7_S7_S7_b: ; @_ZN2at6native12_GLOBAL__N_112gatherMedianIijLi3EEEvNS_4cuda6detail10TensorInfoIT_T0_EENS5_IlS7_EENS5_IKS6_S7_EES7_S7_S7_b
; %bb.0:
	s_clause 0x1
	s_load_b64 s[10:11], s[0:1], 0x298
	s_load_b128 s[28:31], s[0:1], 0x288
	s_add_u32 s8, s0, 0x298
	s_addc_u32 s9, s1, 0
	s_waitcnt lgkmcnt(0)
	s_mul_i32 s2, s11, s15
	s_delay_alu instid0(SALU_CYCLE_1) | instskip(NEXT) | instid1(SALU_CYCLE_1)
	s_add_i32 s2, s2, s14
	s_mul_i32 s33, s2, s10
	s_delay_alu instid0(SALU_CYCLE_1) | instskip(NEXT) | instid1(SALU_CYCLE_1)
	s_add_i32 s33, s33, s13
	s_cmp_ge_u32 s33, s29
	s_cbranch_scc1 .LBB90_262
; %bb.1:
	s_clause 0x2
	s_load_b64 s[44:45], s[0:1], 0xc
	s_load_b64 s[34:35], s[0:1], 0xe4
	s_load_b64 s[14:15], s[0:1], 0x1bc
	s_waitcnt lgkmcnt(0)
	v_cvt_f32_u32_e32 v1, s45
	v_cvt_f32_u32_e32 v2, s35
	s_sub_i32 s2, 0, s45
	v_cvt_f32_u32_e32 v3, s44
	s_delay_alu instid0(VALU_DEP_3) | instskip(NEXT) | instid1(VALU_DEP_2)
	v_rcp_iflag_f32_e32 v1, v1
	v_rcp_iflag_f32_e32 v2, v2
	s_delay_alu instid0(VALU_DEP_1) | instskip(SKIP_2) | instid1(VALU_DEP_1)
	v_rcp_iflag_f32_e32 v3, v3
	s_waitcnt_depctr 0xfff
	v_dual_mul_f32 v1, 0x4f7ffffe, v1 :: v_dual_mul_f32 v2, 0x4f7ffffe, v2
	v_cvt_u32_f32_e32 v1, v1
	s_delay_alu instid0(VALU_DEP_2) | instskip(NEXT) | instid1(VALU_DEP_2)
	v_cvt_u32_f32_e32 v2, v2
	v_readfirstlane_b32 s3, v1
	s_delay_alu instid0(VALU_DEP_2) | instskip(SKIP_1) | instid1(VALU_DEP_3)
	v_readfirstlane_b32 s11, v2
	v_cvt_f32_u32_e32 v1, s34
	s_mul_i32 s2, s2, s3
	s_delay_alu instid0(VALU_DEP_1) | instskip(SKIP_1) | instid1(SALU_CYCLE_1)
	v_rcp_iflag_f32_e32 v1, v1
	s_mul_hi_u32 s2, s3, s2
	s_add_i32 s3, s3, s2
	s_delay_alu instid0(SALU_CYCLE_1) | instskip(NEXT) | instid1(SALU_CYCLE_1)
	s_mul_hi_u32 s2, s33, s3
	s_mul_i32 s3, s2, s45
	s_add_i32 s4, s2, 1
	s_sub_i32 s3, s33, s3
	s_waitcnt_depctr 0xfff
	v_mul_f32_e32 v1, 0x4f7ffffe, v1
	s_sub_i32 s5, s3, s45
	s_cmp_ge_u32 s3, s45
	s_cselect_b32 s2, s4, s2
	s_cselect_b32 s3, s5, s3
	s_load_b128 s[4:7], s[0:1], 0x21c
	v_cvt_f32_u32_e32 v4, s15
	s_add_i32 s12, s2, 1
	s_cmp_ge_u32 s3, s45
	v_cvt_f32_u32_e32 v5, s14
	s_cselect_b32 s52, s12, s2
	v_rcp_iflag_f32_e32 v4, v4
	s_sub_i32 s2, 0, s35
	v_mul_f32_e32 v2, 0x4f7ffffe, v3
	s_mul_i32 s2, s2, s11
	s_sub_i32 s12, 0, s44
	s_mul_hi_u32 s2, s11, s2
	v_rcp_iflag_f32_e32 v5, v5
	s_add_i32 s11, s11, s2
	v_cvt_u32_f32_e32 v1, v1
	s_mul_hi_u32 s2, s33, s11
	s_waitcnt_depctr 0xfff
	v_mul_f32_e32 v3, 0x4f7ffffe, v4
	s_mul_i32 s3, s2, s35
	s_waitcnt lgkmcnt(0)
	s_add_i32 s7, s2, 1
	s_sub_i32 s3, s33, s3
	v_cvt_u32_f32_e32 v2, v2
	v_cvt_u32_f32_e32 v3, v3
	s_sub_i32 s11, s3, s35
	s_cmp_ge_u32 s3, s35
	v_mul_f32_e32 v4, 0x4f7ffffe, v5
	s_cselect_b32 s2, s7, s2
	s_cselect_b32 s3, s11, s3
	v_readfirstlane_b32 s16, v3
	s_add_i32 s7, s2, 1
	s_cmp_ge_u32 s3, s35
	v_cvt_u32_f32_e32 v3, v4
	s_cselect_b32 s29, s7, s2
	s_sub_i32 s2, 0, s15
	v_readfirstlane_b32 s11, v2
	s_mul_i32 s2, s2, s16
	v_readfirstlane_b32 s18, v3
	s_mul_hi_u32 s2, s16, s2
	v_readfirstlane_b32 s7, v1
	s_add_i32 s16, s16, s2
	s_mul_i32 s12, s12, s11
	s_mul_hi_u32 s2, s33, s16
	s_sub_i32 s16, 0, s34
	s_mul_i32 s3, s2, s15
	s_add_i32 s17, s2, 1
	s_sub_i32 s3, s33, s3
	s_mul_i32 s16, s16, s7
	s_sub_i32 s19, s3, s15
	s_cmp_ge_u32 s3, s15
	s_mul_hi_u32 s12, s11, s12
	s_cselect_b32 s2, s17, s2
	s_cselect_b32 s3, s19, s3
	s_add_i32 s17, s2, 1
	s_cmp_ge_u32 s3, s15
	s_mul_hi_u32 s19, s7, s16
	s_cselect_b32 s3, s17, s2
	s_sub_i32 s2, 0, s14
	s_delay_alu instid0(SALU_CYCLE_1) | instskip(SKIP_2) | instid1(SALU_CYCLE_1)
	s_mul_i32 s17, s2, s18
	v_cmp_eq_u32_e64 s2, 0, v0
	s_mul_hi_u32 s17, s18, s17
	s_add_i32 s18, s18, s17
	s_delay_alu instid0(VALU_DEP_1)
	s_and_saveexec_b32 s16, s2
	s_cbranch_execz .LBB90_3
; %bb.2:
	v_mov_b32_e32 v1, 0
	s_delay_alu instid0(VALU_DEP_1)
	v_mov_b32_e32 v2, v1
	ds_store_b64 v1, v[1:2] offset:4096
.LBB90_3:
	s_or_b32 exec_lo, exec_lo, s16
	v_mov_b32_e32 v1, 0
	s_waitcnt lgkmcnt(0)
	s_barrier
	buffer_gl0_inv
	s_barrier
	buffer_gl0_inv
	ds_load_b64 v[1:2], v1 offset:4096
	s_clause 0x2
	s_load_b128 s[36:39], s[0:1], 0x144
	s_load_b128 s[40:43], s[0:1], 0x6c
	s_load_b64 s[16:17], s[0:1], 0x1b0
	s_add_i32 s11, s11, s12
	s_add_i32 s12, s7, s19
	s_bitcmp1_b32 s31, 0
	s_mov_b32 s81, s28
	s_cselect_b32 s7, -1, 0
	s_waitcnt lgkmcnt(0)
	v_cmp_gt_i64_e32 vcc_lo, 1, v[1:2]
	s_or_b32 s19, s7, vcc_lo
	s_mul_hi_u32 s7, s3, s18
	s_and_not1_b32 vcc_lo, exec_lo, s19
	s_cbranch_vccnz .LBB90_5
; %bb.4:
	v_not_b32_e32 v1, v1
	v_not_b32_e32 v2, v2
	s_delay_alu instid0(VALU_DEP_2) | instskip(NEXT) | instid1(VALU_DEP_2)
	v_add_co_u32 v1, vcc_lo, v1, s28
	v_add_co_ci_u32_e32 v2, vcc_lo, 0, v2, vcc_lo
	s_delay_alu instid0(VALU_DEP_1) | instskip(NEXT) | instid1(VALU_DEP_1)
	v_lshrrev_b32_e32 v3, 31, v2
	v_add_co_u32 v1, vcc_lo, v1, v3
	v_add_co_ci_u32_e32 v2, vcc_lo, 0, v2, vcc_lo
	s_delay_alu instid0(VALU_DEP_1) | instskip(NEXT) | instid1(VALU_DEP_1)
	v_alignbit_b32 v1, v2, v1, 1
	v_readfirstlane_b32 s18, v1
	s_delay_alu instid0(VALU_DEP_1)
	s_add_i32 s81, s18, 1
.LBB90_5:
	s_clause 0x1
	s_load_b64 s[46:47], s[0:1], 0xd8
	s_load_b64 s[48:49], s[0:1], 0x0
	s_mul_hi_u32 s54, s52, s11
	s_mul_hi_u32 s31, s29, s12
	s_and_saveexec_b32 s0, s2
	s_cbranch_execz .LBB90_7
; %bb.6:
	v_dual_mov_b32 v1, 0 :: v_dual_mov_b32 v2, s28
	ds_store_b32 v1, v1 offset:4112
	ds_store_b64 v1, v[1:2] offset:4104
.LBB90_7:
	s_or_b32 exec_lo, exec_lo, s0
	s_mul_i32 s1, s7, s14
	s_mul_i32 s0, s3, s15
	s_sub_i32 s1, s3, s1
	s_sub_i32 s0, s33, s0
	s_add_i32 s11, s7, 1
	s_sub_i32 s12, s1, s14
	s_cmp_ge_u32 s1, s14
	s_waitcnt lgkmcnt(0)
	s_cselect_b32 s7, s11, s7
	s_cselect_b32 s1, s12, s1
	s_barrier
	buffer_gl0_inv
	s_load_b32 s12, s[8:9], 0xc
	s_add_i32 s11, s7, 1
	s_cmp_ge_u32 s1, s14
	s_mul_i32 s0, s0, s6
	s_cselect_b32 s1, s11, s7
	s_mov_b32 s27, 0
	s_mul_i32 s7, s1, s14
	s_mul_i32 s1, s1, s4
	s_sub_i32 s3, s3, s7
	v_mbcnt_lo_u32_b32 v16, -1, 0
	s_mul_i32 s3, s3, s5
	v_cmp_gt_u32_e32 vcc_lo, 32, v0
	s_add_i32 s0, s3, s0
	v_lshlrev_b32_e32 v17, 2, v0
	s_add_i32 s26, s0, s1
	v_mov_b32_e32 v7, 0
	s_lshl_b64 s[0:1], s[26:27], 2
	v_mul_lo_u32 v5, v0, s30
	v_add_nc_u32_e32 v18, 0xc00, v17
	s_add_u32 s39, s16, s0
	s_addc_u32 s43, s17, s1
	s_waitcnt lgkmcnt(0)
	s_and_b32 s53, s12, 0xffff
	v_cmp_gt_i32_e64 s0, 4, v16
	s_lshl_b32 s55, s53, 2
	s_add_i32 s57, s53, -1
	v_cvt_f32_u32_e32 v1, s55
	s_bfe_u32 s1, s12, 0xb0005
	s_and_b32 s58, vcc_lo, s0
	s_add_i32 s6, s57, s28
	s_cmpk_gt_u32 s28, 0x300
	v_rcp_iflag_f32_e32 v1, v1
	s_cselect_b32 s59, -1, 0
	s_cmp_gt_u32 s53, 31
	v_cvt_f32_u32_e32 v2, s53
	s_cselect_b32 s60, -1, 0
	s_cmp_lt_u32 s13, s10
	v_mov_b32_e32 v6, v7
	s_cselect_b32 s3, 12, 18
	v_lshrrev_b32_e32 v10, 3, v0
	s_add_u32 s50, s8, s3
	s_waitcnt_depctr 0xfff
	v_mul_f32_e32 v1, 0x4f7ffffe, v1
	s_addc_u32 s51, s9, 0
	s_add_i32 s3, s1, -1
	s_bfe_u32 s61, s53, 0x30005
	s_cmp_gt_u32 s3, 6
	v_cvt_u32_f32_e32 v1, v1
	s_cselect_b32 s62, -1, 0
	s_and_b32 s63, s1, 0x7f8
	s_cmp_lg_u32 s61, 0
	v_lshlrev_b64 v[3:4], v16, -1
	v_readfirstlane_b32 s3, v1
	s_cselect_b32 s64, -1, 0
	s_sub_i32 s1, 0, s55
	v_rcp_iflag_f32_e32 v1, v2
	v_lshlrev_b32_e32 v26, 4, v0
	s_mul_i32 s4, s1, s3
	v_and_b32_e32 v20, 0x7c, v10
	s_mul_hi_u32 s4, s3, s4
	v_not_b32_e32 v21, v3
	s_add_i32 s65, s3, s4
	v_or_b32_e32 v3, 3, v17
	s_mul_hi_u32 s4, s28, s65
	v_mad_u64_u32 v[12:13], null, s30, v17, s[30:31]
	v_mov_b32_e32 v13, 1
	s_mul_i32 s4, s4, s55
	v_mul_f32_e32 v1, 0x4f7ffffe, v1
	s_sub_i32 s4, s28, s4
	v_mul_lo_u32 v23, s30, v3
	s_sub_i32 s5, s4, s55
	s_cmp_ge_u32 s4, s55
	v_cvt_u32_f32_e32 v1, v1
	s_cselect_b32 s4, s5, s4
	v_cmp_gt_u32_e64 s0, s28, v0
	s_sub_i32 s5, s4, s55
	s_cmp_ge_u32 s4, s55
	v_readfirstlane_b32 s7, v1
	s_cselect_b32 s8, s5, s4
	v_lshlrev_b64 v[1:2], 2, v[5:6]
	s_sub_i32 s66, s28, s8
	s_sub_i32 s4, 0, s53
	v_add_nc_u32_e32 v19, s66, v0
	s_mul_i32 s4, s4, s7
	v_cmp_gt_u32_e64 s1, 2, v0
	s_mul_hi_u32 s4, s7, s4
	v_add_co_u32 v8, vcc_lo, s39, v1
	v_mul_lo_u32 v6, v19, s30
	s_add_i32 s67, s7, s4
	v_add_co_ci_u32_e32 v9, vcc_lo, s43, v2, vcc_lo
	s_mul_hi_u32 s4, s6, s67
	v_cmp_eq_u32_e64 s3, 0, v16
	s_mul_i32 s4, s4, s53
	v_dual_mov_b32 v15, 0 :: v_dual_lshlrev_b32 v24, 2, v5
	s_delay_alu instid0(VALU_DEP_4)
	v_lshlrev_b64 v[1:2], 2, v[6:7]
	s_sub_i32 s4, s6, s4
	v_lshl_or_b32 v27, v16, 2, 0xc00
	s_sub_i32 s5, s4, s53
	s_cmp_ge_u32 s4, s53
	s_mul_i32 s56, s30, s53
	v_add_co_u32 v10, vcc_lo, s39, v1
	v_add3_u32 v1, s53, s28, v0
	s_cselect_b32 s5, s5, s4
	v_add_co_ci_u32_e32 v11, vcc_lo, s43, v2, vcc_lo
	v_or_b32_e32 v2, 2, v17
	s_delay_alu instid0(VALU_DEP_3)
	v_subrev_nc_u32_e32 v1, s8, v1
	s_sub_i32 s7, s5, s53
	s_cmp_ge_u32 s5, s53
	v_cmp_gt_u32_e64 s4, s66, v17
	s_cselect_b32 s7, s7, s5
	v_mul_lo_u32 v22, s30, v2
	v_mul_lo_u32 v25, s30, v1
	s_sub_i32 s68, s6, s7
	v_cmp_gt_u32_e64 s5, s28, v19
	v_cmp_gt_u32_e64 s6, s68, v0
	s_lshl_b32 s69, s56, 2
	s_lshl_b32 s70, s53, 4
	s_mov_b32 s74, 30
	s_mov_b32 s77, s27
	;; [unrolled: 1-line block ×4, first 2 shown]
                                        ; implicit-def: $sgpr71
                                        ; implicit-def: $sgpr73
                                        ; implicit-def: $sgpr72
                                        ; implicit-def: $sgpr76
                                        ; implicit-def: $sgpr78
                                        ; implicit-def: $sgpr75
	s_branch .LBB90_12
.LBB90_8:                               ;   in Loop: Header=BB90_12 Depth=1
	s_xor_b32 s77, s77, 1
	s_add_i32 s11, s74, -2
	s_cmp_eq_u32 s74, 0
	s_mov_b32 s7, 0
	s_cselect_b32 s9, -1, 0
	s_mov_b32 s74, s11
.LBB90_9:                               ;   in Loop: Header=BB90_12 Depth=1
	s_and_not1_b32 s11, s13, exec_lo
	s_and_b32 s7, s7, exec_lo
	s_and_not1_b32 s15, s15, exec_lo
	s_or_b32 s13, s11, s7
	s_and_not1_b32 s12, s12, exec_lo
	s_or_not1_b32 s11, s9, exec_lo
	s_mov_b32 s81, s20
.LBB90_10:                              ;   in Loop: Header=BB90_12 Depth=1
	s_or_b32 exec_lo, exec_lo, s8
	s_delay_alu instid0(SALU_CYCLE_1)
	s_and_not1_b32 s7, s75, exec_lo
	s_and_b32 s8, s13, exec_lo
	s_and_not1_b32 s9, s76, exec_lo
	s_or_b32 s75, s7, s8
	s_and_not1_b32 s7, s78, exec_lo
	s_and_b32 s8, s15, exec_lo
	s_and_b32 s12, s12, exec_lo
	s_or_b32 s78, s7, s8
	s_or_b32 s76, s9, s12
	s_or_not1_b32 s12, s11, exec_lo
.LBB90_11:                              ;   in Loop: Header=BB90_12 Depth=1
	s_or_b32 exec_lo, exec_lo, s10
	s_delay_alu instid0(SALU_CYCLE_1)
	s_and_b32 s7, exec_lo, s12
	v_mov_b32_e32 v1, s79
	s_or_b32 s27, s7, s27
	s_and_not1_b32 s7, s72, exec_lo
	s_and_b32 s8, s75, exec_lo
	s_and_not1_b32 s9, s71, exec_lo
	s_or_b32 s72, s7, s8
	s_and_not1_b32 s7, s73, exec_lo
	s_and_b32 s8, s78, exec_lo
	s_and_b32 s10, s76, exec_lo
	s_or_b32 s73, s7, s8
	s_or_b32 s71, s9, s10
	s_and_not1_b32 exec_lo, exec_lo, s27
	s_cbranch_execz .LBB90_245
.LBB90_12:                              ; =>This Loop Header: Depth=1
                                        ;     Child Loop BB90_20 Depth 2
                                        ;     Child Loop BB90_35 Depth 2
	;; [unrolled: 1-line block ×16, first 2 shown]
	ds_load_b64 v[1:2], v7 offset:4104
	s_waitcnt lgkmcnt(0)
	v_readfirstlane_b32 s82, v1
	s_delay_alu instid0(VALU_DEP_1)
	s_cmp_lg_u32 s82, 0
	s_cbranch_scc1 .LBB90_42
; %bb.13:                               ;   in Loop: Header=BB90_12 Depth=1
	s_and_b32 vcc_lo, exec_lo, s59
	s_cbranch_vccz .LBB90_28
; %bb.14:                               ;   in Loop: Header=BB90_12 Depth=1
	v_cmp_gt_u32_e32 vcc_lo, 0x301, v2
	s_mov_b32 s82, 0
	s_mov_b32 s7, 0
	s_cbranch_vccz .LBB90_29
; %bb.15:                               ;   in Loop: Header=BB90_12 Depth=1
	v_mov_b32_e32 v1, 0
	s_and_saveexec_b32 s7, s0
	s_cbranch_execz .LBB90_17
; %bb.16:                               ;   in Loop: Header=BB90_12 Depth=1
	global_load_b32 v1, v[8:9], off
.LBB90_17:                              ;   in Loop: Header=BB90_12 Depth=1
	s_or_b32 exec_lo, exec_lo, s7
	s_and_saveexec_b32 s9, s0
	s_cbranch_execz .LBB90_130
; %bb.18:                               ;   in Loop: Header=BB90_12 Depth=1
	global_load_u16 v2, v7, s[50:51]
	v_mov_b32_e32 v4, v0
	s_mov_b32 s10, 0
	s_waitcnt vmcnt(0)
	v_add_nc_u32_e32 v3, v0, v2
	s_delay_alu instid0(VALU_DEP_1)
	v_mul_lo_u32 v6, s30, v3
	v_mul_lo_u32 v3, s30, v2
	s_branch .LBB90_20
.LBB90_19:                              ;   in Loop: Header=BB90_20 Depth=2
	s_or_b32 exec_lo, exec_lo, s8
	v_add_nc_u32_e32 v6, v6, v3
	s_waitcnt vmcnt(0)
	v_mov_b32_e32 v1, v14
	s_and_not1_b32 exec_lo, exec_lo, s10
	s_cbranch_execz .LBB90_130
.LBB90_20:                              ;   Parent Loop BB90_12 Depth=1
                                        ; =>  This Inner Loop Header: Depth=2
	v_add_nc_u32_e32 v4, v4, v2
	s_waitcnt lgkmcnt(0)
	v_mov_b32_e32 v28, 0
	v_mov_b32_e32 v14, 0
	s_mov_b32 s8, exec_lo
	v_cmp_le_u32_e32 vcc_lo, s28, v4
	v_cmpx_gt_u32_e64 s28, v4
	s_cbranch_execz .LBB90_22
; %bb.21:                               ;   in Loop: Header=BB90_20 Depth=2
	v_lshlrev_b64 v[29:30], 2, v[6:7]
	s_delay_alu instid0(VALU_DEP_1) | instskip(NEXT) | instid1(VALU_DEP_1)
	v_add_co_u32 v29, s7, s39, v29
	v_add_co_ci_u32_e64 v30, s7, s43, v30, s7
	global_load_b32 v14, v[29:30], off
.LBB90_22:                              ;   in Loop: Header=BB90_20 Depth=2
	s_or_b32 exec_lo, exec_lo, s8
	v_xor_b32_e32 v29, 0x80000000, v1
	s_delay_alu instid0(VALU_DEP_1) | instskip(NEXT) | instid1(VALU_DEP_1)
	v_and_b32_e32 v29, s80, v29
	v_cmp_eq_u32_e64 s7, s79, v29
	s_delay_alu instid0(VALU_DEP_1) | instskip(SKIP_1) | instid1(SALU_CYCLE_1)
	s_cmp_lg_u32 s7, 0
	s_cselect_b32 s8, -1, 0
	s_and_b32 s8, s3, s8
	s_delay_alu instid0(SALU_CYCLE_1)
	s_and_saveexec_b32 s11, s8
	s_cbranch_execz .LBB90_26
; %bb.23:                               ;   in Loop: Header=BB90_20 Depth=2
	s_mov_b32 s14, exec_lo
	s_bcnt1_i32_b32 s12, s7
	v_mbcnt_lo_u32_b32 v28, s14, 0
	s_mov_b32 s13, exec_lo
                                        ; implicit-def: $vgpr29
	s_delay_alu instid0(VALU_DEP_1)
	v_cmpx_eq_u32_e32 0, v28
	s_cbranch_execz .LBB90_25
; %bb.24:                               ;   in Loop: Header=BB90_20 Depth=2
	s_bcnt1_i32_b32 s8, s14
	s_delay_alu instid0(SALU_CYCLE_1) | instskip(NEXT) | instid1(SALU_CYCLE_1)
	s_mul_i32 s8, s12, s8
	v_mov_b32_e32 v29, s8
	ds_add_rtn_u32 v29, v7, v29 offset:4112
.LBB90_25:                              ;   in Loop: Header=BB90_20 Depth=2
	s_or_b32 exec_lo, exec_lo, s13
	s_waitcnt lgkmcnt(0)
	v_readfirstlane_b32 s8, v29
	s_delay_alu instid0(VALU_DEP_1)
	v_mad_u32_u24 v28, s12, v28, s8
.LBB90_26:                              ;   in Loop: Header=BB90_20 Depth=2
	s_or_b32 exec_lo, exec_lo, s11
	ds_bpermute_b32 v28, v7, v28
	s_and_b32 s8, exec_lo, vcc_lo
	s_delay_alu instid0(SALU_CYCLE_1)
	s_or_b32 s10, s8, s10
	s_and_saveexec_b32 s8, s7
	s_cbranch_execz .LBB90_19
; %bb.27:                               ;   in Loop: Header=BB90_20 Depth=2
	v_and_b32_e32 v29, s7, v21
	s_delay_alu instid0(VALU_DEP_1) | instskip(NEXT) | instid1(VALU_DEP_1)
	v_bcnt_u32_b32 v29, v29, 0
	v_lshlrev_b32_e32 v29, 2, v29
	s_waitcnt lgkmcnt(0)
	s_delay_alu instid0(VALU_DEP_1)
	v_lshl_add_u32 v28, v28, 2, v29
	ds_store_b32 v28, v1
	s_branch .LBB90_19
.LBB90_28:                              ;   in Loop: Header=BB90_12 Depth=1
	s_mov_b32 s82, -1
	s_mov_b32 s7, 0
.LBB90_29:                              ;   in Loop: Header=BB90_12 Depth=1
	s_and_b32 vcc_lo, exec_lo, s82
	s_cbranch_vccz .LBB90_40
.LBB90_30:                              ;   in Loop: Header=BB90_12 Depth=1
	v_mov_b32_e32 v1, 0
	s_and_saveexec_b32 s7, s0
	s_cbranch_execz .LBB90_32
; %bb.31:                               ;   in Loop: Header=BB90_12 Depth=1
	global_load_b32 v1, v[8:9], off
.LBB90_32:                              ;   in Loop: Header=BB90_12 Depth=1
	s_or_b32 exec_lo, exec_lo, s7
	s_and_saveexec_b32 s8, s0
	s_cbranch_execz .LBB90_37
; %bb.33:                               ;   in Loop: Header=BB90_12 Depth=1
	global_load_u16 v2, v7, s[50:51]
	v_mov_b32_e32 v28, v0
	s_mov_b32 s9, 0
	s_waitcnt vmcnt(0)
	v_dual_mov_b32 v14, v17 :: v_dual_add_nc_u32 v3, v0, v2
	v_lshlrev_b32_e32 v4, 2, v2
	s_delay_alu instid0(VALU_DEP_2)
	v_mul_lo_u32 v6, s30, v3
	v_mul_lo_u32 v3, s30, v2
	s_set_inst_prefetch_distance 0x1
	s_branch .LBB90_35
	.p2align	6
.LBB90_34:                              ;   in Loop: Header=BB90_35 Depth=2
	s_or_b32 exec_lo, exec_lo, s10
	ds_store_b32 v14, v1
	s_waitcnt vmcnt(0)
	v_dual_mov_b32 v1, v29 :: v_dual_add_nc_u32 v14, v14, v4
	v_add_nc_u32_e32 v6, v6, v3
	s_and_b32 s7, exec_lo, vcc_lo
	s_delay_alu instid0(SALU_CYCLE_1) | instskip(NEXT) | instid1(SALU_CYCLE_1)
	s_or_b32 s9, s7, s9
	s_and_not1_b32 exec_lo, exec_lo, s9
	s_cbranch_execz .LBB90_37
.LBB90_35:                              ;   Parent Loop BB90_12 Depth=1
                                        ; =>  This Inner Loop Header: Depth=2
	v_dual_mov_b32 v29, 0 :: v_dual_add_nc_u32 v28, v28, v2
	s_mov_b32 s10, exec_lo
	s_delay_alu instid0(VALU_DEP_1)
	v_cmp_le_u32_e32 vcc_lo, s28, v28
	v_cmpx_gt_u32_e64 s28, v28
	s_cbranch_execz .LBB90_34
; %bb.36:                               ;   in Loop: Header=BB90_35 Depth=2
	v_lshlrev_b64 v[29:30], 2, v[6:7]
	s_delay_alu instid0(VALU_DEP_1) | instskip(NEXT) | instid1(VALU_DEP_1)
	v_add_co_u32 v29, s7, s39, v29
	v_add_co_ci_u32_e64 v30, s7, s43, v30, s7
	global_load_b32 v29, v[29:30], off
	s_branch .LBB90_34
.LBB90_37:                              ;   in Loop: Header=BB90_12 Depth=1
	s_set_inst_prefetch_distance 0x2
	s_or_b32 exec_lo, exec_lo, s8
	s_waitcnt vmcnt(0) lgkmcnt(0)
	s_barrier
	buffer_gl0_inv
	s_and_saveexec_b32 s7, s2
	s_cbranch_execz .LBB90_39
; %bb.38:                               ;   in Loop: Header=BB90_12 Depth=1
	v_mov_b32_e32 v1, s28
	ds_store_b32 v7, v1 offset:4104
.LBB90_39:                              ;   in Loop: Header=BB90_12 Depth=1
	s_or_b32 exec_lo, exec_lo, s7
	s_mov_b32 s7, -1
	s_waitcnt lgkmcnt(0)
	s_barrier
                                        ; implicit-def: $sgpr82
.LBB90_40:                              ;   in Loop: Header=BB90_12 Depth=1
	s_and_b32 vcc_lo, exec_lo, s7
	s_cbranch_vccz .LBB90_42
; %bb.41:                               ;   in Loop: Header=BB90_12 Depth=1
	buffer_gl0_inv
	ds_load_b32 v1, v7 offset:4104
	s_waitcnt lgkmcnt(0)
	v_readfirstlane_b32 s82, v1
.LBB90_42:                              ;   in Loop: Header=BB90_12 Depth=1
	s_delay_alu instid0(VALU_DEP_1)
	s_cmp_lt_i32 s82, 1
	s_cbranch_scc0 .LBB90_46
; %bb.43:                               ;   in Loop: Header=BB90_12 Depth=1
	v_dual_mov_b32 v1, 0 :: v_dual_mov_b32 v2, 0
	v_dual_mov_b32 v3, 0 :: v_dual_mov_b32 v4, 0
	s_mov_b32 s19, 0
	s_and_saveexec_b32 s18, s4
	s_cbranch_execnz .LBB90_47
; %bb.44:                               ;   in Loop: Header=BB90_12 Depth=1
	s_or_b32 exec_lo, exec_lo, s18
	v_mov_b32_e32 v28, 0
	s_and_saveexec_b32 s7, s5
	s_cbranch_execnz .LBB90_50
.LBB90_45:                              ;   in Loop: Header=BB90_12 Depth=1
	s_or_b32 exec_lo, exec_lo, s7
	s_and_saveexec_b32 s11, s5
	s_cbranch_execnz .LBB90_51
	s_branch .LBB90_56
.LBB90_46:                              ;   in Loop: Header=BB90_12 Depth=1
                                        ; implicit-def: $vgpr4
	s_cbranch_execnz .LBB90_57
	s_branch .LBB90_66
.LBB90_47:                              ;   in Loop: Header=BB90_12 Depth=1
	v_mov_b32_e32 v14, v17
	s_and_b32 s20, s74, 0xfe
	s_mov_b32 s21, 0
	s_mov_b32 s22, 0
	;; [unrolled: 1-line block ×5, first 2 shown]
.LBB90_48:                              ;   Parent Loop BB90_12 Depth=1
                                        ; =>  This Inner Loop Header: Depth=2
	v_add_nc_u32_e32 v6, s21, v24
	v_add_nc_u32_e32 v14, s55, v14
	s_delay_alu instid0(VALU_DEP_2) | instskip(SKIP_1) | instid1(VALU_DEP_1)
	v_lshlrev_b64 v[1:2], 2, v[6:7]
	v_add_nc_u32_e32 v6, s21, v12
	v_lshlrev_b64 v[3:4], 2, v[6:7]
	v_add_nc_u32_e32 v6, s21, v22
	s_delay_alu instid0(VALU_DEP_4) | instskip(SKIP_1) | instid1(VALU_DEP_3)
	v_add_co_u32 v1, vcc_lo, s39, v1
	v_add_co_ci_u32_e32 v2, vcc_lo, s43, v2, vcc_lo
	v_lshlrev_b64 v[28:29], 2, v[6:7]
	v_add_nc_u32_e32 v6, s21, v23
	s_add_i32 s21, s21, s69
	global_load_b32 v30, v[1:2], off
	v_add_co_u32 v1, vcc_lo, s39, v3
	v_add_co_ci_u32_e32 v2, vcc_lo, s43, v4, vcc_lo
	v_add_co_u32 v28, vcc_lo, s39, v28
	v_add_co_ci_u32_e32 v29, vcc_lo, s43, v29, vcc_lo
	v_lshlrev_b64 v[3:4], 2, v[6:7]
	s_clause 0x1
	global_load_b32 v6, v[1:2], off
	global_load_b32 v28, v[28:29], off
	v_add_co_u32 v1, vcc_lo, s39, v3
	v_add_co_ci_u32_e32 v2, vcc_lo, s43, v4, vcc_lo
	v_cmp_le_u32_e32 vcc_lo, s66, v14
	global_load_b32 v1, v[1:2], off
	s_waitcnt vmcnt(3)
	v_xor_b32_e32 v2, 0x80000000, v30
	s_delay_alu instid0(VALU_DEP_1) | instskip(SKIP_3) | instid1(VALU_DEP_3)
	v_and_b32_e32 v3, s80, v2
	v_bfe_u32 v2, v2, s20, 2
	s_waitcnt vmcnt(2)
	v_xor_b32_e32 v4, 0x80000000, v6
	v_cmp_eq_u32_e64 s7, s79, v3
	s_delay_alu instid0(VALU_DEP_3)
	v_cmp_eq_u32_e64 s8, 0, v2
	s_waitcnt vmcnt(1)
	v_xor_b32_e32 v6, 0x80000000, v28
	v_cmp_eq_u32_e64 s9, 1, v2
	v_and_b32_e32 v3, s80, v4
	v_bfe_u32 v4, v4, s20, 2
	v_cmp_eq_u32_e64 s10, 2, v2
	s_and_b32 s8, s7, s8
	v_cmp_eq_u32_e64 s11, 3, v2
	v_cmp_eq_u32_e64 s12, s79, v3
	v_and_b32_e32 v2, s80, v6
	v_bfe_u32 v3, v6, s20, 2
	v_cmp_eq_u32_e64 s13, 0, v4
	v_cndmask_b32_e64 v6, 0, 1, s8
	v_cmp_eq_u32_e64 s8, 1, v4
	s_and_b32 s9, s7, s9
	s_and_b32 s10, s7, s10
	v_cndmask_b32_e64 v28, 0, 1, s9
	v_cmp_eq_u32_e64 s9, 2, v4
	s_waitcnt vmcnt(0)
	v_xor_b32_e32 v1, 0x80000000, v1
	v_cndmask_b32_e64 v29, 0, 1, s10
	s_and_b32 s7, s7, s11
	s_and_b32 s13, s12, s13
	;; [unrolled: 1-line block ×3, first 2 shown]
	v_cmp_eq_u32_e64 s10, 3, v4
	v_cndmask_b32_e64 v4, 0, 1, s7
	v_cmp_eq_u32_e64 s7, s79, v2
	v_cmp_eq_u32_e64 s11, 0, v3
	v_cmp_ne_u32_e64 s14, 0, v6
	v_cndmask_b32_e64 v6, 0, 1, s13
	v_cmp_eq_u32_e64 s13, 1, v3
	v_cmp_ne_u32_e64 s15, 0, v28
	v_cndmask_b32_e64 v28, 0, 1, s8
	v_cmp_eq_u32_e64 s8, 2, v3
	s_and_b32 s9, s12, s9
	v_and_b32_e32 v2, s80, v1
	v_bfe_u32 v1, v1, s20, 2
	v_cmp_ne_u32_e64 s16, 0, v29
	v_cndmask_b32_e64 v29, 0, 1, s9
	v_cmp_eq_u32_e64 s9, 3, v3
	s_and_b32 s10, s12, s10
	s_and_b32 s11, s7, s11
	;; [unrolled: 1-line block ×4, first 2 shown]
	v_cmp_ne_u32_e64 s17, 0, v4
	v_cndmask_b32_e64 v3, 0, 1, s10
	v_cmp_eq_u32_e64 s10, s79, v2
	v_cmp_eq_u32_e64 s12, 0, v1
	s_bcnt1_i32_b32 s26, s14
	v_cmp_ne_u32_e64 s14, 0, v6
	v_cndmask_b32_e64 v2, 0, 1, s11
	v_cmp_eq_u32_e64 s11, 1, v1
	v_cndmask_b32_e64 v4, 0, 1, s13
	v_cmp_eq_u32_e64 s13, 2, v1
	;; [unrolled: 2-line block ×3, first 2 shown]
	s_and_b32 s7, s7, s9
	s_bcnt1_i32_b32 s85, s17
	v_cndmask_b32_e64 v1, 0, 1, s7
	v_cmp_ne_u32_e64 s17, 0, v3
	s_and_b32 s9, s10, s12
	s_and_b32 s11, s10, s11
	s_and_b32 s12, s10, s13
	s_and_b32 s8, s10, s8
	v_cmp_ne_u32_e64 s7, 0, v2
	v_cndmask_b32_e64 v2, 0, 1, s9
	v_cmp_ne_u32_e64 s9, 0, v4
	v_cndmask_b32_e64 v3, 0, 1, s11
	v_cndmask_b32_e64 v4, 0, 1, s12
	v_cmp_ne_u32_e64 s12, 0, v1
	v_cndmask_b32_e64 v1, 0, 1, s8
	s_bcnt1_i32_b32 s83, s15
	v_cmp_ne_u32_e64 s15, 0, v28
	s_bcnt1_i32_b32 s84, s16
	v_cmp_ne_u32_e64 s16, 0, v29
	s_add_i32 s22, s85, s22
	v_cmp_ne_u32_e64 s11, 0, v6
	s_bcnt1_i32_b32 s13, s17
	s_bcnt1_i32_b32 s17, s7
	s_add_i32 s13, s22, s13
	v_cmp_ne_u32_e64 s7, 0, v2
	s_bcnt1_i32_b32 s22, s9
	v_cmp_ne_u32_e64 s8, 0, v3
	v_cmp_ne_u32_e64 s9, 0, v4
	;; [unrolled: 1-line block ×3, first 2 shown]
	s_add_i32 s25, s26, s25
	s_add_i32 s24, s83, s24
	;; [unrolled: 1-line block ×3, first 2 shown]
	s_bcnt1_i32_b32 s14, s14
	s_bcnt1_i32_b32 s15, s15
	;; [unrolled: 1-line block ×3, first 2 shown]
	s_add_i32 s14, s25, s14
	s_add_i32 s15, s24, s15
	;; [unrolled: 1-line block ×3, first 2 shown]
	s_bcnt1_i32_b32 s11, s11
	s_bcnt1_i32_b32 s12, s12
	s_add_i32 s14, s14, s17
	s_add_i32 s15, s15, s22
	;; [unrolled: 1-line block ×4, first 2 shown]
	s_bcnt1_i32_b32 s7, s7
	s_bcnt1_i32_b32 s8, s8
	;; [unrolled: 1-line block ×4, first 2 shown]
	s_add_i32 s25, s14, s7
	s_add_i32 s24, s15, s8
	;; [unrolled: 1-line block ×4, first 2 shown]
	s_delay_alu instid0(SALU_CYCLE_1) | instskip(SKIP_2) | instid1(SALU_CYCLE_1)
	v_dual_mov_b32 v1, s25 :: v_dual_mov_b32 v4, s22
	v_dual_mov_b32 v2, s24 :: v_dual_mov_b32 v3, s23
	s_or_b32 s19, vcc_lo, s19
	s_and_not1_b32 exec_lo, exec_lo, s19
	s_cbranch_execnz .LBB90_48
; %bb.49:                               ;   in Loop: Header=BB90_12 Depth=1
	s_or_b32 exec_lo, exec_lo, s19
	s_delay_alu instid0(SALU_CYCLE_1)
	s_or_b32 exec_lo, exec_lo, s18
	v_mov_b32_e32 v28, 0
	s_and_saveexec_b32 s7, s5
	s_cbranch_execz .LBB90_45
.LBB90_50:                              ;   in Loop: Header=BB90_12 Depth=1
	global_load_b32 v28, v[10:11], off
	s_or_b32 exec_lo, exec_lo, s7
	s_and_saveexec_b32 s11, s5
	s_cbranch_execz .LBB90_56
.LBB90_51:                              ;   in Loop: Header=BB90_12 Depth=1
	v_mov_b32_e32 v6, v25
	v_mov_b32_e32 v14, v19
	s_and_b32 s13, s74, 0xfe
	s_mov_b32 s12, 0
	s_branch .LBB90_53
.LBB90_52:                              ;   in Loop: Header=BB90_53 Depth=2
	s_or_b32 exec_lo, exec_lo, s8
	s_waitcnt vmcnt(0)
	v_xor_b32_e32 v28, 0x80000000, v28
	s_and_b32 s8, exec_lo, vcc_lo
	v_add_nc_u32_e32 v6, s56, v6
	s_or_b32 s12, s8, s12
	s_delay_alu instid0(VALU_DEP_2) | instskip(SKIP_1) | instid1(VALU_DEP_2)
	v_and_b32_e32 v30, s80, v28
	v_bfe_u32 v28, v28, s13, 2
	v_cmp_eq_u32_e32 vcc_lo, s79, v30
	s_delay_alu instid0(VALU_DEP_2) | instskip(SKIP_3) | instid1(VALU_DEP_4)
	v_cmp_eq_u32_e64 s7, 0, v28
	v_cmp_eq_u32_e64 s8, 1, v28
	v_cmp_eq_u32_e64 s9, 2, v28
	v_cmp_eq_u32_e64 s10, 3, v28
	s_and_b32 s7, vcc_lo, s7
	s_delay_alu instid0(SALU_CYCLE_1) | instskip(SKIP_1) | instid1(SALU_CYCLE_1)
	v_cndmask_b32_e64 v28, 0, 1, s7
	s_and_b32 s7, vcc_lo, s8
	v_cndmask_b32_e64 v30, 0, 1, s7
	s_and_b32 s7, vcc_lo, s9
	s_delay_alu instid0(SALU_CYCLE_1)
	v_cndmask_b32_e64 v31, 0, 1, s7
	s_and_b32 s7, vcc_lo, s10
	v_cmp_ne_u32_e32 vcc_lo, 0, v28
	v_cndmask_b32_e64 v32, 0, 1, s7
	v_cmp_ne_u32_e64 s7, 0, v30
	v_cmp_ne_u32_e64 s8, 0, v31
	v_mov_b32_e32 v28, v29
	s_bcnt1_i32_b32 s10, vcc_lo
	v_cmp_ne_u32_e64 s9, 0, v32
	s_bcnt1_i32_b32 s7, s7
	s_bcnt1_i32_b32 s8, s8
	v_add_nc_u32_e32 v1, s10, v1
	v_add_nc_u32_e32 v2, s7, v2
	s_bcnt1_i32_b32 s9, s9
	v_add_nc_u32_e32 v3, s8, v3
	v_add_nc_u32_e32 v4, s9, v4
	s_and_not1_b32 exec_lo, exec_lo, s12
	s_cbranch_execz .LBB90_55
.LBB90_53:                              ;   Parent Loop BB90_12 Depth=1
                                        ; =>  This Inner Loop Header: Depth=2
	s_delay_alu instid0(VALU_DEP_1) | instskip(SKIP_1) | instid1(VALU_DEP_1)
	v_dual_mov_b32 v29, 0 :: v_dual_add_nc_u32 v14, s53, v14
	s_mov_b32 s8, exec_lo
	v_cmp_le_u32_e32 vcc_lo, s28, v14
	v_cmpx_gt_u32_e64 s28, v14
	s_cbranch_execz .LBB90_52
; %bb.54:                               ;   in Loop: Header=BB90_53 Depth=2
	v_lshlrev_b64 v[29:30], 2, v[6:7]
	s_delay_alu instid0(VALU_DEP_1) | instskip(NEXT) | instid1(VALU_DEP_1)
	v_add_co_u32 v29, s7, s39, v29
	v_add_co_ci_u32_e64 v30, s7, s43, v30, s7
	global_load_b32 v29, v[29:30], off
	s_branch .LBB90_52
.LBB90_55:                              ;   in Loop: Header=BB90_12 Depth=1
	s_or_b32 exec_lo, exec_lo, s12
.LBB90_56:                              ;   in Loop: Header=BB90_12 Depth=1
	s_delay_alu instid0(SALU_CYCLE_1)
	s_or_b32 exec_lo, exec_lo, s11
	s_branch .LBB90_66
.LBB90_57:                              ;   in Loop: Header=BB90_12 Depth=1
	s_mul_hi_u32 s7, s82, s65
	v_dual_mov_b32 v1, 0 :: v_dual_mov_b32 v2, 0
	s_mul_i32 s7, s7, s55
	v_dual_mov_b32 v3, 0 :: v_dual_mov_b32 v4, 0
	s_sub_i32 s7, s82, s7
	s_mov_b32 s85, 0
	s_sub_i32 s8, s7, s55
	s_cmp_ge_u32 s7, s55
	s_mov_b32 s84, exec_lo
	s_cselect_b32 s7, s8, s7
	s_delay_alu instid0(SALU_CYCLE_1) | instskip(SKIP_2) | instid1(SALU_CYCLE_1)
	s_sub_i32 s8, s7, s55
	s_cmp_ge_u32 s7, s55
	s_cselect_b32 s7, s8, s7
	s_sub_i32 s83, s82, s7
	s_delay_alu instid0(SALU_CYCLE_1)
	v_cmpx_gt_u32_e64 s83, v17
	s_cbranch_execz .LBB90_61
; %bb.58:                               ;   in Loop: Header=BB90_12 Depth=1
	v_mov_b32_e32 v6, v26
	v_mov_b32_e32 v14, v17
	s_and_b32 s86, s74, 0xfe
	s_mov_b32 s87, 0
	s_mov_b32 s88, 0
	;; [unrolled: 1-line block ×4, first 2 shown]
.LBB90_59:                              ;   Parent Loop BB90_12 Depth=1
                                        ; =>  This Inner Loop Header: Depth=2
	ds_load_b128 v[1:4], v6
	s_waitcnt lgkmcnt(0)
	v_xor_b32_e32 v1, 0x80000000, v1
	v_xor_b32_e32 v2, 0x80000000, v2
	;; [unrolled: 1-line block ×4, first 2 shown]
	s_waitcnt vmcnt(0)
	v_and_b32_e32 v28, s80, v1
	v_bfe_u32 v1, v1, s86, 2
	v_and_b32_e32 v29, s80, v2
	v_bfe_u32 v2, v2, s86, 2
	;; [unrolled: 2-line block ×3, first 2 shown]
	v_cmp_eq_u32_e64 s7, s79, v28
	v_cmp_eq_u32_e64 s11, 0, v1
	v_and_b32_e32 v31, s80, v4
	v_bfe_u32 v4, v4, s86, 2
	v_cmp_eq_u32_e64 s8, s79, v29
	v_cmp_eq_u32_e64 s12, 0, v2
	;; [unrolled: 1-line block ×4, first 2 shown]
	s_and_b32 s11, s7, s11
	v_cmp_eq_u32_e64 s10, s79, v31
	v_cmp_eq_u32_e64 s14, 0, v4
	;; [unrolled: 1-line block ×5, first 2 shown]
	v_cndmask_b32_e64 v1, 0, 1, s11
	s_and_b32 s11, s8, s12
	v_cmp_eq_u32_e64 s16, 1, v2
	v_cmp_eq_u32_e64 s20, 2, v2
	v_cmp_eq_u32_e64 s24, 3, v2
	v_cndmask_b32_e64 v2, 0, 1, s11
	s_and_b32 s11, s9, s13
	v_cmp_eq_u32_e64 s17, 1, v3
	v_cmp_eq_u32_e64 s21, 2, v3
	v_cmp_eq_u32_e64 s25, 3, v3
	;; [unrolled: 5-line block ×3, first 2 shown]
	v_cndmask_b32_e64 v4, 0, 1, s11
	s_and_b32 s11, s7, s15
	s_delay_alu instid0(SALU_CYCLE_1) | instskip(SKIP_1) | instid1(SALU_CYCLE_1)
	v_cndmask_b32_e64 v28, 0, 1, s11
	s_and_b32 s11, s8, s16
	v_cndmask_b32_e64 v29, 0, 1, s11
	s_and_b32 s11, s9, s17
	s_delay_alu instid0(SALU_CYCLE_1) | instskip(SKIP_1) | instid1(VALU_DEP_2)
	v_cndmask_b32_e64 v30, 0, 1, s11
	s_and_b32 s11, s10, s18
	v_cmp_ne_u32_e64 s12, 0, v29
	v_cndmask_b32_e64 v31, 0, 1, s11
	s_and_b32 s11, s7, s19
	s_and_b32 s7, s7, s23
	v_cndmask_b32_e64 v32, 0, 1, s11
	v_cndmask_b32_e64 v36, 0, 1, s7
	s_and_b32 s7, s8, s24
	s_and_b32 s11, s8, s20
	v_cndmask_b32_e64 v37, 0, 1, s7
	s_and_b32 s7, s9, s25
	v_cndmask_b32_e64 v33, 0, 1, s11
	v_cndmask_b32_e64 v38, 0, 1, s7
	s_and_b32 s7, s10, s26
	s_and_b32 s11, s9, s21
	v_cndmask_b32_e64 v39, 0, 1, s7
	v_cmp_ne_u32_e64 s7, 0, v1
	v_cmp_ne_u32_e64 s8, 0, v2
	v_cndmask_b32_e64 v34, 0, 1, s11
	s_and_b32 s11, s10, s22
	v_cmp_ne_u32_e64 s9, 0, v3
	v_cndmask_b32_e64 v35, 0, 1, s11
	v_cmp_ne_u32_e64 s11, 0, v28
	v_cmp_ne_u32_e64 s15, 0, v32
	;; [unrolled: 1-line block ×3, first 2 shown]
	s_bcnt1_i32_b32 s7, s7
	v_cmp_ne_u32_e64 s10, 0, v4
	v_cmp_ne_u32_e64 s16, 0, v33
	;; [unrolled: 1-line block ×3, first 2 shown]
	s_bcnt1_i32_b32 s8, s8
	s_add_i32 s7, s7, s90
	v_cmp_ne_u32_e64 s13, 0, v30
	v_cmp_ne_u32_e64 s17, 0, v34
	;; [unrolled: 1-line block ×3, first 2 shown]
	s_bcnt1_i32_b32 s9, s9
	s_add_i32 s7, s7, s8
	s_bcnt1_i32_b32 s11, s11
	s_bcnt1_i32_b32 s15, s15
	;; [unrolled: 1-line block ×3, first 2 shown]
	v_cmp_ne_u32_e64 s14, 0, v31
	v_cmp_ne_u32_e64 s18, 0, v35
	;; [unrolled: 1-line block ×3, first 2 shown]
	s_bcnt1_i32_b32 s10, s10
	s_add_i32 s7, s7, s9
	s_bcnt1_i32_b32 s12, s12
	s_bcnt1_i32_b32 s16, s16
	;; [unrolled: 1-line block ×3, first 2 shown]
	s_add_i32 s11, s11, s89
	s_add_i32 s15, s15, s88
	;; [unrolled: 1-line block ×4, first 2 shown]
	s_delay_alu instid0(SALU_CYCLE_1)
	v_dual_mov_b32 v1, s90 :: v_dual_add_nc_u32 v14, s55, v14
	s_bcnt1_i32_b32 s13, s13
	s_bcnt1_i32_b32 s17, s17
	;; [unrolled: 1-line block ×3, first 2 shown]
	s_add_i32 s8, s11, s12
	s_add_i32 s11, s15, s16
	s_add_i32 s12, s19, s20
	s_bcnt1_i32_b32 s14, s14
	s_bcnt1_i32_b32 s18, s18
	;; [unrolled: 1-line block ×3, first 2 shown]
	s_add_i32 s8, s8, s13
	s_add_i32 s9, s11, s17
	;; [unrolled: 1-line block ×3, first 2 shown]
	v_cmp_le_u32_e32 vcc_lo, s83, v14
	s_add_i32 s89, s8, s14
	s_add_i32 s88, s9, s18
	s_add_i32 s87, s11, s22
	v_dual_mov_b32 v3, s88 :: v_dual_add_nc_u32 v6, s70, v6
	v_mov_b32_e32 v2, s89
	v_mov_b32_e32 v4, s87
	s_or_b32 s85, vcc_lo, s85
	s_delay_alu instid0(SALU_CYCLE_1)
	s_and_not1_b32 exec_lo, exec_lo, s85
	s_cbranch_execnz .LBB90_59
; %bb.60:                               ;   in Loop: Header=BB90_12 Depth=1
	s_or_b32 exec_lo, exec_lo, s85
.LBB90_61:                              ;   in Loop: Header=BB90_12 Depth=1
	s_delay_alu instid0(SALU_CYCLE_1) | instskip(SKIP_2) | instid1(VALU_DEP_1)
	s_or_b32 exec_lo, exec_lo, s84
	v_add_nc_u32_e32 v6, s83, v0
	s_mov_b32 s12, exec_lo
	v_cmpx_gt_u32_e64 s82, v6
	s_cbranch_execz .LBB90_65
; %bb.62:                               ;   in Loop: Header=BB90_12 Depth=1
	v_lshlrev_b32_e32 v14, 2, v6
	s_and_b32 s14, s74, 0xfe
	s_mov_b32 s13, 0
.LBB90_63:                              ;   Parent Loop BB90_12 Depth=1
                                        ; =>  This Inner Loop Header: Depth=2
	s_waitcnt vmcnt(0)
	ds_load_b32 v28, v14
	v_add_nc_u32_e32 v6, s53, v6
	v_add_nc_u32_e32 v14, s55, v14
	s_delay_alu instid0(VALU_DEP_2) | instskip(SKIP_2) | instid1(VALU_DEP_1)
	v_cmp_le_u32_e32 vcc_lo, s82, v6
	s_waitcnt lgkmcnt(0)
	v_xor_b32_e32 v28, 0x80000000, v28
	v_and_b32_e32 v29, s80, v28
	v_bfe_u32 v28, v28, s14, 2
	s_delay_alu instid0(VALU_DEP_2) | instskip(NEXT) | instid1(VALU_DEP_2)
	v_cmp_eq_u32_e64 s7, s79, v29
	v_cmp_eq_u32_e64 s8, 0, v28
	v_cmp_eq_u32_e64 s9, 1, v28
	v_cmp_eq_u32_e64 s10, 2, v28
	v_cmp_eq_u32_e64 s11, 3, v28
	s_delay_alu instid0(VALU_DEP_4) | instskip(NEXT) | instid1(SALU_CYCLE_1)
	s_and_b32 s8, s7, s8
	v_cndmask_b32_e64 v28, 0, 1, s8
	s_and_b32 s8, s7, s9
	s_delay_alu instid0(SALU_CYCLE_1)
	v_cndmask_b32_e64 v29, 0, 1, s8
	s_and_b32 s8, s7, s10
	s_and_b32 s7, s7, s11
	v_cndmask_b32_e64 v30, 0, 1, s8
	v_cndmask_b32_e64 v31, 0, 1, s7
	v_cmp_ne_u32_e64 s7, 0, v28
	v_cmp_ne_u32_e64 s8, 0, v29
	s_delay_alu instid0(VALU_DEP_4) | instskip(NEXT) | instid1(VALU_DEP_4)
	v_cmp_ne_u32_e64 s9, 0, v30
	v_cmp_ne_u32_e64 s10, 0, v31
	s_delay_alu instid0(VALU_DEP_4) | instskip(NEXT) | instid1(VALU_DEP_3)
	s_bcnt1_i32_b32 s7, s7
	s_bcnt1_i32_b32 s8, s8
	v_add_nc_u32_e32 v1, s7, v1
	s_bcnt1_i32_b32 s9, s9
	s_bcnt1_i32_b32 s10, s10
	v_add_nc_u32_e32 v2, s8, v2
	v_add_nc_u32_e32 v3, s9, v3
	;; [unrolled: 1-line block ×3, first 2 shown]
	s_or_b32 s13, vcc_lo, s13
	s_delay_alu instid0(SALU_CYCLE_1)
	s_and_not1_b32 exec_lo, exec_lo, s13
	s_cbranch_execnz .LBB90_63
; %bb.64:                               ;   in Loop: Header=BB90_12 Depth=1
	s_or_b32 exec_lo, exec_lo, s13
.LBB90_65:                              ;   in Loop: Header=BB90_12 Depth=1
	s_delay_alu instid0(SALU_CYCLE_1)
	s_or_b32 exec_lo, exec_lo, s12
.LBB90_66:                              ;   in Loop: Header=BB90_12 Depth=1
	s_lshl_b32 s7, s77, 7
	s_and_saveexec_b32 s8, s3
	s_cbranch_execz .LBB90_68
; %bb.67:                               ;   in Loop: Header=BB90_12 Depth=1
	v_or_b32_e32 v6, s7, v20
	s_delay_alu instid0(VALU_DEP_1)
	v_lshlrev_b32_e32 v6, 2, v6
	ds_store_b128 v6, v[1:4] offset:3072
.LBB90_68:                              ;   in Loop: Header=BB90_12 Depth=1
	s_or_b32 exec_lo, exec_lo, s8
	s_waitcnt vmcnt(0) lgkmcnt(0)
	s_barrier
	buffer_gl0_inv
	s_and_saveexec_b32 s8, s58
	s_cbranch_execz .LBB90_78
; %bb.69:                               ;   in Loop: Header=BB90_12 Depth=1
	v_mov_b32_e32 v1, 0
	s_and_not1_b32 vcc_lo, exec_lo, s60
	s_cbranch_vccnz .LBB90_77
; %bb.70:                               ;   in Loop: Header=BB90_12 Depth=1
	v_mov_b32_e32 v1, 0
	s_and_not1_b32 vcc_lo, exec_lo, s62
	s_mov_b32 s9, 0
	s_cbranch_vccnz .LBB90_74
; %bb.71:                               ;   in Loop: Header=BB90_12 Depth=1
	v_lshl_add_u32 v2, s77, 9, v27
	v_mov_b32_e32 v1, 0
	.p2align	6
.LBB90_72:                              ;   Parent Loop BB90_12 Depth=1
                                        ; =>  This Inner Loop Header: Depth=2
	ds_load_2addr_b32 v[3:4], v2 offset1:4
	ds_load_2addr_b32 v[28:29], v2 offset0:8 offset1:12
	ds_load_2addr_b32 v[30:31], v2 offset0:16 offset1:20
	;; [unrolled: 1-line block ×3, first 2 shown]
	v_add_nc_u32_e32 v2, 0x80, v2
	s_add_i32 s9, s9, 8
	s_delay_alu instid0(SALU_CYCLE_1) | instskip(SKIP_3) | instid1(VALU_DEP_1)
	s_cmp_eq_u32 s63, s9
	s_waitcnt lgkmcnt(3)
	v_add3_u32 v1, v3, v1, v4
	s_waitcnt lgkmcnt(2)
	v_add3_u32 v1, v28, v1, v29
	s_waitcnt lgkmcnt(1)
	s_delay_alu instid0(VALU_DEP_1) | instskip(SKIP_1) | instid1(VALU_DEP_1)
	v_add3_u32 v1, v30, v1, v31
	s_waitcnt lgkmcnt(0)
	v_add3_u32 v1, v32, v1, v33
	s_cbranch_scc0 .LBB90_72
; %bb.73:                               ;   in Loop: Header=BB90_12 Depth=1
	s_mov_b32 s9, s63
.LBB90_74:                              ;   in Loop: Header=BB90_12 Depth=1
	s_and_not1_b32 vcc_lo, exec_lo, s64
	s_cbranch_vccnz .LBB90_77
; %bb.75:                               ;   in Loop: Header=BB90_12 Depth=1
	s_lshl_b32 s10, s77, 9
	s_lshl_b32 s9, s9, 4
	s_delay_alu instid0(SALU_CYCLE_1)
	v_add3_u32 v2, s10, s9, v27
	s_mov_b32 s9, s61
.LBB90_76:                              ;   Parent Loop BB90_12 Depth=1
                                        ; =>  This Inner Loop Header: Depth=2
	ds_load_b32 v3, v2
	v_add_nc_u32_e32 v2, 16, v2
	s_add_i32 s9, s9, -1
	s_delay_alu instid0(SALU_CYCLE_1)
	s_cmp_lg_u32 s9, 0
	s_waitcnt lgkmcnt(0)
	v_add_nc_u32_e32 v1, v3, v1
	s_cbranch_scc1 .LBB90_76
.LBB90_77:                              ;   in Loop: Header=BB90_12 Depth=1
	v_add_lshl_u32 v2, s7, v16, 2
	ds_store_b32 v2, v1 offset:3072
.LBB90_78:                              ;   in Loop: Header=BB90_12 Depth=1
	s_or_b32 exec_lo, exec_lo, s8
	s_lshl_b32 s7, s7, 2
	s_waitcnt lgkmcnt(0)
	v_mov_b32_e32 v1, s7
	s_barrier
	buffer_gl0_inv
	s_and_b32 s16, s74, 0xfe
	s_mov_b32 s12, -1
	ds_load_b128 v[1:4], v1 offset:3072
	s_lshl_b32 s9, 3, s16
	s_delay_alu instid0(SALU_CYCLE_1) | instskip(SKIP_4) | instid1(VALU_DEP_3)
	s_not_b32 s17, s9
	s_waitcnt lgkmcnt(0)
	v_readfirstlane_b32 s11, v1
	v_readfirstlane_b32 s19, v2
	;; [unrolled: 1-line block ×3, first 2 shown]
	s_cmp_eq_u32 s11, 1
	s_cselect_b32 s7, -1, 0
	s_cmp_eq_u32 s81, 1
	s_cselect_b32 s8, -1, 0
	s_delay_alu instid0(SALU_CYCLE_1)
	s_and_b32 s13, s7, s8
	v_readfirstlane_b32 s8, v4
	s_and_b32 vcc_lo, exec_lo, s13
	s_cbranch_vccz .LBB90_90
; %bb.79:                               ;   in Loop: Header=BB90_12 Depth=1
	ds_load_b32 v1, v7 offset:4104
	s_waitcnt lgkmcnt(0)
	s_barrier
	buffer_gl0_inv
	v_readfirstlane_b32 s10, v1
	s_and_saveexec_b32 s7, s1
	s_cbranch_execz .LBB90_81
; %bb.80:                               ;   in Loop: Header=BB90_12 Depth=1
	ds_store_b32 v18, v7
.LBB90_81:                              ;   in Loop: Header=BB90_12 Depth=1
	s_or_b32 exec_lo, exec_lo, s7
	s_and_b32 s79, s79, s17
	s_or_b32 s80, s80, s9
	s_cmp_eq_u32 s10, 0
	s_waitcnt lgkmcnt(0)
	s_barrier
	buffer_gl0_inv
	s_cbranch_scc1 .LBB90_91
; %bb.82:                               ;   in Loop: Header=BB90_12 Depth=1
	s_add_i32 s7, s10, s57
                                        ; implicit-def: $vgpr15
	s_delay_alu instid0(SALU_CYCLE_1) | instskip(NEXT) | instid1(SALU_CYCLE_1)
	s_mul_hi_u32 s15, s7, s67
	s_mul_i32 s15, s15, s53
	s_delay_alu instid0(SALU_CYCLE_1) | instskip(NEXT) | instid1(SALU_CYCLE_1)
	s_sub_i32 s15, s7, s15
	s_sub_i32 s18, s15, s53
	s_cmp_ge_u32 s15, s53
	s_cselect_b32 s15, s18, s15
	s_delay_alu instid0(SALU_CYCLE_1) | instskip(SKIP_2) | instid1(SALU_CYCLE_1)
	s_sub_i32 s18, s15, s53
	s_cmp_ge_u32 s15, s53
	s_cselect_b32 s15, s18, s15
	s_sub_i32 s18, s7, s15
	s_mov_b32 s7, 0
	s_mov_b32 s15, exec_lo
	v_cmpx_gt_u32_e64 s18, v0
	s_cbranch_execz .LBB90_93
; %bb.83:                               ;   in Loop: Header=BB90_12 Depth=1
	v_dual_mov_b32 v1, v17 :: v_dual_mov_b32 v2, v0
                                        ; implicit-def: $sgpr20
	s_set_inst_prefetch_distance 0x1
	s_branch .LBB90_85
	.p2align	6
.LBB90_84:                              ;   in Loop: Header=BB90_85 Depth=2
	s_or_b32 exec_lo, exec_lo, s21
	s_waitcnt lgkmcnt(0)
	s_barrier
	buffer_gl0_inv
	ds_load_b64 v[14:15], v7 offset:3072
	v_add_nc_u32_e32 v2, s53, v2
	v_add_nc_u32_e32 v1, s55, v1
	s_waitcnt lgkmcnt(0)
	s_barrier
	buffer_gl0_inv
	v_cmp_le_u32_e32 vcc_lo, s18, v2
	v_readfirstlane_b32 s21, v14
	s_delay_alu instid0(VALU_DEP_1) | instskip(SKIP_1) | instid1(SALU_CYCLE_1)
	s_cmp_lg_u32 s21, 0
	s_cselect_b32 s21, -1, 0
	s_or_b32 s22, vcc_lo, s21
	s_delay_alu instid0(SALU_CYCLE_1) | instskip(NEXT) | instid1(SALU_CYCLE_1)
	s_and_b32 s22, exec_lo, s22
	s_or_b32 s7, s22, s7
	s_and_not1_b32 s20, s20, exec_lo
	s_and_b32 s21, s21, exec_lo
	s_delay_alu instid0(SALU_CYCLE_1)
	s_or_b32 s20, s20, s21
	s_and_not1_b32 exec_lo, exec_lo, s7
	s_cbranch_execz .LBB90_92
.LBB90_85:                              ;   Parent Loop BB90_12 Depth=1
                                        ; =>  This Inner Loop Header: Depth=2
	s_delay_alu instid0(VALU_DEP_1)
	v_cmp_gt_u32_e32 vcc_lo, s10, v2
	v_mov_b32_e32 v14, 0
	s_and_saveexec_b32 s21, vcc_lo
	s_cbranch_execz .LBB90_87
; %bb.86:                               ;   in Loop: Header=BB90_85 Depth=2
	ds_load_b32 v14, v1
.LBB90_87:                              ;   in Loop: Header=BB90_85 Depth=2
	s_or_b32 exec_lo, exec_lo, s21
	s_and_saveexec_b32 s21, vcc_lo
	s_cbranch_execz .LBB90_84
; %bb.88:                               ;   in Loop: Header=BB90_85 Depth=2
	s_waitcnt lgkmcnt(0)
	v_xor_b32_e32 v3, 0x80000000, v14
	s_delay_alu instid0(VALU_DEP_1) | instskip(NEXT) | instid1(VALU_DEP_1)
	v_and_b32_e32 v3, s80, v3
	v_cmp_eq_u32_e32 vcc_lo, s79, v3
	s_and_b32 exec_lo, exec_lo, vcc_lo
	s_cbranch_execz .LBB90_84
; %bb.89:                               ;   in Loop: Header=BB90_85 Depth=2
	ds_store_b64 v7, v[13:14] offset:3072
	s_branch .LBB90_84
.LBB90_90:                              ;   in Loop: Header=BB90_12 Depth=1
	s_mov_b32 s7, -1
                                        ; implicit-def: $sgpr10
                                        ; implicit-def: $sgpr18
                                        ; implicit-def: $sgpr15
	s_branch .LBB90_104
.LBB90_91:                              ;   in Loop: Header=BB90_12 Depth=1
	s_mov_b32 s10, -1
	s_mov_b32 s7, 0
                                        ; implicit-def: $sgpr15
                                        ; implicit-def: $vgpr15
	s_mov_b32 s18, s10
	s_cbranch_execnz .LBB90_94
	s_branch .LBB90_104
.LBB90_92:                              ;   in Loop: Header=BB90_12 Depth=1
	s_set_inst_prefetch_distance 0x2
	s_or_b32 exec_lo, exec_lo, s7
	s_delay_alu instid0(SALU_CYCLE_1)
	s_and_b32 s7, s20, exec_lo
.LBB90_93:                              ;   in Loop: Header=BB90_12 Depth=1
	s_or_b32 exec_lo, exec_lo, s15
	s_mov_b32 s15, -1
	s_mov_b32 s10, 0
	s_delay_alu instid0(SALU_CYCLE_1)
	s_mov_b32 s18, s10
	s_branch .LBB90_104
.LBB90_94:                              ;   in Loop: Header=BB90_12 Depth=1
	s_mov_b32 s7, 0
                                        ; implicit-def: $vgpr15
	s_and_saveexec_b32 s10, s6
	s_cbranch_execz .LBB90_103
; %bb.95:                               ;   in Loop: Header=BB90_12 Depth=1
	v_dual_mov_b32 v6, v5 :: v_dual_mov_b32 v1, v0
	s_mov_b32 s15, 0
                                        ; implicit-def: $sgpr18
	s_set_inst_prefetch_distance 0x1
	s_branch .LBB90_97
	.p2align	6
.LBB90_96:                              ;   in Loop: Header=BB90_97 Depth=2
	s_or_b32 exec_lo, exec_lo, s7
	s_waitcnt vmcnt(0) lgkmcnt(0)
	s_barrier
	buffer_gl0_inv
	ds_load_b64 v[14:15], v7 offset:3072
	v_add_nc_u32_e32 v1, s53, v1
	v_add_nc_u32_e32 v6, s56, v6
	s_waitcnt lgkmcnt(0)
	s_barrier
	buffer_gl0_inv
	v_cmp_le_u32_e32 vcc_lo, s68, v1
	v_readfirstlane_b32 s7, v14
	s_delay_alu instid0(VALU_DEP_1) | instskip(SKIP_1) | instid1(SALU_CYCLE_1)
	s_cmp_lg_u32 s7, 0
	s_cselect_b32 s7, -1, 0
	s_or_b32 s20, vcc_lo, s7
	s_delay_alu instid0(SALU_CYCLE_1) | instskip(NEXT) | instid1(SALU_CYCLE_1)
	s_and_b32 s20, exec_lo, s20
	s_or_b32 s15, s20, s15
	s_and_not1_b32 s18, s18, exec_lo
	s_and_b32 s7, s7, exec_lo
	s_delay_alu instid0(SALU_CYCLE_1)
	s_or_b32 s18, s18, s7
	s_and_not1_b32 exec_lo, exec_lo, s15
	s_cbranch_execz .LBB90_102
.LBB90_97:                              ;   Parent Loop BB90_12 Depth=1
                                        ; =>  This Inner Loop Header: Depth=2
	s_delay_alu instid0(VALU_DEP_1)
	v_cmp_gt_u32_e32 vcc_lo, s28, v1
	v_mov_b32_e32 v14, 0
	s_and_saveexec_b32 s20, vcc_lo
	s_cbranch_execz .LBB90_99
; %bb.98:                               ;   in Loop: Header=BB90_97 Depth=2
	v_lshlrev_b64 v[2:3], 2, v[6:7]
	s_delay_alu instid0(VALU_DEP_1) | instskip(NEXT) | instid1(VALU_DEP_1)
	v_add_co_u32 v2, s7, s39, v2
	v_add_co_ci_u32_e64 v3, s7, s43, v3, s7
	global_load_b32 v14, v[2:3], off
.LBB90_99:                              ;   in Loop: Header=BB90_97 Depth=2
	s_or_b32 exec_lo, exec_lo, s20
	s_and_saveexec_b32 s7, vcc_lo
	s_cbranch_execz .LBB90_96
; %bb.100:                              ;   in Loop: Header=BB90_97 Depth=2
	s_waitcnt vmcnt(0)
	v_xor_b32_e32 v2, 0x80000000, v14
	s_delay_alu instid0(VALU_DEP_1) | instskip(NEXT) | instid1(VALU_DEP_1)
	v_and_b32_e32 v2, s80, v2
	v_cmp_eq_u32_e32 vcc_lo, s79, v2
	s_and_b32 exec_lo, exec_lo, vcc_lo
	s_cbranch_execz .LBB90_96
; %bb.101:                              ;   in Loop: Header=BB90_97 Depth=2
	ds_store_b64 v7, v[13:14] offset:3072
	s_branch .LBB90_96
.LBB90_102:                             ;   in Loop: Header=BB90_12 Depth=1
	s_set_inst_prefetch_distance 0x2
	s_or_b32 exec_lo, exec_lo, s15
	s_delay_alu instid0(SALU_CYCLE_1)
	s_and_b32 s7, s18, exec_lo
.LBB90_103:                             ;   in Loop: Header=BB90_12 Depth=1
	s_or_b32 exec_lo, exec_lo, s10
	s_mov_b32 s18, -1
	s_mov_b32 s10, 0
	s_mov_b32 s15, 0
.LBB90_104:                             ;   in Loop: Header=BB90_12 Depth=1
	s_and_not1_b32 s20, s75, exec_lo
	s_and_b32 s10, s10, exec_lo
	s_and_b32 s18, s18, exec_lo
	s_or_b32 s75, s20, s10
	s_and_not1_b32 s10, s78, exec_lo
	s_and_not1_b32 s20, s76, exec_lo
	s_and_b32 s15, s15, exec_lo
	s_or_b32 s78, s10, s18
	s_or_b32 s76, s20, s15
	s_and_saveexec_b32 s10, s7
	s_cbranch_execz .LBB90_11
; %bb.105:                              ;   in Loop: Header=BB90_12 Depth=1
	s_xor_b32 s7, s13, -1
	s_mov_b32 s12, 0
	s_and_not1_b32 vcc_lo, exec_lo, s7
	s_mov_b32 s20, 1
	s_cbranch_vccnz .LBB90_116
; %bb.106:                              ;   in Loop: Header=BB90_12 Depth=1
	s_cmp_gt_u32 s81, s11
	s_mov_b32 s12, -1
                                        ; implicit-def: $sgpr7
                                        ; implicit-def: $sgpr13
                                        ; implicit-def: $sgpr15
	s_cbranch_scc1 .LBB90_112
; %bb.107:                              ;   in Loop: Header=BB90_12 Depth=1
	ds_load_b32 v1, v7 offset:4104
	s_waitcnt lgkmcnt(0)
	v_cmp_ne_u32_e32 vcc_lo, 0, v1
	s_cbranch_vccnz .LBB90_111
; %bb.108:                              ;   in Loop: Header=BB90_12 Depth=1
	s_and_saveexec_b32 s7, s2
	s_cbranch_execz .LBB90_110
; %bb.109:                              ;   in Loop: Header=BB90_12 Depth=1
	v_mov_b32_e32 v1, s11
	ds_store_b32 v7, v1 offset:4108
.LBB90_110:                             ;   in Loop: Header=BB90_12 Depth=1
	s_or_b32 exec_lo, exec_lo, s7
	s_waitcnt lgkmcnt(0)
	s_barrier
	buffer_gl0_inv
.LBB90_111:                             ;   in Loop: Header=BB90_12 Depth=1
	s_and_b32 s13, s79, s17
	s_or_b32 s15, s80, s9
	s_mov_b32 s12, 0
	s_mov_b32 s7, 8
.LBB90_112:                             ;   in Loop: Header=BB90_12 Depth=1
	s_and_not1_b32 vcc_lo, exec_lo, s12
	s_cbranch_vccnz .LBB90_114
; %bb.113:                              ;   in Loop: Header=BB90_12 Depth=1
	s_sub_i32 s81, s81, s11
	s_mov_b32 s12, -1
	s_mov_b32 s7, 0
	s_mov_b32 s13, s79
	;; [unrolled: 1-line block ×3, first 2 shown]
.LBB90_114:                             ;   in Loop: Header=BB90_12 Depth=1
	s_delay_alu instid0(SALU_CYCLE_1)
	s_mov_b32 s80, s15
	s_mov_b32 s79, s13
	;; [unrolled: 1-line block ×3, first 2 shown]
	s_and_b32 vcc_lo, exec_lo, s12
	s_mov_b32 s11, -1
	s_cbranch_vccnz .LBB90_117
.LBB90_115:                             ;   in Loop: Header=BB90_12 Depth=1
	s_mov_b32 s23, -1
                                        ; implicit-def: $sgpr12
                                        ; implicit-def: $sgpr15
                                        ; implicit-def: $sgpr13
                                        ; implicit-def: $sgpr81
	s_delay_alu instid0(SALU_CYCLE_1) | instskip(NEXT) | instid1(SALU_CYCLE_1)
	s_and_saveexec_b32 s8, s23
	s_xor_b32 s8, exec_lo, s8
	s_cbranch_execz .LBB90_10
	s_branch .LBB90_243
.LBB90_116:                             ;   in Loop: Header=BB90_12 Depth=1
	s_mov_b32 s7, 1
	s_and_b32 vcc_lo, exec_lo, s12
	s_mov_b32 s11, -1
	s_cbranch_vccz .LBB90_115
.LBB90_117:                             ;   in Loop: Header=BB90_12 Depth=1
	s_cmp_eq_u32 s19, 1
	s_mov_b32 s22, -1
	s_cselect_b32 s7, -1, 0
	s_cmp_eq_u32 s20, 1
	s_cselect_b32 s12, -1, 0
	s_delay_alu instid0(SALU_CYCLE_1) | instskip(NEXT) | instid1(SALU_CYCLE_1)
	s_and_b32 s21, s7, s12
	s_and_b32 vcc_lo, exec_lo, s21
	s_cbranch_vccz .LBB90_129
; %bb.118:                              ;   in Loop: Header=BB90_12 Depth=1
	ds_load_b32 v1, v7 offset:4104
	s_waitcnt lgkmcnt(0)
	s_barrier
	buffer_gl0_inv
	v_readfirstlane_b32 s7, v1
	s_and_saveexec_b32 s12, s1
	s_cbranch_execz .LBB90_120
; %bb.119:                              ;   in Loop: Header=BB90_12 Depth=1
	ds_store_b32 v18, v7
.LBB90_120:                             ;   in Loop: Header=BB90_12 Depth=1
	s_or_b32 exec_lo, exec_lo, s12
	s_lshl_b32 s12, 1, s16
	s_and_b32 s13, s79, s17
	s_or_b32 s80, s80, s9
	s_or_b32 s79, s13, s12
	s_cmp_eq_u32 s7, 0
	s_waitcnt lgkmcnt(0)
	s_barrier
	buffer_gl0_inv
	s_cbranch_scc1 .LBB90_133
; %bb.121:                              ;   in Loop: Header=BB90_12 Depth=1
	s_add_i32 s12, s7, s57
	s_mov_b32 s22, 0
	s_mul_hi_u32 s13, s12, s67
                                        ; implicit-def: $vgpr15
	s_delay_alu instid0(SALU_CYCLE_1) | instskip(NEXT) | instid1(SALU_CYCLE_1)
	s_mul_i32 s13, s13, s53
	s_sub_i32 s13, s12, s13
	s_delay_alu instid0(SALU_CYCLE_1) | instskip(SKIP_2) | instid1(SALU_CYCLE_1)
	s_sub_i32 s15, s13, s53
	s_cmp_ge_u32 s13, s53
	s_cselect_b32 s13, s15, s13
	s_sub_i32 s15, s13, s53
	s_cmp_ge_u32 s13, s53
	s_cselect_b32 s13, s15, s13
	s_delay_alu instid0(SALU_CYCLE_1)
	s_sub_i32 s13, s12, s13
	s_mov_b32 s12, exec_lo
	v_cmpx_gt_u32_e64 s13, v0
	s_cbranch_execz .LBB90_135
; %bb.122:                              ;   in Loop: Header=BB90_12 Depth=1
	v_dual_mov_b32 v1, v17 :: v_dual_mov_b32 v2, v0
	s_mov_b32 s15, 0
                                        ; implicit-def: $sgpr18
	s_set_inst_prefetch_distance 0x1
	s_branch .LBB90_124
	.p2align	6
.LBB90_123:                             ;   in Loop: Header=BB90_124 Depth=2
	s_or_b32 exec_lo, exec_lo, s22
	s_waitcnt lgkmcnt(0)
	s_barrier
	buffer_gl0_inv
	ds_load_b64 v[14:15], v7 offset:3072
	v_add_nc_u32_e32 v2, s53, v2
	v_add_nc_u32_e32 v1, s55, v1
	s_waitcnt lgkmcnt(0)
	s_barrier
	buffer_gl0_inv
	v_cmp_le_u32_e32 vcc_lo, s13, v2
	v_readfirstlane_b32 s22, v14
	s_delay_alu instid0(VALU_DEP_1) | instskip(SKIP_1) | instid1(SALU_CYCLE_1)
	s_cmp_lg_u32 s22, 0
	s_cselect_b32 s22, -1, 0
	s_or_b32 s23, vcc_lo, s22
	s_delay_alu instid0(SALU_CYCLE_1) | instskip(NEXT) | instid1(SALU_CYCLE_1)
	s_and_b32 s23, exec_lo, s23
	s_or_b32 s15, s23, s15
	s_and_not1_b32 s18, s18, exec_lo
	s_and_b32 s22, s22, exec_lo
	s_delay_alu instid0(SALU_CYCLE_1)
	s_or_b32 s18, s18, s22
	s_and_not1_b32 exec_lo, exec_lo, s15
	s_cbranch_execz .LBB90_134
.LBB90_124:                             ;   Parent Loop BB90_12 Depth=1
                                        ; =>  This Inner Loop Header: Depth=2
	s_delay_alu instid0(VALU_DEP_1)
	v_cmp_gt_u32_e32 vcc_lo, s7, v2
	v_mov_b32_e32 v14, 0
	s_and_saveexec_b32 s22, vcc_lo
	s_cbranch_execz .LBB90_126
; %bb.125:                              ;   in Loop: Header=BB90_124 Depth=2
	ds_load_b32 v14, v1
.LBB90_126:                             ;   in Loop: Header=BB90_124 Depth=2
	s_or_b32 exec_lo, exec_lo, s22
	s_and_saveexec_b32 s22, vcc_lo
	s_cbranch_execz .LBB90_123
; %bb.127:                              ;   in Loop: Header=BB90_124 Depth=2
	s_waitcnt lgkmcnt(0)
	v_xor_b32_e32 v3, 0x80000000, v14
	s_delay_alu instid0(VALU_DEP_1) | instskip(NEXT) | instid1(VALU_DEP_1)
	v_and_b32_e32 v3, s80, v3
	v_cmp_eq_u32_e32 vcc_lo, s79, v3
	s_and_b32 exec_lo, exec_lo, vcc_lo
	s_cbranch_execz .LBB90_123
; %bb.128:                              ;   in Loop: Header=BB90_124 Depth=2
	ds_store_b64 v7, v[13:14] offset:3072
	s_branch .LBB90_123
.LBB90_129:                             ;   in Loop: Header=BB90_12 Depth=1
                                        ; implicit-def: $sgpr13
                                        ; implicit-def: $sgpr15
                                        ; implicit-def: $sgpr12
	s_branch .LBB90_146
.LBB90_130:                             ;   in Loop: Header=BB90_12 Depth=1
	s_or_b32 exec_lo, exec_lo, s9
	s_waitcnt vmcnt(0) lgkmcnt(0)
	s_barrier
	buffer_gl0_inv
	s_and_saveexec_b32 s7, s2
	s_cbranch_execz .LBB90_132
; %bb.131:                              ;   in Loop: Header=BB90_12 Depth=1
	ds_load_b32 v1, v7 offset:4112
	s_waitcnt lgkmcnt(0)
	ds_store_b32 v7, v1 offset:4104
.LBB90_132:                             ;   in Loop: Header=BB90_12 Depth=1
	s_or_b32 exec_lo, exec_lo, s7
	s_waitcnt lgkmcnt(0)
	s_mov_b32 s7, -1
	s_barrier
	s_and_b32 vcc_lo, exec_lo, s82
	s_cbranch_vccnz .LBB90_30
	s_branch .LBB90_40
.LBB90_133:                             ;   in Loop: Header=BB90_12 Depth=1
	s_mov_b32 s13, -1
	s_mov_b32 s22, 0
                                        ; implicit-def: $sgpr12
                                        ; implicit-def: $vgpr15
	s_mov_b32 s15, s13
	s_cbranch_execnz .LBB90_136
	s_branch .LBB90_146
.LBB90_134:                             ;   in Loop: Header=BB90_12 Depth=1
	s_set_inst_prefetch_distance 0x2
	s_or_b32 exec_lo, exec_lo, s15
	s_delay_alu instid0(SALU_CYCLE_1)
	s_and_b32 s22, s18, exec_lo
.LBB90_135:                             ;   in Loop: Header=BB90_12 Depth=1
	s_or_b32 exec_lo, exec_lo, s12
	s_mov_b32 s12, -1
	s_mov_b32 s13, 0
	s_delay_alu instid0(SALU_CYCLE_1)
	s_mov_b32 s15, s13
	s_branch .LBB90_146
.LBB90_136:                             ;   in Loop: Header=BB90_12 Depth=1
	s_mov_b32 s22, 0
                                        ; implicit-def: $vgpr15
	s_and_saveexec_b32 s12, s6
	s_cbranch_execz .LBB90_145
; %bb.137:                              ;   in Loop: Header=BB90_12 Depth=1
	v_dual_mov_b32 v6, v5 :: v_dual_mov_b32 v1, v0
	s_mov_b32 s13, 0
                                        ; implicit-def: $sgpr15
	s_set_inst_prefetch_distance 0x1
	s_branch .LBB90_139
	.p2align	6
.LBB90_138:                             ;   in Loop: Header=BB90_139 Depth=2
	s_or_b32 exec_lo, exec_lo, s7
	s_waitcnt vmcnt(0) lgkmcnt(0)
	s_barrier
	buffer_gl0_inv
	ds_load_b64 v[14:15], v7 offset:3072
	v_add_nc_u32_e32 v1, s53, v1
	v_add_nc_u32_e32 v6, s56, v6
	s_waitcnt lgkmcnt(0)
	s_barrier
	buffer_gl0_inv
	v_cmp_le_u32_e32 vcc_lo, s68, v1
	v_readfirstlane_b32 s7, v14
	s_delay_alu instid0(VALU_DEP_1) | instskip(SKIP_1) | instid1(SALU_CYCLE_1)
	s_cmp_lg_u32 s7, 0
	s_cselect_b32 s7, -1, 0
	s_or_b32 s18, vcc_lo, s7
	s_delay_alu instid0(SALU_CYCLE_1) | instskip(NEXT) | instid1(SALU_CYCLE_1)
	s_and_b32 s18, exec_lo, s18
	s_or_b32 s13, s18, s13
	s_and_not1_b32 s15, s15, exec_lo
	s_and_b32 s7, s7, exec_lo
	s_delay_alu instid0(SALU_CYCLE_1)
	s_or_b32 s15, s15, s7
	s_and_not1_b32 exec_lo, exec_lo, s13
	s_cbranch_execz .LBB90_144
.LBB90_139:                             ;   Parent Loop BB90_12 Depth=1
                                        ; =>  This Inner Loop Header: Depth=2
	s_delay_alu instid0(VALU_DEP_1)
	v_cmp_gt_u32_e32 vcc_lo, s28, v1
	v_mov_b32_e32 v14, 0
	s_and_saveexec_b32 s18, vcc_lo
	s_cbranch_execz .LBB90_141
; %bb.140:                              ;   in Loop: Header=BB90_139 Depth=2
	v_lshlrev_b64 v[2:3], 2, v[6:7]
	s_delay_alu instid0(VALU_DEP_1) | instskip(NEXT) | instid1(VALU_DEP_1)
	v_add_co_u32 v2, s7, s39, v2
	v_add_co_ci_u32_e64 v3, s7, s43, v3, s7
	global_load_b32 v14, v[2:3], off
.LBB90_141:                             ;   in Loop: Header=BB90_139 Depth=2
	s_or_b32 exec_lo, exec_lo, s18
	s_and_saveexec_b32 s7, vcc_lo
	s_cbranch_execz .LBB90_138
; %bb.142:                              ;   in Loop: Header=BB90_139 Depth=2
	s_waitcnt vmcnt(0)
	v_xor_b32_e32 v2, 0x80000000, v14
	s_delay_alu instid0(VALU_DEP_1) | instskip(NEXT) | instid1(VALU_DEP_1)
	v_and_b32_e32 v2, s80, v2
	v_cmp_eq_u32_e32 vcc_lo, s79, v2
	s_and_b32 exec_lo, exec_lo, vcc_lo
	s_cbranch_execz .LBB90_138
; %bb.143:                              ;   in Loop: Header=BB90_139 Depth=2
	ds_store_b64 v7, v[13:14] offset:3072
	s_branch .LBB90_138
.LBB90_144:                             ;   in Loop: Header=BB90_12 Depth=1
	s_set_inst_prefetch_distance 0x2
	s_or_b32 exec_lo, exec_lo, s13
	s_delay_alu instid0(SALU_CYCLE_1)
	s_and_b32 s22, s15, exec_lo
.LBB90_145:                             ;   in Loop: Header=BB90_12 Depth=1
	s_or_b32 exec_lo, exec_lo, s12
	s_mov_b32 s15, -1
	s_mov_b32 s13, 0
	s_mov_b32 s12, 0
.LBB90_146:                             ;   in Loop: Header=BB90_12 Depth=1
	s_mov_b32 s23, 0
                                        ; implicit-def: $sgpr7
	s_and_saveexec_b32 s18, s22
	s_cbranch_execz .LBB90_242
; %bb.147:                              ;   in Loop: Header=BB90_12 Depth=1
	s_xor_b32 s7, s21, -1
	s_mov_b32 s21, 0
	s_and_not1_b32 vcc_lo, exec_lo, s7
	s_mov_b32 s24, 1
	s_cbranch_vccnz .LBB90_158
; %bb.148:                              ;   in Loop: Header=BB90_12 Depth=1
	s_cmp_gt_u32 s20, s19
	s_mov_b32 s21, -1
                                        ; implicit-def: $sgpr7
                                        ; implicit-def: $sgpr22
                                        ; implicit-def: $sgpr23
	s_cbranch_scc1 .LBB90_154
; %bb.149:                              ;   in Loop: Header=BB90_12 Depth=1
	ds_load_b32 v1, v7 offset:4104
	s_waitcnt lgkmcnt(0)
	v_cmp_ne_u32_e32 vcc_lo, 0, v1
	s_cbranch_vccnz .LBB90_153
; %bb.150:                              ;   in Loop: Header=BB90_12 Depth=1
	s_and_saveexec_b32 s7, s2
	s_cbranch_execz .LBB90_152
; %bb.151:                              ;   in Loop: Header=BB90_12 Depth=1
	v_mov_b32_e32 v1, s19
	ds_store_b32 v7, v1 offset:4108
.LBB90_152:                             ;   in Loop: Header=BB90_12 Depth=1
	s_or_b32 exec_lo, exec_lo, s7
	s_waitcnt lgkmcnt(0)
	s_barrier
	buffer_gl0_inv
.LBB90_153:                             ;   in Loop: Header=BB90_12 Depth=1
	s_lshl_b32 s7, 1, s16
	s_and_b32 s21, s79, s17
	s_or_b32 s23, s80, s9
	s_or_b32 s22, s21, s7
	s_mov_b32 s21, 0
	s_mov_b32 s7, 8
.LBB90_154:                             ;   in Loop: Header=BB90_12 Depth=1
	s_and_not1_b32 vcc_lo, exec_lo, s21
	s_cbranch_vccnz .LBB90_156
; %bb.155:                              ;   in Loop: Header=BB90_12 Depth=1
	s_sub_i32 s20, s20, s19
	s_mov_b32 s21, -1
	s_mov_b32 s7, 0
	s_mov_b32 s22, s79
	;; [unrolled: 1-line block ×3, first 2 shown]
.LBB90_156:                             ;   in Loop: Header=BB90_12 Depth=1
	s_delay_alu instid0(SALU_CYCLE_1)
	s_mov_b32 s80, s23
	s_mov_b32 s79, s22
	;; [unrolled: 1-line block ×3, first 2 shown]
	s_and_not1_b32 vcc_lo, exec_lo, s21
	s_mov_b32 s26, -1
	s_cbranch_vccz .LBB90_159
.LBB90_157:                             ;   in Loop: Header=BB90_12 Depth=1
                                        ; implicit-def: $sgpr20
                                        ; implicit-def: $sgpr21
                                        ; implicit-def: $sgpr19
	s_branch .LBB90_241
.LBB90_158:                             ;   in Loop: Header=BB90_12 Depth=1
	s_mov_b32 s7, 1
	s_and_not1_b32 vcc_lo, exec_lo, s21
	s_mov_b32 s26, -1
	s_cbranch_vccnz .LBB90_157
.LBB90_159:                             ;   in Loop: Header=BB90_12 Depth=1
	s_cmp_eq_u32 s14, 1
	s_mov_b32 s25, -1
	s_cselect_b32 s7, -1, 0
	s_cmp_eq_u32 s24, 1
	s_cselect_b32 s19, -1, 0
	s_delay_alu instid0(SALU_CYCLE_1) | instskip(NEXT) | instid1(SALU_CYCLE_1)
	s_and_b32 s23, s7, s19
	s_and_b32 vcc_lo, exec_lo, s23
	s_cbranch_vccz .LBB90_171
; %bb.160:                              ;   in Loop: Header=BB90_12 Depth=1
	ds_load_b32 v1, v7 offset:4104
	s_waitcnt lgkmcnt(0)
	s_barrier
	buffer_gl0_inv
	v_readfirstlane_b32 s7, v1
	s_and_saveexec_b32 s19, s1
	s_cbranch_execz .LBB90_162
; %bb.161:                              ;   in Loop: Header=BB90_12 Depth=1
	ds_store_b32 v18, v7
.LBB90_162:                             ;   in Loop: Header=BB90_12 Depth=1
	s_or_b32 exec_lo, exec_lo, s19
	s_lshl_b32 s19, 2, s16
	s_and_b32 s20, s79, s17
	s_or_b32 s80, s80, s9
	s_or_b32 s79, s20, s19
	s_cmp_eq_u32 s7, 0
	s_waitcnt lgkmcnt(0)
	s_barrier
	buffer_gl0_inv
	s_cbranch_scc1 .LBB90_172
; %bb.163:                              ;   in Loop: Header=BB90_12 Depth=1
	s_add_i32 s19, s7, s57
	s_mov_b32 s25, 0
	s_mul_hi_u32 s20, s19, s67
                                        ; implicit-def: $vgpr15
	s_delay_alu instid0(SALU_CYCLE_1) | instskip(NEXT) | instid1(SALU_CYCLE_1)
	s_mul_i32 s20, s20, s53
	s_sub_i32 s20, s19, s20
	s_delay_alu instid0(SALU_CYCLE_1) | instskip(SKIP_2) | instid1(SALU_CYCLE_1)
	s_sub_i32 s21, s20, s53
	s_cmp_ge_u32 s20, s53
	s_cselect_b32 s20, s21, s20
	s_sub_i32 s21, s20, s53
	s_cmp_ge_u32 s20, s53
	s_cselect_b32 s20, s21, s20
	s_delay_alu instid0(SALU_CYCLE_1)
	s_sub_i32 s20, s19, s20
	s_mov_b32 s19, exec_lo
	v_cmpx_gt_u32_e64 s20, v0
	s_cbranch_execz .LBB90_174
; %bb.164:                              ;   in Loop: Header=BB90_12 Depth=1
	v_dual_mov_b32 v1, v17 :: v_dual_mov_b32 v2, v0
	s_mov_b32 s21, 0
                                        ; implicit-def: $sgpr22
	s_set_inst_prefetch_distance 0x1
	s_branch .LBB90_166
	.p2align	6
.LBB90_165:                             ;   in Loop: Header=BB90_166 Depth=2
	s_or_b32 exec_lo, exec_lo, s25
	s_waitcnt lgkmcnt(0)
	s_barrier
	buffer_gl0_inv
	ds_load_b64 v[14:15], v7 offset:3072
	v_add_nc_u32_e32 v2, s53, v2
	v_add_nc_u32_e32 v1, s55, v1
	s_waitcnt lgkmcnt(0)
	s_barrier
	buffer_gl0_inv
	v_cmp_le_u32_e32 vcc_lo, s20, v2
	v_readfirstlane_b32 s25, v14
	s_delay_alu instid0(VALU_DEP_1) | instskip(SKIP_1) | instid1(SALU_CYCLE_1)
	s_cmp_lg_u32 s25, 0
	s_cselect_b32 s25, -1, 0
	s_or_b32 s26, vcc_lo, s25
	s_delay_alu instid0(SALU_CYCLE_1) | instskip(NEXT) | instid1(SALU_CYCLE_1)
	s_and_b32 s26, exec_lo, s26
	s_or_b32 s21, s26, s21
	s_and_not1_b32 s22, s22, exec_lo
	s_and_b32 s25, s25, exec_lo
	s_delay_alu instid0(SALU_CYCLE_1)
	s_or_b32 s22, s22, s25
	s_and_not1_b32 exec_lo, exec_lo, s21
	s_cbranch_execz .LBB90_173
.LBB90_166:                             ;   Parent Loop BB90_12 Depth=1
                                        ; =>  This Inner Loop Header: Depth=2
	s_delay_alu instid0(VALU_DEP_1)
	v_cmp_gt_u32_e32 vcc_lo, s7, v2
	v_mov_b32_e32 v14, 0
	s_and_saveexec_b32 s25, vcc_lo
	s_cbranch_execz .LBB90_168
; %bb.167:                              ;   in Loop: Header=BB90_166 Depth=2
	ds_load_b32 v14, v1
.LBB90_168:                             ;   in Loop: Header=BB90_166 Depth=2
	s_or_b32 exec_lo, exec_lo, s25
	s_and_saveexec_b32 s25, vcc_lo
	s_cbranch_execz .LBB90_165
; %bb.169:                              ;   in Loop: Header=BB90_166 Depth=2
	s_waitcnt lgkmcnt(0)
	v_xor_b32_e32 v3, 0x80000000, v14
	s_delay_alu instid0(VALU_DEP_1) | instskip(NEXT) | instid1(VALU_DEP_1)
	v_and_b32_e32 v3, s80, v3
	v_cmp_eq_u32_e32 vcc_lo, s79, v3
	s_and_b32 exec_lo, exec_lo, vcc_lo
	s_cbranch_execz .LBB90_165
; %bb.170:                              ;   in Loop: Header=BB90_166 Depth=2
	ds_store_b64 v7, v[13:14] offset:3072
	s_branch .LBB90_165
.LBB90_171:                             ;   in Loop: Header=BB90_12 Depth=1
                                        ; implicit-def: $sgpr19
                                        ; implicit-def: $sgpr21
                                        ; implicit-def: $sgpr20
	s_branch .LBB90_185
.LBB90_172:                             ;   in Loop: Header=BB90_12 Depth=1
	s_mov_b32 s19, -1
	s_mov_b32 s25, 0
                                        ; implicit-def: $sgpr20
                                        ; implicit-def: $vgpr15
	s_mov_b32 s21, s19
	s_cbranch_execnz .LBB90_175
	s_branch .LBB90_185
.LBB90_173:                             ;   in Loop: Header=BB90_12 Depth=1
	s_set_inst_prefetch_distance 0x2
	s_or_b32 exec_lo, exec_lo, s21
	s_delay_alu instid0(SALU_CYCLE_1)
	s_and_b32 s25, s22, exec_lo
.LBB90_174:                             ;   in Loop: Header=BB90_12 Depth=1
	s_or_b32 exec_lo, exec_lo, s19
	s_mov_b32 s20, -1
	s_mov_b32 s19, 0
	s_delay_alu instid0(SALU_CYCLE_1)
	s_mov_b32 s21, s19
	s_branch .LBB90_185
.LBB90_175:                             ;   in Loop: Header=BB90_12 Depth=1
	s_mov_b32 s25, 0
                                        ; implicit-def: $vgpr15
	s_and_saveexec_b32 s19, s6
	s_cbranch_execz .LBB90_184
; %bb.176:                              ;   in Loop: Header=BB90_12 Depth=1
	v_dual_mov_b32 v6, v5 :: v_dual_mov_b32 v1, v0
	s_mov_b32 s20, 0
                                        ; implicit-def: $sgpr21
	s_set_inst_prefetch_distance 0x1
	s_branch .LBB90_178
	.p2align	6
.LBB90_177:                             ;   in Loop: Header=BB90_178 Depth=2
	s_or_b32 exec_lo, exec_lo, s7
	s_waitcnt vmcnt(0) lgkmcnt(0)
	s_barrier
	buffer_gl0_inv
	ds_load_b64 v[14:15], v7 offset:3072
	v_add_nc_u32_e32 v1, s53, v1
	v_add_nc_u32_e32 v6, s56, v6
	s_waitcnt lgkmcnt(0)
	s_barrier
	buffer_gl0_inv
	v_cmp_le_u32_e32 vcc_lo, s68, v1
	v_readfirstlane_b32 s7, v14
	s_delay_alu instid0(VALU_DEP_1) | instskip(SKIP_1) | instid1(SALU_CYCLE_1)
	s_cmp_lg_u32 s7, 0
	s_cselect_b32 s7, -1, 0
	s_or_b32 s22, vcc_lo, s7
	s_delay_alu instid0(SALU_CYCLE_1) | instskip(NEXT) | instid1(SALU_CYCLE_1)
	s_and_b32 s22, exec_lo, s22
	s_or_b32 s20, s22, s20
	s_and_not1_b32 s21, s21, exec_lo
	s_and_b32 s7, s7, exec_lo
	s_delay_alu instid0(SALU_CYCLE_1)
	s_or_b32 s21, s21, s7
	s_and_not1_b32 exec_lo, exec_lo, s20
	s_cbranch_execz .LBB90_183
.LBB90_178:                             ;   Parent Loop BB90_12 Depth=1
                                        ; =>  This Inner Loop Header: Depth=2
	s_delay_alu instid0(VALU_DEP_1)
	v_cmp_gt_u32_e32 vcc_lo, s28, v1
	v_mov_b32_e32 v14, 0
	s_and_saveexec_b32 s22, vcc_lo
	s_cbranch_execz .LBB90_180
; %bb.179:                              ;   in Loop: Header=BB90_178 Depth=2
	v_lshlrev_b64 v[2:3], 2, v[6:7]
	s_delay_alu instid0(VALU_DEP_1) | instskip(NEXT) | instid1(VALU_DEP_1)
	v_add_co_u32 v2, s7, s39, v2
	v_add_co_ci_u32_e64 v3, s7, s43, v3, s7
	global_load_b32 v14, v[2:3], off
.LBB90_180:                             ;   in Loop: Header=BB90_178 Depth=2
	s_or_b32 exec_lo, exec_lo, s22
	s_and_saveexec_b32 s7, vcc_lo
	s_cbranch_execz .LBB90_177
; %bb.181:                              ;   in Loop: Header=BB90_178 Depth=2
	s_waitcnt vmcnt(0)
	v_xor_b32_e32 v2, 0x80000000, v14
	s_delay_alu instid0(VALU_DEP_1) | instskip(NEXT) | instid1(VALU_DEP_1)
	v_and_b32_e32 v2, s80, v2
	v_cmp_eq_u32_e32 vcc_lo, s79, v2
	s_and_b32 exec_lo, exec_lo, vcc_lo
	s_cbranch_execz .LBB90_177
; %bb.182:                              ;   in Loop: Header=BB90_178 Depth=2
	ds_store_b64 v7, v[13:14] offset:3072
	s_branch .LBB90_177
.LBB90_183:                             ;   in Loop: Header=BB90_12 Depth=1
	s_set_inst_prefetch_distance 0x2
	s_or_b32 exec_lo, exec_lo, s20
	s_delay_alu instid0(SALU_CYCLE_1)
	s_and_b32 s25, s21, exec_lo
.LBB90_184:                             ;   in Loop: Header=BB90_12 Depth=1
	s_or_b32 exec_lo, exec_lo, s19
	s_mov_b32 s21, -1
	s_mov_b32 s19, 0
	s_mov_b32 s20, 0
.LBB90_185:                             ;   in Loop: Header=BB90_12 Depth=1
	s_mov_b32 s26, 0
                                        ; implicit-def: $sgpr7
	s_and_saveexec_b32 s22, s25
	s_cbranch_execz .LBB90_240
; %bb.186:                              ;   in Loop: Header=BB90_12 Depth=1
	s_xor_b32 s7, s23, -1
	s_mov_b32 s25, 0
	s_and_not1_b32 vcc_lo, exec_lo, s7
	s_mov_b32 s23, 1
	s_cbranch_vccnz .LBB90_197
; %bb.187:                              ;   in Loop: Header=BB90_12 Depth=1
	s_cmp_gt_u32 s24, s14
	s_mov_b32 s25, -1
                                        ; implicit-def: $sgpr7
                                        ; implicit-def: $sgpr23
                                        ; implicit-def: $sgpr26
	s_cbranch_scc1 .LBB90_193
; %bb.188:                              ;   in Loop: Header=BB90_12 Depth=1
	ds_load_b32 v1, v7 offset:4104
	s_waitcnt lgkmcnt(0)
	v_cmp_ne_u32_e32 vcc_lo, 0, v1
	s_cbranch_vccnz .LBB90_192
; %bb.189:                              ;   in Loop: Header=BB90_12 Depth=1
	s_and_saveexec_b32 s7, s2
	s_cbranch_execz .LBB90_191
; %bb.190:                              ;   in Loop: Header=BB90_12 Depth=1
	v_mov_b32_e32 v1, s14
	ds_store_b32 v7, v1 offset:4108
.LBB90_191:                             ;   in Loop: Header=BB90_12 Depth=1
	s_or_b32 exec_lo, exec_lo, s7
	s_waitcnt lgkmcnt(0)
	s_barrier
	buffer_gl0_inv
.LBB90_192:                             ;   in Loop: Header=BB90_12 Depth=1
	s_lshl_b32 s7, 2, s16
	s_and_b32 s16, s79, s17
	s_or_b32 s26, s80, s9
	s_or_b32 s23, s16, s7
	s_mov_b32 s25, 0
	s_mov_b32 s7, 8
.LBB90_193:                             ;   in Loop: Header=BB90_12 Depth=1
	s_and_not1_b32 vcc_lo, exec_lo, s25
	s_cbranch_vccnz .LBB90_195
; %bb.194:                              ;   in Loop: Header=BB90_12 Depth=1
	s_sub_i32 s24, s24, s14
	s_mov_b32 s25, -1
	s_mov_b32 s7, 0
	s_mov_b32 s23, s79
	;; [unrolled: 1-line block ×3, first 2 shown]
.LBB90_195:                             ;   in Loop: Header=BB90_12 Depth=1
	s_delay_alu instid0(SALU_CYCLE_1)
	s_mov_b32 s80, s26
	s_mov_b32 s79, s23
	;; [unrolled: 1-line block ×3, first 2 shown]
	s_and_not1_b32 vcc_lo, exec_lo, s25
	s_mov_b32 s81, -1
	s_cbranch_vccz .LBB90_198
.LBB90_196:                             ;   in Loop: Header=BB90_12 Depth=1
                                        ; implicit-def: $sgpr16
                                        ; implicit-def: $sgpr24
                                        ; implicit-def: $sgpr17
	s_branch .LBB90_239
.LBB90_197:                             ;   in Loop: Header=BB90_12 Depth=1
	s_mov_b32 s7, 1
	s_and_not1_b32 vcc_lo, exec_lo, s25
	s_mov_b32 s81, -1
	s_cbranch_vccnz .LBB90_196
.LBB90_198:                             ;   in Loop: Header=BB90_12 Depth=1
	s_cmp_eq_u32 s8, 1
	s_mov_b32 s25, -1
	s_cselect_b32 s7, -1, 0
	s_cmp_eq_u32 s23, 1
	s_cselect_b32 s14, -1, 0
	s_delay_alu instid0(SALU_CYCLE_1) | instskip(NEXT) | instid1(SALU_CYCLE_1)
	s_and_b32 s14, s7, s14
	s_and_b32 vcc_lo, exec_lo, s14
	s_cbranch_vccz .LBB90_210
; %bb.199:                              ;   in Loop: Header=BB90_12 Depth=1
	ds_load_b32 v1, v7 offset:4104
	s_waitcnt lgkmcnt(0)
	s_barrier
	buffer_gl0_inv
	v_readfirstlane_b32 s7, v1
	s_and_saveexec_b32 s16, s1
	s_cbranch_execz .LBB90_201
; %bb.200:                              ;   in Loop: Header=BB90_12 Depth=1
	ds_store_b32 v18, v7
.LBB90_201:                             ;   in Loop: Header=BB90_12 Depth=1
	s_or_b32 exec_lo, exec_lo, s16
	s_or_b32 s79, s79, s9
	s_or_b32 s80, s80, s9
	s_cmp_eq_u32 s7, 0
	s_waitcnt lgkmcnt(0)
	s_barrier
	buffer_gl0_inv
	s_cbranch_scc1 .LBB90_211
; %bb.202:                              ;   in Loop: Header=BB90_12 Depth=1
	s_add_i32 s16, s7, s57
	s_mov_b32 s25, 0
	s_mul_hi_u32 s17, s16, s67
                                        ; implicit-def: $vgpr15
	s_delay_alu instid0(SALU_CYCLE_1) | instskip(NEXT) | instid1(SALU_CYCLE_1)
	s_mul_i32 s17, s17, s53
	s_sub_i32 s17, s16, s17
	s_delay_alu instid0(SALU_CYCLE_1) | instskip(SKIP_2) | instid1(SALU_CYCLE_1)
	s_sub_i32 s24, s17, s53
	s_cmp_ge_u32 s17, s53
	s_cselect_b32 s17, s24, s17
	s_sub_i32 s24, s17, s53
	s_cmp_ge_u32 s17, s53
	s_cselect_b32 s17, s24, s17
	s_delay_alu instid0(SALU_CYCLE_1)
	s_sub_i32 s17, s16, s17
	s_mov_b32 s16, exec_lo
	v_cmpx_gt_u32_e64 s17, v0
	s_cbranch_execz .LBB90_213
; %bb.203:                              ;   in Loop: Header=BB90_12 Depth=1
	v_dual_mov_b32 v1, v17 :: v_dual_mov_b32 v2, v0
	s_mov_b32 s24, 0
                                        ; implicit-def: $sgpr25
	s_set_inst_prefetch_distance 0x1
	s_branch .LBB90_205
	.p2align	6
.LBB90_204:                             ;   in Loop: Header=BB90_205 Depth=2
	s_or_b32 exec_lo, exec_lo, s26
	s_waitcnt lgkmcnt(0)
	s_barrier
	buffer_gl0_inv
	ds_load_b64 v[14:15], v7 offset:3072
	v_add_nc_u32_e32 v2, s53, v2
	v_add_nc_u32_e32 v1, s55, v1
	s_waitcnt lgkmcnt(0)
	s_barrier
	buffer_gl0_inv
	v_cmp_le_u32_e32 vcc_lo, s17, v2
	v_readfirstlane_b32 s26, v14
	s_delay_alu instid0(VALU_DEP_1) | instskip(SKIP_1) | instid1(SALU_CYCLE_1)
	s_cmp_lg_u32 s26, 0
	s_cselect_b32 s26, -1, 0
	s_or_b32 s81, vcc_lo, s26
	s_delay_alu instid0(SALU_CYCLE_1) | instskip(NEXT) | instid1(SALU_CYCLE_1)
	s_and_b32 s81, exec_lo, s81
	s_or_b32 s24, s81, s24
	s_and_not1_b32 s25, s25, exec_lo
	s_and_b32 s26, s26, exec_lo
	s_delay_alu instid0(SALU_CYCLE_1)
	s_or_b32 s25, s25, s26
	s_and_not1_b32 exec_lo, exec_lo, s24
	s_cbranch_execz .LBB90_212
.LBB90_205:                             ;   Parent Loop BB90_12 Depth=1
                                        ; =>  This Inner Loop Header: Depth=2
	s_delay_alu instid0(VALU_DEP_1)
	v_cmp_gt_u32_e32 vcc_lo, s7, v2
	v_mov_b32_e32 v14, 0
	s_and_saveexec_b32 s26, vcc_lo
	s_cbranch_execz .LBB90_207
; %bb.206:                              ;   in Loop: Header=BB90_205 Depth=2
	ds_load_b32 v14, v1
.LBB90_207:                             ;   in Loop: Header=BB90_205 Depth=2
	s_or_b32 exec_lo, exec_lo, s26
	s_and_saveexec_b32 s26, vcc_lo
	s_cbranch_execz .LBB90_204
; %bb.208:                              ;   in Loop: Header=BB90_205 Depth=2
	s_waitcnt lgkmcnt(0)
	v_xor_b32_e32 v3, 0x80000000, v14
	s_delay_alu instid0(VALU_DEP_1) | instskip(NEXT) | instid1(VALU_DEP_1)
	v_and_b32_e32 v3, s80, v3
	v_cmp_eq_u32_e32 vcc_lo, s79, v3
	s_and_b32 exec_lo, exec_lo, vcc_lo
	s_cbranch_execz .LBB90_204
; %bb.209:                              ;   in Loop: Header=BB90_205 Depth=2
	ds_store_b64 v7, v[13:14] offset:3072
	s_branch .LBB90_204
.LBB90_210:                             ;   in Loop: Header=BB90_12 Depth=1
                                        ; implicit-def: $sgpr16
                                        ; implicit-def: $sgpr24
                                        ; implicit-def: $sgpr17
	s_branch .LBB90_224
.LBB90_211:                             ;   in Loop: Header=BB90_12 Depth=1
	s_mov_b32 s16, -1
	s_mov_b32 s25, 0
                                        ; implicit-def: $sgpr17
                                        ; implicit-def: $vgpr15
	s_mov_b32 s24, s16
	s_cbranch_execnz .LBB90_214
	s_branch .LBB90_224
.LBB90_212:                             ;   in Loop: Header=BB90_12 Depth=1
	s_set_inst_prefetch_distance 0x2
	s_or_b32 exec_lo, exec_lo, s24
	s_delay_alu instid0(SALU_CYCLE_1)
	s_and_b32 s25, s25, exec_lo
.LBB90_213:                             ;   in Loop: Header=BB90_12 Depth=1
	s_or_b32 exec_lo, exec_lo, s16
	s_mov_b32 s17, -1
	s_mov_b32 s16, 0
	s_delay_alu instid0(SALU_CYCLE_1)
	s_mov_b32 s24, s16
	s_branch .LBB90_224
.LBB90_214:                             ;   in Loop: Header=BB90_12 Depth=1
	s_mov_b32 s25, 0
                                        ; implicit-def: $vgpr15
	s_and_saveexec_b32 s16, s6
	s_cbranch_execz .LBB90_223
; %bb.215:                              ;   in Loop: Header=BB90_12 Depth=1
	v_dual_mov_b32 v6, v5 :: v_dual_mov_b32 v1, v0
	s_mov_b32 s17, 0
                                        ; implicit-def: $sgpr24
	s_set_inst_prefetch_distance 0x1
	s_branch .LBB90_217
	.p2align	6
.LBB90_216:                             ;   in Loop: Header=BB90_217 Depth=2
	s_or_b32 exec_lo, exec_lo, s7
	s_waitcnt vmcnt(0) lgkmcnt(0)
	s_barrier
	buffer_gl0_inv
	ds_load_b64 v[14:15], v7 offset:3072
	v_add_nc_u32_e32 v1, s53, v1
	v_add_nc_u32_e32 v6, s56, v6
	s_waitcnt lgkmcnt(0)
	s_barrier
	buffer_gl0_inv
	v_cmp_le_u32_e32 vcc_lo, s68, v1
	v_readfirstlane_b32 s7, v14
	s_delay_alu instid0(VALU_DEP_1) | instskip(SKIP_1) | instid1(SALU_CYCLE_1)
	s_cmp_lg_u32 s7, 0
	s_cselect_b32 s7, -1, 0
	s_or_b32 s25, vcc_lo, s7
	s_delay_alu instid0(SALU_CYCLE_1) | instskip(NEXT) | instid1(SALU_CYCLE_1)
	s_and_b32 s25, exec_lo, s25
	s_or_b32 s17, s25, s17
	s_and_not1_b32 s24, s24, exec_lo
	s_and_b32 s7, s7, exec_lo
	s_delay_alu instid0(SALU_CYCLE_1)
	s_or_b32 s24, s24, s7
	s_and_not1_b32 exec_lo, exec_lo, s17
	s_cbranch_execz .LBB90_222
.LBB90_217:                             ;   Parent Loop BB90_12 Depth=1
                                        ; =>  This Inner Loop Header: Depth=2
	s_delay_alu instid0(VALU_DEP_1)
	v_cmp_gt_u32_e32 vcc_lo, s28, v1
	v_mov_b32_e32 v14, 0
	s_and_saveexec_b32 s25, vcc_lo
	s_cbranch_execz .LBB90_219
; %bb.218:                              ;   in Loop: Header=BB90_217 Depth=2
	v_lshlrev_b64 v[2:3], 2, v[6:7]
	s_delay_alu instid0(VALU_DEP_1) | instskip(NEXT) | instid1(VALU_DEP_1)
	v_add_co_u32 v2, s7, s39, v2
	v_add_co_ci_u32_e64 v3, s7, s43, v3, s7
	global_load_b32 v14, v[2:3], off
.LBB90_219:                             ;   in Loop: Header=BB90_217 Depth=2
	s_or_b32 exec_lo, exec_lo, s25
	s_and_saveexec_b32 s7, vcc_lo
	s_cbranch_execz .LBB90_216
; %bb.220:                              ;   in Loop: Header=BB90_217 Depth=2
	s_waitcnt vmcnt(0)
	v_xor_b32_e32 v2, 0x80000000, v14
	s_delay_alu instid0(VALU_DEP_1) | instskip(NEXT) | instid1(VALU_DEP_1)
	v_and_b32_e32 v2, s80, v2
	v_cmp_eq_u32_e32 vcc_lo, s79, v2
	s_and_b32 exec_lo, exec_lo, vcc_lo
	s_cbranch_execz .LBB90_216
; %bb.221:                              ;   in Loop: Header=BB90_217 Depth=2
	ds_store_b64 v7, v[13:14] offset:3072
	s_branch .LBB90_216
.LBB90_222:                             ;   in Loop: Header=BB90_12 Depth=1
	s_set_inst_prefetch_distance 0x2
	s_or_b32 exec_lo, exec_lo, s17
	s_delay_alu instid0(SALU_CYCLE_1)
	s_and_b32 s25, s24, exec_lo
.LBB90_223:                             ;   in Loop: Header=BB90_12 Depth=1
	s_or_b32 exec_lo, exec_lo, s16
	s_mov_b32 s24, -1
	s_mov_b32 s16, 0
	s_mov_b32 s17, 0
.LBB90_224:                             ;   in Loop: Header=BB90_12 Depth=1
	s_mov_b32 s81, 0
                                        ; implicit-def: $sgpr7
	s_and_saveexec_b32 s26, s25
	s_cbranch_execz .LBB90_238
; %bb.225:                              ;   in Loop: Header=BB90_12 Depth=1
	s_xor_b32 s7, s14, -1
	s_delay_alu instid0(SALU_CYCLE_1)
	s_and_not1_b32 vcc_lo, exec_lo, s7
	s_mov_b32 s7, 1
	s_cbranch_vccnz .LBB90_232
; %bb.226:                              ;   in Loop: Header=BB90_12 Depth=1
	s_cmp_gt_u32 s23, s8
	s_cbranch_scc1 .LBB90_233
; %bb.227:                              ;   in Loop: Header=BB90_12 Depth=1
	ds_load_b32 v1, v7 offset:4104
	s_waitcnt lgkmcnt(0)
	v_cmp_ne_u32_e32 vcc_lo, 0, v1
	s_cbranch_vccnz .LBB90_231
; %bb.228:                              ;   in Loop: Header=BB90_12 Depth=1
	s_and_saveexec_b32 s7, s2
	s_cbranch_execz .LBB90_230
; %bb.229:                              ;   in Loop: Header=BB90_12 Depth=1
	v_mov_b32_e32 v1, s8
	ds_store_b32 v7, v1 offset:4108
.LBB90_230:                             ;   in Loop: Header=BB90_12 Depth=1
	s_or_b32 exec_lo, exec_lo, s7
	s_waitcnt lgkmcnt(0)
	s_barrier
	buffer_gl0_inv
.LBB90_231:                             ;   in Loop: Header=BB90_12 Depth=1
	s_or_b32 s14, s79, s9
	s_or_b32 s9, s80, s9
	s_mov_b32 s25, 0
	s_mov_b32 s7, 8
	s_branch .LBB90_234
.LBB90_232:                             ;   in Loop: Header=BB90_12 Depth=1
	s_mov_b32 s23, 1
	s_branch .LBB90_237
.LBB90_233:                             ;   in Loop: Header=BB90_12 Depth=1
	s_mov_b32 s25, -1
                                        ; implicit-def: $sgpr7
                                        ; implicit-def: $sgpr14
                                        ; implicit-def: $sgpr9
.LBB90_234:                             ;   in Loop: Header=BB90_12 Depth=1
	s_delay_alu instid0(SALU_CYCLE_1)
	s_and_not1_b32 vcc_lo, exec_lo, s25
	s_cbranch_vccnz .LBB90_236
; %bb.235:                              ;   in Loop: Header=BB90_12 Depth=1
	s_sub_i32 s23, s23, s8
	s_mov_b32 s7, 8
	s_mov_b32 s14, s79
	;; [unrolled: 1-line block ×3, first 2 shown]
.LBB90_236:                             ;   in Loop: Header=BB90_12 Depth=1
	s_mov_b32 s79, s14
	s_mov_b32 s80, s9
.LBB90_237:                             ;   in Loop: Header=BB90_12 Depth=1
	s_mov_b32 s81, exec_lo
.LBB90_238:                             ;   in Loop: Header=BB90_12 Depth=1
	s_or_b32 exec_lo, exec_lo, s26
.LBB90_239:                             ;   in Loop: Header=BB90_12 Depth=1
	s_delay_alu instid0(SALU_CYCLE_1)
	s_and_not1_b32 s8, s19, exec_lo
	s_and_b32 s9, s16, exec_lo
	s_and_not1_b32 s14, s20, exec_lo
	s_or_b32 s19, s8, s9
	s_and_not1_b32 s8, s21, exec_lo
	s_and_b32 s9, s24, exec_lo
	s_and_b32 s16, s17, exec_lo
	s_or_b32 s21, s8, s9
	s_or_b32 s20, s14, s16
	s_and_b32 s26, s81, exec_lo
	s_mov_b32 s24, s23
.LBB90_240:                             ;   in Loop: Header=BB90_12 Depth=1
	s_or_b32 exec_lo, exec_lo, s22
.LBB90_241:                             ;   in Loop: Header=BB90_12 Depth=1
	s_delay_alu instid0(SALU_CYCLE_1)
	s_and_not1_b32 s8, s13, exec_lo
	s_and_b32 s9, s19, exec_lo
	s_and_not1_b32 s12, s12, exec_lo
	s_or_b32 s13, s8, s9
	s_and_not1_b32 s8, s15, exec_lo
	s_and_b32 s9, s21, exec_lo
	s_and_b32 s14, s20, exec_lo
	s_or_b32 s15, s8, s9
	s_or_b32 s12, s12, s14
	s_and_b32 s23, s26, exec_lo
	s_mov_b32 s20, s24
.LBB90_242:                             ;   in Loop: Header=BB90_12 Depth=1
	s_or_b32 exec_lo, exec_lo, s18
                                        ; implicit-def: $sgpr81
	s_and_saveexec_b32 s8, s23
	s_delay_alu instid0(SALU_CYCLE_1)
	s_xor_b32 s8, exec_lo, s8
	s_cbranch_execz .LBB90_10
.LBB90_243:                             ;   in Loop: Header=BB90_12 Depth=1
	s_and_b32 s7, s7, -9
	s_delay_alu instid0(SALU_CYCLE_1)
	s_cmp_eq_u32 s7, 0
	s_cbranch_scc1 .LBB90_8
; %bb.244:                              ;   in Loop: Header=BB90_12 Depth=1
	s_mov_b32 s7, -1
	s_mov_b32 s9, -1
                                        ; implicit-def: $sgpr80
                                        ; implicit-def: $sgpr20
                                        ; implicit-def: $sgpr74
                                        ; implicit-def: $sgpr77
	s_branch .LBB90_9
.LBB90_245:
	s_or_b32 exec_lo, exec_lo, s27
	s_xor_b32 s4, s73, -1
	s_xor_b32 s1, s71, -1
	;; [unrolled: 1-line block ×3, first 2 shown]
	s_mov_b32 s2, 0
	s_and_saveexec_b32 s5, s1
	s_delay_alu instid0(SALU_CYCLE_1)
	s_xor_b32 s1, exec_lo, s5
	s_cbranch_execz .LBB90_259
; %bb.246:
	s_and_saveexec_b32 s2, s4
	s_delay_alu instid0(SALU_CYCLE_1)
	s_xor_b32 s4, exec_lo, s2
	s_cbranch_execz .LBB90_257
; %bb.247:
	s_and_saveexec_b32 s2, s3
	s_delay_alu instid0(SALU_CYCLE_1)
	s_xor_b32 s2, exec_lo, s2
; %bb.248:
	v_xor_b32_e32 v15, 0x80000000, v1
; %bb.249:
	s_or_b32 exec_lo, exec_lo, s2
	s_mul_i32 s3, s54, s44
	s_mul_i32 s2, s52, s45
	s_sub_i32 s3, s52, s3
	s_sub_i32 s2, s33, s2
	s_add_i32 s5, s54, 1
	s_sub_i32 s6, s3, s44
	s_cmp_ge_u32 s3, s44
	s_mul_i32 s2, s2, s42
	s_cselect_b32 s5, s5, s54
	s_cselect_b32 s3, s6, s3
	s_add_i32 s6, s5, 1
	s_cmp_ge_u32 s3, s44
	v_mov_b32_e32 v6, 0
	s_cselect_b32 s3, s6, s5
	s_delay_alu instid0(SALU_CYCLE_1) | instskip(SKIP_4) | instid1(SALU_CYCLE_1)
	s_mul_i32 s5, s3, s44
	s_mul_i32 s6, s3, s40
	s_sub_i32 s5, s52, s5
	s_mov_b32 s3, 0
	s_mul_i32 s5, s5, s41
	s_add_i32 s2, s5, s2
	s_delay_alu instid0(SALU_CYCLE_1) | instskip(NEXT) | instid1(SALU_CYCLE_1)
	s_add_i32 s2, s2, s6
	s_lshl_b64 s[6:7], s[2:3], 2
	s_delay_alu instid0(SALU_CYCLE_1)
	s_add_u32 s6, s48, s6
	s_addc_u32 s7, s49, s7
	global_store_b32 v6, v15, s[6:7]
	s_and_saveexec_b32 s2, s0
	s_cbranch_execz .LBB90_256
; %bb.250:
                                        ; implicit-def: $sgpr0
                                        ; implicit-def: $sgpr6
                                        ; implicit-def: $sgpr5
	s_set_inst_prefetch_distance 0x1
	s_branch .LBB90_252
	.p2align	6
.LBB90_251:                             ;   in Loop: Header=BB90_252 Depth=1
	s_or_b32 exec_lo, exec_lo, s7
	s_delay_alu instid0(SALU_CYCLE_1) | instskip(NEXT) | instid1(SALU_CYCLE_1)
	s_and_b32 s7, exec_lo, s6
	s_or_b32 s3, s7, s3
	s_and_not1_b32 s0, s0, exec_lo
	s_and_b32 s7, s5, exec_lo
	s_delay_alu instid0(SALU_CYCLE_1)
	s_or_b32 s0, s0, s7
	s_and_not1_b32 exec_lo, exec_lo, s3
	s_cbranch_execz .LBB90_254
.LBB90_252:                             ; =>This Inner Loop Header: Depth=1
	v_lshlrev_b64 v[1:2], 2, v[5:6]
	s_or_b32 s5, s5, exec_lo
	s_or_b32 s6, s6, exec_lo
	s_mov_b32 s7, exec_lo
	s_delay_alu instid0(VALU_DEP_1) | instskip(NEXT) | instid1(VALU_DEP_2)
	v_add_co_u32 v1, vcc_lo, s39, v1
	v_add_co_ci_u32_e32 v2, vcc_lo, s43, v2, vcc_lo
	global_load_b32 v2, v[1:2], off
	v_mov_b32_e32 v1, v0
                                        ; implicit-def: $vgpr0
	s_waitcnt vmcnt(0)
	v_cmpx_ne_u32_e64 v2, v15
	s_cbranch_execz .LBB90_251
; %bb.253:                              ;   in Loop: Header=BB90_252 Depth=1
	s_delay_alu instid0(VALU_DEP_2) | instskip(SKIP_3) | instid1(VALU_DEP_2)
	v_add_nc_u32_e32 v0, s53, v1
	s_and_not1_b32 s6, s6, exec_lo
	v_add_nc_u32_e32 v5, s56, v5
	s_and_not1_b32 s5, s5, exec_lo
	v_cmp_le_u32_e32 vcc_lo, s28, v0
	s_and_b32 s8, vcc_lo, exec_lo
	s_delay_alu instid0(SALU_CYCLE_1)
	s_or_b32 s6, s6, s8
	s_branch .LBB90_251
.LBB90_254:
	s_set_inst_prefetch_distance 0x2
	s_or_b32 exec_lo, exec_lo, s3
	s_and_saveexec_b32 s3, s0
	s_delay_alu instid0(SALU_CYCLE_1)
	s_xor_b32 s3, exec_lo, s3
	s_cbranch_execz .LBB90_256
; %bb.255:
	s_mul_i32 s3, s31, s34
	s_mul_i32 s0, s29, s35
	s_sub_i32 s3, s29, s3
	s_sub_i32 s0, s33, s0
	s_add_i32 s5, s31, 1
	s_sub_i32 s6, s3, s34
	s_cmp_ge_u32 s3, s34
	s_mul_i32 s0, s0, s38
	s_cselect_b32 s5, s5, s31
	s_cselect_b32 s3, s6, s3
	s_add_i32 s6, s5, 1
	s_cmp_ge_u32 s3, s34
	s_mov_b32 s7, 0
	s_cselect_b32 s3, s6, s5
	v_mov_b32_e32 v2, 0
	s_mul_i32 s5, s3, s34
	s_mul_i32 s3, s3, s36
	s_sub_i32 s5, s29, s5
	s_delay_alu instid0(SALU_CYCLE_1) | instskip(NEXT) | instid1(SALU_CYCLE_1)
	s_mul_i32 s5, s5, s37
	s_add_i32 s0, s5, s0
	s_delay_alu instid0(SALU_CYCLE_1) | instskip(NEXT) | instid1(SALU_CYCLE_1)
	s_add_i32 s6, s0, s3
	s_lshl_b64 s[6:7], s[6:7], 3
	s_delay_alu instid0(SALU_CYCLE_1)
	s_add_u32 s6, s46, s6
	s_addc_u32 s7, s47, s7
	global_store_b64 v2, v[1:2], s[6:7]
.LBB90_256:
	s_or_b32 exec_lo, exec_lo, s2
.LBB90_257:
	s_or_saveexec_b32 s0, s4
	s_mov_b32 s2, 0
	s_xor_b32 exec_lo, exec_lo, s0
	s_cbranch_execnz .LBB90_265
.LBB90_258:
	s_or_b32 exec_lo, exec_lo, s0
	s_delay_alu instid0(SALU_CYCLE_1)
	s_and_b32 s2, s2, exec_lo
.LBB90_259:
	s_and_not1_saveexec_b32 s0, s1
	s_cbranch_execnz .LBB90_263
; %bb.260:
	s_or_b32 exec_lo, exec_lo, s0
	s_and_saveexec_b32 s0, s2
.LBB90_261:
	; divergent unreachable
.LBB90_262:
	s_nop 0
	s_sendmsg sendmsg(MSG_DEALLOC_VGPRS)
	s_endpgm
.LBB90_263:
	s_cbranch_execnz .LBB90_267
; %bb.264:
	s_or_b32 s2, s2, exec_lo
	s_or_b32 exec_lo, exec_lo, s0
	s_and_saveexec_b32 s0, s2
	s_cbranch_execnz .LBB90_261
	s_branch .LBB90_262
.LBB90_265:
	s_cbranch_execnz .LBB90_269
; %bb.266:
	s_mov_b32 s2, exec_lo
	s_branch .LBB90_258
.LBB90_267:
	s_trap 2
	s_sendmsg_rtn_b32 s0, sendmsg(MSG_RTN_GET_DOORBELL)
	s_mov_b32 ttmp2, m0
	s_waitcnt lgkmcnt(0)
	s_and_b32 s0, s0, 0x3ff
	s_delay_alu instid0(SALU_CYCLE_1) | instskip(NEXT) | instid1(SALU_CYCLE_1)
	s_bitset1_b32 s0, 10
	s_mov_b32 m0, s0
	s_sendmsg sendmsg(MSG_INTERRUPT)
	s_mov_b32 m0, ttmp2
.LBB90_268:                             ; =>This Inner Loop Header: Depth=1
	s_sethalt 5
	s_branch .LBB90_268
.LBB90_269:
	s_trap 2
	s_sendmsg_rtn_b32 s0, sendmsg(MSG_RTN_GET_DOORBELL)
	s_mov_b32 ttmp2, m0
	s_waitcnt lgkmcnt(0)
	s_and_b32 s0, s0, 0x3ff
	s_delay_alu instid0(SALU_CYCLE_1) | instskip(NEXT) | instid1(SALU_CYCLE_1)
	s_bitset1_b32 s0, 10
	s_mov_b32 m0, s0
	s_sendmsg sendmsg(MSG_INTERRUPT)
	s_mov_b32 m0, ttmp2
.LBB90_270:                             ; =>This Inner Loop Header: Depth=1
	s_sethalt 5
	s_branch .LBB90_270
	.section	.rodata,"a",@progbits
	.p2align	6, 0x0
	.amdhsa_kernel _ZN2at6native12_GLOBAL__N_112gatherMedianIijLi3EEEvNS_4cuda6detail10TensorInfoIT_T0_EENS5_IlS7_EENS5_IKS6_S7_EES7_S7_S7_b
		.amdhsa_group_segment_fixed_size 4120
		.amdhsa_private_segment_fixed_size 0
		.amdhsa_kernarg_size 920
		.amdhsa_user_sgpr_count 13
		.amdhsa_user_sgpr_dispatch_ptr 0
		.amdhsa_user_sgpr_queue_ptr 0
		.amdhsa_user_sgpr_kernarg_segment_ptr 1
		.amdhsa_user_sgpr_dispatch_id 0
		.amdhsa_user_sgpr_private_segment_size 0
		.amdhsa_wavefront_size32 1
		.amdhsa_uses_dynamic_stack 0
		.amdhsa_enable_private_segment 0
		.amdhsa_system_sgpr_workgroup_id_x 1
		.amdhsa_system_sgpr_workgroup_id_y 1
		.amdhsa_system_sgpr_workgroup_id_z 1
		.amdhsa_system_sgpr_workgroup_info 0
		.amdhsa_system_vgpr_workitem_id 0
		.amdhsa_next_free_vgpr 40
		.amdhsa_next_free_sgpr 91
		.amdhsa_reserve_vcc 1
		.amdhsa_float_round_mode_32 0
		.amdhsa_float_round_mode_16_64 0
		.amdhsa_float_denorm_mode_32 3
		.amdhsa_float_denorm_mode_16_64 3
		.amdhsa_dx10_clamp 1
		.amdhsa_ieee_mode 1
		.amdhsa_fp16_overflow 0
		.amdhsa_workgroup_processor_mode 1
		.amdhsa_memory_ordered 1
		.amdhsa_forward_progress 0
		.amdhsa_shared_vgpr_count 0
		.amdhsa_exception_fp_ieee_invalid_op 0
		.amdhsa_exception_fp_denorm_src 0
		.amdhsa_exception_fp_ieee_div_zero 0
		.amdhsa_exception_fp_ieee_overflow 0
		.amdhsa_exception_fp_ieee_underflow 0
		.amdhsa_exception_fp_ieee_inexact 0
		.amdhsa_exception_int_div_zero 0
	.end_amdhsa_kernel
	.section	.text._ZN2at6native12_GLOBAL__N_112gatherMedianIijLi3EEEvNS_4cuda6detail10TensorInfoIT_T0_EENS5_IlS7_EENS5_IKS6_S7_EES7_S7_S7_b,"axG",@progbits,_ZN2at6native12_GLOBAL__N_112gatherMedianIijLi3EEEvNS_4cuda6detail10TensorInfoIT_T0_EENS5_IlS7_EENS5_IKS6_S7_EES7_S7_S7_b,comdat
.Lfunc_end90:
	.size	_ZN2at6native12_GLOBAL__N_112gatherMedianIijLi3EEEvNS_4cuda6detail10TensorInfoIT_T0_EENS5_IlS7_EENS5_IKS6_S7_EES7_S7_S7_b, .Lfunc_end90-_ZN2at6native12_GLOBAL__N_112gatherMedianIijLi3EEEvNS_4cuda6detail10TensorInfoIT_T0_EENS5_IlS7_EENS5_IKS6_S7_EES7_S7_S7_b
                                        ; -- End function
	.section	.AMDGPU.csdata,"",@progbits
; Kernel info:
; codeLenInByte = 10136
; NumSgprs: 93
; NumVgprs: 40
; ScratchSize: 0
; MemoryBound: 0
; FloatMode: 240
; IeeeMode: 1
; LDSByteSize: 4120 bytes/workgroup (compile time only)
; SGPRBlocks: 11
; VGPRBlocks: 4
; NumSGPRsForWavesPerEU: 93
; NumVGPRsForWavesPerEU: 40
; Occupancy: 16
; WaveLimiterHint : 1
; COMPUTE_PGM_RSRC2:SCRATCH_EN: 0
; COMPUTE_PGM_RSRC2:USER_SGPR: 13
; COMPUTE_PGM_RSRC2:TRAP_HANDLER: 0
; COMPUTE_PGM_RSRC2:TGID_X_EN: 1
; COMPUTE_PGM_RSRC2:TGID_Y_EN: 1
; COMPUTE_PGM_RSRC2:TGID_Z_EN: 1
; COMPUTE_PGM_RSRC2:TIDIG_COMP_CNT: 0
	.section	.text._ZN2at6native12_GLOBAL__N_112gatherMedianIijLin1EEEvNS_4cuda6detail10TensorInfoIT_T0_EENS5_IlS7_EENS5_IKS6_S7_EES7_S7_S7_b,"axG",@progbits,_ZN2at6native12_GLOBAL__N_112gatherMedianIijLin1EEEvNS_4cuda6detail10TensorInfoIT_T0_EENS5_IlS7_EENS5_IKS6_S7_EES7_S7_S7_b,comdat
	.globl	_ZN2at6native12_GLOBAL__N_112gatherMedianIijLin1EEEvNS_4cuda6detail10TensorInfoIT_T0_EENS5_IlS7_EENS5_IKS6_S7_EES7_S7_S7_b ; -- Begin function _ZN2at6native12_GLOBAL__N_112gatherMedianIijLin1EEEvNS_4cuda6detail10TensorInfoIT_T0_EENS5_IlS7_EENS5_IKS6_S7_EES7_S7_S7_b
	.p2align	8
	.type	_ZN2at6native12_GLOBAL__N_112gatherMedianIijLin1EEEvNS_4cuda6detail10TensorInfoIT_T0_EENS5_IlS7_EENS5_IKS6_S7_EES7_S7_S7_b,@function
_ZN2at6native12_GLOBAL__N_112gatherMedianIijLin1EEEvNS_4cuda6detail10TensorInfoIT_T0_EENS5_IlS7_EENS5_IKS6_S7_EES7_S7_S7_b: ; @_ZN2at6native12_GLOBAL__N_112gatherMedianIijLin1EEEvNS_4cuda6detail10TensorInfoIT_T0_EENS5_IlS7_EENS5_IKS6_S7_EES7_S7_S7_b
; %bb.0:
	s_clause 0x1
	s_load_b64 s[6:7], s[0:1], 0x298
	s_load_b128 s[28:31], s[0:1], 0x288
	s_add_u32 s4, s0, 0x298
	s_addc_u32 s5, s1, 0
	s_waitcnt lgkmcnt(0)
	s_mul_i32 s2, s7, s15
	s_delay_alu instid0(SALU_CYCLE_1) | instskip(NEXT) | instid1(SALU_CYCLE_1)
	s_add_i32 s2, s2, s14
	s_mul_i32 s2, s2, s6
	s_delay_alu instid0(SALU_CYCLE_1) | instskip(NEXT) | instid1(SALU_CYCLE_1)
	s_add_i32 s7, s2, s13
	s_cmp_ge_u32 s7, s29
	s_cbranch_scc1 .LBB91_271
; %bb.1:
	s_load_b32 s2, s[0:1], 0xd0
	s_mov_b32 s27, 0
	s_mov_b32 s29, s7
	s_waitcnt lgkmcnt(0)
	s_cmp_lt_i32 s2, 2
	s_cbranch_scc1 .LBB91_4
; %bb.2:
	s_add_i32 s26, s2, -1
	s_add_i32 s8, s2, 1
	s_lshl_b64 s[10:11], s[26:27], 2
	s_mov_b32 s29, s7
	s_add_u32 s2, s10, s0
	s_addc_u32 s3, s11, s1
	s_add_u32 s2, s2, 8
	s_addc_u32 s3, s3, 0
	s_set_inst_prefetch_distance 0x1
	.p2align	6
.LBB91_3:                               ; =>This Inner Loop Header: Depth=1
	s_clause 0x1
	s_load_b32 s9, s[2:3], 0x0
	s_load_b32 s10, s[2:3], 0x64
	s_mov_b32 s14, s29
	s_waitcnt lgkmcnt(0)
	v_cvt_f32_u32_e32 v1, s9
	s_sub_i32 s12, 0, s9
	s_waitcnt_depctr 0xfff
	v_rcp_iflag_f32_e32 v1, v1
	s_waitcnt_depctr 0xfff
	v_mul_f32_e32 v1, 0x4f7ffffe, v1
	s_delay_alu instid0(VALU_DEP_1) | instskip(NEXT) | instid1(VALU_DEP_1)
	v_cvt_u32_f32_e32 v1, v1
	v_readfirstlane_b32 s11, v1
	s_delay_alu instid0(VALU_DEP_1) | instskip(NEXT) | instid1(SALU_CYCLE_1)
	s_mul_i32 s12, s12, s11
	s_mul_hi_u32 s12, s11, s12
	s_delay_alu instid0(SALU_CYCLE_1) | instskip(NEXT) | instid1(SALU_CYCLE_1)
	s_add_i32 s11, s11, s12
	s_mul_hi_u32 s11, s29, s11
	s_delay_alu instid0(SALU_CYCLE_1) | instskip(SKIP_2) | instid1(SALU_CYCLE_1)
	s_mul_i32 s12, s11, s9
	s_add_i32 s15, s11, 1
	s_sub_i32 s12, s29, s12
	s_sub_i32 s16, s12, s9
	s_cmp_ge_u32 s12, s9
	s_cselect_b32 s11, s15, s11
	s_cselect_b32 s12, s16, s12
	s_add_i32 s15, s11, 1
	s_cmp_ge_u32 s12, s9
	s_cselect_b32 s29, s15, s11
	s_add_i32 s8, s8, -1
	s_mul_i32 s9, s29, s9
	s_delay_alu instid0(SALU_CYCLE_1) | instskip(NEXT) | instid1(SALU_CYCLE_1)
	s_sub_i32 s9, s14, s9
	s_mul_i32 s9, s10, s9
	s_delay_alu instid0(SALU_CYCLE_1)
	s_add_i32 s27, s9, s27
	s_add_u32 s2, s2, -4
	s_addc_u32 s3, s3, -1
	s_cmp_gt_u32 s8, 2
	s_cbranch_scc1 .LBB91_3
.LBB91_4:
	s_set_inst_prefetch_distance 0x2
	s_load_b32 s8, s[0:1], 0x1a8
	s_add_u32 s2, s0, 0xd8
	s_addc_u32 s3, s1, 0
	s_mov_b32 s35, 0
	s_mov_b32 s33, s7
	s_waitcnt lgkmcnt(0)
	s_cmp_lt_i32 s8, 2
	s_cbranch_scc1 .LBB91_7
; %bb.5:
	s_add_i32 s34, s8, -1
	s_add_i32 s10, s8, 1
	s_lshl_b64 s[14:15], s[34:35], 2
	s_mov_b32 s33, s7
	s_add_u32 s8, s14, s2
	s_addc_u32 s9, s15, s3
	s_add_u32 s8, s8, 8
	s_addc_u32 s9, s9, 0
	s_set_inst_prefetch_distance 0x1
	.p2align	6
.LBB91_6:                               ; =>This Inner Loop Header: Depth=1
	s_clause 0x1
	s_load_b32 s11, s[8:9], 0x0
	s_load_b32 s12, s[8:9], 0x64
	s_mov_b32 s16, s33
	s_waitcnt lgkmcnt(0)
	v_cvt_f32_u32_e32 v1, s11
	s_sub_i32 s15, 0, s11
	s_waitcnt_depctr 0xfff
	v_rcp_iflag_f32_e32 v1, v1
	s_waitcnt_depctr 0xfff
	v_mul_f32_e32 v1, 0x4f7ffffe, v1
	s_delay_alu instid0(VALU_DEP_1) | instskip(NEXT) | instid1(VALU_DEP_1)
	v_cvt_u32_f32_e32 v1, v1
	v_readfirstlane_b32 s14, v1
	s_delay_alu instid0(VALU_DEP_1) | instskip(NEXT) | instid1(SALU_CYCLE_1)
	s_mul_i32 s15, s15, s14
	s_mul_hi_u32 s15, s14, s15
	s_delay_alu instid0(SALU_CYCLE_1) | instskip(NEXT) | instid1(SALU_CYCLE_1)
	s_add_i32 s14, s14, s15
	s_mul_hi_u32 s14, s33, s14
	s_delay_alu instid0(SALU_CYCLE_1) | instskip(SKIP_2) | instid1(SALU_CYCLE_1)
	s_mul_i32 s15, s14, s11
	s_add_i32 s17, s14, 1
	s_sub_i32 s15, s33, s15
	s_sub_i32 s18, s15, s11
	s_cmp_ge_u32 s15, s11
	s_cselect_b32 s14, s17, s14
	s_cselect_b32 s15, s18, s15
	s_add_i32 s17, s14, 1
	s_cmp_ge_u32 s15, s11
	s_cselect_b32 s33, s17, s14
	s_add_i32 s10, s10, -1
	s_mul_i32 s11, s33, s11
	s_delay_alu instid0(SALU_CYCLE_1) | instskip(NEXT) | instid1(SALU_CYCLE_1)
	s_sub_i32 s11, s16, s11
	s_mul_i32 s11, s12, s11
	s_delay_alu instid0(SALU_CYCLE_1)
	s_add_i32 s35, s11, s35
	s_add_u32 s8, s8, -4
	s_addc_u32 s9, s9, -1
	s_cmp_gt_u32 s10, 2
	s_cbranch_scc1 .LBB91_6
.LBB91_7:
	s_set_inst_prefetch_distance 0x2
	s_clause 0x1
	s_load_b32 s34, s[0:1], 0x6c
	s_load_b32 s10, s[0:1], 0x280
	s_add_u32 s11, s0, 0x1b0
	s_addc_u32 s12, s1, 0
	s_mov_b32 s9, 0
	s_waitcnt lgkmcnt(0)
	s_cmp_lt_i32 s10, 2
	s_cbranch_scc1 .LBB91_10
; %bb.8:
	s_add_i32 s8, s10, -1
	s_delay_alu instid0(SALU_CYCLE_1)
	s_lshl_b64 s[14:15], s[8:9], 2
	s_add_i32 s8, s10, 1
	s_add_u32 s10, s14, s11
	s_addc_u32 s11, s15, s12
	s_add_u32 s10, s10, 8
	s_addc_u32 s11, s11, 0
	s_set_inst_prefetch_distance 0x1
	.p2align	6
.LBB91_9:                               ; =>This Inner Loop Header: Depth=1
	s_clause 0x1
	s_load_b32 s12, s[10:11], 0x0
	s_load_b32 s14, s[10:11], 0x64
	s_mov_b32 s17, s7
	s_waitcnt lgkmcnt(0)
	v_cvt_f32_u32_e32 v1, s12
	s_sub_i32 s16, 0, s12
	s_waitcnt_depctr 0xfff
	v_rcp_iflag_f32_e32 v1, v1
	s_waitcnt_depctr 0xfff
	v_mul_f32_e32 v1, 0x4f7ffffe, v1
	s_delay_alu instid0(VALU_DEP_1) | instskip(NEXT) | instid1(VALU_DEP_1)
	v_cvt_u32_f32_e32 v1, v1
	v_readfirstlane_b32 s15, v1
	s_delay_alu instid0(VALU_DEP_1) | instskip(NEXT) | instid1(SALU_CYCLE_1)
	s_mul_i32 s16, s16, s15
	s_mul_hi_u32 s16, s15, s16
	s_delay_alu instid0(SALU_CYCLE_1) | instskip(NEXT) | instid1(SALU_CYCLE_1)
	s_add_i32 s15, s15, s16
	s_mul_hi_u32 s7, s7, s15
	s_delay_alu instid0(SALU_CYCLE_1) | instskip(SKIP_2) | instid1(SALU_CYCLE_1)
	s_mul_i32 s15, s7, s12
	s_add_i32 s16, s7, 1
	s_sub_i32 s15, s17, s15
	s_sub_i32 s18, s15, s12
	s_cmp_ge_u32 s15, s12
	s_cselect_b32 s7, s16, s7
	s_cselect_b32 s15, s18, s15
	s_add_i32 s16, s7, 1
	s_cmp_ge_u32 s15, s12
	s_cselect_b32 s7, s16, s7
	s_add_i32 s8, s8, -1
	s_mul_i32 s12, s7, s12
	s_delay_alu instid0(SALU_CYCLE_1) | instskip(NEXT) | instid1(SALU_CYCLE_1)
	s_sub_i32 s12, s17, s12
	s_mul_i32 s12, s14, s12
	s_delay_alu instid0(SALU_CYCLE_1)
	s_add_i32 s9, s12, s9
	s_add_u32 s10, s10, -4
	s_addc_u32 s11, s11, -1
	s_cmp_gt_u32 s8, 2
	s_cbranch_scc1 .LBB91_9
.LBB91_10:
	s_set_inst_prefetch_distance 0x2
	s_load_b32 s44, s[2:3], 0x6c
	v_cmp_eq_u32_e64 s2, 0, v0
	s_delay_alu instid0(VALU_DEP_1)
	s_and_saveexec_b32 s3, s2
	s_cbranch_execz .LBB91_12
; %bb.11:
	v_mov_b32_e32 v1, 0
	s_delay_alu instid0(VALU_DEP_1)
	v_mov_b32_e32 v2, v1
	ds_store_b64 v1, v[1:2] offset:4096
.LBB91_12:
	s_or_b32 exec_lo, exec_lo, s3
	v_mov_b32_e32 v1, 0
	s_waitcnt lgkmcnt(0)
	s_barrier
	buffer_gl0_inv
	s_barrier
	buffer_gl0_inv
	ds_load_b64 v[1:2], v1 offset:4096
	s_load_b64 s[10:11], s[0:1], 0x1b0
	s_bitcmp1_b32 s31, 0
	s_mov_b32 s72, s28
	s_cselect_b32 s3, -1, 0
	s_waitcnt lgkmcnt(0)
	v_cmp_gt_i64_e32 vcc_lo, 1, v[1:2]
	s_or_b32 s3, s3, vcc_lo
	s_delay_alu instid0(SALU_CYCLE_1)
	s_and_not1_b32 vcc_lo, exec_lo, s3
	s_cbranch_vccnz .LBB91_14
; %bb.13:
	v_not_b32_e32 v1, v1
	v_not_b32_e32 v2, v2
	s_delay_alu instid0(VALU_DEP_2) | instskip(NEXT) | instid1(VALU_DEP_2)
	v_add_co_u32 v1, vcc_lo, v1, s28
	v_add_co_ci_u32_e32 v2, vcc_lo, 0, v2, vcc_lo
	s_delay_alu instid0(VALU_DEP_1) | instskip(NEXT) | instid1(VALU_DEP_1)
	v_lshrrev_b32_e32 v3, 31, v2
	v_add_co_u32 v1, vcc_lo, v1, v3
	v_add_co_ci_u32_e32 v2, vcc_lo, 0, v2, vcc_lo
	s_delay_alu instid0(VALU_DEP_1) | instskip(NEXT) | instid1(VALU_DEP_1)
	v_alignbit_b32 v1, v2, v1, 1
	v_readfirstlane_b32 s3, v1
	s_delay_alu instid0(VALU_DEP_1)
	s_add_i32 s72, s3, 1
.LBB91_14:
	s_clause 0x2
	s_load_b64 s[38:39], s[0:1], 0x0
	s_load_b64 s[36:37], s[0:1], 0xd8
	s_load_b32 s0, s[0:1], 0x21c
	s_and_saveexec_b32 s1, s2
	s_cbranch_execz .LBB91_16
; %bb.15:
	v_dual_mov_b32 v1, 0 :: v_dual_mov_b32 v2, s28
	ds_store_b32 v1, v1 offset:4112
	ds_store_b64 v1, v[1:2] offset:4104
.LBB91_16:
	s_or_b32 exec_lo, exec_lo, s1
	s_waitcnt lgkmcnt(0)
	s_barrier
	buffer_gl0_inv
	s_load_b32 s1, s[4:5], 0xc
	s_mul_i32 s0, s0, s7
	s_mov_b32 s41, 0
	s_add_i32 s40, s0, s9
	v_mbcnt_lo_u32_b32 v16, -1, 0
	s_lshl_b64 s[8:9], s[40:41], 2
	v_cmp_gt_u32_e32 vcc_lo, 32, v0
	s_add_u32 s31, s10, s8
	s_addc_u32 s40, s11, s9
	v_cmp_gt_i32_e64 s0, 4, v16
	v_mul_lo_u32 v5, v0, s30
	v_lshlrev_b32_e32 v26, 4, v0
	v_lshl_or_b32 v27, v16, 2, 0xc00
	v_mov_b32_e32 v15, 0
	s_and_b32 s47, vcc_lo, s0
	v_cmp_gt_u32_e64 s0, s28, v0
	s_mov_b32 s65, 30
	s_mov_b32 s68, s41
	v_lshlrev_b32_e32 v24, 2, v5
	s_mov_b32 s70, s41
	s_waitcnt lgkmcnt(0)
	s_and_b32 s45, s1, 0xffff
	s_bfe_u32 s1, s1, 0xb0005
	s_lshl_b32 s46, s45, 2
	v_cvt_f32_u32_e32 v2, s45
	v_cvt_f32_u32_e32 v1, s46
	s_add_i32 s48, s45, -1
	s_mul_i32 s49, s30, s45
	s_add_i32 s7, s48, s28
	v_rcp_iflag_f32_e32 v2, v2
	v_rcp_iflag_f32_e32 v1, v1
	v_lshlrev_b32_e32 v17, 2, v0
	s_cmpk_gt_u32 s28, 0x300
	s_mov_b32 s71, s41
	s_cselect_b32 s50, -1, 0
	s_cmp_gt_u32 s45, 31
                                        ; implicit-def: $sgpr62
                                        ; implicit-def: $sgpr64
                                        ; implicit-def: $sgpr63
                                        ; implicit-def: $sgpr67
                                        ; implicit-def: $sgpr69
                                        ; implicit-def: $sgpr66
	s_cselect_b32 s51, -1, 0
	s_cmp_lt_u32 s13, s6
	s_waitcnt_depctr 0xfff
	v_dual_mul_f32 v2, 0x4f7ffffe, v2 :: v_dual_mov_b32 v7, 0
	v_add_nc_u32_e32 v18, 0xc00, v17
	v_mul_f32_e32 v1, 0x4f7ffffe, v1
	s_cselect_b32 s3, 12, 18
	s_delay_alu instid0(VALU_DEP_3)
	v_cvt_u32_f32_e32 v2, v2
	v_mov_b32_e32 v6, v7
	s_add_u32 s42, s4, s3
	v_cvt_u32_f32_e32 v1, v1
	s_addc_u32 s43, s5, 0
	s_add_i32 s3, s1, -1
	s_bfe_u32 s52, s45, 0x30005
	s_cmp_gt_u32 s3, 6
	v_readfirstlane_b32 s3, v1
	s_cselect_b32 s53, -1, 0
	s_and_b32 s54, s1, 0x7f8
	s_cmp_lg_u32 s52, 0
	v_lshrrev_b32_e32 v1, 3, v0
	s_cselect_b32 s55, -1, 0
	s_sub_i32 s4, 0, s46
	v_mad_u64_u32 v[12:13], null, s30, v17, s[30:31]
	s_mul_i32 s4, s4, s3
	v_and_b32_e32 v19, 0x7c, v1
	s_mul_hi_u32 s4, s3, s4
	v_cmp_gt_u32_e64 s1, 2, v0
	s_add_i32 s56, s3, s4
	v_cmp_eq_u32_e64 s3, 0, v16
	s_mul_hi_u32 s4, s28, s56
	v_mov_b32_e32 v13, 1
	s_mul_i32 s4, s4, s46
	s_delay_alu instid0(SALU_CYCLE_1) | instskip(NEXT) | instid1(SALU_CYCLE_1)
	s_sub_i32 s4, s28, s4
	s_sub_i32 s5, s4, s46
	s_cmp_ge_u32 s4, s46
	s_cselect_b32 s4, s5, s4
	v_readfirstlane_b32 s5, v2
	s_sub_i32 s6, s4, s46
	s_cmp_ge_u32 s4, s46
	v_lshlrev_b64 v[1:2], v16, -1
	s_cselect_b32 s8, s6, s4
	s_sub_i32 s4, 0, s45
	s_sub_i32 s57, s28, s8
	s_mul_i32 s4, s4, s5
	v_add_nc_u32_e32 v20, s57, v0
	v_lshlrev_b64 v[2:3], 2, v[5:6]
	s_mul_hi_u32 s4, s5, s4
	v_not_b32_e32 v21, v1
	s_add_i32 s58, s5, s4
	v_mul_lo_u32 v6, v20, s30
	s_mul_hi_u32 s4, s7, s58
	v_add_co_u32 v8, vcc_lo, s31, v2
	s_mul_i32 s4, s4, s45
	v_add_co_ci_u32_e32 v9, vcc_lo, s40, v3, vcc_lo
	s_sub_i32 s4, s7, s4
	s_delay_alu instid0(VALU_DEP_3) | instskip(SKIP_4) | instid1(VALU_DEP_2)
	v_lshlrev_b64 v[1:2], 2, v[6:7]
	v_add3_u32 v3, s45, s28, v0
	s_sub_i32 s5, s4, s45
	s_cmp_ge_u32 s4, s45
	s_cselect_b32 s5, s5, s4
	v_add_co_u32 v10, vcc_lo, s31, v1
	v_add_co_ci_u32_e32 v11, vcc_lo, s40, v2, vcc_lo
	v_or_b32_e32 v1, 2, v17
	v_or_b32_e32 v2, 3, v17
	v_subrev_nc_u32_e32 v3, s8, v3
	s_sub_i32 s6, s5, s45
	s_cmp_ge_u32 s5, s45
	v_mul_lo_u32 v22, s30, v1
	s_cselect_b32 s6, s6, s5
	v_mul_lo_u32 v23, s30, v2
	v_mul_lo_u32 v25, s30, v3
	s_sub_i32 s59, s7, s6
	v_cmp_gt_u32_e64 s4, s57, v17
	v_cmp_gt_u32_e64 s5, s28, v20
	;; [unrolled: 1-line block ×3, first 2 shown]
	s_lshl_b32 s60, s49, 2
	s_lshl_b32 s61, s45, 4
	s_branch .LBB91_21
.LBB91_17:                              ;   in Loop: Header=BB91_21 Depth=1
	s_xor_b32 s68, s68, 1
	s_add_i32 s11, s65, -2
	s_cmp_eq_u32 s65, 0
	s_mov_b32 s7, 0
	s_cselect_b32 s9, -1, 0
	s_mov_b32 s65, s11
.LBB91_18:                              ;   in Loop: Header=BB91_21 Depth=1
	s_and_not1_b32 s11, s13, exec_lo
	s_and_b32 s7, s7, exec_lo
	s_and_not1_b32 s15, s15, exec_lo
	s_or_b32 s13, s11, s7
	s_and_not1_b32 s12, s12, exec_lo
	s_or_not1_b32 s11, s9, exec_lo
	s_mov_b32 s72, s20
.LBB91_19:                              ;   in Loop: Header=BB91_21 Depth=1
	s_or_b32 exec_lo, exec_lo, s8
	s_delay_alu instid0(SALU_CYCLE_1)
	s_and_not1_b32 s7, s66, exec_lo
	s_and_b32 s8, s13, exec_lo
	s_and_not1_b32 s9, s67, exec_lo
	s_or_b32 s66, s7, s8
	s_and_not1_b32 s7, s69, exec_lo
	s_and_b32 s8, s15, exec_lo
	s_and_b32 s12, s12, exec_lo
	s_or_b32 s69, s7, s8
	s_or_b32 s67, s9, s12
	s_or_not1_b32 s12, s11, exec_lo
.LBB91_20:                              ;   in Loop: Header=BB91_21 Depth=1
	s_or_b32 exec_lo, exec_lo, s10
	s_delay_alu instid0(SALU_CYCLE_1)
	s_and_b32 s7, exec_lo, s12
	v_mov_b32_e32 v1, s70
	s_or_b32 s41, s7, s41
	s_and_not1_b32 s7, s63, exec_lo
	s_and_b32 s8, s66, exec_lo
	s_and_not1_b32 s9, s62, exec_lo
	s_or_b32 s63, s7, s8
	s_and_not1_b32 s7, s64, exec_lo
	s_and_b32 s8, s69, exec_lo
	s_and_b32 s10, s67, exec_lo
	s_or_b32 s64, s7, s8
	s_or_b32 s62, s9, s10
	s_and_not1_b32 exec_lo, exec_lo, s41
	s_cbranch_execz .LBB91_254
.LBB91_21:                              ; =>This Loop Header: Depth=1
                                        ;     Child Loop BB91_29 Depth 2
                                        ;     Child Loop BB91_44 Depth 2
	;; [unrolled: 1-line block ×16, first 2 shown]
	ds_load_b64 v[1:2], v7 offset:4104
	s_waitcnt lgkmcnt(0)
	v_readfirstlane_b32 s73, v1
	s_delay_alu instid0(VALU_DEP_1)
	s_cmp_lg_u32 s73, 0
	s_cbranch_scc1 .LBB91_51
; %bb.22:                               ;   in Loop: Header=BB91_21 Depth=1
	s_and_b32 vcc_lo, exec_lo, s50
	s_cbranch_vccz .LBB91_37
; %bb.23:                               ;   in Loop: Header=BB91_21 Depth=1
	v_cmp_gt_u32_e32 vcc_lo, 0x301, v2
	s_mov_b32 s73, 0
	s_mov_b32 s7, 0
	s_cbranch_vccz .LBB91_38
; %bb.24:                               ;   in Loop: Header=BB91_21 Depth=1
	v_mov_b32_e32 v1, 0
	s_and_saveexec_b32 s7, s0
	s_cbranch_execz .LBB91_26
; %bb.25:                               ;   in Loop: Header=BB91_21 Depth=1
	global_load_b32 v1, v[8:9], off
.LBB91_26:                              ;   in Loop: Header=BB91_21 Depth=1
	s_or_b32 exec_lo, exec_lo, s7
	s_and_saveexec_b32 s9, s0
	s_cbranch_execz .LBB91_139
; %bb.27:                               ;   in Loop: Header=BB91_21 Depth=1
	global_load_u16 v2, v7, s[42:43]
	v_mov_b32_e32 v4, v0
	s_mov_b32 s10, 0
	s_waitcnt vmcnt(0)
	v_add_nc_u32_e32 v3, v0, v2
	s_delay_alu instid0(VALU_DEP_1)
	v_mul_lo_u32 v6, s30, v3
	v_mul_lo_u32 v3, s30, v2
	s_branch .LBB91_29
.LBB91_28:                              ;   in Loop: Header=BB91_29 Depth=2
	s_or_b32 exec_lo, exec_lo, s8
	v_add_nc_u32_e32 v6, v6, v3
	s_waitcnt vmcnt(0)
	v_mov_b32_e32 v1, v14
	s_and_not1_b32 exec_lo, exec_lo, s10
	s_cbranch_execz .LBB91_139
.LBB91_29:                              ;   Parent Loop BB91_21 Depth=1
                                        ; =>  This Inner Loop Header: Depth=2
	v_add_nc_u32_e32 v4, v4, v2
	s_waitcnt lgkmcnt(0)
	v_mov_b32_e32 v28, 0
	v_mov_b32_e32 v14, 0
	s_mov_b32 s8, exec_lo
	v_cmp_le_u32_e32 vcc_lo, s28, v4
	v_cmpx_gt_u32_e64 s28, v4
	s_cbranch_execz .LBB91_31
; %bb.30:                               ;   in Loop: Header=BB91_29 Depth=2
	v_lshlrev_b64 v[29:30], 2, v[6:7]
	s_delay_alu instid0(VALU_DEP_1) | instskip(NEXT) | instid1(VALU_DEP_1)
	v_add_co_u32 v29, s7, s31, v29
	v_add_co_ci_u32_e64 v30, s7, s40, v30, s7
	global_load_b32 v14, v[29:30], off
.LBB91_31:                              ;   in Loop: Header=BB91_29 Depth=2
	s_or_b32 exec_lo, exec_lo, s8
	v_xor_b32_e32 v29, 0x80000000, v1
	s_delay_alu instid0(VALU_DEP_1) | instskip(NEXT) | instid1(VALU_DEP_1)
	v_and_b32_e32 v29, s71, v29
	v_cmp_eq_u32_e64 s7, s70, v29
	s_delay_alu instid0(VALU_DEP_1) | instskip(SKIP_1) | instid1(SALU_CYCLE_1)
	s_cmp_lg_u32 s7, 0
	s_cselect_b32 s8, -1, 0
	s_and_b32 s8, s3, s8
	s_delay_alu instid0(SALU_CYCLE_1)
	s_and_saveexec_b32 s11, s8
	s_cbranch_execz .LBB91_35
; %bb.32:                               ;   in Loop: Header=BB91_29 Depth=2
	s_mov_b32 s14, exec_lo
	s_bcnt1_i32_b32 s12, s7
	v_mbcnt_lo_u32_b32 v28, s14, 0
	s_mov_b32 s13, exec_lo
                                        ; implicit-def: $vgpr29
	s_delay_alu instid0(VALU_DEP_1)
	v_cmpx_eq_u32_e32 0, v28
	s_cbranch_execz .LBB91_34
; %bb.33:                               ;   in Loop: Header=BB91_29 Depth=2
	s_bcnt1_i32_b32 s8, s14
	s_delay_alu instid0(SALU_CYCLE_1) | instskip(NEXT) | instid1(SALU_CYCLE_1)
	s_mul_i32 s8, s12, s8
	v_mov_b32_e32 v29, s8
	ds_add_rtn_u32 v29, v7, v29 offset:4112
.LBB91_34:                              ;   in Loop: Header=BB91_29 Depth=2
	s_or_b32 exec_lo, exec_lo, s13
	s_waitcnt lgkmcnt(0)
	v_readfirstlane_b32 s8, v29
	s_delay_alu instid0(VALU_DEP_1)
	v_mad_u32_u24 v28, s12, v28, s8
.LBB91_35:                              ;   in Loop: Header=BB91_29 Depth=2
	s_or_b32 exec_lo, exec_lo, s11
	ds_bpermute_b32 v28, v7, v28
	s_and_b32 s8, exec_lo, vcc_lo
	s_delay_alu instid0(SALU_CYCLE_1)
	s_or_b32 s10, s8, s10
	s_and_saveexec_b32 s8, s7
	s_cbranch_execz .LBB91_28
; %bb.36:                               ;   in Loop: Header=BB91_29 Depth=2
	v_and_b32_e32 v29, s7, v21
	s_delay_alu instid0(VALU_DEP_1) | instskip(NEXT) | instid1(VALU_DEP_1)
	v_bcnt_u32_b32 v29, v29, 0
	v_lshlrev_b32_e32 v29, 2, v29
	s_waitcnt lgkmcnt(0)
	s_delay_alu instid0(VALU_DEP_1)
	v_lshl_add_u32 v28, v28, 2, v29
	ds_store_b32 v28, v1
	s_branch .LBB91_28
.LBB91_37:                              ;   in Loop: Header=BB91_21 Depth=1
	s_mov_b32 s73, -1
	s_mov_b32 s7, 0
.LBB91_38:                              ;   in Loop: Header=BB91_21 Depth=1
	s_and_b32 vcc_lo, exec_lo, s73
	s_cbranch_vccz .LBB91_49
.LBB91_39:                              ;   in Loop: Header=BB91_21 Depth=1
	v_mov_b32_e32 v1, 0
	s_and_saveexec_b32 s7, s0
	s_cbranch_execz .LBB91_41
; %bb.40:                               ;   in Loop: Header=BB91_21 Depth=1
	global_load_b32 v1, v[8:9], off
.LBB91_41:                              ;   in Loop: Header=BB91_21 Depth=1
	s_or_b32 exec_lo, exec_lo, s7
	s_and_saveexec_b32 s8, s0
	s_cbranch_execz .LBB91_46
; %bb.42:                               ;   in Loop: Header=BB91_21 Depth=1
	global_load_u16 v2, v7, s[42:43]
	v_mov_b32_e32 v28, v0
	s_mov_b32 s9, 0
	s_waitcnt vmcnt(0)
	v_dual_mov_b32 v14, v17 :: v_dual_add_nc_u32 v3, v0, v2
	v_lshlrev_b32_e32 v4, 2, v2
	s_delay_alu instid0(VALU_DEP_2)
	v_mul_lo_u32 v6, s30, v3
	v_mul_lo_u32 v3, s30, v2
	s_set_inst_prefetch_distance 0x1
	s_branch .LBB91_44
	.p2align	6
.LBB91_43:                              ;   in Loop: Header=BB91_44 Depth=2
	s_or_b32 exec_lo, exec_lo, s10
	ds_store_b32 v14, v1
	s_waitcnt vmcnt(0)
	v_dual_mov_b32 v1, v29 :: v_dual_add_nc_u32 v14, v14, v4
	v_add_nc_u32_e32 v6, v6, v3
	s_and_b32 s7, exec_lo, vcc_lo
	s_delay_alu instid0(SALU_CYCLE_1) | instskip(NEXT) | instid1(SALU_CYCLE_1)
	s_or_b32 s9, s7, s9
	s_and_not1_b32 exec_lo, exec_lo, s9
	s_cbranch_execz .LBB91_46
.LBB91_44:                              ;   Parent Loop BB91_21 Depth=1
                                        ; =>  This Inner Loop Header: Depth=2
	v_dual_mov_b32 v29, 0 :: v_dual_add_nc_u32 v28, v28, v2
	s_mov_b32 s10, exec_lo
	s_delay_alu instid0(VALU_DEP_1)
	v_cmp_le_u32_e32 vcc_lo, s28, v28
	v_cmpx_gt_u32_e64 s28, v28
	s_cbranch_execz .LBB91_43
; %bb.45:                               ;   in Loop: Header=BB91_44 Depth=2
	v_lshlrev_b64 v[29:30], 2, v[6:7]
	s_delay_alu instid0(VALU_DEP_1) | instskip(NEXT) | instid1(VALU_DEP_1)
	v_add_co_u32 v29, s7, s31, v29
	v_add_co_ci_u32_e64 v30, s7, s40, v30, s7
	global_load_b32 v29, v[29:30], off
	s_branch .LBB91_43
.LBB91_46:                              ;   in Loop: Header=BB91_21 Depth=1
	s_set_inst_prefetch_distance 0x2
	s_or_b32 exec_lo, exec_lo, s8
	s_waitcnt vmcnt(0) lgkmcnt(0)
	s_barrier
	buffer_gl0_inv
	s_and_saveexec_b32 s7, s2
	s_cbranch_execz .LBB91_48
; %bb.47:                               ;   in Loop: Header=BB91_21 Depth=1
	v_mov_b32_e32 v1, s28
	ds_store_b32 v7, v1 offset:4104
.LBB91_48:                              ;   in Loop: Header=BB91_21 Depth=1
	s_or_b32 exec_lo, exec_lo, s7
	s_mov_b32 s7, -1
	s_waitcnt lgkmcnt(0)
	s_barrier
                                        ; implicit-def: $sgpr73
.LBB91_49:                              ;   in Loop: Header=BB91_21 Depth=1
	s_and_b32 vcc_lo, exec_lo, s7
	s_cbranch_vccz .LBB91_51
; %bb.50:                               ;   in Loop: Header=BB91_21 Depth=1
	buffer_gl0_inv
	ds_load_b32 v1, v7 offset:4104
	s_waitcnt lgkmcnt(0)
	v_readfirstlane_b32 s73, v1
.LBB91_51:                              ;   in Loop: Header=BB91_21 Depth=1
	s_delay_alu instid0(VALU_DEP_1)
	s_cmp_lt_i32 s73, 1
	s_cbranch_scc0 .LBB91_55
; %bb.52:                               ;   in Loop: Header=BB91_21 Depth=1
	v_dual_mov_b32 v1, 0 :: v_dual_mov_b32 v2, 0
	v_dual_mov_b32 v3, 0 :: v_dual_mov_b32 v4, 0
	s_mov_b32 s19, 0
	s_and_saveexec_b32 s18, s4
	s_cbranch_execnz .LBB91_56
; %bb.53:                               ;   in Loop: Header=BB91_21 Depth=1
	s_or_b32 exec_lo, exec_lo, s18
	v_mov_b32_e32 v28, 0
	s_and_saveexec_b32 s7, s5
	s_cbranch_execnz .LBB91_59
.LBB91_54:                              ;   in Loop: Header=BB91_21 Depth=1
	s_or_b32 exec_lo, exec_lo, s7
	s_and_saveexec_b32 s11, s5
	s_cbranch_execnz .LBB91_60
	s_branch .LBB91_65
.LBB91_55:                              ;   in Loop: Header=BB91_21 Depth=1
                                        ; implicit-def: $vgpr4
	s_cbranch_execnz .LBB91_66
	s_branch .LBB91_75
.LBB91_56:                              ;   in Loop: Header=BB91_21 Depth=1
	v_mov_b32_e32 v14, v17
	s_and_b32 s20, s65, 0xfe
	s_mov_b32 s21, 0
	s_mov_b32 s22, 0
	;; [unrolled: 1-line block ×5, first 2 shown]
.LBB91_57:                              ;   Parent Loop BB91_21 Depth=1
                                        ; =>  This Inner Loop Header: Depth=2
	v_add_nc_u32_e32 v6, s21, v24
	v_add_nc_u32_e32 v14, s46, v14
	s_delay_alu instid0(VALU_DEP_2) | instskip(SKIP_1) | instid1(VALU_DEP_1)
	v_lshlrev_b64 v[1:2], 2, v[6:7]
	v_add_nc_u32_e32 v6, s21, v12
	v_lshlrev_b64 v[3:4], 2, v[6:7]
	v_add_nc_u32_e32 v6, s21, v22
	s_delay_alu instid0(VALU_DEP_4) | instskip(SKIP_1) | instid1(VALU_DEP_3)
	v_add_co_u32 v1, vcc_lo, s31, v1
	v_add_co_ci_u32_e32 v2, vcc_lo, s40, v2, vcc_lo
	v_lshlrev_b64 v[28:29], 2, v[6:7]
	v_add_nc_u32_e32 v6, s21, v23
	s_add_i32 s21, s21, s60
	global_load_b32 v30, v[1:2], off
	v_add_co_u32 v1, vcc_lo, s31, v3
	v_add_co_ci_u32_e32 v2, vcc_lo, s40, v4, vcc_lo
	v_add_co_u32 v28, vcc_lo, s31, v28
	v_add_co_ci_u32_e32 v29, vcc_lo, s40, v29, vcc_lo
	v_lshlrev_b64 v[3:4], 2, v[6:7]
	s_clause 0x1
	global_load_b32 v6, v[1:2], off
	global_load_b32 v28, v[28:29], off
	v_add_co_u32 v1, vcc_lo, s31, v3
	v_add_co_ci_u32_e32 v2, vcc_lo, s40, v4, vcc_lo
	v_cmp_le_u32_e32 vcc_lo, s57, v14
	global_load_b32 v1, v[1:2], off
	s_waitcnt vmcnt(3)
	v_xor_b32_e32 v2, 0x80000000, v30
	s_delay_alu instid0(VALU_DEP_1) | instskip(SKIP_3) | instid1(VALU_DEP_3)
	v_and_b32_e32 v3, s71, v2
	v_bfe_u32 v2, v2, s20, 2
	s_waitcnt vmcnt(2)
	v_xor_b32_e32 v4, 0x80000000, v6
	v_cmp_eq_u32_e64 s7, s70, v3
	s_delay_alu instid0(VALU_DEP_3)
	v_cmp_eq_u32_e64 s8, 0, v2
	s_waitcnt vmcnt(1)
	v_xor_b32_e32 v6, 0x80000000, v28
	v_cmp_eq_u32_e64 s9, 1, v2
	v_and_b32_e32 v3, s71, v4
	v_bfe_u32 v4, v4, s20, 2
	v_cmp_eq_u32_e64 s10, 2, v2
	s_and_b32 s8, s7, s8
	v_cmp_eq_u32_e64 s11, 3, v2
	v_cmp_eq_u32_e64 s12, s70, v3
	v_and_b32_e32 v2, s71, v6
	v_bfe_u32 v3, v6, s20, 2
	v_cmp_eq_u32_e64 s13, 0, v4
	v_cndmask_b32_e64 v6, 0, 1, s8
	v_cmp_eq_u32_e64 s8, 1, v4
	s_and_b32 s9, s7, s9
	s_and_b32 s10, s7, s10
	v_cndmask_b32_e64 v28, 0, 1, s9
	v_cmp_eq_u32_e64 s9, 2, v4
	s_waitcnt vmcnt(0)
	v_xor_b32_e32 v1, 0x80000000, v1
	v_cndmask_b32_e64 v29, 0, 1, s10
	s_and_b32 s7, s7, s11
	s_and_b32 s13, s12, s13
	;; [unrolled: 1-line block ×3, first 2 shown]
	v_cmp_eq_u32_e64 s10, 3, v4
	v_cndmask_b32_e64 v4, 0, 1, s7
	v_cmp_eq_u32_e64 s7, s70, v2
	v_cmp_eq_u32_e64 s11, 0, v3
	v_cmp_ne_u32_e64 s14, 0, v6
	v_cndmask_b32_e64 v6, 0, 1, s13
	v_cmp_eq_u32_e64 s13, 1, v3
	v_cmp_ne_u32_e64 s15, 0, v28
	v_cndmask_b32_e64 v28, 0, 1, s8
	v_cmp_eq_u32_e64 s8, 2, v3
	s_and_b32 s9, s12, s9
	v_and_b32_e32 v2, s71, v1
	v_bfe_u32 v1, v1, s20, 2
	v_cmp_ne_u32_e64 s16, 0, v29
	v_cndmask_b32_e64 v29, 0, 1, s9
	v_cmp_eq_u32_e64 s9, 3, v3
	s_and_b32 s10, s12, s10
	s_and_b32 s11, s7, s11
	;; [unrolled: 1-line block ×4, first 2 shown]
	v_cmp_ne_u32_e64 s17, 0, v4
	v_cndmask_b32_e64 v3, 0, 1, s10
	v_cmp_eq_u32_e64 s10, s70, v2
	v_cmp_eq_u32_e64 s12, 0, v1
	s_bcnt1_i32_b32 s26, s14
	v_cmp_ne_u32_e64 s14, 0, v6
	v_cndmask_b32_e64 v2, 0, 1, s11
	v_cmp_eq_u32_e64 s11, 1, v1
	v_cndmask_b32_e64 v4, 0, 1, s13
	v_cmp_eq_u32_e64 s13, 2, v1
	;; [unrolled: 2-line block ×3, first 2 shown]
	s_and_b32 s7, s7, s9
	s_bcnt1_i32_b32 s76, s17
	v_cndmask_b32_e64 v1, 0, 1, s7
	v_cmp_ne_u32_e64 s17, 0, v3
	s_and_b32 s9, s10, s12
	s_and_b32 s11, s10, s11
	;; [unrolled: 1-line block ×4, first 2 shown]
	v_cmp_ne_u32_e64 s7, 0, v2
	v_cndmask_b32_e64 v2, 0, 1, s9
	v_cmp_ne_u32_e64 s9, 0, v4
	v_cndmask_b32_e64 v3, 0, 1, s11
	v_cndmask_b32_e64 v4, 0, 1, s12
	v_cmp_ne_u32_e64 s12, 0, v1
	v_cndmask_b32_e64 v1, 0, 1, s8
	s_bcnt1_i32_b32 s74, s15
	v_cmp_ne_u32_e64 s15, 0, v28
	s_bcnt1_i32_b32 s75, s16
	v_cmp_ne_u32_e64 s16, 0, v29
	s_add_i32 s22, s76, s22
	v_cmp_ne_u32_e64 s11, 0, v6
	s_bcnt1_i32_b32 s13, s17
	s_bcnt1_i32_b32 s17, s7
	s_add_i32 s13, s22, s13
	v_cmp_ne_u32_e64 s7, 0, v2
	s_bcnt1_i32_b32 s22, s9
	v_cmp_ne_u32_e64 s8, 0, v3
	v_cmp_ne_u32_e64 s9, 0, v4
	;; [unrolled: 1-line block ×3, first 2 shown]
	s_add_i32 s25, s26, s25
	s_add_i32 s24, s74, s24
	;; [unrolled: 1-line block ×3, first 2 shown]
	s_bcnt1_i32_b32 s14, s14
	s_bcnt1_i32_b32 s15, s15
	;; [unrolled: 1-line block ×3, first 2 shown]
	s_add_i32 s14, s25, s14
	s_add_i32 s15, s24, s15
	;; [unrolled: 1-line block ×3, first 2 shown]
	s_bcnt1_i32_b32 s11, s11
	s_bcnt1_i32_b32 s12, s12
	s_add_i32 s14, s14, s17
	s_add_i32 s15, s15, s22
	;; [unrolled: 1-line block ×4, first 2 shown]
	s_bcnt1_i32_b32 s7, s7
	s_bcnt1_i32_b32 s8, s8
	;; [unrolled: 1-line block ×4, first 2 shown]
	s_add_i32 s25, s14, s7
	s_add_i32 s24, s15, s8
	;; [unrolled: 1-line block ×4, first 2 shown]
	s_delay_alu instid0(SALU_CYCLE_1) | instskip(SKIP_2) | instid1(SALU_CYCLE_1)
	v_dual_mov_b32 v1, s25 :: v_dual_mov_b32 v4, s22
	v_dual_mov_b32 v2, s24 :: v_dual_mov_b32 v3, s23
	s_or_b32 s19, vcc_lo, s19
	s_and_not1_b32 exec_lo, exec_lo, s19
	s_cbranch_execnz .LBB91_57
; %bb.58:                               ;   in Loop: Header=BB91_21 Depth=1
	s_or_b32 exec_lo, exec_lo, s19
	s_delay_alu instid0(SALU_CYCLE_1)
	s_or_b32 exec_lo, exec_lo, s18
	v_mov_b32_e32 v28, 0
	s_and_saveexec_b32 s7, s5
	s_cbranch_execz .LBB91_54
.LBB91_59:                              ;   in Loop: Header=BB91_21 Depth=1
	global_load_b32 v28, v[10:11], off
	s_or_b32 exec_lo, exec_lo, s7
	s_and_saveexec_b32 s11, s5
	s_cbranch_execz .LBB91_65
.LBB91_60:                              ;   in Loop: Header=BB91_21 Depth=1
	v_mov_b32_e32 v6, v25
	v_mov_b32_e32 v14, v20
	s_and_b32 s13, s65, 0xfe
	s_mov_b32 s12, 0
	s_branch .LBB91_62
.LBB91_61:                              ;   in Loop: Header=BB91_62 Depth=2
	s_or_b32 exec_lo, exec_lo, s8
	s_waitcnt vmcnt(0)
	v_xor_b32_e32 v28, 0x80000000, v28
	s_and_b32 s8, exec_lo, vcc_lo
	v_add_nc_u32_e32 v6, s49, v6
	s_or_b32 s12, s8, s12
	s_delay_alu instid0(VALU_DEP_2) | instskip(SKIP_1) | instid1(VALU_DEP_2)
	v_and_b32_e32 v30, s71, v28
	v_bfe_u32 v28, v28, s13, 2
	v_cmp_eq_u32_e32 vcc_lo, s70, v30
	s_delay_alu instid0(VALU_DEP_2) | instskip(SKIP_3) | instid1(VALU_DEP_4)
	v_cmp_eq_u32_e64 s7, 0, v28
	v_cmp_eq_u32_e64 s8, 1, v28
	;; [unrolled: 1-line block ×4, first 2 shown]
	s_and_b32 s7, vcc_lo, s7
	s_delay_alu instid0(SALU_CYCLE_1) | instskip(SKIP_1) | instid1(SALU_CYCLE_1)
	v_cndmask_b32_e64 v28, 0, 1, s7
	s_and_b32 s7, vcc_lo, s8
	v_cndmask_b32_e64 v30, 0, 1, s7
	s_and_b32 s7, vcc_lo, s9
	s_delay_alu instid0(SALU_CYCLE_1)
	v_cndmask_b32_e64 v31, 0, 1, s7
	s_and_b32 s7, vcc_lo, s10
	v_cmp_ne_u32_e32 vcc_lo, 0, v28
	v_cndmask_b32_e64 v32, 0, 1, s7
	v_cmp_ne_u32_e64 s7, 0, v30
	v_cmp_ne_u32_e64 s8, 0, v31
	v_mov_b32_e32 v28, v29
	s_bcnt1_i32_b32 s10, vcc_lo
	v_cmp_ne_u32_e64 s9, 0, v32
	s_bcnt1_i32_b32 s7, s7
	s_bcnt1_i32_b32 s8, s8
	v_add_nc_u32_e32 v1, s10, v1
	v_add_nc_u32_e32 v2, s7, v2
	s_bcnt1_i32_b32 s9, s9
	v_add_nc_u32_e32 v3, s8, v3
	v_add_nc_u32_e32 v4, s9, v4
	s_and_not1_b32 exec_lo, exec_lo, s12
	s_cbranch_execz .LBB91_64
.LBB91_62:                              ;   Parent Loop BB91_21 Depth=1
                                        ; =>  This Inner Loop Header: Depth=2
	s_delay_alu instid0(VALU_DEP_1) | instskip(SKIP_1) | instid1(VALU_DEP_1)
	v_dual_mov_b32 v29, 0 :: v_dual_add_nc_u32 v14, s45, v14
	s_mov_b32 s8, exec_lo
	v_cmp_le_u32_e32 vcc_lo, s28, v14
	v_cmpx_gt_u32_e64 s28, v14
	s_cbranch_execz .LBB91_61
; %bb.63:                               ;   in Loop: Header=BB91_62 Depth=2
	v_lshlrev_b64 v[29:30], 2, v[6:7]
	s_delay_alu instid0(VALU_DEP_1) | instskip(NEXT) | instid1(VALU_DEP_1)
	v_add_co_u32 v29, s7, s31, v29
	v_add_co_ci_u32_e64 v30, s7, s40, v30, s7
	global_load_b32 v29, v[29:30], off
	s_branch .LBB91_61
.LBB91_64:                              ;   in Loop: Header=BB91_21 Depth=1
	s_or_b32 exec_lo, exec_lo, s12
.LBB91_65:                              ;   in Loop: Header=BB91_21 Depth=1
	s_delay_alu instid0(SALU_CYCLE_1)
	s_or_b32 exec_lo, exec_lo, s11
	s_branch .LBB91_75
.LBB91_66:                              ;   in Loop: Header=BB91_21 Depth=1
	s_mul_hi_u32 s7, s73, s56
	v_dual_mov_b32 v1, 0 :: v_dual_mov_b32 v2, 0
	s_mul_i32 s7, s7, s46
	v_dual_mov_b32 v3, 0 :: v_dual_mov_b32 v4, 0
	s_sub_i32 s7, s73, s7
	s_mov_b32 s76, 0
	s_sub_i32 s8, s7, s46
	s_cmp_ge_u32 s7, s46
	s_mov_b32 s75, exec_lo
	s_cselect_b32 s7, s8, s7
	s_delay_alu instid0(SALU_CYCLE_1) | instskip(SKIP_2) | instid1(SALU_CYCLE_1)
	s_sub_i32 s8, s7, s46
	s_cmp_ge_u32 s7, s46
	s_cselect_b32 s7, s8, s7
	s_sub_i32 s74, s73, s7
	s_delay_alu instid0(SALU_CYCLE_1)
	v_cmpx_gt_u32_e64 s74, v17
	s_cbranch_execz .LBB91_70
; %bb.67:                               ;   in Loop: Header=BB91_21 Depth=1
	v_mov_b32_e32 v6, v26
	v_mov_b32_e32 v14, v17
	s_and_b32 s77, s65, 0xfe
	s_mov_b32 s78, 0
	s_mov_b32 s79, 0
	;; [unrolled: 1-line block ×4, first 2 shown]
.LBB91_68:                              ;   Parent Loop BB91_21 Depth=1
                                        ; =>  This Inner Loop Header: Depth=2
	ds_load_b128 v[1:4], v6
	s_waitcnt lgkmcnt(0)
	v_xor_b32_e32 v1, 0x80000000, v1
	v_xor_b32_e32 v2, 0x80000000, v2
	v_xor_b32_e32 v3, 0x80000000, v3
	v_xor_b32_e32 v4, 0x80000000, v4
	s_waitcnt vmcnt(0)
	v_and_b32_e32 v28, s71, v1
	v_bfe_u32 v1, v1, s77, 2
	v_and_b32_e32 v29, s71, v2
	v_bfe_u32 v2, v2, s77, 2
	v_and_b32_e32 v30, s71, v3
	v_bfe_u32 v3, v3, s77, 2
	v_cmp_eq_u32_e64 s7, s70, v28
	v_cmp_eq_u32_e64 s11, 0, v1
	v_and_b32_e32 v31, s71, v4
	v_bfe_u32 v4, v4, s77, 2
	v_cmp_eq_u32_e64 s8, s70, v29
	v_cmp_eq_u32_e64 s12, 0, v2
	;; [unrolled: 1-line block ×4, first 2 shown]
	s_and_b32 s11, s7, s11
	v_cmp_eq_u32_e64 s10, s70, v31
	v_cmp_eq_u32_e64 s14, 0, v4
	;; [unrolled: 1-line block ×5, first 2 shown]
	v_cndmask_b32_e64 v1, 0, 1, s11
	s_and_b32 s11, s8, s12
	v_cmp_eq_u32_e64 s16, 1, v2
	v_cmp_eq_u32_e64 s20, 2, v2
	v_cmp_eq_u32_e64 s24, 3, v2
	v_cndmask_b32_e64 v2, 0, 1, s11
	s_and_b32 s11, s9, s13
	v_cmp_eq_u32_e64 s17, 1, v3
	v_cmp_eq_u32_e64 s21, 2, v3
	v_cmp_eq_u32_e64 s25, 3, v3
	;; [unrolled: 5-line block ×3, first 2 shown]
	v_cndmask_b32_e64 v4, 0, 1, s11
	s_and_b32 s11, s7, s15
	s_delay_alu instid0(SALU_CYCLE_1) | instskip(SKIP_1) | instid1(SALU_CYCLE_1)
	v_cndmask_b32_e64 v28, 0, 1, s11
	s_and_b32 s11, s8, s16
	v_cndmask_b32_e64 v29, 0, 1, s11
	s_and_b32 s11, s9, s17
	s_delay_alu instid0(SALU_CYCLE_1) | instskip(SKIP_1) | instid1(VALU_DEP_2)
	v_cndmask_b32_e64 v30, 0, 1, s11
	s_and_b32 s11, s10, s18
	v_cmp_ne_u32_e64 s12, 0, v29
	v_cndmask_b32_e64 v31, 0, 1, s11
	s_and_b32 s11, s7, s19
	s_and_b32 s7, s7, s23
	v_cndmask_b32_e64 v32, 0, 1, s11
	v_cndmask_b32_e64 v36, 0, 1, s7
	s_and_b32 s7, s8, s24
	s_and_b32 s11, s8, s20
	v_cndmask_b32_e64 v37, 0, 1, s7
	s_and_b32 s7, s9, s25
	v_cndmask_b32_e64 v33, 0, 1, s11
	v_cndmask_b32_e64 v38, 0, 1, s7
	s_and_b32 s7, s10, s26
	s_and_b32 s11, s9, s21
	v_cndmask_b32_e64 v39, 0, 1, s7
	v_cmp_ne_u32_e64 s7, 0, v1
	v_cmp_ne_u32_e64 s8, 0, v2
	v_cndmask_b32_e64 v34, 0, 1, s11
	s_and_b32 s11, s10, s22
	v_cmp_ne_u32_e64 s9, 0, v3
	v_cndmask_b32_e64 v35, 0, 1, s11
	v_cmp_ne_u32_e64 s11, 0, v28
	v_cmp_ne_u32_e64 s15, 0, v32
	;; [unrolled: 1-line block ×3, first 2 shown]
	s_bcnt1_i32_b32 s7, s7
	v_cmp_ne_u32_e64 s10, 0, v4
	v_cmp_ne_u32_e64 s16, 0, v33
	;; [unrolled: 1-line block ×3, first 2 shown]
	s_bcnt1_i32_b32 s8, s8
	s_add_i32 s7, s7, s81
	v_cmp_ne_u32_e64 s13, 0, v30
	v_cmp_ne_u32_e64 s17, 0, v34
	;; [unrolled: 1-line block ×3, first 2 shown]
	s_bcnt1_i32_b32 s9, s9
	s_add_i32 s7, s7, s8
	s_bcnt1_i32_b32 s11, s11
	s_bcnt1_i32_b32 s15, s15
	;; [unrolled: 1-line block ×3, first 2 shown]
	v_cmp_ne_u32_e64 s14, 0, v31
	v_cmp_ne_u32_e64 s18, 0, v35
	v_cmp_ne_u32_e64 s22, 0, v39
	s_bcnt1_i32_b32 s10, s10
	s_add_i32 s7, s7, s9
	s_bcnt1_i32_b32 s12, s12
	s_bcnt1_i32_b32 s16, s16
	s_bcnt1_i32_b32 s20, s20
	s_add_i32 s11, s11, s80
	s_add_i32 s15, s15, s79
	;; [unrolled: 1-line block ×4, first 2 shown]
	s_delay_alu instid0(SALU_CYCLE_1)
	v_dual_mov_b32 v1, s81 :: v_dual_add_nc_u32 v14, s46, v14
	s_bcnt1_i32_b32 s13, s13
	s_bcnt1_i32_b32 s17, s17
	;; [unrolled: 1-line block ×3, first 2 shown]
	s_add_i32 s8, s11, s12
	s_add_i32 s11, s15, s16
	s_add_i32 s12, s19, s20
	s_bcnt1_i32_b32 s14, s14
	s_bcnt1_i32_b32 s18, s18
	s_bcnt1_i32_b32 s22, s22
	s_add_i32 s8, s8, s13
	s_add_i32 s9, s11, s17
	;; [unrolled: 1-line block ×3, first 2 shown]
	v_cmp_le_u32_e32 vcc_lo, s74, v14
	s_add_i32 s80, s8, s14
	s_add_i32 s79, s9, s18
	;; [unrolled: 1-line block ×3, first 2 shown]
	v_dual_mov_b32 v3, s79 :: v_dual_add_nc_u32 v6, s61, v6
	v_mov_b32_e32 v2, s80
	v_mov_b32_e32 v4, s78
	s_or_b32 s76, vcc_lo, s76
	s_delay_alu instid0(SALU_CYCLE_1)
	s_and_not1_b32 exec_lo, exec_lo, s76
	s_cbranch_execnz .LBB91_68
; %bb.69:                               ;   in Loop: Header=BB91_21 Depth=1
	s_or_b32 exec_lo, exec_lo, s76
.LBB91_70:                              ;   in Loop: Header=BB91_21 Depth=1
	s_delay_alu instid0(SALU_CYCLE_1) | instskip(SKIP_2) | instid1(VALU_DEP_1)
	s_or_b32 exec_lo, exec_lo, s75
	v_add_nc_u32_e32 v6, s74, v0
	s_mov_b32 s12, exec_lo
	v_cmpx_gt_u32_e64 s73, v6
	s_cbranch_execz .LBB91_74
; %bb.71:                               ;   in Loop: Header=BB91_21 Depth=1
	v_lshlrev_b32_e32 v14, 2, v6
	s_and_b32 s14, s65, 0xfe
	s_mov_b32 s13, 0
.LBB91_72:                              ;   Parent Loop BB91_21 Depth=1
                                        ; =>  This Inner Loop Header: Depth=2
	s_waitcnt vmcnt(0)
	ds_load_b32 v28, v14
	v_add_nc_u32_e32 v6, s45, v6
	v_add_nc_u32_e32 v14, s46, v14
	s_delay_alu instid0(VALU_DEP_2) | instskip(SKIP_2) | instid1(VALU_DEP_1)
	v_cmp_le_u32_e32 vcc_lo, s73, v6
	s_waitcnt lgkmcnt(0)
	v_xor_b32_e32 v28, 0x80000000, v28
	v_and_b32_e32 v29, s71, v28
	v_bfe_u32 v28, v28, s14, 2
	s_delay_alu instid0(VALU_DEP_2) | instskip(NEXT) | instid1(VALU_DEP_2)
	v_cmp_eq_u32_e64 s7, s70, v29
	v_cmp_eq_u32_e64 s8, 0, v28
	;; [unrolled: 1-line block ×5, first 2 shown]
	s_delay_alu instid0(VALU_DEP_4) | instskip(NEXT) | instid1(SALU_CYCLE_1)
	s_and_b32 s8, s7, s8
	v_cndmask_b32_e64 v28, 0, 1, s8
	s_and_b32 s8, s7, s9
	s_delay_alu instid0(SALU_CYCLE_1)
	v_cndmask_b32_e64 v29, 0, 1, s8
	s_and_b32 s8, s7, s10
	s_and_b32 s7, s7, s11
	v_cndmask_b32_e64 v30, 0, 1, s8
	v_cndmask_b32_e64 v31, 0, 1, s7
	v_cmp_ne_u32_e64 s7, 0, v28
	v_cmp_ne_u32_e64 s8, 0, v29
	s_delay_alu instid0(VALU_DEP_4) | instskip(NEXT) | instid1(VALU_DEP_4)
	v_cmp_ne_u32_e64 s9, 0, v30
	v_cmp_ne_u32_e64 s10, 0, v31
	s_delay_alu instid0(VALU_DEP_4) | instskip(NEXT) | instid1(VALU_DEP_3)
	s_bcnt1_i32_b32 s7, s7
	s_bcnt1_i32_b32 s8, s8
	v_add_nc_u32_e32 v1, s7, v1
	s_bcnt1_i32_b32 s9, s9
	s_bcnt1_i32_b32 s10, s10
	v_add_nc_u32_e32 v2, s8, v2
	v_add_nc_u32_e32 v3, s9, v3
	;; [unrolled: 1-line block ×3, first 2 shown]
	s_or_b32 s13, vcc_lo, s13
	s_delay_alu instid0(SALU_CYCLE_1)
	s_and_not1_b32 exec_lo, exec_lo, s13
	s_cbranch_execnz .LBB91_72
; %bb.73:                               ;   in Loop: Header=BB91_21 Depth=1
	s_or_b32 exec_lo, exec_lo, s13
.LBB91_74:                              ;   in Loop: Header=BB91_21 Depth=1
	s_delay_alu instid0(SALU_CYCLE_1)
	s_or_b32 exec_lo, exec_lo, s12
.LBB91_75:                              ;   in Loop: Header=BB91_21 Depth=1
	s_lshl_b32 s7, s68, 7
	s_and_saveexec_b32 s8, s3
	s_cbranch_execz .LBB91_77
; %bb.76:                               ;   in Loop: Header=BB91_21 Depth=1
	v_or_b32_e32 v6, s7, v19
	s_delay_alu instid0(VALU_DEP_1)
	v_lshlrev_b32_e32 v6, 2, v6
	ds_store_b128 v6, v[1:4] offset:3072
.LBB91_77:                              ;   in Loop: Header=BB91_21 Depth=1
	s_or_b32 exec_lo, exec_lo, s8
	s_waitcnt vmcnt(0) lgkmcnt(0)
	s_barrier
	buffer_gl0_inv
	s_and_saveexec_b32 s8, s47
	s_cbranch_execz .LBB91_87
; %bb.78:                               ;   in Loop: Header=BB91_21 Depth=1
	v_mov_b32_e32 v1, 0
	s_and_not1_b32 vcc_lo, exec_lo, s51
	s_cbranch_vccnz .LBB91_86
; %bb.79:                               ;   in Loop: Header=BB91_21 Depth=1
	v_mov_b32_e32 v1, 0
	s_and_not1_b32 vcc_lo, exec_lo, s53
	s_mov_b32 s9, 0
	s_cbranch_vccnz .LBB91_83
; %bb.80:                               ;   in Loop: Header=BB91_21 Depth=1
	v_lshl_add_u32 v2, s68, 9, v27
	v_mov_b32_e32 v1, 0
	.p2align	6
.LBB91_81:                              ;   Parent Loop BB91_21 Depth=1
                                        ; =>  This Inner Loop Header: Depth=2
	ds_load_2addr_b32 v[3:4], v2 offset1:4
	ds_load_2addr_b32 v[28:29], v2 offset0:8 offset1:12
	ds_load_2addr_b32 v[30:31], v2 offset0:16 offset1:20
	;; [unrolled: 1-line block ×3, first 2 shown]
	v_add_nc_u32_e32 v2, 0x80, v2
	s_add_i32 s9, s9, 8
	s_delay_alu instid0(SALU_CYCLE_1) | instskip(SKIP_3) | instid1(VALU_DEP_1)
	s_cmp_eq_u32 s54, s9
	s_waitcnt lgkmcnt(3)
	v_add3_u32 v1, v3, v1, v4
	s_waitcnt lgkmcnt(2)
	v_add3_u32 v1, v28, v1, v29
	s_waitcnt lgkmcnt(1)
	s_delay_alu instid0(VALU_DEP_1) | instskip(SKIP_1) | instid1(VALU_DEP_1)
	v_add3_u32 v1, v30, v1, v31
	s_waitcnt lgkmcnt(0)
	v_add3_u32 v1, v32, v1, v33
	s_cbranch_scc0 .LBB91_81
; %bb.82:                               ;   in Loop: Header=BB91_21 Depth=1
	s_mov_b32 s9, s54
.LBB91_83:                              ;   in Loop: Header=BB91_21 Depth=1
	s_and_not1_b32 vcc_lo, exec_lo, s55
	s_cbranch_vccnz .LBB91_86
; %bb.84:                               ;   in Loop: Header=BB91_21 Depth=1
	s_lshl_b32 s10, s68, 9
	s_lshl_b32 s9, s9, 4
	s_delay_alu instid0(SALU_CYCLE_1)
	v_add3_u32 v2, s10, s9, v27
	s_mov_b32 s9, s52
.LBB91_85:                              ;   Parent Loop BB91_21 Depth=1
                                        ; =>  This Inner Loop Header: Depth=2
	ds_load_b32 v3, v2
	v_add_nc_u32_e32 v2, 16, v2
	s_add_i32 s9, s9, -1
	s_delay_alu instid0(SALU_CYCLE_1)
	s_cmp_lg_u32 s9, 0
	s_waitcnt lgkmcnt(0)
	v_add_nc_u32_e32 v1, v3, v1
	s_cbranch_scc1 .LBB91_85
.LBB91_86:                              ;   in Loop: Header=BB91_21 Depth=1
	v_add_lshl_u32 v2, s7, v16, 2
	ds_store_b32 v2, v1 offset:3072
.LBB91_87:                              ;   in Loop: Header=BB91_21 Depth=1
	s_or_b32 exec_lo, exec_lo, s8
	s_lshl_b32 s7, s7, 2
	s_waitcnt lgkmcnt(0)
	v_mov_b32_e32 v1, s7
	s_barrier
	buffer_gl0_inv
	s_and_b32 s16, s65, 0xfe
	s_mov_b32 s12, -1
	ds_load_b128 v[1:4], v1 offset:3072
	s_lshl_b32 s9, 3, s16
	s_delay_alu instid0(SALU_CYCLE_1) | instskip(SKIP_4) | instid1(VALU_DEP_3)
	s_not_b32 s17, s9
	s_waitcnt lgkmcnt(0)
	v_readfirstlane_b32 s11, v1
	v_readfirstlane_b32 s19, v2
	;; [unrolled: 1-line block ×3, first 2 shown]
	s_cmp_eq_u32 s11, 1
	s_cselect_b32 s7, -1, 0
	s_cmp_eq_u32 s72, 1
	s_cselect_b32 s8, -1, 0
	s_delay_alu instid0(SALU_CYCLE_1)
	s_and_b32 s13, s7, s8
	v_readfirstlane_b32 s8, v4
	s_and_b32 vcc_lo, exec_lo, s13
	s_cbranch_vccz .LBB91_99
; %bb.88:                               ;   in Loop: Header=BB91_21 Depth=1
	ds_load_b32 v1, v7 offset:4104
	s_waitcnt lgkmcnt(0)
	s_barrier
	buffer_gl0_inv
	v_readfirstlane_b32 s10, v1
	s_and_saveexec_b32 s7, s1
	s_cbranch_execz .LBB91_90
; %bb.89:                               ;   in Loop: Header=BB91_21 Depth=1
	ds_store_b32 v18, v7
.LBB91_90:                              ;   in Loop: Header=BB91_21 Depth=1
	s_or_b32 exec_lo, exec_lo, s7
	s_and_b32 s70, s70, s17
	s_or_b32 s71, s71, s9
	s_cmp_eq_u32 s10, 0
	s_waitcnt lgkmcnt(0)
	s_barrier
	buffer_gl0_inv
	s_cbranch_scc1 .LBB91_100
; %bb.91:                               ;   in Loop: Header=BB91_21 Depth=1
	s_add_i32 s7, s10, s48
                                        ; implicit-def: $vgpr15
	s_delay_alu instid0(SALU_CYCLE_1) | instskip(NEXT) | instid1(SALU_CYCLE_1)
	s_mul_hi_u32 s15, s7, s58
	s_mul_i32 s15, s15, s45
	s_delay_alu instid0(SALU_CYCLE_1) | instskip(NEXT) | instid1(SALU_CYCLE_1)
	s_sub_i32 s15, s7, s15
	s_sub_i32 s18, s15, s45
	s_cmp_ge_u32 s15, s45
	s_cselect_b32 s15, s18, s15
	s_delay_alu instid0(SALU_CYCLE_1) | instskip(SKIP_2) | instid1(SALU_CYCLE_1)
	s_sub_i32 s18, s15, s45
	s_cmp_ge_u32 s15, s45
	s_cselect_b32 s15, s18, s15
	s_sub_i32 s18, s7, s15
	s_mov_b32 s7, 0
	s_mov_b32 s15, exec_lo
	v_cmpx_gt_u32_e64 s18, v0
	s_cbranch_execz .LBB91_102
; %bb.92:                               ;   in Loop: Header=BB91_21 Depth=1
	v_dual_mov_b32 v1, v17 :: v_dual_mov_b32 v2, v0
                                        ; implicit-def: $sgpr20
	s_set_inst_prefetch_distance 0x1
	s_branch .LBB91_94
	.p2align	6
.LBB91_93:                              ;   in Loop: Header=BB91_94 Depth=2
	s_or_b32 exec_lo, exec_lo, s21
	s_waitcnt lgkmcnt(0)
	s_barrier
	buffer_gl0_inv
	ds_load_b64 v[14:15], v7 offset:3072
	v_add_nc_u32_e32 v2, s45, v2
	v_add_nc_u32_e32 v1, s46, v1
	s_waitcnt lgkmcnt(0)
	s_barrier
	buffer_gl0_inv
	v_cmp_le_u32_e32 vcc_lo, s18, v2
	v_readfirstlane_b32 s21, v14
	s_delay_alu instid0(VALU_DEP_1) | instskip(SKIP_1) | instid1(SALU_CYCLE_1)
	s_cmp_lg_u32 s21, 0
	s_cselect_b32 s21, -1, 0
	s_or_b32 s22, vcc_lo, s21
	s_delay_alu instid0(SALU_CYCLE_1) | instskip(NEXT) | instid1(SALU_CYCLE_1)
	s_and_b32 s22, exec_lo, s22
	s_or_b32 s7, s22, s7
	s_and_not1_b32 s20, s20, exec_lo
	s_and_b32 s21, s21, exec_lo
	s_delay_alu instid0(SALU_CYCLE_1)
	s_or_b32 s20, s20, s21
	s_and_not1_b32 exec_lo, exec_lo, s7
	s_cbranch_execz .LBB91_101
.LBB91_94:                              ;   Parent Loop BB91_21 Depth=1
                                        ; =>  This Inner Loop Header: Depth=2
	s_delay_alu instid0(VALU_DEP_1)
	v_cmp_gt_u32_e32 vcc_lo, s10, v2
	v_mov_b32_e32 v14, 0
	s_and_saveexec_b32 s21, vcc_lo
	s_cbranch_execz .LBB91_96
; %bb.95:                               ;   in Loop: Header=BB91_94 Depth=2
	ds_load_b32 v14, v1
.LBB91_96:                              ;   in Loop: Header=BB91_94 Depth=2
	s_or_b32 exec_lo, exec_lo, s21
	s_and_saveexec_b32 s21, vcc_lo
	s_cbranch_execz .LBB91_93
; %bb.97:                               ;   in Loop: Header=BB91_94 Depth=2
	s_waitcnt lgkmcnt(0)
	v_xor_b32_e32 v3, 0x80000000, v14
	s_delay_alu instid0(VALU_DEP_1) | instskip(NEXT) | instid1(VALU_DEP_1)
	v_and_b32_e32 v3, s71, v3
	v_cmp_eq_u32_e32 vcc_lo, s70, v3
	s_and_b32 exec_lo, exec_lo, vcc_lo
	s_cbranch_execz .LBB91_93
; %bb.98:                               ;   in Loop: Header=BB91_94 Depth=2
	ds_store_b64 v7, v[13:14] offset:3072
	s_branch .LBB91_93
.LBB91_99:                              ;   in Loop: Header=BB91_21 Depth=1
	s_mov_b32 s7, -1
                                        ; implicit-def: $sgpr10
                                        ; implicit-def: $sgpr18
                                        ; implicit-def: $sgpr15
	s_branch .LBB91_113
.LBB91_100:                             ;   in Loop: Header=BB91_21 Depth=1
	s_mov_b32 s10, -1
	s_mov_b32 s7, 0
                                        ; implicit-def: $sgpr15
                                        ; implicit-def: $vgpr15
	s_mov_b32 s18, s10
	s_cbranch_execnz .LBB91_103
	s_branch .LBB91_113
.LBB91_101:                             ;   in Loop: Header=BB91_21 Depth=1
	s_set_inst_prefetch_distance 0x2
	s_or_b32 exec_lo, exec_lo, s7
	s_delay_alu instid0(SALU_CYCLE_1)
	s_and_b32 s7, s20, exec_lo
.LBB91_102:                             ;   in Loop: Header=BB91_21 Depth=1
	s_or_b32 exec_lo, exec_lo, s15
	s_mov_b32 s15, -1
	s_mov_b32 s10, 0
	s_delay_alu instid0(SALU_CYCLE_1)
	s_mov_b32 s18, s10
	s_branch .LBB91_113
.LBB91_103:                             ;   in Loop: Header=BB91_21 Depth=1
	s_mov_b32 s7, 0
                                        ; implicit-def: $vgpr15
	s_and_saveexec_b32 s10, s6
	s_cbranch_execz .LBB91_112
; %bb.104:                              ;   in Loop: Header=BB91_21 Depth=1
	v_dual_mov_b32 v6, v5 :: v_dual_mov_b32 v1, v0
	s_mov_b32 s15, 0
                                        ; implicit-def: $sgpr18
	s_set_inst_prefetch_distance 0x1
	s_branch .LBB91_106
	.p2align	6
.LBB91_105:                             ;   in Loop: Header=BB91_106 Depth=2
	s_or_b32 exec_lo, exec_lo, s7
	s_waitcnt vmcnt(0) lgkmcnt(0)
	s_barrier
	buffer_gl0_inv
	ds_load_b64 v[14:15], v7 offset:3072
	v_add_nc_u32_e32 v1, s45, v1
	v_add_nc_u32_e32 v6, s49, v6
	s_waitcnt lgkmcnt(0)
	s_barrier
	buffer_gl0_inv
	v_cmp_le_u32_e32 vcc_lo, s59, v1
	v_readfirstlane_b32 s7, v14
	s_delay_alu instid0(VALU_DEP_1) | instskip(SKIP_1) | instid1(SALU_CYCLE_1)
	s_cmp_lg_u32 s7, 0
	s_cselect_b32 s7, -1, 0
	s_or_b32 s20, vcc_lo, s7
	s_delay_alu instid0(SALU_CYCLE_1) | instskip(NEXT) | instid1(SALU_CYCLE_1)
	s_and_b32 s20, exec_lo, s20
	s_or_b32 s15, s20, s15
	s_and_not1_b32 s18, s18, exec_lo
	s_and_b32 s7, s7, exec_lo
	s_delay_alu instid0(SALU_CYCLE_1)
	s_or_b32 s18, s18, s7
	s_and_not1_b32 exec_lo, exec_lo, s15
	s_cbranch_execz .LBB91_111
.LBB91_106:                             ;   Parent Loop BB91_21 Depth=1
                                        ; =>  This Inner Loop Header: Depth=2
	s_delay_alu instid0(VALU_DEP_1)
	v_cmp_gt_u32_e32 vcc_lo, s28, v1
	v_mov_b32_e32 v14, 0
	s_and_saveexec_b32 s20, vcc_lo
	s_cbranch_execz .LBB91_108
; %bb.107:                              ;   in Loop: Header=BB91_106 Depth=2
	v_lshlrev_b64 v[2:3], 2, v[6:7]
	s_delay_alu instid0(VALU_DEP_1) | instskip(NEXT) | instid1(VALU_DEP_1)
	v_add_co_u32 v2, s7, s31, v2
	v_add_co_ci_u32_e64 v3, s7, s40, v3, s7
	global_load_b32 v14, v[2:3], off
.LBB91_108:                             ;   in Loop: Header=BB91_106 Depth=2
	s_or_b32 exec_lo, exec_lo, s20
	s_and_saveexec_b32 s7, vcc_lo
	s_cbranch_execz .LBB91_105
; %bb.109:                              ;   in Loop: Header=BB91_106 Depth=2
	s_waitcnt vmcnt(0)
	v_xor_b32_e32 v2, 0x80000000, v14
	s_delay_alu instid0(VALU_DEP_1) | instskip(NEXT) | instid1(VALU_DEP_1)
	v_and_b32_e32 v2, s71, v2
	v_cmp_eq_u32_e32 vcc_lo, s70, v2
	s_and_b32 exec_lo, exec_lo, vcc_lo
	s_cbranch_execz .LBB91_105
; %bb.110:                              ;   in Loop: Header=BB91_106 Depth=2
	ds_store_b64 v7, v[13:14] offset:3072
	s_branch .LBB91_105
.LBB91_111:                             ;   in Loop: Header=BB91_21 Depth=1
	s_set_inst_prefetch_distance 0x2
	s_or_b32 exec_lo, exec_lo, s15
	s_delay_alu instid0(SALU_CYCLE_1)
	s_and_b32 s7, s18, exec_lo
.LBB91_112:                             ;   in Loop: Header=BB91_21 Depth=1
	s_or_b32 exec_lo, exec_lo, s10
	s_mov_b32 s18, -1
	s_mov_b32 s10, 0
	s_mov_b32 s15, 0
.LBB91_113:                             ;   in Loop: Header=BB91_21 Depth=1
	s_and_not1_b32 s20, s66, exec_lo
	s_and_b32 s10, s10, exec_lo
	s_and_b32 s18, s18, exec_lo
	s_or_b32 s66, s20, s10
	s_and_not1_b32 s10, s69, exec_lo
	s_and_not1_b32 s20, s67, exec_lo
	s_and_b32 s15, s15, exec_lo
	s_or_b32 s69, s10, s18
	s_or_b32 s67, s20, s15
	s_and_saveexec_b32 s10, s7
	s_cbranch_execz .LBB91_20
; %bb.114:                              ;   in Loop: Header=BB91_21 Depth=1
	s_xor_b32 s7, s13, -1
	s_mov_b32 s12, 0
	s_and_not1_b32 vcc_lo, exec_lo, s7
	s_mov_b32 s20, 1
	s_cbranch_vccnz .LBB91_125
; %bb.115:                              ;   in Loop: Header=BB91_21 Depth=1
	s_cmp_gt_u32 s72, s11
	s_mov_b32 s12, -1
                                        ; implicit-def: $sgpr7
                                        ; implicit-def: $sgpr13
                                        ; implicit-def: $sgpr15
	s_cbranch_scc1 .LBB91_121
; %bb.116:                              ;   in Loop: Header=BB91_21 Depth=1
	ds_load_b32 v1, v7 offset:4104
	s_waitcnt lgkmcnt(0)
	v_cmp_ne_u32_e32 vcc_lo, 0, v1
	s_cbranch_vccnz .LBB91_120
; %bb.117:                              ;   in Loop: Header=BB91_21 Depth=1
	s_and_saveexec_b32 s7, s2
	s_cbranch_execz .LBB91_119
; %bb.118:                              ;   in Loop: Header=BB91_21 Depth=1
	v_mov_b32_e32 v1, s11
	ds_store_b32 v7, v1 offset:4108
.LBB91_119:                             ;   in Loop: Header=BB91_21 Depth=1
	s_or_b32 exec_lo, exec_lo, s7
	s_waitcnt lgkmcnt(0)
	s_barrier
	buffer_gl0_inv
.LBB91_120:                             ;   in Loop: Header=BB91_21 Depth=1
	s_and_b32 s13, s70, s17
	s_or_b32 s15, s71, s9
	s_mov_b32 s12, 0
	s_mov_b32 s7, 8
.LBB91_121:                             ;   in Loop: Header=BB91_21 Depth=1
	s_and_not1_b32 vcc_lo, exec_lo, s12
	s_cbranch_vccnz .LBB91_123
; %bb.122:                              ;   in Loop: Header=BB91_21 Depth=1
	s_sub_i32 s72, s72, s11
	s_mov_b32 s12, -1
	s_mov_b32 s7, 0
	s_mov_b32 s13, s70
	;; [unrolled: 1-line block ×3, first 2 shown]
.LBB91_123:                             ;   in Loop: Header=BB91_21 Depth=1
	s_delay_alu instid0(SALU_CYCLE_1)
	s_mov_b32 s71, s15
	s_mov_b32 s70, s13
	;; [unrolled: 1-line block ×3, first 2 shown]
	s_and_b32 vcc_lo, exec_lo, s12
	s_mov_b32 s11, -1
	s_cbranch_vccnz .LBB91_126
.LBB91_124:                             ;   in Loop: Header=BB91_21 Depth=1
	s_mov_b32 s23, -1
                                        ; implicit-def: $sgpr12
                                        ; implicit-def: $sgpr15
                                        ; implicit-def: $sgpr13
                                        ; implicit-def: $sgpr72
	s_delay_alu instid0(SALU_CYCLE_1) | instskip(NEXT) | instid1(SALU_CYCLE_1)
	s_and_saveexec_b32 s8, s23
	s_xor_b32 s8, exec_lo, s8
	s_cbranch_execz .LBB91_19
	s_branch .LBB91_252
.LBB91_125:                             ;   in Loop: Header=BB91_21 Depth=1
	s_mov_b32 s7, 1
	s_and_b32 vcc_lo, exec_lo, s12
	s_mov_b32 s11, -1
	s_cbranch_vccz .LBB91_124
.LBB91_126:                             ;   in Loop: Header=BB91_21 Depth=1
	s_cmp_eq_u32 s19, 1
	s_mov_b32 s22, -1
	s_cselect_b32 s7, -1, 0
	s_cmp_eq_u32 s20, 1
	s_cselect_b32 s12, -1, 0
	s_delay_alu instid0(SALU_CYCLE_1) | instskip(NEXT) | instid1(SALU_CYCLE_1)
	s_and_b32 s21, s7, s12
	s_and_b32 vcc_lo, exec_lo, s21
	s_cbranch_vccz .LBB91_138
; %bb.127:                              ;   in Loop: Header=BB91_21 Depth=1
	ds_load_b32 v1, v7 offset:4104
	s_waitcnt lgkmcnt(0)
	s_barrier
	buffer_gl0_inv
	v_readfirstlane_b32 s7, v1
	s_and_saveexec_b32 s12, s1
	s_cbranch_execz .LBB91_129
; %bb.128:                              ;   in Loop: Header=BB91_21 Depth=1
	ds_store_b32 v18, v7
.LBB91_129:                             ;   in Loop: Header=BB91_21 Depth=1
	s_or_b32 exec_lo, exec_lo, s12
	s_lshl_b32 s12, 1, s16
	s_and_b32 s13, s70, s17
	s_or_b32 s71, s71, s9
	s_or_b32 s70, s13, s12
	s_cmp_eq_u32 s7, 0
	s_waitcnt lgkmcnt(0)
	s_barrier
	buffer_gl0_inv
	s_cbranch_scc1 .LBB91_142
; %bb.130:                              ;   in Loop: Header=BB91_21 Depth=1
	s_add_i32 s12, s7, s48
	s_mov_b32 s22, 0
	s_mul_hi_u32 s13, s12, s58
                                        ; implicit-def: $vgpr15
	s_delay_alu instid0(SALU_CYCLE_1) | instskip(NEXT) | instid1(SALU_CYCLE_1)
	s_mul_i32 s13, s13, s45
	s_sub_i32 s13, s12, s13
	s_delay_alu instid0(SALU_CYCLE_1) | instskip(SKIP_2) | instid1(SALU_CYCLE_1)
	s_sub_i32 s15, s13, s45
	s_cmp_ge_u32 s13, s45
	s_cselect_b32 s13, s15, s13
	s_sub_i32 s15, s13, s45
	s_cmp_ge_u32 s13, s45
	s_cselect_b32 s13, s15, s13
	s_delay_alu instid0(SALU_CYCLE_1)
	s_sub_i32 s13, s12, s13
	s_mov_b32 s12, exec_lo
	v_cmpx_gt_u32_e64 s13, v0
	s_cbranch_execz .LBB91_144
; %bb.131:                              ;   in Loop: Header=BB91_21 Depth=1
	v_dual_mov_b32 v1, v17 :: v_dual_mov_b32 v2, v0
	s_mov_b32 s15, 0
                                        ; implicit-def: $sgpr18
	s_set_inst_prefetch_distance 0x1
	s_branch .LBB91_133
	.p2align	6
.LBB91_132:                             ;   in Loop: Header=BB91_133 Depth=2
	s_or_b32 exec_lo, exec_lo, s22
	s_waitcnt lgkmcnt(0)
	s_barrier
	buffer_gl0_inv
	ds_load_b64 v[14:15], v7 offset:3072
	v_add_nc_u32_e32 v2, s45, v2
	v_add_nc_u32_e32 v1, s46, v1
	s_waitcnt lgkmcnt(0)
	s_barrier
	buffer_gl0_inv
	v_cmp_le_u32_e32 vcc_lo, s13, v2
	v_readfirstlane_b32 s22, v14
	s_delay_alu instid0(VALU_DEP_1) | instskip(SKIP_1) | instid1(SALU_CYCLE_1)
	s_cmp_lg_u32 s22, 0
	s_cselect_b32 s22, -1, 0
	s_or_b32 s23, vcc_lo, s22
	s_delay_alu instid0(SALU_CYCLE_1) | instskip(NEXT) | instid1(SALU_CYCLE_1)
	s_and_b32 s23, exec_lo, s23
	s_or_b32 s15, s23, s15
	s_and_not1_b32 s18, s18, exec_lo
	s_and_b32 s22, s22, exec_lo
	s_delay_alu instid0(SALU_CYCLE_1)
	s_or_b32 s18, s18, s22
	s_and_not1_b32 exec_lo, exec_lo, s15
	s_cbranch_execz .LBB91_143
.LBB91_133:                             ;   Parent Loop BB91_21 Depth=1
                                        ; =>  This Inner Loop Header: Depth=2
	s_delay_alu instid0(VALU_DEP_1)
	v_cmp_gt_u32_e32 vcc_lo, s7, v2
	v_mov_b32_e32 v14, 0
	s_and_saveexec_b32 s22, vcc_lo
	s_cbranch_execz .LBB91_135
; %bb.134:                              ;   in Loop: Header=BB91_133 Depth=2
	ds_load_b32 v14, v1
.LBB91_135:                             ;   in Loop: Header=BB91_133 Depth=2
	s_or_b32 exec_lo, exec_lo, s22
	s_and_saveexec_b32 s22, vcc_lo
	s_cbranch_execz .LBB91_132
; %bb.136:                              ;   in Loop: Header=BB91_133 Depth=2
	s_waitcnt lgkmcnt(0)
	v_xor_b32_e32 v3, 0x80000000, v14
	s_delay_alu instid0(VALU_DEP_1) | instskip(NEXT) | instid1(VALU_DEP_1)
	v_and_b32_e32 v3, s71, v3
	v_cmp_eq_u32_e32 vcc_lo, s70, v3
	s_and_b32 exec_lo, exec_lo, vcc_lo
	s_cbranch_execz .LBB91_132
; %bb.137:                              ;   in Loop: Header=BB91_133 Depth=2
	ds_store_b64 v7, v[13:14] offset:3072
	s_branch .LBB91_132
.LBB91_138:                             ;   in Loop: Header=BB91_21 Depth=1
                                        ; implicit-def: $sgpr13
                                        ; implicit-def: $sgpr15
                                        ; implicit-def: $sgpr12
	s_branch .LBB91_155
.LBB91_139:                             ;   in Loop: Header=BB91_21 Depth=1
	s_or_b32 exec_lo, exec_lo, s9
	s_waitcnt vmcnt(0) lgkmcnt(0)
	s_barrier
	buffer_gl0_inv
	s_and_saveexec_b32 s7, s2
	s_cbranch_execz .LBB91_141
; %bb.140:                              ;   in Loop: Header=BB91_21 Depth=1
	ds_load_b32 v1, v7 offset:4112
	s_waitcnt lgkmcnt(0)
	ds_store_b32 v7, v1 offset:4104
.LBB91_141:                             ;   in Loop: Header=BB91_21 Depth=1
	s_or_b32 exec_lo, exec_lo, s7
	s_waitcnt lgkmcnt(0)
	s_mov_b32 s7, -1
	s_barrier
	s_and_b32 vcc_lo, exec_lo, s73
	s_cbranch_vccnz .LBB91_39
	s_branch .LBB91_49
.LBB91_142:                             ;   in Loop: Header=BB91_21 Depth=1
	s_mov_b32 s13, -1
	s_mov_b32 s22, 0
                                        ; implicit-def: $sgpr12
                                        ; implicit-def: $vgpr15
	s_mov_b32 s15, s13
	s_cbranch_execnz .LBB91_145
	s_branch .LBB91_155
.LBB91_143:                             ;   in Loop: Header=BB91_21 Depth=1
	s_set_inst_prefetch_distance 0x2
	s_or_b32 exec_lo, exec_lo, s15
	s_delay_alu instid0(SALU_CYCLE_1)
	s_and_b32 s22, s18, exec_lo
.LBB91_144:                             ;   in Loop: Header=BB91_21 Depth=1
	s_or_b32 exec_lo, exec_lo, s12
	s_mov_b32 s12, -1
	s_mov_b32 s13, 0
	s_delay_alu instid0(SALU_CYCLE_1)
	s_mov_b32 s15, s13
	s_branch .LBB91_155
.LBB91_145:                             ;   in Loop: Header=BB91_21 Depth=1
	s_mov_b32 s22, 0
                                        ; implicit-def: $vgpr15
	s_and_saveexec_b32 s12, s6
	s_cbranch_execz .LBB91_154
; %bb.146:                              ;   in Loop: Header=BB91_21 Depth=1
	v_dual_mov_b32 v6, v5 :: v_dual_mov_b32 v1, v0
	s_mov_b32 s13, 0
                                        ; implicit-def: $sgpr15
	s_set_inst_prefetch_distance 0x1
	s_branch .LBB91_148
	.p2align	6
.LBB91_147:                             ;   in Loop: Header=BB91_148 Depth=2
	s_or_b32 exec_lo, exec_lo, s7
	s_waitcnt vmcnt(0) lgkmcnt(0)
	s_barrier
	buffer_gl0_inv
	ds_load_b64 v[14:15], v7 offset:3072
	v_add_nc_u32_e32 v1, s45, v1
	v_add_nc_u32_e32 v6, s49, v6
	s_waitcnt lgkmcnt(0)
	s_barrier
	buffer_gl0_inv
	v_cmp_le_u32_e32 vcc_lo, s59, v1
	v_readfirstlane_b32 s7, v14
	s_delay_alu instid0(VALU_DEP_1) | instskip(SKIP_1) | instid1(SALU_CYCLE_1)
	s_cmp_lg_u32 s7, 0
	s_cselect_b32 s7, -1, 0
	s_or_b32 s18, vcc_lo, s7
	s_delay_alu instid0(SALU_CYCLE_1) | instskip(NEXT) | instid1(SALU_CYCLE_1)
	s_and_b32 s18, exec_lo, s18
	s_or_b32 s13, s18, s13
	s_and_not1_b32 s15, s15, exec_lo
	s_and_b32 s7, s7, exec_lo
	s_delay_alu instid0(SALU_CYCLE_1)
	s_or_b32 s15, s15, s7
	s_and_not1_b32 exec_lo, exec_lo, s13
	s_cbranch_execz .LBB91_153
.LBB91_148:                             ;   Parent Loop BB91_21 Depth=1
                                        ; =>  This Inner Loop Header: Depth=2
	s_delay_alu instid0(VALU_DEP_1)
	v_cmp_gt_u32_e32 vcc_lo, s28, v1
	v_mov_b32_e32 v14, 0
	s_and_saveexec_b32 s18, vcc_lo
	s_cbranch_execz .LBB91_150
; %bb.149:                              ;   in Loop: Header=BB91_148 Depth=2
	v_lshlrev_b64 v[2:3], 2, v[6:7]
	s_delay_alu instid0(VALU_DEP_1) | instskip(NEXT) | instid1(VALU_DEP_1)
	v_add_co_u32 v2, s7, s31, v2
	v_add_co_ci_u32_e64 v3, s7, s40, v3, s7
	global_load_b32 v14, v[2:3], off
.LBB91_150:                             ;   in Loop: Header=BB91_148 Depth=2
	s_or_b32 exec_lo, exec_lo, s18
	s_and_saveexec_b32 s7, vcc_lo
	s_cbranch_execz .LBB91_147
; %bb.151:                              ;   in Loop: Header=BB91_148 Depth=2
	s_waitcnt vmcnt(0)
	v_xor_b32_e32 v2, 0x80000000, v14
	s_delay_alu instid0(VALU_DEP_1) | instskip(NEXT) | instid1(VALU_DEP_1)
	v_and_b32_e32 v2, s71, v2
	v_cmp_eq_u32_e32 vcc_lo, s70, v2
	s_and_b32 exec_lo, exec_lo, vcc_lo
	s_cbranch_execz .LBB91_147
; %bb.152:                              ;   in Loop: Header=BB91_148 Depth=2
	ds_store_b64 v7, v[13:14] offset:3072
	s_branch .LBB91_147
.LBB91_153:                             ;   in Loop: Header=BB91_21 Depth=1
	s_set_inst_prefetch_distance 0x2
	s_or_b32 exec_lo, exec_lo, s13
	s_delay_alu instid0(SALU_CYCLE_1)
	s_and_b32 s22, s15, exec_lo
.LBB91_154:                             ;   in Loop: Header=BB91_21 Depth=1
	s_or_b32 exec_lo, exec_lo, s12
	s_mov_b32 s15, -1
	s_mov_b32 s13, 0
	s_mov_b32 s12, 0
.LBB91_155:                             ;   in Loop: Header=BB91_21 Depth=1
	s_mov_b32 s23, 0
                                        ; implicit-def: $sgpr7
	s_and_saveexec_b32 s18, s22
	s_cbranch_execz .LBB91_251
; %bb.156:                              ;   in Loop: Header=BB91_21 Depth=1
	s_xor_b32 s7, s21, -1
	s_mov_b32 s21, 0
	s_and_not1_b32 vcc_lo, exec_lo, s7
	s_mov_b32 s24, 1
	s_cbranch_vccnz .LBB91_167
; %bb.157:                              ;   in Loop: Header=BB91_21 Depth=1
	s_cmp_gt_u32 s20, s19
	s_mov_b32 s21, -1
                                        ; implicit-def: $sgpr7
                                        ; implicit-def: $sgpr22
                                        ; implicit-def: $sgpr23
	s_cbranch_scc1 .LBB91_163
; %bb.158:                              ;   in Loop: Header=BB91_21 Depth=1
	ds_load_b32 v1, v7 offset:4104
	s_waitcnt lgkmcnt(0)
	v_cmp_ne_u32_e32 vcc_lo, 0, v1
	s_cbranch_vccnz .LBB91_162
; %bb.159:                              ;   in Loop: Header=BB91_21 Depth=1
	s_and_saveexec_b32 s7, s2
	s_cbranch_execz .LBB91_161
; %bb.160:                              ;   in Loop: Header=BB91_21 Depth=1
	v_mov_b32_e32 v1, s19
	ds_store_b32 v7, v1 offset:4108
.LBB91_161:                             ;   in Loop: Header=BB91_21 Depth=1
	s_or_b32 exec_lo, exec_lo, s7
	s_waitcnt lgkmcnt(0)
	s_barrier
	buffer_gl0_inv
.LBB91_162:                             ;   in Loop: Header=BB91_21 Depth=1
	s_lshl_b32 s7, 1, s16
	s_and_b32 s21, s70, s17
	s_or_b32 s23, s71, s9
	s_or_b32 s22, s21, s7
	s_mov_b32 s21, 0
	s_mov_b32 s7, 8
.LBB91_163:                             ;   in Loop: Header=BB91_21 Depth=1
	s_and_not1_b32 vcc_lo, exec_lo, s21
	s_cbranch_vccnz .LBB91_165
; %bb.164:                              ;   in Loop: Header=BB91_21 Depth=1
	s_sub_i32 s20, s20, s19
	s_mov_b32 s21, -1
	s_mov_b32 s7, 0
	s_mov_b32 s22, s70
	;; [unrolled: 1-line block ×3, first 2 shown]
.LBB91_165:                             ;   in Loop: Header=BB91_21 Depth=1
	s_delay_alu instid0(SALU_CYCLE_1)
	s_mov_b32 s71, s23
	s_mov_b32 s70, s22
	;; [unrolled: 1-line block ×3, first 2 shown]
	s_and_not1_b32 vcc_lo, exec_lo, s21
	s_mov_b32 s26, -1
	s_cbranch_vccz .LBB91_168
.LBB91_166:                             ;   in Loop: Header=BB91_21 Depth=1
                                        ; implicit-def: $sgpr20
                                        ; implicit-def: $sgpr21
                                        ; implicit-def: $sgpr19
	s_branch .LBB91_250
.LBB91_167:                             ;   in Loop: Header=BB91_21 Depth=1
	s_mov_b32 s7, 1
	s_and_not1_b32 vcc_lo, exec_lo, s21
	s_mov_b32 s26, -1
	s_cbranch_vccnz .LBB91_166
.LBB91_168:                             ;   in Loop: Header=BB91_21 Depth=1
	s_cmp_eq_u32 s14, 1
	s_mov_b32 s25, -1
	s_cselect_b32 s7, -1, 0
	s_cmp_eq_u32 s24, 1
	s_cselect_b32 s19, -1, 0
	s_delay_alu instid0(SALU_CYCLE_1) | instskip(NEXT) | instid1(SALU_CYCLE_1)
	s_and_b32 s23, s7, s19
	s_and_b32 vcc_lo, exec_lo, s23
	s_cbranch_vccz .LBB91_180
; %bb.169:                              ;   in Loop: Header=BB91_21 Depth=1
	ds_load_b32 v1, v7 offset:4104
	s_waitcnt lgkmcnt(0)
	s_barrier
	buffer_gl0_inv
	v_readfirstlane_b32 s7, v1
	s_and_saveexec_b32 s19, s1
	s_cbranch_execz .LBB91_171
; %bb.170:                              ;   in Loop: Header=BB91_21 Depth=1
	ds_store_b32 v18, v7
.LBB91_171:                             ;   in Loop: Header=BB91_21 Depth=1
	s_or_b32 exec_lo, exec_lo, s19
	s_lshl_b32 s19, 2, s16
	s_and_b32 s20, s70, s17
	s_or_b32 s71, s71, s9
	s_or_b32 s70, s20, s19
	s_cmp_eq_u32 s7, 0
	s_waitcnt lgkmcnt(0)
	s_barrier
	buffer_gl0_inv
	s_cbranch_scc1 .LBB91_181
; %bb.172:                              ;   in Loop: Header=BB91_21 Depth=1
	s_add_i32 s19, s7, s48
	s_mov_b32 s25, 0
	s_mul_hi_u32 s20, s19, s58
                                        ; implicit-def: $vgpr15
	s_delay_alu instid0(SALU_CYCLE_1) | instskip(NEXT) | instid1(SALU_CYCLE_1)
	s_mul_i32 s20, s20, s45
	s_sub_i32 s20, s19, s20
	s_delay_alu instid0(SALU_CYCLE_1) | instskip(SKIP_2) | instid1(SALU_CYCLE_1)
	s_sub_i32 s21, s20, s45
	s_cmp_ge_u32 s20, s45
	s_cselect_b32 s20, s21, s20
	s_sub_i32 s21, s20, s45
	s_cmp_ge_u32 s20, s45
	s_cselect_b32 s20, s21, s20
	s_delay_alu instid0(SALU_CYCLE_1)
	s_sub_i32 s20, s19, s20
	s_mov_b32 s19, exec_lo
	v_cmpx_gt_u32_e64 s20, v0
	s_cbranch_execz .LBB91_183
; %bb.173:                              ;   in Loop: Header=BB91_21 Depth=1
	v_dual_mov_b32 v1, v17 :: v_dual_mov_b32 v2, v0
	s_mov_b32 s21, 0
                                        ; implicit-def: $sgpr22
	s_set_inst_prefetch_distance 0x1
	s_branch .LBB91_175
	.p2align	6
.LBB91_174:                             ;   in Loop: Header=BB91_175 Depth=2
	s_or_b32 exec_lo, exec_lo, s25
	s_waitcnt lgkmcnt(0)
	s_barrier
	buffer_gl0_inv
	ds_load_b64 v[14:15], v7 offset:3072
	v_add_nc_u32_e32 v2, s45, v2
	v_add_nc_u32_e32 v1, s46, v1
	s_waitcnt lgkmcnt(0)
	s_barrier
	buffer_gl0_inv
	v_cmp_le_u32_e32 vcc_lo, s20, v2
	v_readfirstlane_b32 s25, v14
	s_delay_alu instid0(VALU_DEP_1) | instskip(SKIP_1) | instid1(SALU_CYCLE_1)
	s_cmp_lg_u32 s25, 0
	s_cselect_b32 s25, -1, 0
	s_or_b32 s26, vcc_lo, s25
	s_delay_alu instid0(SALU_CYCLE_1) | instskip(NEXT) | instid1(SALU_CYCLE_1)
	s_and_b32 s26, exec_lo, s26
	s_or_b32 s21, s26, s21
	s_and_not1_b32 s22, s22, exec_lo
	s_and_b32 s25, s25, exec_lo
	s_delay_alu instid0(SALU_CYCLE_1)
	s_or_b32 s22, s22, s25
	s_and_not1_b32 exec_lo, exec_lo, s21
	s_cbranch_execz .LBB91_182
.LBB91_175:                             ;   Parent Loop BB91_21 Depth=1
                                        ; =>  This Inner Loop Header: Depth=2
	s_delay_alu instid0(VALU_DEP_1)
	v_cmp_gt_u32_e32 vcc_lo, s7, v2
	v_mov_b32_e32 v14, 0
	s_and_saveexec_b32 s25, vcc_lo
	s_cbranch_execz .LBB91_177
; %bb.176:                              ;   in Loop: Header=BB91_175 Depth=2
	ds_load_b32 v14, v1
.LBB91_177:                             ;   in Loop: Header=BB91_175 Depth=2
	s_or_b32 exec_lo, exec_lo, s25
	s_and_saveexec_b32 s25, vcc_lo
	s_cbranch_execz .LBB91_174
; %bb.178:                              ;   in Loop: Header=BB91_175 Depth=2
	s_waitcnt lgkmcnt(0)
	v_xor_b32_e32 v3, 0x80000000, v14
	s_delay_alu instid0(VALU_DEP_1) | instskip(NEXT) | instid1(VALU_DEP_1)
	v_and_b32_e32 v3, s71, v3
	v_cmp_eq_u32_e32 vcc_lo, s70, v3
	s_and_b32 exec_lo, exec_lo, vcc_lo
	s_cbranch_execz .LBB91_174
; %bb.179:                              ;   in Loop: Header=BB91_175 Depth=2
	ds_store_b64 v7, v[13:14] offset:3072
	s_branch .LBB91_174
.LBB91_180:                             ;   in Loop: Header=BB91_21 Depth=1
                                        ; implicit-def: $sgpr19
                                        ; implicit-def: $sgpr21
                                        ; implicit-def: $sgpr20
	s_branch .LBB91_194
.LBB91_181:                             ;   in Loop: Header=BB91_21 Depth=1
	s_mov_b32 s19, -1
	s_mov_b32 s25, 0
                                        ; implicit-def: $sgpr20
                                        ; implicit-def: $vgpr15
	s_mov_b32 s21, s19
	s_cbranch_execnz .LBB91_184
	s_branch .LBB91_194
.LBB91_182:                             ;   in Loop: Header=BB91_21 Depth=1
	s_set_inst_prefetch_distance 0x2
	s_or_b32 exec_lo, exec_lo, s21
	s_delay_alu instid0(SALU_CYCLE_1)
	s_and_b32 s25, s22, exec_lo
.LBB91_183:                             ;   in Loop: Header=BB91_21 Depth=1
	s_or_b32 exec_lo, exec_lo, s19
	s_mov_b32 s20, -1
	s_mov_b32 s19, 0
	s_delay_alu instid0(SALU_CYCLE_1)
	s_mov_b32 s21, s19
	s_branch .LBB91_194
.LBB91_184:                             ;   in Loop: Header=BB91_21 Depth=1
	s_mov_b32 s25, 0
                                        ; implicit-def: $vgpr15
	s_and_saveexec_b32 s19, s6
	s_cbranch_execz .LBB91_193
; %bb.185:                              ;   in Loop: Header=BB91_21 Depth=1
	v_dual_mov_b32 v6, v5 :: v_dual_mov_b32 v1, v0
	s_mov_b32 s20, 0
                                        ; implicit-def: $sgpr21
	s_set_inst_prefetch_distance 0x1
	s_branch .LBB91_187
	.p2align	6
.LBB91_186:                             ;   in Loop: Header=BB91_187 Depth=2
	s_or_b32 exec_lo, exec_lo, s7
	s_waitcnt vmcnt(0) lgkmcnt(0)
	s_barrier
	buffer_gl0_inv
	ds_load_b64 v[14:15], v7 offset:3072
	v_add_nc_u32_e32 v1, s45, v1
	v_add_nc_u32_e32 v6, s49, v6
	s_waitcnt lgkmcnt(0)
	s_barrier
	buffer_gl0_inv
	v_cmp_le_u32_e32 vcc_lo, s59, v1
	v_readfirstlane_b32 s7, v14
	s_delay_alu instid0(VALU_DEP_1) | instskip(SKIP_1) | instid1(SALU_CYCLE_1)
	s_cmp_lg_u32 s7, 0
	s_cselect_b32 s7, -1, 0
	s_or_b32 s22, vcc_lo, s7
	s_delay_alu instid0(SALU_CYCLE_1) | instskip(NEXT) | instid1(SALU_CYCLE_1)
	s_and_b32 s22, exec_lo, s22
	s_or_b32 s20, s22, s20
	s_and_not1_b32 s21, s21, exec_lo
	s_and_b32 s7, s7, exec_lo
	s_delay_alu instid0(SALU_CYCLE_1)
	s_or_b32 s21, s21, s7
	s_and_not1_b32 exec_lo, exec_lo, s20
	s_cbranch_execz .LBB91_192
.LBB91_187:                             ;   Parent Loop BB91_21 Depth=1
                                        ; =>  This Inner Loop Header: Depth=2
	s_delay_alu instid0(VALU_DEP_1)
	v_cmp_gt_u32_e32 vcc_lo, s28, v1
	v_mov_b32_e32 v14, 0
	s_and_saveexec_b32 s22, vcc_lo
	s_cbranch_execz .LBB91_189
; %bb.188:                              ;   in Loop: Header=BB91_187 Depth=2
	v_lshlrev_b64 v[2:3], 2, v[6:7]
	s_delay_alu instid0(VALU_DEP_1) | instskip(NEXT) | instid1(VALU_DEP_1)
	v_add_co_u32 v2, s7, s31, v2
	v_add_co_ci_u32_e64 v3, s7, s40, v3, s7
	global_load_b32 v14, v[2:3], off
.LBB91_189:                             ;   in Loop: Header=BB91_187 Depth=2
	s_or_b32 exec_lo, exec_lo, s22
	s_and_saveexec_b32 s7, vcc_lo
	s_cbranch_execz .LBB91_186
; %bb.190:                              ;   in Loop: Header=BB91_187 Depth=2
	s_waitcnt vmcnt(0)
	v_xor_b32_e32 v2, 0x80000000, v14
	s_delay_alu instid0(VALU_DEP_1) | instskip(NEXT) | instid1(VALU_DEP_1)
	v_and_b32_e32 v2, s71, v2
	v_cmp_eq_u32_e32 vcc_lo, s70, v2
	s_and_b32 exec_lo, exec_lo, vcc_lo
	s_cbranch_execz .LBB91_186
; %bb.191:                              ;   in Loop: Header=BB91_187 Depth=2
	ds_store_b64 v7, v[13:14] offset:3072
	s_branch .LBB91_186
.LBB91_192:                             ;   in Loop: Header=BB91_21 Depth=1
	s_set_inst_prefetch_distance 0x2
	s_or_b32 exec_lo, exec_lo, s20
	s_delay_alu instid0(SALU_CYCLE_1)
	s_and_b32 s25, s21, exec_lo
.LBB91_193:                             ;   in Loop: Header=BB91_21 Depth=1
	s_or_b32 exec_lo, exec_lo, s19
	s_mov_b32 s21, -1
	s_mov_b32 s19, 0
	s_mov_b32 s20, 0
.LBB91_194:                             ;   in Loop: Header=BB91_21 Depth=1
	s_mov_b32 s26, 0
                                        ; implicit-def: $sgpr7
	s_and_saveexec_b32 s22, s25
	s_cbranch_execz .LBB91_249
; %bb.195:                              ;   in Loop: Header=BB91_21 Depth=1
	s_xor_b32 s7, s23, -1
	s_mov_b32 s25, 0
	s_and_not1_b32 vcc_lo, exec_lo, s7
	s_mov_b32 s23, 1
	s_cbranch_vccnz .LBB91_206
; %bb.196:                              ;   in Loop: Header=BB91_21 Depth=1
	s_cmp_gt_u32 s24, s14
	s_mov_b32 s25, -1
                                        ; implicit-def: $sgpr7
                                        ; implicit-def: $sgpr23
                                        ; implicit-def: $sgpr26
	s_cbranch_scc1 .LBB91_202
; %bb.197:                              ;   in Loop: Header=BB91_21 Depth=1
	ds_load_b32 v1, v7 offset:4104
	s_waitcnt lgkmcnt(0)
	v_cmp_ne_u32_e32 vcc_lo, 0, v1
	s_cbranch_vccnz .LBB91_201
; %bb.198:                              ;   in Loop: Header=BB91_21 Depth=1
	s_and_saveexec_b32 s7, s2
	s_cbranch_execz .LBB91_200
; %bb.199:                              ;   in Loop: Header=BB91_21 Depth=1
	v_mov_b32_e32 v1, s14
	ds_store_b32 v7, v1 offset:4108
.LBB91_200:                             ;   in Loop: Header=BB91_21 Depth=1
	s_or_b32 exec_lo, exec_lo, s7
	s_waitcnt lgkmcnt(0)
	s_barrier
	buffer_gl0_inv
.LBB91_201:                             ;   in Loop: Header=BB91_21 Depth=1
	s_lshl_b32 s7, 2, s16
	s_and_b32 s16, s70, s17
	s_or_b32 s26, s71, s9
	s_or_b32 s23, s16, s7
	s_mov_b32 s25, 0
	s_mov_b32 s7, 8
.LBB91_202:                             ;   in Loop: Header=BB91_21 Depth=1
	s_and_not1_b32 vcc_lo, exec_lo, s25
	s_cbranch_vccnz .LBB91_204
; %bb.203:                              ;   in Loop: Header=BB91_21 Depth=1
	s_sub_i32 s24, s24, s14
	s_mov_b32 s25, -1
	s_mov_b32 s7, 0
	s_mov_b32 s23, s70
	;; [unrolled: 1-line block ×3, first 2 shown]
.LBB91_204:                             ;   in Loop: Header=BB91_21 Depth=1
	s_delay_alu instid0(SALU_CYCLE_1)
	s_mov_b32 s71, s26
	s_mov_b32 s70, s23
	;; [unrolled: 1-line block ×3, first 2 shown]
	s_and_not1_b32 vcc_lo, exec_lo, s25
	s_mov_b32 s72, -1
	s_cbranch_vccz .LBB91_207
.LBB91_205:                             ;   in Loop: Header=BB91_21 Depth=1
                                        ; implicit-def: $sgpr16
                                        ; implicit-def: $sgpr24
                                        ; implicit-def: $sgpr17
	s_branch .LBB91_248
.LBB91_206:                             ;   in Loop: Header=BB91_21 Depth=1
	s_mov_b32 s7, 1
	s_and_not1_b32 vcc_lo, exec_lo, s25
	s_mov_b32 s72, -1
	s_cbranch_vccnz .LBB91_205
.LBB91_207:                             ;   in Loop: Header=BB91_21 Depth=1
	s_cmp_eq_u32 s8, 1
	s_mov_b32 s25, -1
	s_cselect_b32 s7, -1, 0
	s_cmp_eq_u32 s23, 1
	s_cselect_b32 s14, -1, 0
	s_delay_alu instid0(SALU_CYCLE_1) | instskip(NEXT) | instid1(SALU_CYCLE_1)
	s_and_b32 s14, s7, s14
	s_and_b32 vcc_lo, exec_lo, s14
	s_cbranch_vccz .LBB91_219
; %bb.208:                              ;   in Loop: Header=BB91_21 Depth=1
	ds_load_b32 v1, v7 offset:4104
	s_waitcnt lgkmcnt(0)
	s_barrier
	buffer_gl0_inv
	v_readfirstlane_b32 s7, v1
	s_and_saveexec_b32 s16, s1
	s_cbranch_execz .LBB91_210
; %bb.209:                              ;   in Loop: Header=BB91_21 Depth=1
	ds_store_b32 v18, v7
.LBB91_210:                             ;   in Loop: Header=BB91_21 Depth=1
	s_or_b32 exec_lo, exec_lo, s16
	s_or_b32 s70, s70, s9
	s_or_b32 s71, s71, s9
	s_cmp_eq_u32 s7, 0
	s_waitcnt lgkmcnt(0)
	s_barrier
	buffer_gl0_inv
	s_cbranch_scc1 .LBB91_220
; %bb.211:                              ;   in Loop: Header=BB91_21 Depth=1
	s_add_i32 s16, s7, s48
	s_mov_b32 s25, 0
	s_mul_hi_u32 s17, s16, s58
                                        ; implicit-def: $vgpr15
	s_delay_alu instid0(SALU_CYCLE_1) | instskip(NEXT) | instid1(SALU_CYCLE_1)
	s_mul_i32 s17, s17, s45
	s_sub_i32 s17, s16, s17
	s_delay_alu instid0(SALU_CYCLE_1) | instskip(SKIP_2) | instid1(SALU_CYCLE_1)
	s_sub_i32 s24, s17, s45
	s_cmp_ge_u32 s17, s45
	s_cselect_b32 s17, s24, s17
	s_sub_i32 s24, s17, s45
	s_cmp_ge_u32 s17, s45
	s_cselect_b32 s17, s24, s17
	s_delay_alu instid0(SALU_CYCLE_1)
	s_sub_i32 s17, s16, s17
	s_mov_b32 s16, exec_lo
	v_cmpx_gt_u32_e64 s17, v0
	s_cbranch_execz .LBB91_222
; %bb.212:                              ;   in Loop: Header=BB91_21 Depth=1
	v_dual_mov_b32 v1, v17 :: v_dual_mov_b32 v2, v0
	s_mov_b32 s24, 0
                                        ; implicit-def: $sgpr25
	s_set_inst_prefetch_distance 0x1
	s_branch .LBB91_214
	.p2align	6
.LBB91_213:                             ;   in Loop: Header=BB91_214 Depth=2
	s_or_b32 exec_lo, exec_lo, s26
	s_waitcnt lgkmcnt(0)
	s_barrier
	buffer_gl0_inv
	ds_load_b64 v[14:15], v7 offset:3072
	v_add_nc_u32_e32 v2, s45, v2
	v_add_nc_u32_e32 v1, s46, v1
	s_waitcnt lgkmcnt(0)
	s_barrier
	buffer_gl0_inv
	v_cmp_le_u32_e32 vcc_lo, s17, v2
	v_readfirstlane_b32 s26, v14
	s_delay_alu instid0(VALU_DEP_1) | instskip(SKIP_1) | instid1(SALU_CYCLE_1)
	s_cmp_lg_u32 s26, 0
	s_cselect_b32 s26, -1, 0
	s_or_b32 s72, vcc_lo, s26
	s_delay_alu instid0(SALU_CYCLE_1) | instskip(NEXT) | instid1(SALU_CYCLE_1)
	s_and_b32 s72, exec_lo, s72
	s_or_b32 s24, s72, s24
	s_and_not1_b32 s25, s25, exec_lo
	s_and_b32 s26, s26, exec_lo
	s_delay_alu instid0(SALU_CYCLE_1)
	s_or_b32 s25, s25, s26
	s_and_not1_b32 exec_lo, exec_lo, s24
	s_cbranch_execz .LBB91_221
.LBB91_214:                             ;   Parent Loop BB91_21 Depth=1
                                        ; =>  This Inner Loop Header: Depth=2
	s_delay_alu instid0(VALU_DEP_1)
	v_cmp_gt_u32_e32 vcc_lo, s7, v2
	v_mov_b32_e32 v14, 0
	s_and_saveexec_b32 s26, vcc_lo
	s_cbranch_execz .LBB91_216
; %bb.215:                              ;   in Loop: Header=BB91_214 Depth=2
	ds_load_b32 v14, v1
.LBB91_216:                             ;   in Loop: Header=BB91_214 Depth=2
	s_or_b32 exec_lo, exec_lo, s26
	s_and_saveexec_b32 s26, vcc_lo
	s_cbranch_execz .LBB91_213
; %bb.217:                              ;   in Loop: Header=BB91_214 Depth=2
	s_waitcnt lgkmcnt(0)
	v_xor_b32_e32 v3, 0x80000000, v14
	s_delay_alu instid0(VALU_DEP_1) | instskip(NEXT) | instid1(VALU_DEP_1)
	v_and_b32_e32 v3, s71, v3
	v_cmp_eq_u32_e32 vcc_lo, s70, v3
	s_and_b32 exec_lo, exec_lo, vcc_lo
	s_cbranch_execz .LBB91_213
; %bb.218:                              ;   in Loop: Header=BB91_214 Depth=2
	ds_store_b64 v7, v[13:14] offset:3072
	s_branch .LBB91_213
.LBB91_219:                             ;   in Loop: Header=BB91_21 Depth=1
                                        ; implicit-def: $sgpr16
                                        ; implicit-def: $sgpr24
                                        ; implicit-def: $sgpr17
	s_branch .LBB91_233
.LBB91_220:                             ;   in Loop: Header=BB91_21 Depth=1
	s_mov_b32 s16, -1
	s_mov_b32 s25, 0
                                        ; implicit-def: $sgpr17
                                        ; implicit-def: $vgpr15
	s_mov_b32 s24, s16
	s_cbranch_execnz .LBB91_223
	s_branch .LBB91_233
.LBB91_221:                             ;   in Loop: Header=BB91_21 Depth=1
	s_set_inst_prefetch_distance 0x2
	s_or_b32 exec_lo, exec_lo, s24
	s_delay_alu instid0(SALU_CYCLE_1)
	s_and_b32 s25, s25, exec_lo
.LBB91_222:                             ;   in Loop: Header=BB91_21 Depth=1
	s_or_b32 exec_lo, exec_lo, s16
	s_mov_b32 s17, -1
	s_mov_b32 s16, 0
	s_delay_alu instid0(SALU_CYCLE_1)
	s_mov_b32 s24, s16
	s_branch .LBB91_233
.LBB91_223:                             ;   in Loop: Header=BB91_21 Depth=1
	s_mov_b32 s25, 0
                                        ; implicit-def: $vgpr15
	s_and_saveexec_b32 s16, s6
	s_cbranch_execz .LBB91_232
; %bb.224:                              ;   in Loop: Header=BB91_21 Depth=1
	v_dual_mov_b32 v6, v5 :: v_dual_mov_b32 v1, v0
	s_mov_b32 s17, 0
                                        ; implicit-def: $sgpr24
	s_set_inst_prefetch_distance 0x1
	s_branch .LBB91_226
	.p2align	6
.LBB91_225:                             ;   in Loop: Header=BB91_226 Depth=2
	s_or_b32 exec_lo, exec_lo, s7
	s_waitcnt vmcnt(0) lgkmcnt(0)
	s_barrier
	buffer_gl0_inv
	ds_load_b64 v[14:15], v7 offset:3072
	v_add_nc_u32_e32 v1, s45, v1
	v_add_nc_u32_e32 v6, s49, v6
	s_waitcnt lgkmcnt(0)
	s_barrier
	buffer_gl0_inv
	v_cmp_le_u32_e32 vcc_lo, s59, v1
	v_readfirstlane_b32 s7, v14
	s_delay_alu instid0(VALU_DEP_1) | instskip(SKIP_1) | instid1(SALU_CYCLE_1)
	s_cmp_lg_u32 s7, 0
	s_cselect_b32 s7, -1, 0
	s_or_b32 s25, vcc_lo, s7
	s_delay_alu instid0(SALU_CYCLE_1) | instskip(NEXT) | instid1(SALU_CYCLE_1)
	s_and_b32 s25, exec_lo, s25
	s_or_b32 s17, s25, s17
	s_and_not1_b32 s24, s24, exec_lo
	s_and_b32 s7, s7, exec_lo
	s_delay_alu instid0(SALU_CYCLE_1)
	s_or_b32 s24, s24, s7
	s_and_not1_b32 exec_lo, exec_lo, s17
	s_cbranch_execz .LBB91_231
.LBB91_226:                             ;   Parent Loop BB91_21 Depth=1
                                        ; =>  This Inner Loop Header: Depth=2
	s_delay_alu instid0(VALU_DEP_1)
	v_cmp_gt_u32_e32 vcc_lo, s28, v1
	v_mov_b32_e32 v14, 0
	s_and_saveexec_b32 s25, vcc_lo
	s_cbranch_execz .LBB91_228
; %bb.227:                              ;   in Loop: Header=BB91_226 Depth=2
	v_lshlrev_b64 v[2:3], 2, v[6:7]
	s_delay_alu instid0(VALU_DEP_1) | instskip(NEXT) | instid1(VALU_DEP_1)
	v_add_co_u32 v2, s7, s31, v2
	v_add_co_ci_u32_e64 v3, s7, s40, v3, s7
	global_load_b32 v14, v[2:3], off
.LBB91_228:                             ;   in Loop: Header=BB91_226 Depth=2
	s_or_b32 exec_lo, exec_lo, s25
	s_and_saveexec_b32 s7, vcc_lo
	s_cbranch_execz .LBB91_225
; %bb.229:                              ;   in Loop: Header=BB91_226 Depth=2
	s_waitcnt vmcnt(0)
	v_xor_b32_e32 v2, 0x80000000, v14
	s_delay_alu instid0(VALU_DEP_1) | instskip(NEXT) | instid1(VALU_DEP_1)
	v_and_b32_e32 v2, s71, v2
	v_cmp_eq_u32_e32 vcc_lo, s70, v2
	s_and_b32 exec_lo, exec_lo, vcc_lo
	s_cbranch_execz .LBB91_225
; %bb.230:                              ;   in Loop: Header=BB91_226 Depth=2
	ds_store_b64 v7, v[13:14] offset:3072
	s_branch .LBB91_225
.LBB91_231:                             ;   in Loop: Header=BB91_21 Depth=1
	s_set_inst_prefetch_distance 0x2
	s_or_b32 exec_lo, exec_lo, s17
	s_delay_alu instid0(SALU_CYCLE_1)
	s_and_b32 s25, s24, exec_lo
.LBB91_232:                             ;   in Loop: Header=BB91_21 Depth=1
	s_or_b32 exec_lo, exec_lo, s16
	s_mov_b32 s24, -1
	s_mov_b32 s16, 0
	s_mov_b32 s17, 0
.LBB91_233:                             ;   in Loop: Header=BB91_21 Depth=1
	s_mov_b32 s72, 0
                                        ; implicit-def: $sgpr7
	s_and_saveexec_b32 s26, s25
	s_cbranch_execz .LBB91_247
; %bb.234:                              ;   in Loop: Header=BB91_21 Depth=1
	s_xor_b32 s7, s14, -1
	s_delay_alu instid0(SALU_CYCLE_1)
	s_and_not1_b32 vcc_lo, exec_lo, s7
	s_mov_b32 s7, 1
	s_cbranch_vccnz .LBB91_241
; %bb.235:                              ;   in Loop: Header=BB91_21 Depth=1
	s_cmp_gt_u32 s23, s8
	s_cbranch_scc1 .LBB91_242
; %bb.236:                              ;   in Loop: Header=BB91_21 Depth=1
	ds_load_b32 v1, v7 offset:4104
	s_waitcnt lgkmcnt(0)
	v_cmp_ne_u32_e32 vcc_lo, 0, v1
	s_cbranch_vccnz .LBB91_240
; %bb.237:                              ;   in Loop: Header=BB91_21 Depth=1
	s_and_saveexec_b32 s7, s2
	s_cbranch_execz .LBB91_239
; %bb.238:                              ;   in Loop: Header=BB91_21 Depth=1
	v_mov_b32_e32 v1, s8
	ds_store_b32 v7, v1 offset:4108
.LBB91_239:                             ;   in Loop: Header=BB91_21 Depth=1
	s_or_b32 exec_lo, exec_lo, s7
	s_waitcnt lgkmcnt(0)
	s_barrier
	buffer_gl0_inv
.LBB91_240:                             ;   in Loop: Header=BB91_21 Depth=1
	s_or_b32 s14, s70, s9
	s_or_b32 s9, s71, s9
	s_mov_b32 s25, 0
	s_mov_b32 s7, 8
	s_branch .LBB91_243
.LBB91_241:                             ;   in Loop: Header=BB91_21 Depth=1
	s_mov_b32 s23, 1
	s_branch .LBB91_246
.LBB91_242:                             ;   in Loop: Header=BB91_21 Depth=1
	s_mov_b32 s25, -1
                                        ; implicit-def: $sgpr7
                                        ; implicit-def: $sgpr14
                                        ; implicit-def: $sgpr9
.LBB91_243:                             ;   in Loop: Header=BB91_21 Depth=1
	s_delay_alu instid0(SALU_CYCLE_1)
	s_and_not1_b32 vcc_lo, exec_lo, s25
	s_cbranch_vccnz .LBB91_245
; %bb.244:                              ;   in Loop: Header=BB91_21 Depth=1
	s_sub_i32 s23, s23, s8
	s_mov_b32 s7, 8
	s_mov_b32 s14, s70
	;; [unrolled: 1-line block ×3, first 2 shown]
.LBB91_245:                             ;   in Loop: Header=BB91_21 Depth=1
	s_mov_b32 s70, s14
	s_mov_b32 s71, s9
.LBB91_246:                             ;   in Loop: Header=BB91_21 Depth=1
	s_mov_b32 s72, exec_lo
.LBB91_247:                             ;   in Loop: Header=BB91_21 Depth=1
	s_or_b32 exec_lo, exec_lo, s26
.LBB91_248:                             ;   in Loop: Header=BB91_21 Depth=1
	s_delay_alu instid0(SALU_CYCLE_1)
	s_and_not1_b32 s8, s19, exec_lo
	s_and_b32 s9, s16, exec_lo
	s_and_not1_b32 s14, s20, exec_lo
	s_or_b32 s19, s8, s9
	s_and_not1_b32 s8, s21, exec_lo
	s_and_b32 s9, s24, exec_lo
	s_and_b32 s16, s17, exec_lo
	s_or_b32 s21, s8, s9
	s_or_b32 s20, s14, s16
	s_and_b32 s26, s72, exec_lo
	s_mov_b32 s24, s23
.LBB91_249:                             ;   in Loop: Header=BB91_21 Depth=1
	s_or_b32 exec_lo, exec_lo, s22
.LBB91_250:                             ;   in Loop: Header=BB91_21 Depth=1
	s_delay_alu instid0(SALU_CYCLE_1)
	s_and_not1_b32 s8, s13, exec_lo
	s_and_b32 s9, s19, exec_lo
	s_and_not1_b32 s12, s12, exec_lo
	s_or_b32 s13, s8, s9
	s_and_not1_b32 s8, s15, exec_lo
	s_and_b32 s9, s21, exec_lo
	s_and_b32 s14, s20, exec_lo
	s_or_b32 s15, s8, s9
	s_or_b32 s12, s12, s14
	s_and_b32 s23, s26, exec_lo
	s_mov_b32 s20, s24
.LBB91_251:                             ;   in Loop: Header=BB91_21 Depth=1
	s_or_b32 exec_lo, exec_lo, s18
                                        ; implicit-def: $sgpr72
	s_and_saveexec_b32 s8, s23
	s_delay_alu instid0(SALU_CYCLE_1)
	s_xor_b32 s8, exec_lo, s8
	s_cbranch_execz .LBB91_19
.LBB91_252:                             ;   in Loop: Header=BB91_21 Depth=1
	s_and_b32 s7, s7, -9
	s_delay_alu instid0(SALU_CYCLE_1)
	s_cmp_eq_u32 s7, 0
	s_cbranch_scc1 .LBB91_17
; %bb.253:                              ;   in Loop: Header=BB91_21 Depth=1
	s_mov_b32 s7, -1
	s_mov_b32 s9, -1
                                        ; implicit-def: $sgpr71
                                        ; implicit-def: $sgpr20
                                        ; implicit-def: $sgpr65
                                        ; implicit-def: $sgpr68
	s_branch .LBB91_18
.LBB91_254:
	s_or_b32 exec_lo, exec_lo, s41
	s_xor_b32 s4, s64, -1
	s_xor_b32 s1, s62, -1
	;; [unrolled: 1-line block ×3, first 2 shown]
	s_mov_b32 s2, 0
	s_and_saveexec_b32 s5, s1
	s_delay_alu instid0(SALU_CYCLE_1)
	s_xor_b32 s1, exec_lo, s5
	s_cbranch_execz .LBB91_268
; %bb.255:
	s_and_saveexec_b32 s2, s4
	s_delay_alu instid0(SALU_CYCLE_1)
	s_xor_b32 s4, exec_lo, s2
	s_cbranch_execz .LBB91_266
; %bb.256:
	s_and_saveexec_b32 s2, s3
	s_delay_alu instid0(SALU_CYCLE_1)
	s_xor_b32 s2, exec_lo, s2
; %bb.257:
	v_xor_b32_e32 v15, 0x80000000, v1
; %bb.258:
	s_or_b32 exec_lo, exec_lo, s2
	s_mul_i32 s2, s34, s29
	s_mov_b32 s3, 0
	s_add_i32 s2, s2, s27
	v_mov_b32_e32 v6, 0
	s_lshl_b64 s[6:7], s[2:3], 2
	s_delay_alu instid0(SALU_CYCLE_1)
	s_add_u32 s6, s38, s6
	s_addc_u32 s7, s39, s7
	global_store_b32 v6, v15, s[6:7]
	s_and_saveexec_b32 s2, s0
	s_cbranch_execz .LBB91_265
; %bb.259:
                                        ; implicit-def: $sgpr0
                                        ; implicit-def: $sgpr6
                                        ; implicit-def: $sgpr5
	s_set_inst_prefetch_distance 0x1
	s_branch .LBB91_261
	.p2align	6
.LBB91_260:                             ;   in Loop: Header=BB91_261 Depth=1
	s_or_b32 exec_lo, exec_lo, s7
	s_delay_alu instid0(SALU_CYCLE_1) | instskip(NEXT) | instid1(SALU_CYCLE_1)
	s_and_b32 s7, exec_lo, s6
	s_or_b32 s3, s7, s3
	s_and_not1_b32 s0, s0, exec_lo
	s_and_b32 s7, s5, exec_lo
	s_delay_alu instid0(SALU_CYCLE_1)
	s_or_b32 s0, s0, s7
	s_and_not1_b32 exec_lo, exec_lo, s3
	s_cbranch_execz .LBB91_263
.LBB91_261:                             ; =>This Inner Loop Header: Depth=1
	v_lshlrev_b64 v[1:2], 2, v[5:6]
	s_or_b32 s5, s5, exec_lo
	s_or_b32 s6, s6, exec_lo
	s_mov_b32 s7, exec_lo
	s_delay_alu instid0(VALU_DEP_1) | instskip(NEXT) | instid1(VALU_DEP_2)
	v_add_co_u32 v1, vcc_lo, s31, v1
	v_add_co_ci_u32_e32 v2, vcc_lo, s40, v2, vcc_lo
	global_load_b32 v2, v[1:2], off
	v_mov_b32_e32 v1, v0
                                        ; implicit-def: $vgpr0
	s_waitcnt vmcnt(0)
	v_cmpx_ne_u32_e64 v2, v15
	s_cbranch_execz .LBB91_260
; %bb.262:                              ;   in Loop: Header=BB91_261 Depth=1
	s_delay_alu instid0(VALU_DEP_2) | instskip(SKIP_3) | instid1(VALU_DEP_2)
	v_add_nc_u32_e32 v0, s45, v1
	s_and_not1_b32 s6, s6, exec_lo
	v_add_nc_u32_e32 v5, s49, v5
	s_and_not1_b32 s5, s5, exec_lo
	v_cmp_le_u32_e32 vcc_lo, s28, v0
	s_and_b32 s8, vcc_lo, exec_lo
	s_delay_alu instid0(SALU_CYCLE_1)
	s_or_b32 s6, s6, s8
	s_branch .LBB91_260
.LBB91_263:
	s_set_inst_prefetch_distance 0x2
	s_or_b32 exec_lo, exec_lo, s3
	s_and_saveexec_b32 s3, s0
	s_delay_alu instid0(SALU_CYCLE_1)
	s_xor_b32 s3, exec_lo, s3
	s_cbranch_execz .LBB91_265
; %bb.264:
	s_mul_i32 s0, s44, s33
	s_mov_b32 s7, 0
	s_add_i32 s6, s0, s35
	v_mov_b32_e32 v2, 0
	s_lshl_b64 s[6:7], s[6:7], 3
	s_delay_alu instid0(SALU_CYCLE_1)
	s_add_u32 s6, s36, s6
	s_addc_u32 s7, s37, s7
	global_store_b64 v2, v[1:2], s[6:7]
.LBB91_265:
	s_or_b32 exec_lo, exec_lo, s2
.LBB91_266:
	s_or_saveexec_b32 s0, s4
	s_mov_b32 s2, 0
	s_xor_b32 exec_lo, exec_lo, s0
	s_cbranch_execnz .LBB91_274
.LBB91_267:
	s_or_b32 exec_lo, exec_lo, s0
	s_delay_alu instid0(SALU_CYCLE_1)
	s_and_b32 s2, s2, exec_lo
.LBB91_268:
	s_and_not1_saveexec_b32 s0, s1
	s_cbranch_execnz .LBB91_272
; %bb.269:
	s_or_b32 exec_lo, exec_lo, s0
	s_and_saveexec_b32 s0, s2
.LBB91_270:
	; divergent unreachable
.LBB91_271:
	s_nop 0
	s_sendmsg sendmsg(MSG_DEALLOC_VGPRS)
	s_endpgm
.LBB91_272:
	s_cbranch_execnz .LBB91_276
; %bb.273:
	s_or_b32 s2, s2, exec_lo
	s_or_b32 exec_lo, exec_lo, s0
	s_and_saveexec_b32 s0, s2
	s_cbranch_execnz .LBB91_270
	s_branch .LBB91_271
.LBB91_274:
	s_cbranch_execnz .LBB91_278
; %bb.275:
	s_mov_b32 s2, exec_lo
	s_branch .LBB91_267
.LBB91_276:
	s_trap 2
	s_sendmsg_rtn_b32 s0, sendmsg(MSG_RTN_GET_DOORBELL)
	s_mov_b32 ttmp2, m0
	s_waitcnt lgkmcnt(0)
	s_and_b32 s0, s0, 0x3ff
	s_delay_alu instid0(SALU_CYCLE_1) | instskip(NEXT) | instid1(SALU_CYCLE_1)
	s_bitset1_b32 s0, 10
	s_mov_b32 m0, s0
	s_sendmsg sendmsg(MSG_INTERRUPT)
	s_mov_b32 m0, ttmp2
.LBB91_277:                             ; =>This Inner Loop Header: Depth=1
	s_sethalt 5
	s_branch .LBB91_277
.LBB91_278:
	s_trap 2
	s_sendmsg_rtn_b32 s0, sendmsg(MSG_RTN_GET_DOORBELL)
	s_mov_b32 ttmp2, m0
	s_waitcnt lgkmcnt(0)
	s_and_b32 s0, s0, 0x3ff
	s_delay_alu instid0(SALU_CYCLE_1) | instskip(NEXT) | instid1(SALU_CYCLE_1)
	s_bitset1_b32 s0, 10
	s_mov_b32 m0, s0
	s_sendmsg sendmsg(MSG_INTERRUPT)
	s_mov_b32 m0, ttmp2
.LBB91_279:                             ; =>This Inner Loop Header: Depth=1
	s_sethalt 5
	s_branch .LBB91_279
	.section	.rodata,"a",@progbits
	.p2align	6, 0x0
	.amdhsa_kernel _ZN2at6native12_GLOBAL__N_112gatherMedianIijLin1EEEvNS_4cuda6detail10TensorInfoIT_T0_EENS5_IlS7_EENS5_IKS6_S7_EES7_S7_S7_b
		.amdhsa_group_segment_fixed_size 4120
		.amdhsa_private_segment_fixed_size 0
		.amdhsa_kernarg_size 920
		.amdhsa_user_sgpr_count 13
		.amdhsa_user_sgpr_dispatch_ptr 0
		.amdhsa_user_sgpr_queue_ptr 0
		.amdhsa_user_sgpr_kernarg_segment_ptr 1
		.amdhsa_user_sgpr_dispatch_id 0
		.amdhsa_user_sgpr_private_segment_size 0
		.amdhsa_wavefront_size32 1
		.amdhsa_uses_dynamic_stack 0
		.amdhsa_enable_private_segment 0
		.amdhsa_system_sgpr_workgroup_id_x 1
		.amdhsa_system_sgpr_workgroup_id_y 1
		.amdhsa_system_sgpr_workgroup_id_z 1
		.amdhsa_system_sgpr_workgroup_info 0
		.amdhsa_system_vgpr_workitem_id 0
		.amdhsa_next_free_vgpr 40
		.amdhsa_next_free_sgpr 82
		.amdhsa_reserve_vcc 1
		.amdhsa_float_round_mode_32 0
		.amdhsa_float_round_mode_16_64 0
		.amdhsa_float_denorm_mode_32 3
		.amdhsa_float_denorm_mode_16_64 3
		.amdhsa_dx10_clamp 1
		.amdhsa_ieee_mode 1
		.amdhsa_fp16_overflow 0
		.amdhsa_workgroup_processor_mode 1
		.amdhsa_memory_ordered 1
		.amdhsa_forward_progress 0
		.amdhsa_shared_vgpr_count 0
		.amdhsa_exception_fp_ieee_invalid_op 0
		.amdhsa_exception_fp_denorm_src 0
		.amdhsa_exception_fp_ieee_div_zero 0
		.amdhsa_exception_fp_ieee_overflow 0
		.amdhsa_exception_fp_ieee_underflow 0
		.amdhsa_exception_fp_ieee_inexact 0
		.amdhsa_exception_int_div_zero 0
	.end_amdhsa_kernel
	.section	.text._ZN2at6native12_GLOBAL__N_112gatherMedianIijLin1EEEvNS_4cuda6detail10TensorInfoIT_T0_EENS5_IlS7_EENS5_IKS6_S7_EES7_S7_S7_b,"axG",@progbits,_ZN2at6native12_GLOBAL__N_112gatherMedianIijLin1EEEvNS_4cuda6detail10TensorInfoIT_T0_EENS5_IlS7_EENS5_IKS6_S7_EES7_S7_S7_b,comdat
.Lfunc_end91:
	.size	_ZN2at6native12_GLOBAL__N_112gatherMedianIijLin1EEEvNS_4cuda6detail10TensorInfoIT_T0_EENS5_IlS7_EENS5_IKS6_S7_EES7_S7_S7_b, .Lfunc_end91-_ZN2at6native12_GLOBAL__N_112gatherMedianIijLin1EEEvNS_4cuda6detail10TensorInfoIT_T0_EENS5_IlS7_EENS5_IKS6_S7_EES7_S7_S7_b
                                        ; -- End function
	.section	.AMDGPU.csdata,"",@progbits
; Kernel info:
; codeLenInByte = 10232
; NumSgprs: 84
; NumVgprs: 40
; ScratchSize: 0
; MemoryBound: 0
; FloatMode: 240
; IeeeMode: 1
; LDSByteSize: 4120 bytes/workgroup (compile time only)
; SGPRBlocks: 10
; VGPRBlocks: 4
; NumSGPRsForWavesPerEU: 84
; NumVGPRsForWavesPerEU: 40
; Occupancy: 16
; WaveLimiterHint : 1
; COMPUTE_PGM_RSRC2:SCRATCH_EN: 0
; COMPUTE_PGM_RSRC2:USER_SGPR: 13
; COMPUTE_PGM_RSRC2:TRAP_HANDLER: 0
; COMPUTE_PGM_RSRC2:TGID_X_EN: 1
; COMPUTE_PGM_RSRC2:TGID_Y_EN: 1
; COMPUTE_PGM_RSRC2:TGID_Z_EN: 1
; COMPUTE_PGM_RSRC2:TIDIG_COMP_CNT: 0
	.section	.text._ZN2at6native12_GLOBAL__N_112gatherMedianIimLi1EEEvNS_4cuda6detail10TensorInfoIT_T0_EENS5_IlS7_EENS5_IKS6_S7_EES7_S7_S7_b,"axG",@progbits,_ZN2at6native12_GLOBAL__N_112gatherMedianIimLi1EEEvNS_4cuda6detail10TensorInfoIT_T0_EENS5_IlS7_EENS5_IKS6_S7_EES7_S7_S7_b,comdat
	.globl	_ZN2at6native12_GLOBAL__N_112gatherMedianIimLi1EEEvNS_4cuda6detail10TensorInfoIT_T0_EENS5_IlS7_EENS5_IKS6_S7_EES7_S7_S7_b ; -- Begin function _ZN2at6native12_GLOBAL__N_112gatherMedianIimLi1EEEvNS_4cuda6detail10TensorInfoIT_T0_EENS5_IlS7_EENS5_IKS6_S7_EES7_S7_S7_b
	.p2align	8
	.type	_ZN2at6native12_GLOBAL__N_112gatherMedianIimLi1EEEvNS_4cuda6detail10TensorInfoIT_T0_EENS5_IlS7_EENS5_IKS6_S7_EES7_S7_S7_b,@function
_ZN2at6native12_GLOBAL__N_112gatherMedianIimLi1EEEvNS_4cuda6detail10TensorInfoIT_T0_EENS5_IlS7_EENS5_IKS6_S7_EES7_S7_S7_b: ; @_ZN2at6native12_GLOBAL__N_112gatherMedianIimLi1EEEvNS_4cuda6detail10TensorInfoIT_T0_EENS5_IlS7_EENS5_IKS6_S7_EES7_S7_S7_b
; %bb.0:
	s_clause 0x1
	s_load_b64 s[6:7], s[0:1], 0x500
	s_load_b128 s[24:27], s[0:1], 0x4e0
	s_add_u32 s4, s0, 0x500
	s_addc_u32 s5, s1, 0
	s_mov_b32 s29, 0
	s_waitcnt lgkmcnt(0)
	s_mul_i32 s2, s7, s15
	s_delay_alu instid0(SALU_CYCLE_1) | instskip(NEXT) | instid1(SALU_CYCLE_1)
	s_add_i32 s2, s2, s14
	s_mul_i32 s2, s2, s6
	s_delay_alu instid0(SALU_CYCLE_1) | instskip(NEXT) | instid1(SALU_CYCLE_1)
	s_add_i32 s28, s2, s13
	v_cmp_ge_u64_e64 s2, s[28:29], s[26:27]
	s_delay_alu instid0(VALU_DEP_1)
	s_and_b32 vcc_lo, exec_lo, s2
	s_cbranch_vccnz .LBB92_297
; %bb.1:
	s_load_b64 s[34:35], s[0:1], 0x4f0
	v_cmp_eq_u32_e64 s2, 0, v0
	s_delay_alu instid0(VALU_DEP_1)
	s_and_saveexec_b32 s3, s2
	s_cbranch_execz .LBB92_3
; %bb.2:
	v_mov_b32_e32 v1, 0
	s_delay_alu instid0(VALU_DEP_1)
	v_mov_b32_e32 v2, v1
	ds_store_b64 v1, v[1:2] offset:5136
.LBB92_3:
	s_or_b32 exec_lo, exec_lo, s3
	v_mov_b32_e32 v1, 0
	s_waitcnt lgkmcnt(0)
	s_barrier
	buffer_gl0_inv
	s_barrier
	buffer_gl0_inv
	ds_load_b64 v[1:2], v1 offset:5136
	s_clause 0x2
	s_load_b32 s3, s[0:1], 0x4f8
	s_load_b64 s[10:11], s[0:1], 0x410
	s_load_b64 s[8:9], s[0:1], 0x340
	s_mov_b64 s[40:41], s[24:25]
	s_waitcnt lgkmcnt(0)
	v_readfirstlane_b32 s14, v1
	v_readfirstlane_b32 s15, v2
	s_bitcmp1_b32 s3, 0
	s_cselect_b32 s3, -1, 0
	s_delay_alu instid0(VALU_DEP_1) | instskip(NEXT) | instid1(VALU_DEP_1)
	v_cmp_lt_i64_e64 s7, s[14:15], 1
	s_or_b32 s3, s3, s7
	s_delay_alu instid0(SALU_CYCLE_1)
	s_and_not1_b32 vcc_lo, exec_lo, s3
	s_cbranch_vccnz .LBB92_5
; %bb.4:
	s_not_b64 s[14:15], s[14:15]
	s_delay_alu instid0(SALU_CYCLE_1) | instskip(SKIP_1) | instid1(SALU_CYCLE_1)
	s_add_u32 s14, s14, s24
	s_addc_u32 s15, s15, s25
	s_lshr_b64 s[14:15], s[14:15], 1
	s_delay_alu instid0(SALU_CYCLE_1)
	s_add_u32 s40, s14, 1
	s_addc_u32 s41, s15, 0
.LBB92_5:
	s_clause 0x3
	s_load_b64 s[30:31], s[0:1], 0x270
	s_load_b64 s[26:27], s[0:1], 0x1a0
	;; [unrolled: 1-line block ×4, first 2 shown]
	s_and_saveexec_b32 s0, s2
	s_cbranch_execz .LBB92_7
; %bb.6:
	v_dual_mov_b32 v1, 0 :: v_dual_mov_b32 v4, s25
	s_delay_alu instid0(VALU_DEP_1)
	v_dual_mov_b32 v3, s24 :: v_dual_mov_b32 v2, v1
	ds_store_b32 v1, v1 offset:5144
	ds_store_b128 v1, v[1:4] offset:5120
.LBB92_7:
	s_or_b32 exec_lo, exec_lo, s0
	v_mad_u64_u32 v[2:3], null, v0, s34, 0
	v_lshlrev_b32_e32 v33, 4, v0
	v_mbcnt_lo_u32_b32 v30, -1, 0
	s_mul_i32 s0, s11, s28
	s_mul_hi_u32 s1, s10, s28
	s_waitcnt lgkmcnt(0)
	v_or_b32_e32 v9, 12, v33
	s_delay_alu instid0(VALU_DEP_4)
	v_mad_u64_u32 v[4:5], null, v0, s35, v[3:4]
	s_barrier
	buffer_gl0_inv
	v_mad_u64_u32 v[16:17], null, s34, v9, 0
	s_load_b32 s7, s[4:5], 0xc
	s_add_i32 s1, s1, s0
	v_mov_b32_e32 v3, v4
	s_mul_i32 s0, s10, s28
	v_cmp_gt_u32_e32 vcc_lo, 32, v0
	v_cmp_gt_i32_e64 s3, 4, v30
	v_or_b32_e32 v12, 8, v33
	v_lshlrev_b64 v[4:5], 2, v[2:3]
	s_lshl_b64 s[0:1], s[0:1], 2
	v_or_b32_e32 v22, 4, v33
	s_add_u32 s44, s8, s0
	s_addc_u32 s45, s9, s1
	s_and_b32 s33, vcc_lo, s3
	v_add_co_u32 v10, vcc_lo, s44, v4
	v_mad_u64_u32 v[18:19], null, s34, v12, 0
	v_add_co_ci_u32_e32 v11, vcc_lo, s45, v5, vcc_lo
	v_lshlrev_b64 v[4:5], v30, -1
	v_mad_u64_u32 v[20:21], null, s34, v22, 0
	v_dual_mov_b32 v13, 0 :: v_dual_lshlrev_b32 v14, 2, v0
	v_mov_b32_e32 v5, v19
	s_delay_alu instid0(VALU_DEP_4)
	v_not_b32_e32 v34, v4
	v_mov_b32_e32 v4, v17
	v_lshrrev_b32_e32 v6, 3, v0
	s_waitcnt lgkmcnt(0)
	s_and_b32 s29, s7, 0xffff
	s_bfe_u32 s8, s7, 0xb0005
	s_add_u32 s69, s29, -1
	v_mad_u64_u32 v[7:8], null, s35, v9, v[4:5]
	s_addc_u32 s70, 0, -1
	v_dual_mov_b32 v1, v13 :: v_dual_and_b32 v32, 0x7c, v6
	v_dual_mov_b32 v6, v21 :: v_dual_add_nc_u32 v31, 0xc00, v14
	s_add_u32 s71, s69, s24
	s_addc_u32 s49, s70, s25
	s_cmp_lt_u32 s13, s6
	v_cmp_gt_u64_e64 s0, s[24:25], v[0:1]
	s_cselect_b32 s6, 12, 18
	v_mad_u64_u32 v[8:9], null, s35, v12, v[5:6]
	v_mad_u64_u32 v[4:5], null, s35, v22, v[6:7]
	s_add_u32 s50, s4, s6
	s_addc_u32 s51, s5, 0
	s_add_i32 s4, s8, -1
	s_bfe_u32 s72, s29, 0x30005
	s_cmp_gt_u32 s4, 6
	v_cmp_lt_u64_e64 s68, 0x300, s[24:25]
	s_cselect_b32 s73, -1, 0
	s_and_b32 s74, s8, 0x7f8
	s_cmp_lg_u32 s72, 0
	v_lshlrev_b64 v[21:22], 4, v[2:3]
	s_mul_i32 s4, s35, s29
	s_mul_hi_u32 s5, s34, s29
	v_cmp_eq_u32_e64 s1, 0, v30
	v_cmp_gt_u32_e64 s3, 2, v0
	v_mov_b32_e32 v15, v13
	v_cmp_gt_u16_e64 s75, s7, 31
	v_mov_b32_e32 v17, v7
	v_mov_b32_e32 v19, v8
	v_mov_b32_e32 v35, v4
	v_lshl_or_b32 v36, v30, 3, 0xc00
	v_mov_b32_e32 v23, 1
	v_mov_b32_e32 v25, 0
	s_cselect_b32 s76, -1, 0
	s_add_i32 s5, s5, s4
	s_mul_i32 s4, s34, s29
	s_mov_b32 s47, 0
	s_lshl_b64 s[52:53], s[34:35], 2
	s_lshl_b64 s[54:55], s[34:35], 4
	s_lshl_b32 s77, s29, 2
	s_lshl_b64 s[42:43], s[4:5], 2
	s_mov_b32 s82, 30
	s_mov_b32 s78, 0
	;; [unrolled: 1-line block ×5, first 2 shown]
                                        ; implicit-def: $sgpr79
                                        ; implicit-def: $sgpr81
                                        ; implicit-def: $sgpr80
                                        ; implicit-def: $sgpr84
                                        ; implicit-def: $sgpr86
                                        ; implicit-def: $sgpr83
	s_branch .LBB92_12
.LBB92_8:                               ;   in Loop: Header=BB92_12 Depth=1
	s_xor_b32 s85, s85, 1
	s_add_i32 s7, s82, -2
	s_cmp_eq_u32 s82, 0
	s_mov_b32 s5, 0
	s_cselect_b32 s6, -1, 0
	s_mov_b32 s82, s7
.LBB92_9:                               ;   in Loop: Header=BB92_12 Depth=1
	s_and_not1_b32 s7, s13, exec_lo
	s_and_b32 s5, s5, exec_lo
	s_and_not1_b32 s19, s19, exec_lo
	s_or_b32 s13, s7, s5
	s_and_not1_b32 s12, s12, exec_lo
	s_or_not1_b32 s15, s6, exec_lo
.LBB92_10:                              ;   in Loop: Header=BB92_12 Depth=1
	s_or_b32 exec_lo, exec_lo, s4
	s_delay_alu instid0(SALU_CYCLE_1)
	s_and_not1_b32 s4, s83, exec_lo
	s_and_b32 s5, s13, exec_lo
	s_and_not1_b32 s6, s84, exec_lo
	s_or_b32 s83, s4, s5
	s_and_not1_b32 s4, s86, exec_lo
	s_and_b32 s5, s19, exec_lo
	s_and_b32 s7, s12, exec_lo
	s_or_b32 s86, s4, s5
	s_or_b32 s84, s6, s7
	s_or_not1_b32 s19, s15, exec_lo
.LBB92_11:                              ;   in Loop: Header=BB92_12 Depth=1
	s_or_b32 exec_lo, exec_lo, s14
	s_delay_alu instid0(SALU_CYCLE_1)
	s_and_b32 s4, exec_lo, s19
	v_mov_b32_e32 v2, s87
	s_or_b32 s78, s4, s78
	s_and_not1_b32 s4, s80, exec_lo
	s_and_b32 s5, s83, exec_lo
	s_and_not1_b32 s6, s79, exec_lo
	s_or_b32 s80, s4, s5
	s_and_not1_b32 s4, s81, exec_lo
	s_and_b32 s5, s86, exec_lo
	s_and_b32 s7, s84, exec_lo
	s_or_b32 s81, s4, s5
	s_or_b32 s79, s6, s7
	s_and_not1_b32 exec_lo, exec_lo, s78
	s_cbranch_execz .LBB92_280
.LBB92_12:                              ; =>This Loop Header: Depth=1
                                        ;     Child Loop BB92_20 Depth 2
                                        ;     Child Loop BB92_38 Depth 2
	;; [unrolled: 1-line block ×16, first 2 shown]
	ds_load_b128 v[2:5], v13 offset:5120
	s_waitcnt lgkmcnt(0)
	v_readfirstlane_b32 s57, v3
	v_readfirstlane_b32 s56, v2
	s_delay_alu instid0(VALU_DEP_1)
	s_cmp_lg_u64 s[56:57], 0
	s_cbranch_scc1 .LBB92_45
; %bb.13:                               ;   in Loop: Header=BB92_12 Depth=1
	s_and_b32 vcc_lo, exec_lo, s68
	s_cbranch_vccz .LBB92_28
; %bb.14:                               ;   in Loop: Header=BB92_12 Depth=1
	v_cmp_gt_u64_e32 vcc_lo, 0x301, v[4:5]
	s_mov_b32 s6, 0
	s_mov_b32 s4, 0
	s_cbranch_vccz .LBB92_29
; %bb.15:                               ;   in Loop: Header=BB92_12 Depth=1
	v_mov_b32_e32 v6, 0
	s_and_saveexec_b32 s4, s0
	s_cbranch_execz .LBB92_17
; %bb.16:                               ;   in Loop: Header=BB92_12 Depth=1
	global_load_b32 v6, v[10:11], off
.LBB92_17:                              ;   in Loop: Header=BB92_12 Depth=1
	s_or_b32 exec_lo, exec_lo, s4
	s_and_saveexec_b32 s7, s0
	s_cbranch_execz .LBB92_30
; %bb.18:                               ;   in Loop: Header=BB92_12 Depth=1
	global_load_u16 v7, v13, s[50:51]
	s_mov_b32 s10, 0
	s_waitcnt vmcnt(0)
	v_readfirstlane_b32 s4, v7
	v_and_b32_e32 v7, 0xffff, v7
	s_delay_alu instid0(VALU_DEP_2) | instskip(NEXT) | instid1(SALU_CYCLE_1)
	s_and_b32 s4, 0xffff, s4
	v_add_nc_u32_e32 v8, s4, v0
	s_mul_i32 s5, s53, s4
	s_mul_hi_u32 s8, s52, s4
	s_mul_i32 s9, s52, s4
	s_add_i32 s8, s8, s5
	v_mad_u64_u32 v[2:3], null, s52, v8, s[44:45]
	s_delay_alu instid0(VALU_DEP_1) | instskip(NEXT) | instid1(VALU_DEP_1)
	v_mad_u64_u32 v[4:5], null, s53, v8, v[3:4]
	v_mov_b32_e32 v3, v4
	v_dual_mov_b32 v5, v1 :: v_dual_mov_b32 v4, v0
	s_branch .LBB92_20
.LBB92_19:                              ;   in Loop: Header=BB92_20 Depth=2
	s_or_b32 exec_lo, exec_lo, s5
	v_add_co_u32 v2, vcc_lo, v2, s9
	v_add_co_ci_u32_e32 v3, vcc_lo, s8, v3, vcc_lo
	s_waitcnt vmcnt(0)
	v_mov_b32_e32 v6, v8
	s_and_not1_b32 exec_lo, exec_lo, s10
	s_cbranch_execz .LBB92_30
.LBB92_20:                              ;   Parent Loop BB92_12 Depth=1
                                        ; =>  This Inner Loop Header: Depth=2
	s_delay_alu instid0(VALU_DEP_1) | instskip(NEXT) | instid1(VALU_DEP_2)
	v_add_co_u32 v4, vcc_lo, v4, v7
	v_add_co_ci_u32_e32 v5, vcc_lo, 0, v5, vcc_lo
	s_waitcnt lgkmcnt(0)
	v_dual_mov_b32 v9, 0 :: v_dual_mov_b32 v8, 0
	s_mov_b32 s5, exec_lo
	s_delay_alu instid0(VALU_DEP_2)
	v_cmp_le_u64_e32 vcc_lo, s[24:25], v[4:5]
	v_cmpx_gt_u64_e64 s[24:25], v[4:5]
	s_cbranch_execz .LBB92_22
; %bb.21:                               ;   in Loop: Header=BB92_20 Depth=2
	global_load_b32 v8, v[2:3], off
.LBB92_22:                              ;   in Loop: Header=BB92_20 Depth=2
	s_or_b32 exec_lo, exec_lo, s5
	v_xor_b32_e32 v12, 0x80000000, v6
	s_delay_alu instid0(VALU_DEP_1) | instskip(NEXT) | instid1(VALU_DEP_1)
	v_and_b32_e32 v12, s88, v12
	v_cmp_eq_u32_e64 s4, s87, v12
	s_delay_alu instid0(VALU_DEP_1) | instskip(SKIP_1) | instid1(SALU_CYCLE_1)
	s_cmp_lg_u32 s4, 0
	s_cselect_b32 s5, -1, 0
	s_and_b32 s5, s1, s5
	s_delay_alu instid0(SALU_CYCLE_1)
	s_and_saveexec_b32 s11, s5
	s_cbranch_execz .LBB92_26
; %bb.23:                               ;   in Loop: Header=BB92_20 Depth=2
	s_mov_b32 s14, exec_lo
	s_bcnt1_i32_b32 s12, s4
	v_mbcnt_lo_u32_b32 v9, s14, 0
	s_mov_b32 s13, exec_lo
                                        ; implicit-def: $vgpr12
	s_delay_alu instid0(VALU_DEP_1)
	v_cmpx_eq_u32_e32 0, v9
	s_cbranch_execz .LBB92_25
; %bb.24:                               ;   in Loop: Header=BB92_20 Depth=2
	s_bcnt1_i32_b32 s5, s14
	s_delay_alu instid0(SALU_CYCLE_1) | instskip(NEXT) | instid1(SALU_CYCLE_1)
	s_mul_i32 s5, s12, s5
	v_mov_b32_e32 v12, s5
	ds_add_rtn_u32 v12, v13, v12 offset:5144
.LBB92_25:                              ;   in Loop: Header=BB92_20 Depth=2
	s_or_b32 exec_lo, exec_lo, s13
	s_waitcnt lgkmcnt(0)
	v_readfirstlane_b32 s5, v12
	s_delay_alu instid0(VALU_DEP_1)
	v_mad_u32_u24 v9, s12, v9, s5
.LBB92_26:                              ;   in Loop: Header=BB92_20 Depth=2
	s_or_b32 exec_lo, exec_lo, s11
	ds_bpermute_b32 v9, v13, v9
	s_and_b32 s5, exec_lo, vcc_lo
	s_delay_alu instid0(SALU_CYCLE_1)
	s_or_b32 s10, s5, s10
	s_and_saveexec_b32 s5, s4
	s_cbranch_execz .LBB92_19
; %bb.27:                               ;   in Loop: Header=BB92_20 Depth=2
	v_and_b32_e32 v12, s4, v34
	s_delay_alu instid0(VALU_DEP_1) | instskip(NEXT) | instid1(VALU_DEP_1)
	v_bcnt_u32_b32 v12, v12, 0
	v_lshlrev_b32_e32 v12, 2, v12
	s_waitcnt lgkmcnt(0)
	s_delay_alu instid0(VALU_DEP_1)
	v_lshl_add_u32 v9, v9, 2, v12
	ds_store_b32 v9, v6
	s_branch .LBB92_19
.LBB92_28:                              ;   in Loop: Header=BB92_12 Depth=1
	s_mov_b32 s4, 0
                                        ; implicit-def: $sgpr56_sgpr57
	s_cbranch_execnz .LBB92_33
	s_branch .LBB92_43
.LBB92_29:                              ;   in Loop: Header=BB92_12 Depth=1
	s_mov_b64 s[56:57], 0
	s_and_b32 vcc_lo, exec_lo, s6
	s_cbranch_vccnz .LBB92_33
	s_branch .LBB92_43
.LBB92_30:                              ;   in Loop: Header=BB92_12 Depth=1
	s_or_b32 exec_lo, exec_lo, s7
	s_waitcnt vmcnt(0) lgkmcnt(0)
	s_barrier
	buffer_gl0_inv
	s_and_saveexec_b32 s4, s2
	s_cbranch_execz .LBB92_32
; %bb.31:                               ;   in Loop: Header=BB92_12 Depth=1
	ds_load_b32 v2, v13 offset:5144
	s_waitcnt lgkmcnt(0)
	v_ashrrev_i32_e32 v3, 31, v2
	ds_store_b64 v13, v[2:3] offset:5120
.LBB92_32:                              ;   in Loop: Header=BB92_12 Depth=1
	s_or_b32 exec_lo, exec_lo, s4
	s_waitcnt lgkmcnt(0)
	s_mov_b32 s4, -1
	s_barrier
	s_mov_b64 s[56:57], 0
	s_and_b32 vcc_lo, exec_lo, s6
	s_cbranch_vccz .LBB92_43
.LBB92_33:                              ;   in Loop: Header=BB92_12 Depth=1
	v_mov_b32_e32 v6, 0
	s_and_saveexec_b32 s4, s0
	s_cbranch_execz .LBB92_35
; %bb.34:                               ;   in Loop: Header=BB92_12 Depth=1
	global_load_b32 v6, v[10:11], off
.LBB92_35:                              ;   in Loop: Header=BB92_12 Depth=1
	s_or_b32 exec_lo, exec_lo, s4
	s_and_saveexec_b32 s5, s0
	s_cbranch_execz .LBB92_40
; %bb.36:                               ;   in Loop: Header=BB92_12 Depth=1
	global_load_u16 v8, v13, s[50:51]
	s_mov_b32 s9, 0
	s_waitcnt vmcnt(0)
	v_readfirstlane_b32 s4, v8
	v_and_b32_e32 v8, 0xffff, v8
	s_delay_alu instid0(VALU_DEP_2) | instskip(NEXT) | instid1(SALU_CYCLE_1)
	s_and_b32 s4, 0xffff, s4
	v_add_nc_u32_e32 v7, s4, v0
	s_mul_i32 s7, s53, s4
	s_mul_hi_u32 s8, s52, s4
	s_lshl_b32 s6, s4, 2
	s_add_i32 s7, s8, s7
	v_mad_u64_u32 v[2:3], null, s52, v7, s[44:45]
	s_mul_i32 s8, s52, s4
	s_delay_alu instid0(VALU_DEP_1) | instskip(SKIP_1) | instid1(VALU_DEP_2)
	v_mad_u64_u32 v[4:5], null, s53, v7, v[3:4]
	v_mov_b32_e32 v7, v14
	v_mov_b32_e32 v3, v4
	v_dual_mov_b32 v5, v1 :: v_dual_mov_b32 v4, v0
	s_branch .LBB92_38
	.p2align	6
.LBB92_37:                              ;   in Loop: Header=BB92_38 Depth=2
	s_or_b32 exec_lo, exec_lo, s10
	s_delay_alu instid0(SALU_CYCLE_1)
	s_and_b32 s4, exec_lo, vcc_lo
	v_add_co_u32 v2, vcc_lo, v2, s8
	ds_store_b32 v7, v6
	s_waitcnt vmcnt(0)
	v_dual_mov_b32 v6, v9 :: v_dual_add_nc_u32 v7, s6, v7
	v_add_co_ci_u32_e32 v3, vcc_lo, s7, v3, vcc_lo
	s_or_b32 s9, s4, s9
	s_delay_alu instid0(SALU_CYCLE_1)
	s_and_not1_b32 exec_lo, exec_lo, s9
	s_cbranch_execz .LBB92_40
.LBB92_38:                              ;   Parent Loop BB92_12 Depth=1
                                        ; =>  This Inner Loop Header: Depth=2
	s_delay_alu instid0(VALU_DEP_1) | instskip(NEXT) | instid1(VALU_DEP_2)
	v_add_co_u32 v4, vcc_lo, v4, v8
	v_add_co_ci_u32_e32 v5, vcc_lo, 0, v5, vcc_lo
	v_mov_b32_e32 v9, 0
	s_mov_b32 s10, exec_lo
	s_delay_alu instid0(VALU_DEP_2)
	v_cmp_le_u64_e32 vcc_lo, s[24:25], v[4:5]
	v_cmpx_gt_u64_e64 s[24:25], v[4:5]
	s_cbranch_execz .LBB92_37
; %bb.39:                               ;   in Loop: Header=BB92_38 Depth=2
	global_load_b32 v9, v[2:3], off
	s_branch .LBB92_37
.LBB92_40:                              ;   in Loop: Header=BB92_12 Depth=1
	s_or_b32 exec_lo, exec_lo, s5
	s_waitcnt vmcnt(0) lgkmcnt(0)
	s_barrier
	buffer_gl0_inv
	s_and_saveexec_b32 s4, s2
	s_cbranch_execz .LBB92_42
; %bb.41:                               ;   in Loop: Header=BB92_12 Depth=1
	v_dual_mov_b32 v2, s24 :: v_dual_mov_b32 v3, s25
	ds_store_b64 v13, v[2:3] offset:5120
.LBB92_42:                              ;   in Loop: Header=BB92_12 Depth=1
	s_or_b32 exec_lo, exec_lo, s4
	s_mov_b32 s4, -1
	s_waitcnt lgkmcnt(0)
	s_barrier
                                        ; implicit-def: $sgpr56_sgpr57
.LBB92_43:                              ;   in Loop: Header=BB92_12 Depth=1
	s_and_b32 vcc_lo, exec_lo, s4
	s_cbranch_vccz .LBB92_45
; %bb.44:                               ;   in Loop: Header=BB92_12 Depth=1
	buffer_gl0_inv
	ds_load_b64 v[2:3], v13 offset:5120
	s_waitcnt lgkmcnt(0)
	v_readfirstlane_b32 s56, v2
.LBB92_45:                              ;   in Loop: Header=BB92_12 Depth=1
	s_delay_alu instid0(VALU_DEP_1)
	s_cmp_lt_i32 s56, 1
	s_cbranch_scc0 .LBB92_60
; %bb.46:                               ;   in Loop: Header=BB92_12 Depth=1
	global_load_u16 v2, v13, s[50:51]
	s_mov_b32 s5, s25
	s_waitcnt vmcnt(0)
	v_readfirstlane_b32 s4, v2
	s_delay_alu instid0(VALU_DEP_1)
	s_and_b32 s46, s4, 0xffff
	s_mov_b32 s4, s47
	s_lshl_b32 s48, s46, 2
	s_cmp_lg_u64 s[4:5], 0
	s_cbranch_scc0 .LBB92_80
; %bb.47:                               ;   in Loop: Header=BB92_12 Depth=1
	v_cvt_f32_u32_e32 v2, s48
	s_sub_u32 s6, 0, s48
	s_subb_u32 s7, 0, 0
	s_delay_alu instid0(VALU_DEP_1) | instskip(NEXT) | instid1(VALU_DEP_1)
	v_fmac_f32_e64 v2, 0, 0x4f800000
	v_rcp_f32_e32 v2, v2
	s_waitcnt_depctr 0xfff
	v_mul_f32_e32 v2, 0x5f7ffffc, v2
	s_delay_alu instid0(VALU_DEP_1) | instskip(NEXT) | instid1(VALU_DEP_1)
	v_mul_f32_e32 v3, 0x2f800000, v2
	v_trunc_f32_e32 v3, v3
	s_delay_alu instid0(VALU_DEP_1) | instskip(SKIP_1) | instid1(VALU_DEP_2)
	v_fmac_f32_e32 v2, 0xcf800000, v3
	v_cvt_u32_f32_e32 v3, v3
	v_cvt_u32_f32_e32 v2, v2
	s_delay_alu instid0(VALU_DEP_2) | instskip(NEXT) | instid1(VALU_DEP_2)
	v_readfirstlane_b32 s4, v3
	v_readfirstlane_b32 s5, v2
	s_delay_alu instid0(VALU_DEP_2) | instskip(NEXT) | instid1(VALU_DEP_1)
	s_mul_i32 s8, s6, s4
	s_mul_hi_u32 s10, s6, s5
	s_mul_i32 s9, s7, s5
	s_add_i32 s8, s10, s8
	s_mul_i32 s11, s6, s5
	s_add_i32 s8, s8, s9
	s_mul_hi_u32 s10, s5, s11
	s_mul_hi_u32 s12, s4, s11
	s_mul_i32 s9, s4, s11
	s_mul_hi_u32 s11, s5, s8
	s_mul_i32 s5, s5, s8
	s_mul_hi_u32 s13, s4, s8
	s_add_u32 s5, s10, s5
	s_addc_u32 s10, 0, s11
	s_add_u32 s5, s5, s9
	s_mul_i32 s8, s4, s8
	s_addc_u32 s5, s10, s12
	s_addc_u32 s9, s13, 0
	s_add_u32 s5, s5, s8
	s_addc_u32 s8, 0, s9
	v_add_co_u32 v2, s5, v2, s5
	s_delay_alu instid0(VALU_DEP_1) | instskip(SKIP_1) | instid1(VALU_DEP_1)
	s_cmp_lg_u32 s5, 0
	s_addc_u32 s4, s4, s8
	v_readfirstlane_b32 s5, v2
	s_mul_i32 s8, s6, s4
	s_delay_alu instid0(VALU_DEP_1)
	s_mul_hi_u32 s9, s6, s5
	s_mul_i32 s7, s7, s5
	s_add_i32 s8, s9, s8
	s_mul_i32 s6, s6, s5
	s_add_i32 s8, s8, s7
	s_mul_hi_u32 s9, s4, s6
	s_mul_i32 s10, s4, s6
	s_mul_hi_u32 s6, s5, s6
	s_mul_hi_u32 s11, s5, s8
	s_mul_i32 s5, s5, s8
	s_mul_hi_u32 s7, s4, s8
	s_add_u32 s5, s6, s5
	s_addc_u32 s6, 0, s11
	s_add_u32 s5, s5, s10
	s_mul_i32 s8, s4, s8
	s_addc_u32 s5, s6, s9
	s_addc_u32 s6, s7, 0
	s_add_u32 s5, s5, s8
	s_addc_u32 s6, 0, s6
	v_add_co_u32 v2, s5, v2, s5
	s_delay_alu instid0(VALU_DEP_1) | instskip(SKIP_1) | instid1(VALU_DEP_1)
	s_cmp_lg_u32 s5, 0
	s_addc_u32 s4, s4, s6
	v_readfirstlane_b32 s5, v2
	s_mul_i32 s7, s24, s4
	s_mul_hi_u32 s6, s24, s4
	s_mul_hi_u32 s8, s25, s4
	s_mul_i32 s4, s25, s4
	s_mul_hi_u32 s9, s24, s5
	s_mul_hi_u32 s10, s25, s5
	s_mul_i32 s5, s25, s5
	s_add_u32 s7, s9, s7
	s_addc_u32 s6, 0, s6
	s_add_u32 s5, s7, s5
	s_addc_u32 s5, s6, s10
	s_addc_u32 s6, s8, 0
	s_add_u32 s4, s5, s4
	s_addc_u32 s5, 0, s6
	s_mul_hi_u32 s6, s48, s4
	s_mul_i32 s4, s48, s4
	s_mul_i32 s5, s48, s5
	v_sub_co_u32 v2, s4, s24, s4
	s_add_i32 s6, s6, s5
	s_cmp_lg_u32 s4, 0
	s_delay_alu instid0(VALU_DEP_1) | instskip(SKIP_2) | instid1(VALU_DEP_1)
	v_sub_co_u32 v3, s4, v2, s48
	s_subb_u32 s5, s25, s6
	s_cmp_lg_u32 s4, 0
	v_cmp_le_u32_e32 vcc_lo, s48, v3
	v_sub_co_u32 v4, s4, v3, s48
	s_subb_u32 s6, s5, 0
	s_cmp_lg_u32 s4, 0
	v_cndmask_b32_e64 v5, 0, -1, vcc_lo
	s_subb_u32 s4, s6, 0
	s_cmp_eq_u32 s6, 0
	v_mov_b32_e32 v7, s4
	s_cselect_b32 vcc_lo, -1, 0
	s_cmp_eq_u32 s5, 0
	v_cndmask_b32_e32 v5, -1, v5, vcc_lo
	v_cmp_le_u32_e32 vcc_lo, s48, v2
	s_cselect_b32 s4, -1, 0
	v_cndmask_b32_e64 v6, 0, -1, vcc_lo
	s_delay_alu instid0(VALU_DEP_3) | instskip(NEXT) | instid1(VALU_DEP_2)
	v_cmp_ne_u32_e32 vcc_lo, 0, v5
	v_cndmask_b32_e64 v5, -1, v6, s4
	v_cndmask_b32_e32 v6, s6, v7, vcc_lo
	v_cndmask_b32_e32 v4, v3, v4, vcc_lo
	s_delay_alu instid0(VALU_DEP_3) | instskip(NEXT) | instid1(VALU_DEP_3)
	v_cmp_ne_u32_e32 vcc_lo, 0, v5
	v_cndmask_b32_e32 v3, s5, v6, vcc_lo
	s_delay_alu instid0(VALU_DEP_3)
	v_cndmask_b32_e32 v2, v2, v4, vcc_lo
	s_cbranch_execnz .LBB92_49
.LBB92_48:                              ;   in Loop: Header=BB92_12 Depth=1
	v_cvt_f32_u32_e32 v2, s48
	s_sub_i32 s4, 0, s48
	s_delay_alu instid0(VALU_DEP_1) | instskip(SKIP_2) | instid1(VALU_DEP_1)
	v_rcp_iflag_f32_e32 v2, v2
	s_waitcnt_depctr 0xfff
	v_mul_f32_e32 v2, 0x4f7ffffe, v2
	v_cvt_u32_f32_e32 v2, v2
	s_delay_alu instid0(VALU_DEP_1) | instskip(NEXT) | instid1(VALU_DEP_1)
	v_mul_lo_u32 v3, s4, v2
	v_mul_hi_u32 v3, v2, v3
	s_delay_alu instid0(VALU_DEP_1) | instskip(NEXT) | instid1(VALU_DEP_1)
	v_add_nc_u32_e32 v2, v2, v3
	v_mul_hi_u32 v2, s24, v2
	s_delay_alu instid0(VALU_DEP_1) | instskip(NEXT) | instid1(VALU_DEP_1)
	v_mul_lo_u32 v2, v2, s48
	v_sub_nc_u32_e32 v2, s24, v2
	s_delay_alu instid0(VALU_DEP_1) | instskip(SKIP_1) | instid1(VALU_DEP_2)
	v_subrev_nc_u32_e32 v3, s48, v2
	v_cmp_le_u32_e32 vcc_lo, s48, v2
	v_cndmask_b32_e32 v2, v2, v3, vcc_lo
	s_delay_alu instid0(VALU_DEP_1) | instskip(SKIP_1) | instid1(VALU_DEP_2)
	v_subrev_nc_u32_e32 v3, s48, v2
	v_cmp_le_u32_e32 vcc_lo, s48, v2
	v_cndmask_b32_e32 v12, v2, v3, vcc_lo
	s_delay_alu instid0(VALU_DEP_1)
	v_dual_mov_b32 v2, v12 :: v_dual_mov_b32 v3, v13
.LBB92_49:                              ;   in Loop: Header=BB92_12 Depth=1
	s_delay_alu instid0(VALU_DEP_1) | instskip(NEXT) | instid1(VALU_DEP_2)
	v_sub_co_u32 v26, vcc_lo, s24, v2
	v_sub_co_ci_u32_e32 v27, vcc_lo, s25, v3, vcc_lo
	v_mov_b32_e32 v2, 0
	v_mov_b32_e32 v3, 0
	s_mov_b64 s[58:59], 0
	s_mov_b32 s57, exec_lo
	s_delay_alu instid0(VALU_DEP_1)
	v_dual_mov_b32 v5, v3 :: v_dual_mov_b32 v4, v2
	v_dual_mov_b32 v7, v3 :: v_dual_mov_b32 v6, v2
	;; [unrolled: 1-line block ×3, first 2 shown]
	v_cmpx_gt_u64_e64 v[26:27], v[14:15]
	s_cbranch_execz .LBB92_53
; %bb.50:                               ;   in Loop: Header=BB92_12 Depth=1
	v_dual_mov_b32 v29, v15 :: v_dual_mov_b32 v28, v14
	s_mul_i32 s4, s55, s46
	s_mul_hi_u32 s5, s54, s46
	s_and_b32 s89, s82, 0xfe
	s_add_i32 s90, s5, s4
	s_mul_i32 s91, s54, s46
	s_mov_b32 s92, 0
	s_mov_b64 s[60:61], s[44:45]
	s_mov_b64 s[62:63], 0
	;; [unrolled: 1-line block ×4, first 2 shown]
.LBB92_51:                              ;   Parent Loop BB92_12 Depth=1
                                        ; =>  This Inner Loop Header: Depth=2
	v_add_co_u32 v2, vcc_lo, s60, v21
	v_add_co_ci_u32_e32 v3, vcc_lo, s61, v22, vcc_lo
	v_add_co_u32 v4, vcc_lo, s60, v20
	v_add_co_ci_u32_e32 v5, vcc_lo, s61, v35, vcc_lo
	;; [unrolled: 2-line block ×4, first 2 shown]
	s_clause 0x3
	global_load_b32 v2, v[2:3], off
	global_load_b32 v3, v[4:5], off
	;; [unrolled: 1-line block ×4, first 2 shown]
	v_add_co_u32 v28, vcc_lo, v28, s48
	v_add_co_ci_u32_e32 v29, vcc_lo, 0, v29, vcc_lo
	s_delay_alu instid0(VALU_DEP_1)
	v_cmp_ge_u64_e32 vcc_lo, v[28:29], v[26:27]
	s_waitcnt vmcnt(3)
	v_xor_b32_e32 v2, 0x80000000, v2
	s_waitcnt vmcnt(2)
	v_xor_b32_e32 v3, 0x80000000, v3
	;; [unrolled: 2-line block ×4, first 2 shown]
	v_and_b32_e32 v6, s88, v2
	v_bfe_u32 v2, v2, s89, 2
	v_and_b32_e32 v7, s88, v3
	v_bfe_u32 v3, v3, s89, 2
	;; [unrolled: 2-line block ×3, first 2 shown]
	v_cmp_eq_u32_e64 s4, s87, v6
	v_cmp_eq_u32_e64 s8, 0, v2
	v_and_b32_e32 v9, s88, v5
	v_bfe_u32 v5, v5, s89, 2
	v_cmp_eq_u32_e64 s5, s87, v7
	v_cmp_eq_u32_e64 s9, 0, v3
	;; [unrolled: 1-line block ×4, first 2 shown]
	s_and_b32 s8, s4, s8
	v_cmp_eq_u32_e64 s7, s87, v9
	v_cmp_eq_u32_e64 s11, 0, v5
	;; [unrolled: 1-line block ×5, first 2 shown]
	v_cndmask_b32_e64 v2, 0, 1, s8
	s_and_b32 s8, s5, s9
	v_cmp_eq_u32_e64 s13, 1, v3
	v_cmp_eq_u32_e64 s17, 2, v3
	v_cmp_eq_u32_e64 s21, 3, v3
	v_cndmask_b32_e64 v3, 0, 1, s8
	s_and_b32 s8, s6, s10
	v_cmp_eq_u32_e64 s14, 1, v4
	v_cmp_eq_u32_e64 s18, 2, v4
	v_cmp_eq_u32_e64 s22, 3, v4
	;; [unrolled: 5-line block ×3, first 2 shown]
	v_cndmask_b32_e64 v5, 0, 1, s8
	v_cmp_ne_u32_e64 s8, 0, v2
	v_cmp_ne_u32_e64 s9, 0, v3
	;; [unrolled: 1-line block ×3, first 2 shown]
	s_delay_alu instid0(VALU_DEP_4) | instskip(NEXT) | instid1(VALU_DEP_4)
	v_cmp_ne_u32_e64 s11, 0, v5
	s_bcnt1_i32_b32 s8, s8
	s_delay_alu instid0(VALU_DEP_3) | instskip(NEXT) | instid1(VALU_DEP_2)
	s_bcnt1_i32_b32 s9, s9
	s_bcnt1_i32_b32 s10, s10
	s_add_i32 s8, s9, s8
	s_bcnt1_i32_b32 s11, s11
	s_add_i32 s8, s8, s10
	s_delay_alu instid0(SALU_CYCLE_1) | instskip(NEXT) | instid1(SALU_CYCLE_1)
	s_add_i32 s8, s8, s11
	s_add_u32 s66, s66, s8
	s_addc_u32 s67, s67, 0
	s_and_b32 s8, s4, s12
	v_mov_b32_e32 v2, s66
	v_cndmask_b32_e64 v4, 0, 1, s8
	s_and_b32 s8, s5, s13
	v_mov_b32_e32 v3, s67
	v_cndmask_b32_e64 v5, 0, 1, s8
	s_and_b32 s8, s6, s14
	s_delay_alu instid0(SALU_CYCLE_1) | instskip(SKIP_1) | instid1(VALU_DEP_2)
	v_cndmask_b32_e64 v6, 0, 1, s8
	s_and_b32 s8, s7, s15
	v_cmp_ne_u32_e64 s9, 0, v5
	v_cndmask_b32_e64 v7, 0, 1, s8
	v_cmp_ne_u32_e64 s8, 0, v4
	v_cmp_ne_u32_e64 s10, 0, v6
	s_delay_alu instid0(VALU_DEP_4) | instskip(NEXT) | instid1(VALU_DEP_3)
	s_bcnt1_i32_b32 s9, s9
	v_cmp_ne_u32_e64 s11, 0, v7
	s_delay_alu instid0(VALU_DEP_3) | instskip(NEXT) | instid1(VALU_DEP_2)
	s_bcnt1_i32_b32 s8, s8
	s_bcnt1_i32_b32 s10, s10
	s_add_i32 s8, s9, s8
	s_delay_alu instid0(VALU_DEP_1) | instskip(SKIP_1) | instid1(SALU_CYCLE_1)
	s_bcnt1_i32_b32 s11, s11
	s_add_i32 s8, s8, s10
	s_add_i32 s8, s8, s11
	s_delay_alu instid0(SALU_CYCLE_1) | instskip(SKIP_2) | instid1(SALU_CYCLE_1)
	s_add_u32 s64, s64, s8
	s_addc_u32 s65, s65, 0
	s_and_b32 s8, s4, s16
	v_cndmask_b32_e64 v4, 0, 1, s8
	s_and_b32 s8, s5, s17
	s_delay_alu instid0(SALU_CYCLE_1) | instskip(SKIP_1) | instid1(SALU_CYCLE_1)
	v_cndmask_b32_e64 v5, 0, 1, s8
	s_and_b32 s8, s6, s18
	v_cndmask_b32_e64 v6, 0, 1, s8
	s_and_b32 s8, s7, s19
	s_delay_alu instid0(VALU_DEP_2) | instskip(SKIP_3) | instid1(VALU_DEP_4)
	v_cmp_ne_u32_e64 s9, 0, v5
	v_cndmask_b32_e64 v7, 0, 1, s8
	v_cmp_ne_u32_e64 s8, 0, v4
	v_cmp_ne_u32_e64 s10, 0, v6
	s_bcnt1_i32_b32 s9, s9
	s_delay_alu instid0(VALU_DEP_3) | instskip(NEXT) | instid1(VALU_DEP_3)
	v_cmp_ne_u32_e64 s11, 0, v7
	s_bcnt1_i32_b32 s8, s8
	s_delay_alu instid0(VALU_DEP_2) | instskip(SKIP_1) | instid1(VALU_DEP_1)
	s_bcnt1_i32_b32 s10, s10
	s_add_i32 s8, s9, s8
	s_bcnt1_i32_b32 s11, s11
	s_add_i32 s8, s8, s10
	s_delay_alu instid0(SALU_CYCLE_1) | instskip(NEXT) | instid1(SALU_CYCLE_1)
	s_add_i32 s8, s8, s11
	s_add_u32 s62, s62, s8
	s_addc_u32 s63, s63, 0
	s_and_b32 s4, s4, s20
	s_delay_alu instid0(SALU_CYCLE_1) | instskip(SKIP_1) | instid1(SALU_CYCLE_1)
	v_cndmask_b32_e64 v4, 0, 1, s4
	s_and_b32 s4, s5, s21
	v_cndmask_b32_e64 v5, 0, 1, s4
	s_and_b32 s4, s6, s22
	s_delay_alu instid0(SALU_CYCLE_1) | instskip(SKIP_1) | instid1(VALU_DEP_2)
	v_cndmask_b32_e64 v6, 0, 1, s4
	s_and_b32 s4, s7, s23
	v_cmp_ne_u32_e64 s5, 0, v5
	v_cndmask_b32_e64 v7, 0, 1, s4
	v_cmp_ne_u32_e64 s4, 0, v4
	v_mov_b32_e32 v4, s64
	v_cmp_ne_u32_e64 s6, 0, v6
	s_bcnt1_i32_b32 s5, s5
	v_cmp_ne_u32_e64 s7, 0, v7
	s_bcnt1_i32_b32 s4, s4
	v_mov_b32_e32 v5, s65
	s_bcnt1_i32_b32 s6, s6
	s_add_i32 s4, s5, s4
	s_bcnt1_i32_b32 s5, s7
	s_add_i32 s4, s4, s6
	v_dual_mov_b32 v6, s62 :: v_dual_mov_b32 v7, s63
	s_add_i32 s4, s4, s5
	s_delay_alu instid0(SALU_CYCLE_1) | instskip(SKIP_1) | instid1(SALU_CYCLE_1)
	s_add_u32 s58, s58, s4
	s_addc_u32 s59, s59, 0
	v_dual_mov_b32 v8, s58 :: v_dual_mov_b32 v9, s59
	s_add_u32 s60, s60, s91
	s_addc_u32 s61, s61, s90
	s_or_b32 s92, vcc_lo, s92
	s_delay_alu instid0(SALU_CYCLE_1)
	s_and_not1_b32 exec_lo, exec_lo, s92
	s_cbranch_execnz .LBB92_51
; %bb.52:                               ;   in Loop: Header=BB92_12 Depth=1
	s_or_b32 exec_lo, exec_lo, s92
.LBB92_53:                              ;   in Loop: Header=BB92_12 Depth=1
	s_delay_alu instid0(SALU_CYCLE_1) | instskip(SKIP_3) | instid1(VALU_DEP_2)
	s_or_b32 exec_lo, exec_lo, s57
	v_add_co_u32 v26, vcc_lo, v26, v0
	v_add_co_ci_u32_e32 v27, vcc_lo, 0, v27, vcc_lo
	v_mov_b32_e32 v24, 0
	v_cmp_gt_u64_e32 vcc_lo, s[24:25], v[26:27]
	s_and_saveexec_b32 s5, vcc_lo
	s_cbranch_execz .LBB92_55
; %bb.54:                               ;   in Loop: Header=BB92_12 Depth=1
	v_mul_lo_u32 v12, v27, s34
	v_mul_lo_u32 v24, v26, s35
	v_mad_u64_u32 v[28:29], null, v26, s34, 0
	s_delay_alu instid0(VALU_DEP_1) | instskip(NEXT) | instid1(VALU_DEP_1)
	v_add3_u32 v29, v29, v24, v12
	v_lshlrev_b64 v[28:29], 2, v[28:29]
	s_delay_alu instid0(VALU_DEP_1) | instskip(NEXT) | instid1(VALU_DEP_1)
	v_add_co_u32 v28, s4, s44, v28
	v_add_co_ci_u32_e64 v29, s4, s45, v29, s4
	global_load_b32 v24, v[28:29], off
.LBB92_55:                              ;   in Loop: Header=BB92_12 Depth=1
	s_or_b32 exec_lo, exec_lo, s5
	s_and_saveexec_b32 s7, vcc_lo
	s_cbranch_execz .LBB92_62
; %bb.56:                               ;   in Loop: Header=BB92_12 Depth=1
	s_and_b32 s9, s82, 0xfe
	s_mov_b32 s8, 0
	s_branch .LBB92_58
.LBB92_57:                              ;   in Loop: Header=BB92_58 Depth=2
	s_or_b32 exec_lo, exec_lo, s5
	s_waitcnt vmcnt(0)
	v_xor_b32_e32 v24, 0x80000000, v24
	s_and_b32 s6, exec_lo, vcc_lo
	s_delay_alu instid0(SALU_CYCLE_1) | instskip(NEXT) | instid1(VALU_DEP_1)
	s_or_b32 s8, s6, s8
	v_and_b32_e32 v28, s88, v24
	v_bfe_u32 v24, v24, s9, 2
	s_delay_alu instid0(VALU_DEP_2) | instskip(NEXT) | instid1(VALU_DEP_2)
	v_cmp_eq_u32_e64 s4, s87, v28
	v_cmp_eq_u32_e64 s5, 0, v24
	v_cmp_eq_u32_e32 vcc_lo, 1, v24
	v_cmp_eq_u32_e64 s6, 2, v24
	s_delay_alu instid0(VALU_DEP_3) | instskip(NEXT) | instid1(SALU_CYCLE_1)
	s_and_b32 s5, s4, s5
	v_cndmask_b32_e64 v28, 0, 1, s5
	s_and_b32 s5, s4, vcc_lo
	v_cmp_eq_u32_e32 vcc_lo, 3, v24
	v_cndmask_b32_e64 v29, 0, 1, s5
	s_and_b32 s5, s4, s6
	s_delay_alu instid0(SALU_CYCLE_1) | instskip(SKIP_1) | instid1(VALU_DEP_3)
	v_cndmask_b32_e64 v24, 0, 1, s5
	v_cmp_ne_u32_e64 s5, 0, v28
	v_cmp_ne_u32_e64 s6, 0, v29
	s_and_b32 s4, s4, vcc_lo
	s_delay_alu instid0(SALU_CYCLE_1) | instskip(NEXT) | instid1(VALU_DEP_3)
	v_cndmask_b32_e64 v28, 0, 1, s4
	s_bcnt1_i32_b32 s4, s5
	v_cmp_ne_u32_e32 vcc_lo, 0, v24
	v_add_co_u32 v2, s4, v2, s4
	s_bcnt1_i32_b32 s5, s6
	v_add_co_ci_u32_e64 v3, s4, 0, v3, s4
	v_add_co_u32 v4, s4, v4, s5
	s_delay_alu instid0(VALU_DEP_1) | instskip(SKIP_3) | instid1(VALU_DEP_1)
	v_add_co_ci_u32_e64 v5, s4, 0, v5, s4
	s_bcnt1_i32_b32 s4, vcc_lo
	v_cmp_ne_u32_e32 vcc_lo, 0, v28
	v_add_co_u32 v6, s4, v6, s4
	v_add_co_ci_u32_e64 v7, s4, 0, v7, s4
	s_bcnt1_i32_b32 s4, vcc_lo
	v_mov_b32_e32 v24, v12
	v_add_co_u32 v8, vcc_lo, v8, s4
	v_add_co_ci_u32_e32 v9, vcc_lo, 0, v9, vcc_lo
	s_and_not1_b32 exec_lo, exec_lo, s8
	s_cbranch_execz .LBB92_61
.LBB92_58:                              ;   Parent Loop BB92_12 Depth=1
                                        ; =>  This Inner Loop Header: Depth=2
	v_add_co_u32 v26, vcc_lo, v26, s46
	v_add_co_ci_u32_e32 v27, vcc_lo, 0, v27, vcc_lo
	v_mov_b32_e32 v12, 0
	s_mov_b32 s5, exec_lo
	s_delay_alu instid0(VALU_DEP_2)
	v_cmp_le_u64_e32 vcc_lo, s[24:25], v[26:27]
	v_cmpx_gt_u64_e64 s[24:25], v[26:27]
	s_cbranch_execz .LBB92_57
; %bb.59:                               ;   in Loop: Header=BB92_58 Depth=2
	v_mul_lo_u32 v12, v27, s34
	v_mul_lo_u32 v37, v26, s35
	v_mad_u64_u32 v[28:29], null, v26, s34, 0
	s_delay_alu instid0(VALU_DEP_1) | instskip(NEXT) | instid1(VALU_DEP_1)
	v_add3_u32 v29, v29, v37, v12
	v_lshlrev_b64 v[28:29], 2, v[28:29]
	s_delay_alu instid0(VALU_DEP_1) | instskip(NEXT) | instid1(VALU_DEP_1)
	v_add_co_u32 v28, s4, s44, v28
	v_add_co_ci_u32_e64 v29, s4, s45, v29, s4
	global_load_b32 v12, v[28:29], off
	s_branch .LBB92_57
.LBB92_60:                              ;   in Loop: Header=BB92_12 Depth=1
                                        ; implicit-def: $vgpr8_vgpr9
                                        ; implicit-def: $vgpr4_vgpr5
	s_cbranch_execnz .LBB92_63
	s_branch .LBB92_72
.LBB92_61:                              ;   in Loop: Header=BB92_12 Depth=1
	s_or_b32 exec_lo, exec_lo, s8
.LBB92_62:                              ;   in Loop: Header=BB92_12 Depth=1
	s_delay_alu instid0(SALU_CYCLE_1)
	s_or_b32 exec_lo, exec_lo, s7
	s_branch .LBB92_72
.LBB92_63:                              ;   in Loop: Header=BB92_12 Depth=1
	global_load_u16 v8, v13, s[50:51]
	s_mov_b64 s[58:59], 0
	s_mov_b32 s57, exec_lo
	s_waitcnt vmcnt(0)
	v_readfirstlane_b32 s4, v8
	v_and_b32_e32 v24, 0xffff, v8
	s_delay_alu instid0(VALU_DEP_2) | instskip(NEXT) | instid1(SALU_CYCLE_1)
	s_and_b32 s4, 0xffff, s4
	s_lshl_b32 s48, s4, 2
	s_delay_alu instid0(SALU_CYCLE_1) | instskip(SKIP_1) | instid1(VALU_DEP_1)
	v_cvt_f32_u32_e32 v2, s48
	s_sub_i32 s5, 0, s48
	v_rcp_iflag_f32_e32 v2, v2
	s_waitcnt_depctr 0xfff
	v_mul_f32_e32 v2, 0x4f7ffffe, v2
	s_delay_alu instid0(VALU_DEP_1) | instskip(NEXT) | instid1(VALU_DEP_1)
	v_cvt_u32_f32_e32 v2, v2
	v_readfirstlane_b32 s4, v2
	v_mov_b32_e32 v2, 0
	v_mov_b32_e32 v3, 0
	s_delay_alu instid0(VALU_DEP_3) | instskip(NEXT) | instid1(VALU_DEP_1)
	s_mul_i32 s5, s5, s4
	v_dual_mov_b32 v5, v3 :: v_dual_mov_b32 v4, v2
	s_mul_hi_u32 s5, s4, s5
	v_dual_mov_b32 v7, v3 :: v_dual_mov_b32 v6, v2
	s_add_i32 s4, s4, s5
	v_dual_mov_b32 v9, v3 :: v_dual_mov_b32 v8, v2
	s_mul_hi_u32 s4, s56, s4
	s_delay_alu instid0(SALU_CYCLE_1) | instskip(NEXT) | instid1(SALU_CYCLE_1)
	s_mul_i32 s4, s4, s48
	s_sub_i32 s4, s56, s4
	s_delay_alu instid0(SALU_CYCLE_1) | instskip(SKIP_2) | instid1(SALU_CYCLE_1)
	s_sub_i32 s5, s4, s48
	s_cmp_ge_u32 s4, s48
	s_cselect_b32 s4, s5, s4
	s_sub_i32 s5, s4, s48
	s_cmp_ge_u32 s4, s48
	s_cselect_b32 s4, s5, s4
	s_delay_alu instid0(SALU_CYCLE_1) | instskip(NEXT) | instid1(SALU_CYCLE_1)
	s_sub_i32 s46, s56, s4
	v_cmpx_gt_u32_e64 s46, v14
	s_cbranch_execz .LBB92_67
; %bb.64:                               ;   in Loop: Header=BB92_12 Depth=1
	v_dual_mov_b32 v27, v15 :: v_dual_lshlrev_b32 v12, 4, v24
	v_mov_b32_e32 v28, v33
	v_mov_b32_e32 v26, v14
	s_and_b32 s66, s82, 0xfe
	s_mov_b32 s67, 0
	s_mov_b64 s[60:61], 0
	s_mov_b64 s[62:63], 0
	;; [unrolled: 1-line block ×3, first 2 shown]
.LBB92_65:                              ;   Parent Loop BB92_12 Depth=1
                                        ; =>  This Inner Loop Header: Depth=2
	ds_load_b128 v[2:5], v28
	v_add_co_u32 v26, vcc_lo, v26, s48
	v_add_co_ci_u32_e32 v27, vcc_lo, 0, v27, vcc_lo
	s_delay_alu instid0(VALU_DEP_1)
	v_cmp_le_u64_e32 vcc_lo, s[46:47], v[26:27]
	s_waitcnt lgkmcnt(0)
	v_xor_b32_e32 v2, 0x80000000, v2
	v_xor_b32_e32 v3, 0x80000000, v3
	;; [unrolled: 1-line block ×4, first 2 shown]
	s_delay_alu instid0(VALU_DEP_4)
	v_and_b32_e32 v6, s88, v2
	v_bfe_u32 v2, v2, s66, 2
	v_and_b32_e32 v7, s88, v3
	v_bfe_u32 v3, v3, s66, 2
	;; [unrolled: 2-line block ×3, first 2 shown]
	v_cmp_eq_u32_e64 s4, s87, v6
	v_cmp_eq_u32_e64 s8, 0, v2
	v_and_b32_e32 v9, s88, v5
	v_bfe_u32 v5, v5, s66, 2
	v_cmp_eq_u32_e64 s5, s87, v7
	v_cmp_eq_u32_e64 s9, 0, v3
	;; [unrolled: 1-line block ×4, first 2 shown]
	s_and_b32 s8, s4, s8
	v_cmp_eq_u32_e64 s7, s87, v9
	v_cmp_eq_u32_e64 s11, 0, v5
	;; [unrolled: 1-line block ×5, first 2 shown]
	v_cndmask_b32_e64 v2, 0, 1, s8
	s_and_b32 s8, s5, s9
	v_cmp_eq_u32_e64 s13, 1, v3
	v_cmp_eq_u32_e64 s17, 2, v3
	v_cmp_eq_u32_e64 s21, 3, v3
	v_cndmask_b32_e64 v3, 0, 1, s8
	s_and_b32 s8, s6, s10
	v_cmp_eq_u32_e64 s14, 1, v4
	v_cmp_eq_u32_e64 s18, 2, v4
	v_cmp_eq_u32_e64 s22, 3, v4
	v_cndmask_b32_e64 v4, 0, 1, s8
	s_and_b32 s8, s7, s11
	v_cmp_eq_u32_e64 s15, 1, v5
	v_cmp_eq_u32_e64 s19, 2, v5
	v_cmp_eq_u32_e64 s23, 3, v5
	v_cndmask_b32_e64 v5, 0, 1, s8
	v_cmp_ne_u32_e64 s8, 0, v2
	v_cmp_ne_u32_e64 s9, 0, v3
	;; [unrolled: 1-line block ×3, first 2 shown]
	s_delay_alu instid0(VALU_DEP_4) | instskip(NEXT) | instid1(VALU_DEP_4)
	v_cmp_ne_u32_e64 s11, 0, v5
	s_bcnt1_i32_b32 s8, s8
	s_delay_alu instid0(VALU_DEP_3) | instskip(NEXT) | instid1(VALU_DEP_2)
	s_bcnt1_i32_b32 s9, s9
	s_bcnt1_i32_b32 s10, s10
	s_add_i32 s8, s9, s8
	s_bcnt1_i32_b32 s11, s11
	s_add_i32 s8, s8, s10
	s_delay_alu instid0(SALU_CYCLE_1) | instskip(NEXT) | instid1(SALU_CYCLE_1)
	s_add_i32 s8, s8, s11
	s_add_u32 s64, s64, s8
	s_addc_u32 s65, s65, 0
	s_and_b32 s8, s4, s12
	v_add_nc_u32_e32 v28, v28, v12
	v_cndmask_b32_e64 v2, 0, 1, s8
	s_and_b32 s8, s5, s13
	s_delay_alu instid0(SALU_CYCLE_1) | instskip(SKIP_1) | instid1(SALU_CYCLE_1)
	v_cndmask_b32_e64 v3, 0, 1, s8
	s_and_b32 s8, s6, s14
	v_cndmask_b32_e64 v4, 0, 1, s8
	s_and_b32 s8, s7, s15
	s_delay_alu instid0(VALU_DEP_2) | instskip(SKIP_3) | instid1(VALU_DEP_4)
	v_cmp_ne_u32_e64 s9, 0, v3
	v_cndmask_b32_e64 v5, 0, 1, s8
	v_cmp_ne_u32_e64 s8, 0, v2
	v_cmp_ne_u32_e64 s10, 0, v4
	s_bcnt1_i32_b32 s9, s9
	s_delay_alu instid0(VALU_DEP_3) | instskip(NEXT) | instid1(VALU_DEP_3)
	v_cmp_ne_u32_e64 s11, 0, v5
	s_bcnt1_i32_b32 s8, s8
	s_delay_alu instid0(VALU_DEP_2) | instskip(SKIP_1) | instid1(VALU_DEP_1)
	s_bcnt1_i32_b32 s10, s10
	s_add_i32 s8, s9, s8
	s_bcnt1_i32_b32 s11, s11
	s_add_i32 s8, s8, s10
	s_delay_alu instid0(SALU_CYCLE_1) | instskip(NEXT) | instid1(SALU_CYCLE_1)
	s_add_i32 s8, s8, s11
	s_add_u32 s62, s62, s8
	s_addc_u32 s63, s63, 0
	s_and_b32 s8, s4, s16
	s_delay_alu instid0(SALU_CYCLE_1) | instskip(SKIP_1) | instid1(SALU_CYCLE_1)
	v_cndmask_b32_e64 v2, 0, 1, s8
	s_and_b32 s8, s5, s17
	v_cndmask_b32_e64 v3, 0, 1, s8
	s_and_b32 s8, s6, s18
	s_delay_alu instid0(SALU_CYCLE_1) | instskip(SKIP_1) | instid1(VALU_DEP_2)
	v_cndmask_b32_e64 v4, 0, 1, s8
	s_and_b32 s8, s7, s19
	v_cmp_ne_u32_e64 s9, 0, v3
	v_cndmask_b32_e64 v5, 0, 1, s8
	v_cmp_ne_u32_e64 s8, 0, v2
	v_cmp_ne_u32_e64 s10, 0, v4
	s_delay_alu instid0(VALU_DEP_4) | instskip(NEXT) | instid1(VALU_DEP_3)
	s_bcnt1_i32_b32 s9, s9
	v_cmp_ne_u32_e64 s11, 0, v5
	s_delay_alu instid0(VALU_DEP_3) | instskip(NEXT) | instid1(VALU_DEP_2)
	s_bcnt1_i32_b32 s8, s8
	s_bcnt1_i32_b32 s10, s10
	s_add_i32 s8, s9, s8
	s_delay_alu instid0(VALU_DEP_1) | instskip(SKIP_1) | instid1(SALU_CYCLE_1)
	s_bcnt1_i32_b32 s11, s11
	s_add_i32 s8, s8, s10
	s_add_i32 s8, s8, s11
	s_delay_alu instid0(SALU_CYCLE_1) | instskip(SKIP_2) | instid1(SALU_CYCLE_1)
	s_add_u32 s60, s60, s8
	s_addc_u32 s61, s61, 0
	s_and_b32 s4, s4, s20
	v_cndmask_b32_e64 v2, 0, 1, s4
	s_and_b32 s4, s5, s21
	s_delay_alu instid0(SALU_CYCLE_1) | instskip(SKIP_1) | instid1(SALU_CYCLE_1)
	v_cndmask_b32_e64 v3, 0, 1, s4
	s_and_b32 s4, s6, s22
	v_cndmask_b32_e64 v4, 0, 1, s4
	s_and_b32 s4, s7, s23
	s_delay_alu instid0(VALU_DEP_2) | instskip(SKIP_4) | instid1(VALU_DEP_4)
	v_cmp_ne_u32_e64 s5, 0, v3
	v_cndmask_b32_e64 v5, 0, 1, s4
	v_cmp_ne_u32_e64 s4, 0, v2
	v_cmp_ne_u32_e64 s6, 0, v4
	v_dual_mov_b32 v2, s64 :: v_dual_mov_b32 v3, s65
	v_cmp_ne_u32_e64 s7, 0, v5
	s_delay_alu instid0(VALU_DEP_4)
	s_bcnt1_i32_b32 s4, s4
	s_bcnt1_i32_b32 s5, s5
	;; [unrolled: 1-line block ×3, first 2 shown]
	s_add_i32 s4, s5, s4
	s_bcnt1_i32_b32 s5, s7
	s_add_i32 s4, s4, s6
	v_mov_b32_e32 v4, s62
	s_add_i32 s4, s4, s5
	v_mov_b32_e32 v5, s63
	s_add_u32 s58, s58, s4
	s_addc_u32 s59, s59, 0
	v_mov_b32_e32 v6, s60
	v_dual_mov_b32 v8, s58 :: v_dual_mov_b32 v9, s59
	v_mov_b32_e32 v7, s61
	s_or_b32 s67, vcc_lo, s67
	s_delay_alu instid0(SALU_CYCLE_1)
	s_and_not1_b32 exec_lo, exec_lo, s67
	s_cbranch_execnz .LBB92_65
; %bb.66:                               ;   in Loop: Header=BB92_12 Depth=1
	s_or_b32 exec_lo, exec_lo, s67
.LBB92_67:                              ;   in Loop: Header=BB92_12 Depth=1
	s_delay_alu instid0(SALU_CYCLE_1) | instskip(SKIP_2) | instid1(VALU_DEP_1)
	s_or_b32 exec_lo, exec_lo, s57
	v_add_nc_u32_e32 v12, s46, v0
	s_mov_b32 s9, exec_lo
	v_cmpx_gt_u32_e64 s56, v12
	s_cbranch_execz .LBB92_71
; %bb.68:                               ;   in Loop: Header=BB92_12 Depth=1
	v_dual_mov_b32 v27, v13 :: v_dual_lshlrev_b32 v28, 2, v12
	v_mov_b32_e32 v26, v12
	s_mov_b32 s11, 0
	s_and_b32 s10, s56, 0x7fffffff
	s_and_b32 s13, s82, 0xfe
	s_mov_b32 s12, s11
.LBB92_69:                              ;   Parent Loop BB92_12 Depth=1
                                        ; =>  This Inner Loop Header: Depth=2
	ds_load_b32 v12, v28
	v_add_co_u32 v26, vcc_lo, v26, v24
	v_add_co_ci_u32_e32 v27, vcc_lo, 0, v27, vcc_lo
	v_add_nc_u32_e32 v28, s48, v28
	s_delay_alu instid0(VALU_DEP_2) | instskip(SKIP_2) | instid1(VALU_DEP_1)
	v_cmp_le_u64_e32 vcc_lo, s[10:11], v[26:27]
	s_waitcnt lgkmcnt(0)
	v_xor_b32_e32 v12, 0x80000000, v12
	v_and_b32_e32 v29, s88, v12
	v_bfe_u32 v12, v12, s13, 2
	s_delay_alu instid0(VALU_DEP_2) | instskip(NEXT) | instid1(VALU_DEP_2)
	v_cmp_eq_u32_e64 s4, s87, v29
	v_cmp_eq_u32_e64 s5, 0, v12
	;; [unrolled: 1-line block ×5, first 2 shown]
	s_delay_alu instid0(VALU_DEP_4) | instskip(NEXT) | instid1(SALU_CYCLE_1)
	s_and_b32 s5, s4, s5
	v_cndmask_b32_e64 v12, 0, 1, s5
	s_and_b32 s5, s4, s6
	s_delay_alu instid0(SALU_CYCLE_1)
	v_cndmask_b32_e64 v29, 0, 1, s5
	s_and_b32 s5, s4, s7
	s_and_b32 s4, s4, s8
	v_cndmask_b32_e64 v37, 0, 1, s5
	v_cndmask_b32_e64 v38, 0, 1, s4
	v_cmp_ne_u32_e64 s4, 0, v12
	v_cmp_ne_u32_e64 s5, 0, v29
	s_delay_alu instid0(VALU_DEP_4) | instskip(NEXT) | instid1(VALU_DEP_4)
	v_cmp_ne_u32_e64 s6, 0, v37
	v_cmp_ne_u32_e64 s7, 0, v38
	s_delay_alu instid0(VALU_DEP_4) | instskip(NEXT) | instid1(VALU_DEP_3)
	s_bcnt1_i32_b32 s4, s4
	s_bcnt1_i32_b32 s5, s5
	v_add_co_u32 v2, s4, v2, s4
	s_delay_alu instid0(VALU_DEP_1)
	v_add_co_ci_u32_e64 v3, s4, 0, v3, s4
	v_add_co_u32 v4, s4, v4, s5
	s_bcnt1_i32_b32 s6, s6
	v_add_co_ci_u32_e64 v5, s4, 0, v5, s4
	v_add_co_u32 v6, s4, v6, s6
	s_bcnt1_i32_b32 s7, s7
	v_add_co_ci_u32_e64 v7, s4, 0, v7, s4
	v_add_co_u32 v8, s4, v8, s7
	s_delay_alu instid0(VALU_DEP_1) | instskip(SKIP_1) | instid1(SALU_CYCLE_1)
	v_add_co_ci_u32_e64 v9, s4, 0, v9, s4
	s_or_b32 s12, vcc_lo, s12
	s_and_not1_b32 exec_lo, exec_lo, s12
	s_cbranch_execnz .LBB92_69
; %bb.70:                               ;   in Loop: Header=BB92_12 Depth=1
	s_or_b32 exec_lo, exec_lo, s12
.LBB92_71:                              ;   in Loop: Header=BB92_12 Depth=1
	s_delay_alu instid0(SALU_CYCLE_1)
	s_or_b32 exec_lo, exec_lo, s9
.LBB92_72:                              ;   in Loop: Header=BB92_12 Depth=1
	s_lshl_b32 s4, s85, 7
	s_and_saveexec_b32 s5, s1
	s_cbranch_execz .LBB92_74
; %bb.73:                               ;   in Loop: Header=BB92_12 Depth=1
	v_or_b32_e32 v12, s4, v32
	s_delay_alu instid0(VALU_DEP_1)
	v_lshlrev_b32_e32 v12, 3, v12
	ds_store_b128 v12, v[2:5] offset:3072
	ds_store_b128 v12, v[6:9] offset:3088
.LBB92_74:                              ;   in Loop: Header=BB92_12 Depth=1
	s_or_b32 exec_lo, exec_lo, s5
	s_waitcnt vmcnt(0) lgkmcnt(0)
	s_barrier
	buffer_gl0_inv
	s_and_saveexec_b32 s5, s33
	s_cbranch_execz .LBB92_85
; %bb.75:                               ;   in Loop: Header=BB92_12 Depth=1
	v_mov_b32_e32 v2, 0
	v_mov_b32_e32 v3, 0
	s_and_not1_b32 vcc_lo, exec_lo, s75
	s_cbranch_vccnz .LBB92_84
; %bb.76:                               ;   in Loop: Header=BB92_12 Depth=1
	v_mov_b32_e32 v2, 0
	v_mov_b32_e32 v3, 0
	s_and_not1_b32 vcc_lo, exec_lo, s73
	s_cbranch_vccnz .LBB92_81
; %bb.77:                               ;   in Loop: Header=BB92_12 Depth=1
	v_lshl_add_u32 v4, s85, 10, v36
	s_mov_b32 s6, 0
	s_set_inst_prefetch_distance 0x1
	.p2align	6
.LBB92_78:                              ;   Parent Loop BB92_12 Depth=1
                                        ; =>  This Inner Loop Header: Depth=2
	ds_load_2addr_b64 v[5:8], v4 offset1:4
	ds_load_2addr_b64 v[26:29], v4 offset0:8 offset1:12
	ds_load_2addr_b64 v[37:40], v4 offset0:16 offset1:20
	s_add_i32 s6, s6, 8
	s_delay_alu instid0(SALU_CYCLE_1) | instskip(SKIP_3) | instid1(VALU_DEP_2)
	s_cmp_eq_u32 s74, s6
	s_waitcnt lgkmcnt(2)
	v_add_co_u32 v2, vcc_lo, v5, v2
	v_add_co_ci_u32_e32 v3, vcc_lo, v6, v3, vcc_lo
	v_add_co_u32 v2, vcc_lo, v7, v2
	s_delay_alu instid0(VALU_DEP_2)
	v_add_co_ci_u32_e32 v3, vcc_lo, v8, v3, vcc_lo
	ds_load_2addr_b64 v[5:8], v4 offset0:24 offset1:28
	s_waitcnt lgkmcnt(2)
	v_add_co_u32 v2, vcc_lo, v26, v2
	v_add_co_ci_u32_e32 v3, vcc_lo, v27, v3, vcc_lo
	v_add_nc_u32_e32 v4, 0x100, v4
	s_delay_alu instid0(VALU_DEP_3) | instskip(NEXT) | instid1(VALU_DEP_3)
	v_add_co_u32 v2, vcc_lo, v28, v2
	v_add_co_ci_u32_e32 v3, vcc_lo, v29, v3, vcc_lo
	s_waitcnt lgkmcnt(1)
	s_delay_alu instid0(VALU_DEP_2) | instskip(NEXT) | instid1(VALU_DEP_2)
	v_add_co_u32 v2, vcc_lo, v37, v2
	v_add_co_ci_u32_e32 v3, vcc_lo, v38, v3, vcc_lo
	s_delay_alu instid0(VALU_DEP_2) | instskip(NEXT) | instid1(VALU_DEP_2)
	v_add_co_u32 v2, vcc_lo, v39, v2
	v_add_co_ci_u32_e32 v3, vcc_lo, v40, v3, vcc_lo
	s_waitcnt lgkmcnt(0)
	s_delay_alu instid0(VALU_DEP_2) | instskip(NEXT) | instid1(VALU_DEP_2)
	v_add_co_u32 v2, vcc_lo, v5, v2
	v_add_co_ci_u32_e32 v3, vcc_lo, v6, v3, vcc_lo
	s_delay_alu instid0(VALU_DEP_2) | instskip(NEXT) | instid1(VALU_DEP_2)
	v_add_co_u32 v2, vcc_lo, v7, v2
	v_add_co_ci_u32_e32 v3, vcc_lo, v8, v3, vcc_lo
	s_cbranch_scc0 .LBB92_78
; %bb.79:                               ;   in Loop: Header=BB92_12 Depth=1
	s_set_inst_prefetch_distance 0x2
	s_mov_b32 s6, s74
	s_and_not1_b32 vcc_lo, exec_lo, s76
	s_cbranch_vccz .LBB92_82
	s_branch .LBB92_84
.LBB92_80:                              ;   in Loop: Header=BB92_12 Depth=1
                                        ; implicit-def: $vgpr2_vgpr3
	s_branch .LBB92_48
.LBB92_81:                              ;   in Loop: Header=BB92_12 Depth=1
	s_mov_b32 s6, 0
	s_and_not1_b32 vcc_lo, exec_lo, s76
	s_cbranch_vccnz .LBB92_84
.LBB92_82:                              ;   in Loop: Header=BB92_12 Depth=1
	s_lshl_b32 s7, s85, 10
	s_lshl_b32 s6, s6, 5
	s_delay_alu instid0(SALU_CYCLE_1)
	v_add3_u32 v4, s7, s6, v36
	s_mov_b32 s6, s72
.LBB92_83:                              ;   Parent Loop BB92_12 Depth=1
                                        ; =>  This Inner Loop Header: Depth=2
	ds_load_b64 v[5:6], v4
	v_add_nc_u32_e32 v4, 32, v4
	s_add_i32 s6, s6, -1
	s_delay_alu instid0(SALU_CYCLE_1)
	s_cmp_lg_u32 s6, 0
	s_waitcnt lgkmcnt(0)
	v_add_co_u32 v2, vcc_lo, v5, v2
	v_add_co_ci_u32_e32 v3, vcc_lo, v6, v3, vcc_lo
	s_cbranch_scc1 .LBB92_83
.LBB92_84:                              ;   in Loop: Header=BB92_12 Depth=1
	v_add_lshl_u32 v4, s4, v30, 3
	ds_store_b64 v4, v[2:3] offset:3072
.LBB92_85:                              ;   in Loop: Header=BB92_12 Depth=1
	s_or_b32 exec_lo, exec_lo, s5
	s_lshl_b32 s4, s4, 3
	s_waitcnt lgkmcnt(0)
	v_mov_b32_e32 v6, s4
	s_barrier
	buffer_gl0_inv
	s_and_b32 s17, s82, 0xfe
	s_mov_b32 s19, -1
	ds_load_b128 v[2:5], v6 offset:3072
	ds_load_b128 v[6:9], v6 offset:3088
	s_lshl_b32 s16, 3, s17
	s_delay_alu instid0(SALU_CYCLE_1)
	s_not_b32 s18, s16
	s_waitcnt lgkmcnt(1)
	v_readfirstlane_b32 s13, v3
	v_readfirstlane_b32 s12, v2
	;; [unrolled: 1-line block ×4, first 2 shown]
	s_waitcnt lgkmcnt(0)
	v_readfirstlane_b32 s8, v6
	v_readfirstlane_b32 s9, v7
	s_cmp_eq_u64 s[12:13], 1
	v_readfirstlane_b32 s6, v8
	s_cselect_b32 s4, -1, 0
	s_cmp_eq_u64 s[40:41], 1
	v_readfirstlane_b32 s7, v9
	s_cselect_b32 s5, -1, 0
	s_delay_alu instid0(SALU_CYCLE_1) | instskip(NEXT) | instid1(SALU_CYCLE_1)
	s_and_b32 s20, s4, s5
	s_and_b32 vcc_lo, exec_lo, s20
	s_cbranch_vccz .LBB92_100
; %bb.86:                               ;   in Loop: Header=BB92_12 Depth=1
	ds_load_b64 v[2:3], v13 offset:5120
	s_waitcnt lgkmcnt(0)
	s_barrier
	buffer_gl0_inv
	v_readfirstlane_b32 s14, v2
	v_readfirstlane_b32 s15, v3
	s_and_saveexec_b32 s4, s3
	s_cbranch_execz .LBB92_88
; %bb.87:                               ;   in Loop: Header=BB92_12 Depth=1
	ds_store_b32 v31, v13
.LBB92_88:                              ;   in Loop: Header=BB92_12 Depth=1
	s_or_b32 exec_lo, exec_lo, s4
	s_and_b32 s87, s87, s18
	s_or_b32 s88, s88, s16
	s_cmp_eq_u64 s[14:15], 0
	s_waitcnt lgkmcnt(0)
	s_barrier
	buffer_gl0_inv
	s_cbranch_scc1 .LBB92_101
; %bb.89:                               ;   in Loop: Header=BB92_12 Depth=1
	s_add_u32 s21, s69, s14
	s_addc_u32 s5, s70, s15
	s_mov_b32 s4, s47
	s_delay_alu instid0(SALU_CYCLE_1)
	s_cmp_lg_u64 s[4:5], 0
	s_cbranch_scc0 .LBB92_146
; %bb.90:                               ;   in Loop: Header=BB92_12 Depth=1
	v_cvt_f32_u32_e32 v2, s29
	s_sub_u32 s23, 0, s29
	s_subb_u32 s46, 0, 0
	s_delay_alu instid0(VALU_DEP_1) | instskip(NEXT) | instid1(VALU_DEP_1)
	v_fmac_f32_e64 v2, 0, 0x4f800000
	v_rcp_f32_e32 v2, v2
	s_waitcnt_depctr 0xfff
	v_mul_f32_e32 v2, 0x5f7ffffc, v2
	s_delay_alu instid0(VALU_DEP_1) | instskip(NEXT) | instid1(VALU_DEP_1)
	v_mul_f32_e32 v3, 0x2f800000, v2
	v_trunc_f32_e32 v3, v3
	s_delay_alu instid0(VALU_DEP_1) | instskip(SKIP_1) | instid1(VALU_DEP_2)
	v_fmac_f32_e32 v2, 0xcf800000, v3
	v_cvt_u32_f32_e32 v3, v3
	v_cvt_u32_f32_e32 v2, v2
	s_delay_alu instid0(VALU_DEP_2) | instskip(NEXT) | instid1(VALU_DEP_2)
	v_readfirstlane_b32 s4, v3
	v_readfirstlane_b32 s22, v2
	s_delay_alu instid0(VALU_DEP_2) | instskip(NEXT) | instid1(VALU_DEP_1)
	s_mul_i32 s48, s23, s4
	s_mul_hi_u32 s57, s23, s22
	s_mul_i32 s56, s46, s22
	s_add_i32 s48, s57, s48
	s_mul_i32 s58, s23, s22
	s_add_i32 s48, s48, s56
	s_mul_hi_u32 s57, s22, s58
	s_mul_hi_u32 s59, s4, s58
	s_mul_i32 s56, s4, s58
	s_mul_hi_u32 s58, s22, s48
	s_mul_i32 s22, s22, s48
	s_mul_hi_u32 s60, s4, s48
	s_add_u32 s22, s57, s22
	s_addc_u32 s57, 0, s58
	s_add_u32 s22, s22, s56
	s_mul_i32 s48, s4, s48
	s_addc_u32 s22, s57, s59
	s_addc_u32 s56, s60, 0
	s_add_u32 s22, s22, s48
	s_addc_u32 s48, 0, s56
	v_add_co_u32 v2, s22, v2, s22
	s_delay_alu instid0(VALU_DEP_1) | instskip(SKIP_1) | instid1(VALU_DEP_1)
	s_cmp_lg_u32 s22, 0
	s_addc_u32 s4, s4, s48
	v_readfirstlane_b32 s22, v2
	s_mul_i32 s48, s23, s4
	s_delay_alu instid0(VALU_DEP_1)
	s_mul_hi_u32 s56, s23, s22
	s_mul_i32 s46, s46, s22
	s_add_i32 s48, s56, s48
	s_mul_i32 s23, s23, s22
	s_add_i32 s48, s48, s46
	s_mul_hi_u32 s56, s4, s23
	s_mul_i32 s57, s4, s23
	s_mul_hi_u32 s23, s22, s23
	s_mul_hi_u32 s58, s22, s48
	s_mul_i32 s22, s22, s48
	s_mul_hi_u32 s46, s4, s48
	s_add_u32 s22, s23, s22
	s_addc_u32 s23, 0, s58
	s_add_u32 s22, s22, s57
	s_mul_i32 s48, s4, s48
	s_addc_u32 s22, s23, s56
	s_addc_u32 s23, s46, 0
	s_add_u32 s22, s22, s48
	s_addc_u32 s23, 0, s23
	v_add_co_u32 v2, s22, v2, s22
	s_delay_alu instid0(VALU_DEP_1) | instskip(SKIP_1) | instid1(VALU_DEP_1)
	s_cmp_lg_u32 s22, 0
	s_addc_u32 s4, s4, s23
	v_readfirstlane_b32 s22, v2
	s_mul_i32 s46, s21, s4
	s_mul_hi_u32 s23, s21, s4
	s_mul_hi_u32 s48, s5, s4
	s_mul_i32 s4, s5, s4
	s_mul_hi_u32 s56, s21, s22
	s_mul_hi_u32 s57, s5, s22
	s_mul_i32 s22, s5, s22
	s_add_u32 s46, s56, s46
	s_addc_u32 s23, 0, s23
	s_add_u32 s22, s46, s22
	s_addc_u32 s22, s23, s57
	s_addc_u32 s23, s48, 0
	s_add_u32 s4, s22, s4
	s_addc_u32 s22, 0, s23
	s_mul_hi_u32 s23, s29, s4
	s_mul_i32 s4, s29, s4
	s_mul_i32 s22, s29, s22
	v_sub_co_u32 v2, s4, s21, s4
	s_add_i32 s23, s23, s22
	s_cmp_lg_u32 s4, 0
	s_delay_alu instid0(VALU_DEP_1) | instskip(SKIP_2) | instid1(VALU_DEP_1)
	v_sub_co_u32 v3, s4, v2, s29
	s_subb_u32 s22, s5, s23
	s_cmp_lg_u32 s4, 0
	v_cmp_le_u32_e32 vcc_lo, s29, v3
	v_sub_co_u32 v4, s4, v3, s29
	s_subb_u32 s23, s22, 0
	s_cmp_lg_u32 s4, 0
	v_cndmask_b32_e64 v5, 0, -1, vcc_lo
	s_subb_u32 s4, s23, 0
	s_cmp_eq_u32 s23, 0
	v_mov_b32_e32 v7, s4
	s_cselect_b32 vcc_lo, -1, 0
	s_cmp_eq_u32 s22, 0
	v_cndmask_b32_e32 v5, -1, v5, vcc_lo
	v_cmp_le_u32_e32 vcc_lo, s29, v2
	s_cselect_b32 s4, -1, 0
	v_cndmask_b32_e64 v6, 0, -1, vcc_lo
	s_delay_alu instid0(VALU_DEP_3) | instskip(NEXT) | instid1(VALU_DEP_2)
	v_cmp_ne_u32_e32 vcc_lo, 0, v5
	v_cndmask_b32_e64 v5, -1, v6, s4
	v_cndmask_b32_e32 v6, s23, v7, vcc_lo
	v_cndmask_b32_e32 v4, v3, v4, vcc_lo
	s_delay_alu instid0(VALU_DEP_3) | instskip(NEXT) | instid1(VALU_DEP_3)
	v_cmp_ne_u32_e32 vcc_lo, 0, v5
	v_cndmask_b32_e32 v3, s22, v6, vcc_lo
	s_delay_alu instid0(VALU_DEP_3)
	v_cndmask_b32_e32 v2, v2, v4, vcc_lo
	s_cbranch_execnz .LBB92_92
.LBB92_91:                              ;   in Loop: Header=BB92_12 Depth=1
	v_cvt_f32_u32_e32 v2, s29
	s_sub_i32 s4, 0, s29
	s_delay_alu instid0(VALU_DEP_1) | instskip(SKIP_2) | instid1(VALU_DEP_1)
	v_rcp_iflag_f32_e32 v2, v2
	s_waitcnt_depctr 0xfff
	v_mul_f32_e32 v2, 0x4f7ffffe, v2
	v_cvt_u32_f32_e32 v2, v2
	s_delay_alu instid0(VALU_DEP_1) | instskip(NEXT) | instid1(VALU_DEP_1)
	v_mul_lo_u32 v3, s4, v2
	v_mul_hi_u32 v3, v2, v3
	s_delay_alu instid0(VALU_DEP_1) | instskip(NEXT) | instid1(VALU_DEP_1)
	v_add_nc_u32_e32 v2, v2, v3
	v_mul_hi_u32 v2, s21, v2
	s_delay_alu instid0(VALU_DEP_1) | instskip(NEXT) | instid1(VALU_DEP_1)
	v_mul_lo_u32 v2, v2, s29
	v_sub_nc_u32_e32 v2, s21, v2
	s_delay_alu instid0(VALU_DEP_1) | instskip(SKIP_1) | instid1(VALU_DEP_2)
	v_subrev_nc_u32_e32 v3, s29, v2
	v_cmp_le_u32_e32 vcc_lo, s29, v2
	v_cndmask_b32_e32 v2, v2, v3, vcc_lo
	s_delay_alu instid0(VALU_DEP_1) | instskip(SKIP_1) | instid1(VALU_DEP_2)
	v_subrev_nc_u32_e32 v3, s29, v2
	v_cmp_le_u32_e32 vcc_lo, s29, v2
	v_cndmask_b32_e32 v12, v2, v3, vcc_lo
	s_delay_alu instid0(VALU_DEP_1)
	v_dual_mov_b32 v2, v12 :: v_dual_mov_b32 v3, v13
.LBB92_92:                              ;   in Loop: Header=BB92_12 Depth=1
	s_delay_alu instid0(VALU_DEP_1) | instskip(NEXT) | instid1(VALU_DEP_2)
	v_sub_co_u32 v2, vcc_lo, s21, v2
	v_sub_co_ci_u32_e32 v3, vcc_lo, s5, v3, vcc_lo
	s_mov_b32 s4, 0
	s_mov_b32 s5, exec_lo
                                        ; implicit-def: $vgpr25
	s_delay_alu instid0(VALU_DEP_1)
	v_cmpx_gt_u64_e64 v[2:3], v[0:1]
	s_cbranch_execz .LBB92_103
; %bb.93:                               ;   in Loop: Header=BB92_12 Depth=1
	v_dual_mov_b32 v6, v14 :: v_dual_mov_b32 v5, v1
	v_mov_b32_e32 v4, v0
                                        ; implicit-def: $sgpr21
	s_set_inst_prefetch_distance 0x1
	s_branch .LBB92_95
	.p2align	6
.LBB92_94:                              ;   in Loop: Header=BB92_95 Depth=2
	s_or_b32 exec_lo, exec_lo, s22
	s_waitcnt lgkmcnt(0)
	s_barrier
	buffer_gl0_inv
	ds_load_b64 v[24:25], v13 offset:3072
	v_add_co_u32 v4, vcc_lo, v4, s29
	v_add_co_ci_u32_e32 v5, vcc_lo, 0, v5, vcc_lo
	v_add_nc_u32_e32 v6, s77, v6
	s_waitcnt lgkmcnt(0)
	s_barrier
	s_delay_alu instid0(VALU_DEP_2) | instskip(SKIP_2) | instid1(VALU_DEP_1)
	v_cmp_ge_u64_e32 vcc_lo, v[4:5], v[2:3]
	buffer_gl0_inv
	v_readfirstlane_b32 s22, v24
	s_cmp_lg_u32 s22, 0
	s_cselect_b32 s22, -1, 0
	s_delay_alu instid0(SALU_CYCLE_1) | instskip(NEXT) | instid1(SALU_CYCLE_1)
	s_or_b32 s23, vcc_lo, s22
	s_and_b32 s23, exec_lo, s23
	s_delay_alu instid0(SALU_CYCLE_1) | instskip(SKIP_2) | instid1(SALU_CYCLE_1)
	s_or_b32 s4, s23, s4
	s_and_not1_b32 s21, s21, exec_lo
	s_and_b32 s22, s22, exec_lo
	s_or_b32 s21, s21, s22
	s_and_not1_b32 exec_lo, exec_lo, s4
	s_cbranch_execz .LBB92_102
.LBB92_95:                              ;   Parent Loop BB92_12 Depth=1
                                        ; =>  This Inner Loop Header: Depth=2
	s_delay_alu instid0(VALU_DEP_1)
	v_cmp_gt_u64_e32 vcc_lo, s[14:15], v[4:5]
	v_mov_b32_e32 v24, 0
	s_and_saveexec_b32 s22, vcc_lo
	s_cbranch_execz .LBB92_97
; %bb.96:                               ;   in Loop: Header=BB92_95 Depth=2
	ds_load_b32 v24, v6
.LBB92_97:                              ;   in Loop: Header=BB92_95 Depth=2
	s_or_b32 exec_lo, exec_lo, s22
	s_and_saveexec_b32 s22, vcc_lo
	s_cbranch_execz .LBB92_94
; %bb.98:                               ;   in Loop: Header=BB92_95 Depth=2
	s_waitcnt lgkmcnt(0)
	v_xor_b32_e32 v7, 0x80000000, v24
	s_delay_alu instid0(VALU_DEP_1) | instskip(NEXT) | instid1(VALU_DEP_1)
	v_and_b32_e32 v7, s88, v7
	v_cmp_eq_u32_e32 vcc_lo, s87, v7
	s_and_b32 exec_lo, exec_lo, vcc_lo
	s_cbranch_execz .LBB92_94
; %bb.99:                               ;   in Loop: Header=BB92_95 Depth=2
	ds_store_b64 v13, v[23:24] offset:3072
	s_branch .LBB92_94
.LBB92_100:                             ;   in Loop: Header=BB92_12 Depth=1
	s_mov_b32 s4, -1
                                        ; implicit-def: $sgpr5
                                        ; implicit-def: $sgpr15
                                        ; implicit-def: $sgpr14
	s_branch .LBB92_117
.LBB92_101:                             ;   in Loop: Header=BB92_12 Depth=1
	s_mov_b32 s5, -1
	s_mov_b32 s4, 0
                                        ; implicit-def: $sgpr14
                                        ; implicit-def: $vgpr25
	s_mov_b32 s15, s5
	s_cbranch_execnz .LBB92_104
	s_branch .LBB92_117
.LBB92_102:                             ;   in Loop: Header=BB92_12 Depth=1
	s_set_inst_prefetch_distance 0x2
	s_or_b32 exec_lo, exec_lo, s4
	s_delay_alu instid0(SALU_CYCLE_1)
	s_and_b32 s4, s21, exec_lo
.LBB92_103:                             ;   in Loop: Header=BB92_12 Depth=1
	s_or_b32 exec_lo, exec_lo, s5
	s_mov_b32 s14, -1
	s_mov_b32 s5, 0
	s_delay_alu instid0(SALU_CYCLE_1)
	s_mov_b32 s15, s5
	s_branch .LBB92_117
.LBB92_104:                             ;   in Loop: Header=BB92_12 Depth=1
	s_mov_b32 s48, s47
	s_delay_alu instid0(SALU_CYCLE_1)
	s_cmp_lg_u64 s[48:49], 0
	s_cbranch_scc0 .LBB92_147
; %bb.105:                              ;   in Loop: Header=BB92_12 Depth=1
	v_cvt_f32_u32_e32 v2, s29
	s_sub_u32 s14, 0, s29
	s_subb_u32 s15, 0, 0
	s_delay_alu instid0(VALU_DEP_1) | instskip(NEXT) | instid1(VALU_DEP_1)
	v_fmac_f32_e64 v2, 0, 0x4f800000
	v_rcp_f32_e32 v2, v2
	s_waitcnt_depctr 0xfff
	v_mul_f32_e32 v2, 0x5f7ffffc, v2
	s_delay_alu instid0(VALU_DEP_1) | instskip(NEXT) | instid1(VALU_DEP_1)
	v_mul_f32_e32 v3, 0x2f800000, v2
	v_trunc_f32_e32 v3, v3
	s_delay_alu instid0(VALU_DEP_1) | instskip(SKIP_1) | instid1(VALU_DEP_2)
	v_fmac_f32_e32 v2, 0xcf800000, v3
	v_cvt_u32_f32_e32 v3, v3
	v_cvt_u32_f32_e32 v2, v2
	s_delay_alu instid0(VALU_DEP_2) | instskip(NEXT) | instid1(VALU_DEP_2)
	v_readfirstlane_b32 s4, v3
	v_readfirstlane_b32 s5, v2
	s_delay_alu instid0(VALU_DEP_2) | instskip(NEXT) | instid1(VALU_DEP_1)
	s_mul_i32 s21, s14, s4
	s_mul_hi_u32 s23, s14, s5
	s_mul_i32 s22, s15, s5
	s_add_i32 s21, s23, s21
	s_mul_i32 s46, s14, s5
	s_add_i32 s21, s21, s22
	s_mul_hi_u32 s23, s5, s46
	s_mul_hi_u32 s48, s4, s46
	s_mul_i32 s22, s4, s46
	s_mul_hi_u32 s46, s5, s21
	s_mul_i32 s5, s5, s21
	s_mul_hi_u32 s56, s4, s21
	s_add_u32 s5, s23, s5
	s_addc_u32 s23, 0, s46
	s_add_u32 s5, s5, s22
	s_mul_i32 s21, s4, s21
	s_addc_u32 s5, s23, s48
	s_addc_u32 s22, s56, 0
	s_add_u32 s5, s5, s21
	s_addc_u32 s21, 0, s22
	v_add_co_u32 v2, s5, v2, s5
	s_delay_alu instid0(VALU_DEP_1) | instskip(SKIP_1) | instid1(VALU_DEP_1)
	s_cmp_lg_u32 s5, 0
	s_addc_u32 s4, s4, s21
	v_readfirstlane_b32 s5, v2
	s_mul_i32 s21, s14, s4
	s_delay_alu instid0(VALU_DEP_1)
	s_mul_hi_u32 s22, s14, s5
	s_mul_i32 s15, s15, s5
	s_add_i32 s21, s22, s21
	s_mul_i32 s14, s14, s5
	s_add_i32 s21, s21, s15
	s_mul_hi_u32 s22, s4, s14
	s_mul_i32 s23, s4, s14
	s_mul_hi_u32 s14, s5, s14
	s_mul_hi_u32 s46, s5, s21
	s_mul_i32 s5, s5, s21
	s_mul_hi_u32 s15, s4, s21
	s_add_u32 s5, s14, s5
	s_addc_u32 s14, 0, s46
	s_add_u32 s5, s5, s23
	s_mul_i32 s21, s4, s21
	s_addc_u32 s5, s14, s22
	s_addc_u32 s14, s15, 0
	s_add_u32 s5, s5, s21
	s_addc_u32 s14, 0, s14
	v_add_co_u32 v2, s5, v2, s5
	s_delay_alu instid0(VALU_DEP_1) | instskip(SKIP_1) | instid1(VALU_DEP_1)
	s_cmp_lg_u32 s5, 0
	s_addc_u32 s4, s4, s14
	v_readfirstlane_b32 s5, v2
	s_mul_i32 s15, s71, s4
	s_mul_hi_u32 s14, s71, s4
	s_mul_hi_u32 s21, s49, s4
	s_mul_i32 s4, s49, s4
	s_mul_hi_u32 s22, s71, s5
	s_mul_hi_u32 s23, s49, s5
	s_mul_i32 s5, s49, s5
	s_add_u32 s15, s22, s15
	s_addc_u32 s14, 0, s14
	s_add_u32 s5, s15, s5
	s_addc_u32 s5, s14, s23
	s_addc_u32 s14, s21, 0
	s_add_u32 s4, s5, s4
	s_addc_u32 s5, 0, s14
	s_mul_hi_u32 s14, s29, s4
	s_mul_i32 s4, s29, s4
	s_mul_i32 s5, s29, s5
	v_sub_co_u32 v2, s4, s71, s4
	s_add_i32 s14, s14, s5
	s_cmp_lg_u32 s4, 0
	s_delay_alu instid0(VALU_DEP_1) | instskip(SKIP_2) | instid1(VALU_DEP_1)
	v_sub_co_u32 v3, s4, v2, s29
	s_subb_u32 s5, s49, s14
	s_cmp_lg_u32 s4, 0
	v_cmp_le_u32_e32 vcc_lo, s29, v3
	v_sub_co_u32 v4, s4, v3, s29
	s_subb_u32 s14, s5, 0
	s_cmp_lg_u32 s4, 0
	v_cndmask_b32_e64 v5, 0, -1, vcc_lo
	s_subb_u32 s4, s14, 0
	s_cmp_eq_u32 s14, 0
	v_mov_b32_e32 v7, s4
	s_cselect_b32 vcc_lo, -1, 0
	s_cmp_eq_u32 s5, 0
	v_cndmask_b32_e32 v5, -1, v5, vcc_lo
	v_cmp_le_u32_e32 vcc_lo, s29, v2
	s_cselect_b32 s4, -1, 0
	v_cndmask_b32_e64 v6, 0, -1, vcc_lo
	s_delay_alu instid0(VALU_DEP_3) | instskip(NEXT) | instid1(VALU_DEP_2)
	v_cmp_ne_u32_e32 vcc_lo, 0, v5
	v_cndmask_b32_e64 v5, -1, v6, s4
	v_cndmask_b32_e32 v6, s14, v7, vcc_lo
	v_cndmask_b32_e32 v4, v3, v4, vcc_lo
	s_delay_alu instid0(VALU_DEP_3) | instskip(NEXT) | instid1(VALU_DEP_3)
	v_cmp_ne_u32_e32 vcc_lo, 0, v5
	v_cndmask_b32_e32 v3, s5, v6, vcc_lo
	s_delay_alu instid0(VALU_DEP_3)
	v_cndmask_b32_e32 v2, v2, v4, vcc_lo
	s_cbranch_execnz .LBB92_107
.LBB92_106:                             ;   in Loop: Header=BB92_12 Depth=1
	v_cvt_f32_u32_e32 v2, s29
	s_sub_i32 s4, 0, s29
	s_delay_alu instid0(VALU_DEP_1) | instskip(SKIP_2) | instid1(VALU_DEP_1)
	v_rcp_iflag_f32_e32 v2, v2
	s_waitcnt_depctr 0xfff
	v_mul_f32_e32 v2, 0x4f7ffffe, v2
	v_cvt_u32_f32_e32 v2, v2
	s_delay_alu instid0(VALU_DEP_1) | instskip(NEXT) | instid1(VALU_DEP_1)
	v_mul_lo_u32 v3, s4, v2
	v_mul_hi_u32 v3, v2, v3
	s_delay_alu instid0(VALU_DEP_1) | instskip(NEXT) | instid1(VALU_DEP_1)
	v_add_nc_u32_e32 v2, v2, v3
	v_mul_hi_u32 v2, s71, v2
	s_delay_alu instid0(VALU_DEP_1) | instskip(NEXT) | instid1(VALU_DEP_1)
	v_mul_lo_u32 v2, v2, s29
	v_sub_nc_u32_e32 v2, s71, v2
	s_delay_alu instid0(VALU_DEP_1) | instskip(SKIP_1) | instid1(VALU_DEP_2)
	v_subrev_nc_u32_e32 v3, s29, v2
	v_cmp_le_u32_e32 vcc_lo, s29, v2
	v_cndmask_b32_e32 v2, v2, v3, vcc_lo
	s_delay_alu instid0(VALU_DEP_1) | instskip(SKIP_1) | instid1(VALU_DEP_2)
	v_subrev_nc_u32_e32 v3, s29, v2
	v_cmp_le_u32_e32 vcc_lo, s29, v2
	v_cndmask_b32_e32 v12, v2, v3, vcc_lo
	s_delay_alu instid0(VALU_DEP_1)
	v_dual_mov_b32 v2, v12 :: v_dual_mov_b32 v3, v13
.LBB92_107:                             ;   in Loop: Header=BB92_12 Depth=1
	s_delay_alu instid0(VALU_DEP_1) | instskip(NEXT) | instid1(VALU_DEP_2)
	v_sub_co_u32 v2, vcc_lo, s71, v2
	v_sub_co_ci_u32_e32 v3, vcc_lo, s49, v3, vcc_lo
	s_mov_b32 s4, 0
	s_mov_b32 s5, exec_lo
                                        ; implicit-def: $vgpr25
	s_delay_alu instid0(VALU_DEP_1)
	v_cmpx_gt_u64_e64 v[2:3], v[0:1]
	s_cbranch_execz .LBB92_116
; %bb.108:                              ;   in Loop: Header=BB92_12 Depth=1
	v_dual_mov_b32 v4, v10 :: v_dual_mov_b32 v5, v11
	v_dual_mov_b32 v7, v1 :: v_dual_mov_b32 v6, v0
                                        ; implicit-def: $sgpr14
	s_set_inst_prefetch_distance 0x1
	s_branch .LBB92_110
	.p2align	6
.LBB92_109:                             ;   in Loop: Header=BB92_110 Depth=2
	s_or_b32 exec_lo, exec_lo, s15
	s_waitcnt vmcnt(0) lgkmcnt(0)
	s_barrier
	buffer_gl0_inv
	ds_load_b64 v[24:25], v13 offset:3072
	v_add_co_u32 v6, vcc_lo, v6, s29
	v_add_co_ci_u32_e32 v7, vcc_lo, 0, v7, vcc_lo
	s_waitcnt lgkmcnt(0)
	s_barrier
	buffer_gl0_inv
	v_cmp_ge_u64_e32 vcc_lo, v[6:7], v[2:3]
	v_readfirstlane_b32 s15, v24
	s_delay_alu instid0(VALU_DEP_1) | instskip(SKIP_1) | instid1(SALU_CYCLE_1)
	s_cmp_lg_u32 s15, 0
	s_cselect_b32 s15, -1, 0
	s_or_b32 s21, vcc_lo, s15
	v_add_co_u32 v4, vcc_lo, v4, s42
	s_and_b32 s21, exec_lo, s21
	v_add_co_ci_u32_e32 v5, vcc_lo, s43, v5, vcc_lo
	s_or_b32 s4, s21, s4
	s_and_not1_b32 s14, s14, exec_lo
	s_and_b32 s15, s15, exec_lo
	s_delay_alu instid0(SALU_CYCLE_1)
	s_or_b32 s14, s14, s15
	s_and_not1_b32 exec_lo, exec_lo, s4
	s_cbranch_execz .LBB92_115
.LBB92_110:                             ;   Parent Loop BB92_12 Depth=1
                                        ; =>  This Inner Loop Header: Depth=2
	s_delay_alu instid0(VALU_DEP_1)
	v_cmp_gt_u64_e32 vcc_lo, s[24:25], v[6:7]
	v_mov_b32_e32 v24, 0
	s_and_saveexec_b32 s15, vcc_lo
	s_cbranch_execz .LBB92_112
; %bb.111:                              ;   in Loop: Header=BB92_110 Depth=2
	global_load_b32 v24, v[4:5], off
.LBB92_112:                             ;   in Loop: Header=BB92_110 Depth=2
	s_or_b32 exec_lo, exec_lo, s15
	s_and_saveexec_b32 s15, vcc_lo
	s_cbranch_execz .LBB92_109
; %bb.113:                              ;   in Loop: Header=BB92_110 Depth=2
	s_waitcnt vmcnt(0)
	v_xor_b32_e32 v8, 0x80000000, v24
	s_delay_alu instid0(VALU_DEP_1) | instskip(NEXT) | instid1(VALU_DEP_1)
	v_and_b32_e32 v8, s88, v8
	v_cmp_eq_u32_e32 vcc_lo, s87, v8
	s_and_b32 exec_lo, exec_lo, vcc_lo
	s_cbranch_execz .LBB92_109
; %bb.114:                              ;   in Loop: Header=BB92_110 Depth=2
	ds_store_b64 v13, v[23:24] offset:3072
	s_branch .LBB92_109
.LBB92_115:                             ;   in Loop: Header=BB92_12 Depth=1
	s_set_inst_prefetch_distance 0x2
	s_or_b32 exec_lo, exec_lo, s4
	s_delay_alu instid0(SALU_CYCLE_1)
	s_and_b32 s4, s14, exec_lo
.LBB92_116:                             ;   in Loop: Header=BB92_12 Depth=1
	s_or_b32 exec_lo, exec_lo, s5
	s_mov_b32 s15, -1
	s_mov_b32 s5, 0
	s_mov_b32 s14, 0
.LBB92_117:                             ;   in Loop: Header=BB92_12 Depth=1
	s_and_not1_b32 s21, s83, exec_lo
	s_and_b32 s5, s5, exec_lo
	s_and_b32 s15, s15, exec_lo
	s_or_b32 s83, s21, s5
	s_and_not1_b32 s5, s86, exec_lo
	s_and_not1_b32 s21, s84, exec_lo
	s_and_b32 s14, s14, exec_lo
	s_or_b32 s86, s5, s15
	s_or_b32 s84, s21, s14
	s_and_saveexec_b32 s14, s4
	s_cbranch_execz .LBB92_11
; %bb.118:                              ;   in Loop: Header=BB92_12 Depth=1
	s_xor_b32 s4, s20, -1
	s_mov_b32 s46, 1
	s_and_not1_b32 vcc_lo, exec_lo, s4
	s_cbranch_vccnz .LBB92_129
; %bb.119:                              ;   in Loop: Header=BB92_12 Depth=1
	v_cmp_gt_u64_e64 s4, s[40:41], s[12:13]
                                        ; implicit-def: $sgpr46
                                        ; implicit-def: $sgpr5
                                        ; implicit-def: $sgpr15
	s_delay_alu instid0(VALU_DEP_1)
	s_and_b32 vcc_lo, exec_lo, s4
	s_mov_b32 s4, -1
	s_cbranch_vccnz .LBB92_125
; %bb.120:                              ;   in Loop: Header=BB92_12 Depth=1
	ds_load_b64 v[2:3], v13 offset:5120
	s_waitcnt lgkmcnt(0)
	v_cmp_ne_u64_e32 vcc_lo, 0, v[2:3]
	s_cbranch_vccnz .LBB92_124
; %bb.121:                              ;   in Loop: Header=BB92_12 Depth=1
	s_and_saveexec_b32 s4, s2
	s_cbranch_execz .LBB92_123
; %bb.122:                              ;   in Loop: Header=BB92_12 Depth=1
	v_dual_mov_b32 v2, s12 :: v_dual_mov_b32 v3, s13
	ds_store_b64 v13, v[2:3] offset:5128
.LBB92_123:                             ;   in Loop: Header=BB92_12 Depth=1
	s_or_b32 exec_lo, exec_lo, s4
	s_waitcnt lgkmcnt(0)
	s_barrier
	buffer_gl0_inv
.LBB92_124:                             ;   in Loop: Header=BB92_12 Depth=1
	s_and_b32 s5, s87, s18
	s_or_b32 s15, s88, s16
	s_mov_b32 s4, 0
	s_mov_b32 s46, 8
.LBB92_125:                             ;   in Loop: Header=BB92_12 Depth=1
	s_and_not1_b32 vcc_lo, exec_lo, s4
	s_cbranch_vccnz .LBB92_127
; %bb.126:                              ;   in Loop: Header=BB92_12 Depth=1
	s_sub_u32 s40, s40, s12
	s_subb_u32 s41, s41, s13
	s_mov_b32 s4, -1
	s_mov_b32 s46, 0
	s_mov_b32 s5, s87
	;; [unrolled: 1-line block ×3, first 2 shown]
.LBB92_127:                             ;   in Loop: Header=BB92_12 Depth=1
	s_delay_alu instid0(SALU_CYCLE_1)
	s_mov_b32 s88, s15
	s_mov_b32 s87, s5
	s_and_b32 vcc_lo, exec_lo, s4
	s_mov_b32 s15, -1
	s_cbranch_vccnz .LBB92_130
.LBB92_128:                             ;   in Loop: Header=BB92_12 Depth=1
	s_mov_b32 s5, -1
                                        ; implicit-def: $sgpr12
                                        ; implicit-def: $sgpr19
                                        ; implicit-def: $sgpr13
	s_delay_alu instid0(SALU_CYCLE_1) | instskip(NEXT) | instid1(SALU_CYCLE_1)
	s_and_saveexec_b32 s4, s5
	s_xor_b32 s4, exec_lo, s4
	s_cbranch_execz .LBB92_10
	s_branch .LBB92_276
.LBB92_129:                             ;   in Loop: Header=BB92_12 Depth=1
	s_mov_b64 s[40:41], 1
	s_mov_b32 s15, -1
	s_branch .LBB92_128
.LBB92_130:                             ;   in Loop: Header=BB92_12 Depth=1
	s_cmp_eq_u64 s[10:11], 1
	s_cselect_b32 s4, -1, 0
	s_cmp_eq_u64 s[40:41], 1
	s_cselect_b32 s5, -1, 0
	s_delay_alu instid0(SALU_CYCLE_1)
	s_and_b32 s21, s4, s5
	s_mov_b32 s4, -1
	s_and_b32 vcc_lo, exec_lo, s21
	s_cbranch_vccz .LBB92_145
; %bb.131:                              ;   in Loop: Header=BB92_12 Depth=1
	ds_load_b64 v[2:3], v13 offset:5120
	s_waitcnt lgkmcnt(0)
	s_barrier
	buffer_gl0_inv
	v_readfirstlane_b32 s12, v2
	v_readfirstlane_b32 s13, v3
	s_and_saveexec_b32 s4, s3
	s_cbranch_execz .LBB92_133
; %bb.132:                              ;   in Loop: Header=BB92_12 Depth=1
	ds_store_b32 v31, v13
.LBB92_133:                             ;   in Loop: Header=BB92_12 Depth=1
	s_or_b32 exec_lo, exec_lo, s4
	s_lshl_b32 s4, 1, s17
	s_and_b32 s5, s87, s18
	s_or_b32 s88, s88, s16
	s_or_b32 s87, s5, s4
	s_cmp_eq_u64 s[12:13], 0
	s_waitcnt lgkmcnt(0)
	s_barrier
	buffer_gl0_inv
	s_cbranch_scc1 .LBB92_148
; %bb.134:                              ;   in Loop: Header=BB92_12 Depth=1
	s_add_u32 s19, s69, s12
	s_addc_u32 s5, s70, s13
	s_mov_b32 s4, s47
	s_delay_alu instid0(SALU_CYCLE_1)
	s_cmp_lg_u64 s[4:5], 0
	s_cbranch_scc0 .LBB92_193
; %bb.135:                              ;   in Loop: Header=BB92_12 Depth=1
	v_cvt_f32_u32_e32 v2, s29
	s_sub_u32 s22, 0, s29
	s_subb_u32 s23, 0, 0
	s_delay_alu instid0(VALU_DEP_1) | instskip(NEXT) | instid1(VALU_DEP_1)
	v_fmac_f32_e64 v2, 0, 0x4f800000
	v_rcp_f32_e32 v2, v2
	s_waitcnt_depctr 0xfff
	v_mul_f32_e32 v2, 0x5f7ffffc, v2
	s_delay_alu instid0(VALU_DEP_1) | instskip(NEXT) | instid1(VALU_DEP_1)
	v_mul_f32_e32 v3, 0x2f800000, v2
	v_trunc_f32_e32 v3, v3
	s_delay_alu instid0(VALU_DEP_1) | instskip(SKIP_1) | instid1(VALU_DEP_2)
	v_fmac_f32_e32 v2, 0xcf800000, v3
	v_cvt_u32_f32_e32 v3, v3
	v_cvt_u32_f32_e32 v2, v2
	s_delay_alu instid0(VALU_DEP_2) | instskip(NEXT) | instid1(VALU_DEP_2)
	v_readfirstlane_b32 s4, v3
	v_readfirstlane_b32 s20, v2
	s_delay_alu instid0(VALU_DEP_2) | instskip(NEXT) | instid1(VALU_DEP_1)
	s_mul_i32 s46, s22, s4
	s_mul_hi_u32 s56, s22, s20
	s_mul_i32 s48, s23, s20
	s_add_i32 s46, s56, s46
	s_mul_i32 s57, s22, s20
	s_add_i32 s46, s46, s48
	s_mul_hi_u32 s56, s20, s57
	s_mul_hi_u32 s58, s4, s57
	s_mul_i32 s48, s4, s57
	s_mul_hi_u32 s57, s20, s46
	s_mul_i32 s20, s20, s46
	s_mul_hi_u32 s59, s4, s46
	s_add_u32 s20, s56, s20
	s_addc_u32 s56, 0, s57
	s_add_u32 s20, s20, s48
	s_mul_i32 s46, s4, s46
	s_addc_u32 s20, s56, s58
	s_addc_u32 s48, s59, 0
	s_add_u32 s20, s20, s46
	s_addc_u32 s46, 0, s48
	v_add_co_u32 v2, s20, v2, s20
	s_delay_alu instid0(VALU_DEP_1) | instskip(SKIP_1) | instid1(VALU_DEP_1)
	s_cmp_lg_u32 s20, 0
	s_addc_u32 s4, s4, s46
	v_readfirstlane_b32 s20, v2
	s_mul_i32 s46, s22, s4
	s_delay_alu instid0(VALU_DEP_1)
	s_mul_hi_u32 s48, s22, s20
	s_mul_i32 s23, s23, s20
	s_add_i32 s46, s48, s46
	s_mul_i32 s22, s22, s20
	s_add_i32 s46, s46, s23
	s_mul_hi_u32 s48, s4, s22
	s_mul_i32 s56, s4, s22
	s_mul_hi_u32 s22, s20, s22
	s_mul_hi_u32 s57, s20, s46
	s_mul_i32 s20, s20, s46
	s_mul_hi_u32 s23, s4, s46
	s_add_u32 s20, s22, s20
	s_addc_u32 s22, 0, s57
	s_add_u32 s20, s20, s56
	s_mul_i32 s46, s4, s46
	s_addc_u32 s20, s22, s48
	s_addc_u32 s22, s23, 0
	s_add_u32 s20, s20, s46
	s_addc_u32 s22, 0, s22
	v_add_co_u32 v2, s20, v2, s20
	s_delay_alu instid0(VALU_DEP_1) | instskip(SKIP_1) | instid1(VALU_DEP_1)
	s_cmp_lg_u32 s20, 0
	s_addc_u32 s4, s4, s22
	v_readfirstlane_b32 s20, v2
	s_mul_i32 s23, s19, s4
	s_mul_hi_u32 s22, s19, s4
	s_mul_hi_u32 s46, s5, s4
	s_mul_i32 s4, s5, s4
	s_mul_hi_u32 s48, s19, s20
	s_mul_hi_u32 s56, s5, s20
	s_mul_i32 s20, s5, s20
	s_add_u32 s23, s48, s23
	s_addc_u32 s22, 0, s22
	s_add_u32 s20, s23, s20
	s_addc_u32 s20, s22, s56
	s_addc_u32 s22, s46, 0
	s_add_u32 s4, s20, s4
	s_addc_u32 s20, 0, s22
	s_mul_hi_u32 s22, s29, s4
	s_mul_i32 s4, s29, s4
	s_mul_i32 s20, s29, s20
	v_sub_co_u32 v2, s4, s19, s4
	s_add_i32 s22, s22, s20
	s_cmp_lg_u32 s4, 0
	s_delay_alu instid0(VALU_DEP_1) | instskip(SKIP_2) | instid1(VALU_DEP_1)
	v_sub_co_u32 v3, s4, v2, s29
	s_subb_u32 s20, s5, s22
	s_cmp_lg_u32 s4, 0
	v_cmp_le_u32_e32 vcc_lo, s29, v3
	v_sub_co_u32 v4, s4, v3, s29
	s_subb_u32 s22, s20, 0
	s_cmp_lg_u32 s4, 0
	v_cndmask_b32_e64 v5, 0, -1, vcc_lo
	s_subb_u32 s4, s22, 0
	s_cmp_eq_u32 s22, 0
	v_mov_b32_e32 v7, s4
	s_cselect_b32 vcc_lo, -1, 0
	s_cmp_eq_u32 s20, 0
	v_cndmask_b32_e32 v5, -1, v5, vcc_lo
	v_cmp_le_u32_e32 vcc_lo, s29, v2
	s_cselect_b32 s4, -1, 0
	v_cndmask_b32_e64 v6, 0, -1, vcc_lo
	s_delay_alu instid0(VALU_DEP_3) | instskip(NEXT) | instid1(VALU_DEP_2)
	v_cmp_ne_u32_e32 vcc_lo, 0, v5
	v_cndmask_b32_e64 v5, -1, v6, s4
	v_cndmask_b32_e32 v6, s22, v7, vcc_lo
	v_cndmask_b32_e32 v4, v3, v4, vcc_lo
	s_delay_alu instid0(VALU_DEP_3) | instskip(NEXT) | instid1(VALU_DEP_3)
	v_cmp_ne_u32_e32 vcc_lo, 0, v5
	v_cndmask_b32_e32 v3, s20, v6, vcc_lo
	s_delay_alu instid0(VALU_DEP_3)
	v_cndmask_b32_e32 v2, v2, v4, vcc_lo
	s_cbranch_execnz .LBB92_137
.LBB92_136:                             ;   in Loop: Header=BB92_12 Depth=1
	v_cvt_f32_u32_e32 v2, s29
	s_sub_i32 s4, 0, s29
	s_delay_alu instid0(VALU_DEP_1) | instskip(SKIP_2) | instid1(VALU_DEP_1)
	v_rcp_iflag_f32_e32 v2, v2
	s_waitcnt_depctr 0xfff
	v_mul_f32_e32 v2, 0x4f7ffffe, v2
	v_cvt_u32_f32_e32 v2, v2
	s_delay_alu instid0(VALU_DEP_1) | instskip(NEXT) | instid1(VALU_DEP_1)
	v_mul_lo_u32 v3, s4, v2
	v_mul_hi_u32 v3, v2, v3
	s_delay_alu instid0(VALU_DEP_1) | instskip(NEXT) | instid1(VALU_DEP_1)
	v_add_nc_u32_e32 v2, v2, v3
	v_mul_hi_u32 v2, s19, v2
	s_delay_alu instid0(VALU_DEP_1) | instskip(NEXT) | instid1(VALU_DEP_1)
	v_mul_lo_u32 v2, v2, s29
	v_sub_nc_u32_e32 v2, s19, v2
	s_delay_alu instid0(VALU_DEP_1) | instskip(SKIP_1) | instid1(VALU_DEP_2)
	v_subrev_nc_u32_e32 v3, s29, v2
	v_cmp_le_u32_e32 vcc_lo, s29, v2
	v_cndmask_b32_e32 v2, v2, v3, vcc_lo
	s_delay_alu instid0(VALU_DEP_1) | instskip(SKIP_1) | instid1(VALU_DEP_2)
	v_subrev_nc_u32_e32 v3, s29, v2
	v_cmp_le_u32_e32 vcc_lo, s29, v2
	v_cndmask_b32_e32 v12, v2, v3, vcc_lo
	s_delay_alu instid0(VALU_DEP_1)
	v_dual_mov_b32 v2, v12 :: v_dual_mov_b32 v3, v13
.LBB92_137:                             ;   in Loop: Header=BB92_12 Depth=1
	s_delay_alu instid0(VALU_DEP_1) | instskip(NEXT) | instid1(VALU_DEP_2)
	v_sub_co_u32 v2, vcc_lo, s19, v2
	v_sub_co_ci_u32_e32 v3, vcc_lo, s5, v3, vcc_lo
	s_mov_b32 s4, 0
	s_mov_b32 s5, exec_lo
                                        ; implicit-def: $vgpr25
	s_delay_alu instid0(VALU_DEP_1)
	v_cmpx_gt_u64_e64 v[2:3], v[0:1]
	s_cbranch_execz .LBB92_150
; %bb.138:                              ;   in Loop: Header=BB92_12 Depth=1
	v_dual_mov_b32 v6, v14 :: v_dual_mov_b32 v5, v1
	v_mov_b32_e32 v4, v0
                                        ; implicit-def: $sgpr19
	s_set_inst_prefetch_distance 0x1
	s_branch .LBB92_140
	.p2align	6
.LBB92_139:                             ;   in Loop: Header=BB92_140 Depth=2
	s_or_b32 exec_lo, exec_lo, s20
	s_waitcnt lgkmcnt(0)
	s_barrier
	buffer_gl0_inv
	ds_load_b64 v[24:25], v13 offset:3072
	v_add_co_u32 v4, vcc_lo, v4, s29
	v_add_co_ci_u32_e32 v5, vcc_lo, 0, v5, vcc_lo
	v_add_nc_u32_e32 v6, s77, v6
	s_waitcnt lgkmcnt(0)
	s_barrier
	s_delay_alu instid0(VALU_DEP_2) | instskip(SKIP_2) | instid1(VALU_DEP_1)
	v_cmp_ge_u64_e32 vcc_lo, v[4:5], v[2:3]
	buffer_gl0_inv
	v_readfirstlane_b32 s20, v24
	s_cmp_lg_u32 s20, 0
	s_cselect_b32 s20, -1, 0
	s_delay_alu instid0(SALU_CYCLE_1) | instskip(NEXT) | instid1(SALU_CYCLE_1)
	s_or_b32 s22, vcc_lo, s20
	s_and_b32 s22, exec_lo, s22
	s_delay_alu instid0(SALU_CYCLE_1) | instskip(SKIP_2) | instid1(SALU_CYCLE_1)
	s_or_b32 s4, s22, s4
	s_and_not1_b32 s19, s19, exec_lo
	s_and_b32 s20, s20, exec_lo
	s_or_b32 s19, s19, s20
	s_and_not1_b32 exec_lo, exec_lo, s4
	s_cbranch_execz .LBB92_149
.LBB92_140:                             ;   Parent Loop BB92_12 Depth=1
                                        ; =>  This Inner Loop Header: Depth=2
	s_delay_alu instid0(VALU_DEP_1)
	v_cmp_gt_u64_e32 vcc_lo, s[12:13], v[4:5]
	v_mov_b32_e32 v24, 0
	s_and_saveexec_b32 s20, vcc_lo
	s_cbranch_execz .LBB92_142
; %bb.141:                              ;   in Loop: Header=BB92_140 Depth=2
	ds_load_b32 v24, v6
.LBB92_142:                             ;   in Loop: Header=BB92_140 Depth=2
	s_or_b32 exec_lo, exec_lo, s20
	s_and_saveexec_b32 s20, vcc_lo
	s_cbranch_execz .LBB92_139
; %bb.143:                              ;   in Loop: Header=BB92_140 Depth=2
	s_waitcnt lgkmcnt(0)
	v_xor_b32_e32 v7, 0x80000000, v24
	s_delay_alu instid0(VALU_DEP_1) | instskip(NEXT) | instid1(VALU_DEP_1)
	v_and_b32_e32 v7, s88, v7
	v_cmp_eq_u32_e32 vcc_lo, s87, v7
	s_and_b32 exec_lo, exec_lo, vcc_lo
	s_cbranch_execz .LBB92_139
; %bb.144:                              ;   in Loop: Header=BB92_140 Depth=2
	ds_store_b64 v13, v[23:24] offset:3072
	s_branch .LBB92_139
.LBB92_145:                             ;   in Loop: Header=BB92_12 Depth=1
                                        ; implicit-def: $sgpr13
                                        ; implicit-def: $sgpr19
                                        ; implicit-def: $sgpr12
	s_branch .LBB92_164
.LBB92_146:                             ;   in Loop: Header=BB92_12 Depth=1
                                        ; implicit-def: $vgpr2_vgpr3
	s_branch .LBB92_91
.LBB92_147:                             ;   in Loop: Header=BB92_12 Depth=1
                                        ; implicit-def: $vgpr2_vgpr3
	s_branch .LBB92_106
.LBB92_148:                             ;   in Loop: Header=BB92_12 Depth=1
	s_mov_b32 s13, -1
	s_mov_b32 s4, 0
                                        ; implicit-def: $sgpr12
                                        ; implicit-def: $vgpr25
	s_mov_b32 s19, s13
	s_cbranch_execnz .LBB92_151
	s_branch .LBB92_164
.LBB92_149:                             ;   in Loop: Header=BB92_12 Depth=1
	s_set_inst_prefetch_distance 0x2
	s_or_b32 exec_lo, exec_lo, s4
	s_delay_alu instid0(SALU_CYCLE_1)
	s_and_b32 s4, s19, exec_lo
.LBB92_150:                             ;   in Loop: Header=BB92_12 Depth=1
	s_or_b32 exec_lo, exec_lo, s5
	s_mov_b32 s12, -1
	s_mov_b32 s13, 0
	s_delay_alu instid0(SALU_CYCLE_1)
	s_mov_b32 s19, s13
	s_branch .LBB92_164
.LBB92_151:                             ;   in Loop: Header=BB92_12 Depth=1
	s_mov_b32 s48, s47
	s_delay_alu instid0(SALU_CYCLE_1)
	s_cmp_lg_u64 s[48:49], 0
	s_cbranch_scc0 .LBB92_194
; %bb.152:                              ;   in Loop: Header=BB92_12 Depth=1
	v_cvt_f32_u32_e32 v2, s29
	s_sub_u32 s12, 0, s29
	s_subb_u32 s13, 0, 0
	s_delay_alu instid0(VALU_DEP_1) | instskip(NEXT) | instid1(VALU_DEP_1)
	v_fmac_f32_e64 v2, 0, 0x4f800000
	v_rcp_f32_e32 v2, v2
	s_waitcnt_depctr 0xfff
	v_mul_f32_e32 v2, 0x5f7ffffc, v2
	s_delay_alu instid0(VALU_DEP_1) | instskip(NEXT) | instid1(VALU_DEP_1)
	v_mul_f32_e32 v3, 0x2f800000, v2
	v_trunc_f32_e32 v3, v3
	s_delay_alu instid0(VALU_DEP_1) | instskip(SKIP_1) | instid1(VALU_DEP_2)
	v_fmac_f32_e32 v2, 0xcf800000, v3
	v_cvt_u32_f32_e32 v3, v3
	v_cvt_u32_f32_e32 v2, v2
	s_delay_alu instid0(VALU_DEP_2) | instskip(NEXT) | instid1(VALU_DEP_2)
	v_readfirstlane_b32 s4, v3
	v_readfirstlane_b32 s5, v2
	s_delay_alu instid0(VALU_DEP_2) | instskip(NEXT) | instid1(VALU_DEP_1)
	s_mul_i32 s19, s12, s4
	s_mul_hi_u32 s22, s12, s5
	s_mul_i32 s20, s13, s5
	s_add_i32 s19, s22, s19
	s_mul_i32 s23, s12, s5
	s_add_i32 s19, s19, s20
	s_mul_hi_u32 s22, s5, s23
	s_mul_hi_u32 s46, s4, s23
	s_mul_i32 s20, s4, s23
	s_mul_hi_u32 s23, s5, s19
	s_mul_i32 s5, s5, s19
	s_mul_hi_u32 s48, s4, s19
	s_add_u32 s5, s22, s5
	s_addc_u32 s22, 0, s23
	s_add_u32 s5, s5, s20
	s_mul_i32 s19, s4, s19
	s_addc_u32 s5, s22, s46
	s_addc_u32 s20, s48, 0
	s_add_u32 s5, s5, s19
	s_addc_u32 s19, 0, s20
	v_add_co_u32 v2, s5, v2, s5
	s_delay_alu instid0(VALU_DEP_1) | instskip(SKIP_1) | instid1(VALU_DEP_1)
	s_cmp_lg_u32 s5, 0
	s_addc_u32 s4, s4, s19
	v_readfirstlane_b32 s5, v2
	s_mul_i32 s19, s12, s4
	s_delay_alu instid0(VALU_DEP_1)
	s_mul_hi_u32 s20, s12, s5
	s_mul_i32 s13, s13, s5
	s_add_i32 s19, s20, s19
	s_mul_i32 s12, s12, s5
	s_add_i32 s19, s19, s13
	s_mul_hi_u32 s20, s4, s12
	s_mul_i32 s22, s4, s12
	s_mul_hi_u32 s12, s5, s12
	s_mul_hi_u32 s23, s5, s19
	s_mul_i32 s5, s5, s19
	s_mul_hi_u32 s13, s4, s19
	s_add_u32 s5, s12, s5
	s_addc_u32 s12, 0, s23
	s_add_u32 s5, s5, s22
	s_mul_i32 s19, s4, s19
	s_addc_u32 s5, s12, s20
	s_addc_u32 s12, s13, 0
	s_add_u32 s5, s5, s19
	s_addc_u32 s12, 0, s12
	v_add_co_u32 v2, s5, v2, s5
	s_delay_alu instid0(VALU_DEP_1) | instskip(SKIP_1) | instid1(VALU_DEP_1)
	s_cmp_lg_u32 s5, 0
	s_addc_u32 s4, s4, s12
	v_readfirstlane_b32 s5, v2
	s_mul_i32 s13, s71, s4
	s_mul_hi_u32 s12, s71, s4
	s_mul_hi_u32 s19, s49, s4
	s_mul_i32 s4, s49, s4
	s_mul_hi_u32 s20, s71, s5
	s_mul_hi_u32 s22, s49, s5
	s_mul_i32 s5, s49, s5
	s_add_u32 s13, s20, s13
	s_addc_u32 s12, 0, s12
	s_add_u32 s5, s13, s5
	s_addc_u32 s5, s12, s22
	s_addc_u32 s12, s19, 0
	s_add_u32 s4, s5, s4
	s_addc_u32 s5, 0, s12
	s_mul_hi_u32 s12, s29, s4
	s_mul_i32 s4, s29, s4
	s_mul_i32 s5, s29, s5
	v_sub_co_u32 v2, s4, s71, s4
	s_add_i32 s12, s12, s5
	s_cmp_lg_u32 s4, 0
	s_delay_alu instid0(VALU_DEP_1) | instskip(SKIP_2) | instid1(VALU_DEP_1)
	v_sub_co_u32 v3, s4, v2, s29
	s_subb_u32 s5, s49, s12
	s_cmp_lg_u32 s4, 0
	v_cmp_le_u32_e32 vcc_lo, s29, v3
	v_sub_co_u32 v4, s4, v3, s29
	s_subb_u32 s12, s5, 0
	s_cmp_lg_u32 s4, 0
	v_cndmask_b32_e64 v5, 0, -1, vcc_lo
	s_subb_u32 s4, s12, 0
	s_cmp_eq_u32 s12, 0
	v_mov_b32_e32 v7, s4
	s_cselect_b32 vcc_lo, -1, 0
	s_cmp_eq_u32 s5, 0
	v_cndmask_b32_e32 v5, -1, v5, vcc_lo
	v_cmp_le_u32_e32 vcc_lo, s29, v2
	s_cselect_b32 s4, -1, 0
	v_cndmask_b32_e64 v6, 0, -1, vcc_lo
	s_delay_alu instid0(VALU_DEP_3) | instskip(NEXT) | instid1(VALU_DEP_2)
	v_cmp_ne_u32_e32 vcc_lo, 0, v5
	v_cndmask_b32_e64 v5, -1, v6, s4
	v_cndmask_b32_e32 v6, s12, v7, vcc_lo
	v_cndmask_b32_e32 v4, v3, v4, vcc_lo
	s_delay_alu instid0(VALU_DEP_3) | instskip(NEXT) | instid1(VALU_DEP_3)
	v_cmp_ne_u32_e32 vcc_lo, 0, v5
	v_cndmask_b32_e32 v3, s5, v6, vcc_lo
	s_delay_alu instid0(VALU_DEP_3)
	v_cndmask_b32_e32 v2, v2, v4, vcc_lo
	s_cbranch_execnz .LBB92_154
.LBB92_153:                             ;   in Loop: Header=BB92_12 Depth=1
	v_cvt_f32_u32_e32 v2, s29
	s_sub_i32 s4, 0, s29
	s_delay_alu instid0(VALU_DEP_1) | instskip(SKIP_2) | instid1(VALU_DEP_1)
	v_rcp_iflag_f32_e32 v2, v2
	s_waitcnt_depctr 0xfff
	v_mul_f32_e32 v2, 0x4f7ffffe, v2
	v_cvt_u32_f32_e32 v2, v2
	s_delay_alu instid0(VALU_DEP_1) | instskip(NEXT) | instid1(VALU_DEP_1)
	v_mul_lo_u32 v3, s4, v2
	v_mul_hi_u32 v3, v2, v3
	s_delay_alu instid0(VALU_DEP_1) | instskip(NEXT) | instid1(VALU_DEP_1)
	v_add_nc_u32_e32 v2, v2, v3
	v_mul_hi_u32 v2, s71, v2
	s_delay_alu instid0(VALU_DEP_1) | instskip(NEXT) | instid1(VALU_DEP_1)
	v_mul_lo_u32 v2, v2, s29
	v_sub_nc_u32_e32 v2, s71, v2
	s_delay_alu instid0(VALU_DEP_1) | instskip(SKIP_1) | instid1(VALU_DEP_2)
	v_subrev_nc_u32_e32 v3, s29, v2
	v_cmp_le_u32_e32 vcc_lo, s29, v2
	v_cndmask_b32_e32 v2, v2, v3, vcc_lo
	s_delay_alu instid0(VALU_DEP_1) | instskip(SKIP_1) | instid1(VALU_DEP_2)
	v_subrev_nc_u32_e32 v3, s29, v2
	v_cmp_le_u32_e32 vcc_lo, s29, v2
	v_cndmask_b32_e32 v12, v2, v3, vcc_lo
	s_delay_alu instid0(VALU_DEP_1)
	v_dual_mov_b32 v2, v12 :: v_dual_mov_b32 v3, v13
.LBB92_154:                             ;   in Loop: Header=BB92_12 Depth=1
	s_delay_alu instid0(VALU_DEP_1) | instskip(NEXT) | instid1(VALU_DEP_2)
	v_sub_co_u32 v2, vcc_lo, s71, v2
	v_sub_co_ci_u32_e32 v3, vcc_lo, s49, v3, vcc_lo
	s_mov_b32 s4, 0
	s_mov_b32 s5, exec_lo
                                        ; implicit-def: $vgpr25
	s_delay_alu instid0(VALU_DEP_1)
	v_cmpx_gt_u64_e64 v[2:3], v[0:1]
	s_cbranch_execz .LBB92_163
; %bb.155:                              ;   in Loop: Header=BB92_12 Depth=1
	v_dual_mov_b32 v4, v10 :: v_dual_mov_b32 v5, v11
	v_dual_mov_b32 v7, v1 :: v_dual_mov_b32 v6, v0
                                        ; implicit-def: $sgpr12
	s_set_inst_prefetch_distance 0x1
	s_branch .LBB92_157
	.p2align	6
.LBB92_156:                             ;   in Loop: Header=BB92_157 Depth=2
	s_or_b32 exec_lo, exec_lo, s13
	s_waitcnt vmcnt(0) lgkmcnt(0)
	s_barrier
	buffer_gl0_inv
	ds_load_b64 v[24:25], v13 offset:3072
	v_add_co_u32 v6, vcc_lo, v6, s29
	v_add_co_ci_u32_e32 v7, vcc_lo, 0, v7, vcc_lo
	s_waitcnt lgkmcnt(0)
	s_barrier
	buffer_gl0_inv
	v_cmp_ge_u64_e32 vcc_lo, v[6:7], v[2:3]
	v_readfirstlane_b32 s13, v24
	s_delay_alu instid0(VALU_DEP_1) | instskip(SKIP_1) | instid1(SALU_CYCLE_1)
	s_cmp_lg_u32 s13, 0
	s_cselect_b32 s13, -1, 0
	s_or_b32 s19, vcc_lo, s13
	v_add_co_u32 v4, vcc_lo, v4, s42
	s_and_b32 s19, exec_lo, s19
	v_add_co_ci_u32_e32 v5, vcc_lo, s43, v5, vcc_lo
	s_or_b32 s4, s19, s4
	s_and_not1_b32 s12, s12, exec_lo
	s_and_b32 s13, s13, exec_lo
	s_delay_alu instid0(SALU_CYCLE_1)
	s_or_b32 s12, s12, s13
	s_and_not1_b32 exec_lo, exec_lo, s4
	s_cbranch_execz .LBB92_162
.LBB92_157:                             ;   Parent Loop BB92_12 Depth=1
                                        ; =>  This Inner Loop Header: Depth=2
	s_delay_alu instid0(VALU_DEP_1)
	v_cmp_gt_u64_e32 vcc_lo, s[24:25], v[6:7]
	v_mov_b32_e32 v24, 0
	s_and_saveexec_b32 s13, vcc_lo
	s_cbranch_execz .LBB92_159
; %bb.158:                              ;   in Loop: Header=BB92_157 Depth=2
	global_load_b32 v24, v[4:5], off
.LBB92_159:                             ;   in Loop: Header=BB92_157 Depth=2
	s_or_b32 exec_lo, exec_lo, s13
	s_and_saveexec_b32 s13, vcc_lo
	s_cbranch_execz .LBB92_156
; %bb.160:                              ;   in Loop: Header=BB92_157 Depth=2
	s_waitcnt vmcnt(0)
	v_xor_b32_e32 v8, 0x80000000, v24
	s_delay_alu instid0(VALU_DEP_1) | instskip(NEXT) | instid1(VALU_DEP_1)
	v_and_b32_e32 v8, s88, v8
	v_cmp_eq_u32_e32 vcc_lo, s87, v8
	s_and_b32 exec_lo, exec_lo, vcc_lo
	s_cbranch_execz .LBB92_156
; %bb.161:                              ;   in Loop: Header=BB92_157 Depth=2
	ds_store_b64 v13, v[23:24] offset:3072
	s_branch .LBB92_156
.LBB92_162:                             ;   in Loop: Header=BB92_12 Depth=1
	s_set_inst_prefetch_distance 0x2
	s_or_b32 exec_lo, exec_lo, s4
	s_delay_alu instid0(SALU_CYCLE_1)
	s_and_b32 s4, s12, exec_lo
.LBB92_163:                             ;   in Loop: Header=BB92_12 Depth=1
	s_or_b32 exec_lo, exec_lo, s5
	s_mov_b32 s19, -1
	s_mov_b32 s13, 0
	s_mov_b32 s12, 0
.LBB92_164:                             ;   in Loop: Header=BB92_12 Depth=1
	s_mov_b32 s5, 0
                                        ; implicit-def: $sgpr46
	s_and_saveexec_b32 s20, s4
	s_cbranch_execz .LBB92_275
; %bb.165:                              ;   in Loop: Header=BB92_12 Depth=1
	s_xor_b32 s4, s21, -1
	s_mov_b32 s46, 1
	s_and_not1_b32 vcc_lo, exec_lo, s4
	s_cbranch_vccnz .LBB92_176
; %bb.166:                              ;   in Loop: Header=BB92_12 Depth=1
	v_cmp_gt_u64_e64 s4, s[40:41], s[10:11]
                                        ; implicit-def: $sgpr46
                                        ; implicit-def: $sgpr5
                                        ; implicit-def: $sgpr21
	s_delay_alu instid0(VALU_DEP_1)
	s_and_b32 vcc_lo, exec_lo, s4
	s_mov_b32 s4, -1
	s_cbranch_vccnz .LBB92_172
; %bb.167:                              ;   in Loop: Header=BB92_12 Depth=1
	ds_load_b64 v[2:3], v13 offset:5120
	s_waitcnt lgkmcnt(0)
	v_cmp_ne_u64_e32 vcc_lo, 0, v[2:3]
	s_cbranch_vccnz .LBB92_171
; %bb.168:                              ;   in Loop: Header=BB92_12 Depth=1
	s_and_saveexec_b32 s4, s2
	s_cbranch_execz .LBB92_170
; %bb.169:                              ;   in Loop: Header=BB92_12 Depth=1
	v_dual_mov_b32 v2, s10 :: v_dual_mov_b32 v3, s11
	ds_store_b64 v13, v[2:3] offset:5128
.LBB92_170:                             ;   in Loop: Header=BB92_12 Depth=1
	s_or_b32 exec_lo, exec_lo, s4
	s_waitcnt lgkmcnt(0)
	s_barrier
	buffer_gl0_inv
.LBB92_171:                             ;   in Loop: Header=BB92_12 Depth=1
	s_lshl_b32 s4, 1, s17
	s_and_b32 s5, s87, s18
	s_or_b32 s21, s88, s16
	s_or_b32 s5, s5, s4
	s_mov_b32 s4, 0
	s_mov_b32 s46, 8
.LBB92_172:                             ;   in Loop: Header=BB92_12 Depth=1
	s_and_not1_b32 vcc_lo, exec_lo, s4
	s_cbranch_vccnz .LBB92_174
; %bb.173:                              ;   in Loop: Header=BB92_12 Depth=1
	s_sub_u32 s40, s40, s10
	s_subb_u32 s41, s41, s11
	s_mov_b32 s4, -1
	s_mov_b32 s46, 0
	s_mov_b32 s5, s87
	;; [unrolled: 1-line block ×3, first 2 shown]
.LBB92_174:                             ;   in Loop: Header=BB92_12 Depth=1
	s_delay_alu instid0(SALU_CYCLE_1)
	s_mov_b32 s88, s21
	s_mov_b32 s87, s5
	s_and_not1_b32 vcc_lo, exec_lo, s4
	s_mov_b32 s5, -1
	s_cbranch_vccz .LBB92_177
.LBB92_175:                             ;   in Loop: Header=BB92_12 Depth=1
                                        ; implicit-def: $sgpr11
                                        ; implicit-def: $sgpr21
                                        ; implicit-def: $sgpr10
	s_branch .LBB92_274
.LBB92_176:                             ;   in Loop: Header=BB92_12 Depth=1
	s_mov_b64 s[40:41], 1
	s_mov_b32 s5, -1
	s_cbranch_execnz .LBB92_175
.LBB92_177:                             ;   in Loop: Header=BB92_12 Depth=1
	s_cmp_eq_u64 s[8:9], 1
	s_cselect_b32 s4, -1, 0
	s_cmp_eq_u64 s[40:41], 1
	s_cselect_b32 s5, -1, 0
	s_delay_alu instid0(SALU_CYCLE_1)
	s_and_b32 s23, s4, s5
	s_mov_b32 s4, -1
	s_and_b32 vcc_lo, exec_lo, s23
	s_cbranch_vccz .LBB92_192
; %bb.178:                              ;   in Loop: Header=BB92_12 Depth=1
	ds_load_b64 v[2:3], v13 offset:5120
	s_waitcnt lgkmcnt(0)
	s_barrier
	buffer_gl0_inv
	v_readfirstlane_b32 s10, v2
	v_readfirstlane_b32 s11, v3
	s_and_saveexec_b32 s4, s3
	s_cbranch_execz .LBB92_180
; %bb.179:                              ;   in Loop: Header=BB92_12 Depth=1
	ds_store_b32 v31, v13
.LBB92_180:                             ;   in Loop: Header=BB92_12 Depth=1
	s_or_b32 exec_lo, exec_lo, s4
	s_lshl_b32 s4, 2, s17
	s_and_b32 s5, s87, s18
	s_or_b32 s88, s88, s16
	s_or_b32 s87, s5, s4
	s_cmp_eq_u64 s[10:11], 0
	s_waitcnt lgkmcnt(0)
	s_barrier
	buffer_gl0_inv
	s_cbranch_scc1 .LBB92_195
; %bb.181:                              ;   in Loop: Header=BB92_12 Depth=1
	s_add_u32 s21, s69, s10
	s_addc_u32 s5, s70, s11
	s_mov_b32 s4, s47
	s_delay_alu instid0(SALU_CYCLE_1)
	s_cmp_lg_u64 s[4:5], 0
	s_cbranch_scc0 .LBB92_240
; %bb.182:                              ;   in Loop: Header=BB92_12 Depth=1
	v_cvt_f32_u32_e32 v2, s29
	s_sub_u32 s46, 0, s29
	s_subb_u32 s48, 0, 0
	s_delay_alu instid0(VALU_DEP_1) | instskip(NEXT) | instid1(VALU_DEP_1)
	v_fmac_f32_e64 v2, 0, 0x4f800000
	v_rcp_f32_e32 v2, v2
	s_waitcnt_depctr 0xfff
	v_mul_f32_e32 v2, 0x5f7ffffc, v2
	s_delay_alu instid0(VALU_DEP_1) | instskip(NEXT) | instid1(VALU_DEP_1)
	v_mul_f32_e32 v3, 0x2f800000, v2
	v_trunc_f32_e32 v3, v3
	s_delay_alu instid0(VALU_DEP_1) | instskip(SKIP_1) | instid1(VALU_DEP_2)
	v_fmac_f32_e32 v2, 0xcf800000, v3
	v_cvt_u32_f32_e32 v3, v3
	v_cvt_u32_f32_e32 v2, v2
	s_delay_alu instid0(VALU_DEP_2) | instskip(NEXT) | instid1(VALU_DEP_2)
	v_readfirstlane_b32 s4, v3
	v_readfirstlane_b32 s22, v2
	s_delay_alu instid0(VALU_DEP_2) | instskip(NEXT) | instid1(VALU_DEP_1)
	s_mul_i32 s56, s46, s4
	s_mul_hi_u32 s58, s46, s22
	s_mul_i32 s57, s48, s22
	s_add_i32 s56, s58, s56
	s_mul_i32 s59, s46, s22
	s_add_i32 s56, s56, s57
	s_mul_hi_u32 s58, s22, s59
	s_mul_hi_u32 s60, s4, s59
	s_mul_i32 s57, s4, s59
	s_mul_hi_u32 s59, s22, s56
	s_mul_i32 s22, s22, s56
	s_mul_hi_u32 s61, s4, s56
	s_add_u32 s22, s58, s22
	s_addc_u32 s58, 0, s59
	s_add_u32 s22, s22, s57
	s_mul_i32 s56, s4, s56
	s_addc_u32 s22, s58, s60
	s_addc_u32 s57, s61, 0
	s_add_u32 s22, s22, s56
	s_addc_u32 s56, 0, s57
	v_add_co_u32 v2, s22, v2, s22
	s_delay_alu instid0(VALU_DEP_1) | instskip(SKIP_1) | instid1(VALU_DEP_1)
	s_cmp_lg_u32 s22, 0
	s_addc_u32 s4, s4, s56
	v_readfirstlane_b32 s22, v2
	s_mul_i32 s56, s46, s4
	s_delay_alu instid0(VALU_DEP_1)
	s_mul_hi_u32 s57, s46, s22
	s_mul_i32 s48, s48, s22
	s_add_i32 s56, s57, s56
	s_mul_i32 s46, s46, s22
	s_add_i32 s56, s56, s48
	s_mul_hi_u32 s57, s4, s46
	s_mul_i32 s58, s4, s46
	s_mul_hi_u32 s46, s22, s46
	s_mul_hi_u32 s59, s22, s56
	s_mul_i32 s22, s22, s56
	s_mul_hi_u32 s48, s4, s56
	s_add_u32 s22, s46, s22
	s_addc_u32 s46, 0, s59
	s_add_u32 s22, s22, s58
	s_mul_i32 s56, s4, s56
	s_addc_u32 s22, s46, s57
	s_addc_u32 s46, s48, 0
	s_add_u32 s22, s22, s56
	s_addc_u32 s46, 0, s46
	v_add_co_u32 v2, s22, v2, s22
	s_delay_alu instid0(VALU_DEP_1) | instskip(SKIP_1) | instid1(VALU_DEP_1)
	s_cmp_lg_u32 s22, 0
	s_addc_u32 s4, s4, s46
	v_readfirstlane_b32 s22, v2
	s_mul_i32 s48, s21, s4
	s_mul_hi_u32 s46, s21, s4
	s_mul_hi_u32 s56, s5, s4
	s_mul_i32 s4, s5, s4
	s_mul_hi_u32 s57, s21, s22
	s_mul_hi_u32 s58, s5, s22
	s_mul_i32 s22, s5, s22
	s_add_u32 s48, s57, s48
	s_addc_u32 s46, 0, s46
	s_add_u32 s22, s48, s22
	s_addc_u32 s22, s46, s58
	s_addc_u32 s46, s56, 0
	s_add_u32 s4, s22, s4
	s_addc_u32 s22, 0, s46
	s_mul_hi_u32 s46, s29, s4
	s_mul_i32 s4, s29, s4
	s_mul_i32 s22, s29, s22
	v_sub_co_u32 v2, s4, s21, s4
	s_add_i32 s46, s46, s22
	s_cmp_lg_u32 s4, 0
	s_delay_alu instid0(VALU_DEP_1) | instskip(SKIP_2) | instid1(VALU_DEP_1)
	v_sub_co_u32 v3, s4, v2, s29
	s_subb_u32 s22, s5, s46
	s_cmp_lg_u32 s4, 0
	v_cmp_le_u32_e32 vcc_lo, s29, v3
	v_sub_co_u32 v4, s4, v3, s29
	s_subb_u32 s46, s22, 0
	s_cmp_lg_u32 s4, 0
	v_cndmask_b32_e64 v5, 0, -1, vcc_lo
	s_subb_u32 s4, s46, 0
	s_cmp_eq_u32 s46, 0
	v_mov_b32_e32 v7, s4
	s_cselect_b32 vcc_lo, -1, 0
	s_cmp_eq_u32 s22, 0
	v_cndmask_b32_e32 v5, -1, v5, vcc_lo
	v_cmp_le_u32_e32 vcc_lo, s29, v2
	s_cselect_b32 s4, -1, 0
	v_cndmask_b32_e64 v6, 0, -1, vcc_lo
	s_delay_alu instid0(VALU_DEP_3) | instskip(NEXT) | instid1(VALU_DEP_2)
	v_cmp_ne_u32_e32 vcc_lo, 0, v5
	v_cndmask_b32_e64 v5, -1, v6, s4
	v_cndmask_b32_e32 v6, s46, v7, vcc_lo
	v_cndmask_b32_e32 v4, v3, v4, vcc_lo
	s_delay_alu instid0(VALU_DEP_3) | instskip(NEXT) | instid1(VALU_DEP_3)
	v_cmp_ne_u32_e32 vcc_lo, 0, v5
	v_cndmask_b32_e32 v3, s22, v6, vcc_lo
	s_delay_alu instid0(VALU_DEP_3)
	v_cndmask_b32_e32 v2, v2, v4, vcc_lo
	s_cbranch_execnz .LBB92_184
.LBB92_183:                             ;   in Loop: Header=BB92_12 Depth=1
	v_cvt_f32_u32_e32 v2, s29
	s_sub_i32 s4, 0, s29
	s_delay_alu instid0(VALU_DEP_1) | instskip(SKIP_2) | instid1(VALU_DEP_1)
	v_rcp_iflag_f32_e32 v2, v2
	s_waitcnt_depctr 0xfff
	v_mul_f32_e32 v2, 0x4f7ffffe, v2
	v_cvt_u32_f32_e32 v2, v2
	s_delay_alu instid0(VALU_DEP_1) | instskip(NEXT) | instid1(VALU_DEP_1)
	v_mul_lo_u32 v3, s4, v2
	v_mul_hi_u32 v3, v2, v3
	s_delay_alu instid0(VALU_DEP_1) | instskip(NEXT) | instid1(VALU_DEP_1)
	v_add_nc_u32_e32 v2, v2, v3
	v_mul_hi_u32 v2, s21, v2
	s_delay_alu instid0(VALU_DEP_1) | instskip(NEXT) | instid1(VALU_DEP_1)
	v_mul_lo_u32 v2, v2, s29
	v_sub_nc_u32_e32 v2, s21, v2
	s_delay_alu instid0(VALU_DEP_1) | instskip(SKIP_1) | instid1(VALU_DEP_2)
	v_subrev_nc_u32_e32 v3, s29, v2
	v_cmp_le_u32_e32 vcc_lo, s29, v2
	v_cndmask_b32_e32 v2, v2, v3, vcc_lo
	s_delay_alu instid0(VALU_DEP_1) | instskip(SKIP_1) | instid1(VALU_DEP_2)
	v_subrev_nc_u32_e32 v3, s29, v2
	v_cmp_le_u32_e32 vcc_lo, s29, v2
	v_cndmask_b32_e32 v12, v2, v3, vcc_lo
	s_delay_alu instid0(VALU_DEP_1)
	v_dual_mov_b32 v2, v12 :: v_dual_mov_b32 v3, v13
.LBB92_184:                             ;   in Loop: Header=BB92_12 Depth=1
	s_delay_alu instid0(VALU_DEP_1) | instskip(NEXT) | instid1(VALU_DEP_2)
	v_sub_co_u32 v2, vcc_lo, s21, v2
	v_sub_co_ci_u32_e32 v3, vcc_lo, s5, v3, vcc_lo
	s_mov_b32 s4, 0
	s_mov_b32 s5, exec_lo
                                        ; implicit-def: $vgpr25
	s_delay_alu instid0(VALU_DEP_1)
	v_cmpx_gt_u64_e64 v[2:3], v[0:1]
	s_cbranch_execz .LBB92_197
; %bb.185:                              ;   in Loop: Header=BB92_12 Depth=1
	v_dual_mov_b32 v6, v14 :: v_dual_mov_b32 v5, v1
	v_mov_b32_e32 v4, v0
                                        ; implicit-def: $sgpr21
	s_set_inst_prefetch_distance 0x1
	s_branch .LBB92_187
	.p2align	6
.LBB92_186:                             ;   in Loop: Header=BB92_187 Depth=2
	s_or_b32 exec_lo, exec_lo, s22
	s_waitcnt lgkmcnt(0)
	s_barrier
	buffer_gl0_inv
	ds_load_b64 v[24:25], v13 offset:3072
	v_add_co_u32 v4, vcc_lo, v4, s29
	v_add_co_ci_u32_e32 v5, vcc_lo, 0, v5, vcc_lo
	v_add_nc_u32_e32 v6, s77, v6
	s_waitcnt lgkmcnt(0)
	s_barrier
	s_delay_alu instid0(VALU_DEP_2) | instskip(SKIP_2) | instid1(VALU_DEP_1)
	v_cmp_ge_u64_e32 vcc_lo, v[4:5], v[2:3]
	buffer_gl0_inv
	v_readfirstlane_b32 s22, v24
	s_cmp_lg_u32 s22, 0
	s_cselect_b32 s22, -1, 0
	s_delay_alu instid0(SALU_CYCLE_1) | instskip(NEXT) | instid1(SALU_CYCLE_1)
	s_or_b32 s46, vcc_lo, s22
	s_and_b32 s46, exec_lo, s46
	s_delay_alu instid0(SALU_CYCLE_1) | instskip(SKIP_2) | instid1(SALU_CYCLE_1)
	s_or_b32 s4, s46, s4
	s_and_not1_b32 s21, s21, exec_lo
	s_and_b32 s22, s22, exec_lo
	s_or_b32 s21, s21, s22
	s_and_not1_b32 exec_lo, exec_lo, s4
	s_cbranch_execz .LBB92_196
.LBB92_187:                             ;   Parent Loop BB92_12 Depth=1
                                        ; =>  This Inner Loop Header: Depth=2
	s_delay_alu instid0(VALU_DEP_1)
	v_cmp_gt_u64_e32 vcc_lo, s[10:11], v[4:5]
	v_mov_b32_e32 v24, 0
	s_and_saveexec_b32 s22, vcc_lo
	s_cbranch_execz .LBB92_189
; %bb.188:                              ;   in Loop: Header=BB92_187 Depth=2
	ds_load_b32 v24, v6
.LBB92_189:                             ;   in Loop: Header=BB92_187 Depth=2
	s_or_b32 exec_lo, exec_lo, s22
	s_and_saveexec_b32 s22, vcc_lo
	s_cbranch_execz .LBB92_186
; %bb.190:                              ;   in Loop: Header=BB92_187 Depth=2
	s_waitcnt lgkmcnt(0)
	v_xor_b32_e32 v7, 0x80000000, v24
	s_delay_alu instid0(VALU_DEP_1) | instskip(NEXT) | instid1(VALU_DEP_1)
	v_and_b32_e32 v7, s88, v7
	v_cmp_eq_u32_e32 vcc_lo, s87, v7
	s_and_b32 exec_lo, exec_lo, vcc_lo
	s_cbranch_execz .LBB92_186
; %bb.191:                              ;   in Loop: Header=BB92_187 Depth=2
	ds_store_b64 v13, v[23:24] offset:3072
	s_branch .LBB92_186
.LBB92_192:                             ;   in Loop: Header=BB92_12 Depth=1
                                        ; implicit-def: $sgpr10
                                        ; implicit-def: $sgpr21
                                        ; implicit-def: $sgpr11
	s_branch .LBB92_211
.LBB92_193:                             ;   in Loop: Header=BB92_12 Depth=1
                                        ; implicit-def: $vgpr2_vgpr3
	s_branch .LBB92_136
.LBB92_194:                             ;   in Loop: Header=BB92_12 Depth=1
                                        ; implicit-def: $vgpr2_vgpr3
	s_branch .LBB92_153
.LBB92_195:                             ;   in Loop: Header=BB92_12 Depth=1
	s_mov_b32 s10, -1
	s_mov_b32 s4, 0
                                        ; implicit-def: $sgpr11
                                        ; implicit-def: $vgpr25
	s_mov_b32 s21, s10
	s_cbranch_execnz .LBB92_198
	s_branch .LBB92_211
.LBB92_196:                             ;   in Loop: Header=BB92_12 Depth=1
	s_set_inst_prefetch_distance 0x2
	s_or_b32 exec_lo, exec_lo, s4
	s_delay_alu instid0(SALU_CYCLE_1)
	s_and_b32 s4, s21, exec_lo
.LBB92_197:                             ;   in Loop: Header=BB92_12 Depth=1
	s_or_b32 exec_lo, exec_lo, s5
	s_mov_b32 s11, -1
	s_mov_b32 s10, 0
	s_delay_alu instid0(SALU_CYCLE_1)
	s_mov_b32 s21, s10
	s_branch .LBB92_211
.LBB92_198:                             ;   in Loop: Header=BB92_12 Depth=1
	s_mov_b32 s48, s47
	s_delay_alu instid0(SALU_CYCLE_1)
	s_cmp_lg_u64 s[48:49], 0
	s_cbranch_scc0 .LBB92_241
; %bb.199:                              ;   in Loop: Header=BB92_12 Depth=1
	v_cvt_f32_u32_e32 v2, s29
	s_sub_u32 s10, 0, s29
	s_subb_u32 s11, 0, 0
	s_delay_alu instid0(VALU_DEP_1) | instskip(NEXT) | instid1(VALU_DEP_1)
	v_fmac_f32_e64 v2, 0, 0x4f800000
	v_rcp_f32_e32 v2, v2
	s_waitcnt_depctr 0xfff
	v_mul_f32_e32 v2, 0x5f7ffffc, v2
	s_delay_alu instid0(VALU_DEP_1) | instskip(NEXT) | instid1(VALU_DEP_1)
	v_mul_f32_e32 v3, 0x2f800000, v2
	v_trunc_f32_e32 v3, v3
	s_delay_alu instid0(VALU_DEP_1) | instskip(SKIP_1) | instid1(VALU_DEP_2)
	v_fmac_f32_e32 v2, 0xcf800000, v3
	v_cvt_u32_f32_e32 v3, v3
	v_cvt_u32_f32_e32 v2, v2
	s_delay_alu instid0(VALU_DEP_2) | instskip(NEXT) | instid1(VALU_DEP_2)
	v_readfirstlane_b32 s4, v3
	v_readfirstlane_b32 s5, v2
	s_delay_alu instid0(VALU_DEP_2) | instskip(NEXT) | instid1(VALU_DEP_1)
	s_mul_i32 s21, s10, s4
	s_mul_hi_u32 s46, s10, s5
	s_mul_i32 s22, s11, s5
	s_add_i32 s21, s46, s21
	s_mul_i32 s48, s10, s5
	s_add_i32 s21, s21, s22
	s_mul_hi_u32 s46, s5, s48
	s_mul_hi_u32 s56, s4, s48
	s_mul_i32 s22, s4, s48
	s_mul_hi_u32 s48, s5, s21
	s_mul_i32 s5, s5, s21
	s_mul_hi_u32 s57, s4, s21
	s_add_u32 s5, s46, s5
	s_addc_u32 s46, 0, s48
	s_add_u32 s5, s5, s22
	s_mul_i32 s21, s4, s21
	s_addc_u32 s5, s46, s56
	s_addc_u32 s22, s57, 0
	s_add_u32 s5, s5, s21
	s_addc_u32 s21, 0, s22
	v_add_co_u32 v2, s5, v2, s5
	s_delay_alu instid0(VALU_DEP_1) | instskip(SKIP_1) | instid1(VALU_DEP_1)
	s_cmp_lg_u32 s5, 0
	s_addc_u32 s4, s4, s21
	v_readfirstlane_b32 s5, v2
	s_mul_i32 s21, s10, s4
	s_delay_alu instid0(VALU_DEP_1)
	s_mul_hi_u32 s22, s10, s5
	s_mul_i32 s11, s11, s5
	s_add_i32 s21, s22, s21
	s_mul_i32 s10, s10, s5
	s_add_i32 s21, s21, s11
	s_mul_hi_u32 s22, s4, s10
	s_mul_i32 s46, s4, s10
	s_mul_hi_u32 s10, s5, s10
	s_mul_hi_u32 s48, s5, s21
	s_mul_i32 s5, s5, s21
	s_mul_hi_u32 s11, s4, s21
	s_add_u32 s5, s10, s5
	s_addc_u32 s10, 0, s48
	s_add_u32 s5, s5, s46
	s_mul_i32 s21, s4, s21
	s_addc_u32 s5, s10, s22
	s_addc_u32 s10, s11, 0
	s_add_u32 s5, s5, s21
	s_addc_u32 s10, 0, s10
	v_add_co_u32 v2, s5, v2, s5
	s_delay_alu instid0(VALU_DEP_1) | instskip(SKIP_1) | instid1(VALU_DEP_1)
	s_cmp_lg_u32 s5, 0
	s_addc_u32 s4, s4, s10
	v_readfirstlane_b32 s5, v2
	s_mul_i32 s11, s71, s4
	s_mul_hi_u32 s10, s71, s4
	s_mul_hi_u32 s21, s49, s4
	s_mul_i32 s4, s49, s4
	s_mul_hi_u32 s22, s71, s5
	s_mul_hi_u32 s46, s49, s5
	s_mul_i32 s5, s49, s5
	s_add_u32 s11, s22, s11
	s_addc_u32 s10, 0, s10
	s_add_u32 s5, s11, s5
	s_addc_u32 s5, s10, s46
	s_addc_u32 s10, s21, 0
	s_add_u32 s4, s5, s4
	s_addc_u32 s5, 0, s10
	s_mul_hi_u32 s10, s29, s4
	s_mul_i32 s4, s29, s4
	s_mul_i32 s5, s29, s5
	v_sub_co_u32 v2, s4, s71, s4
	s_add_i32 s10, s10, s5
	s_cmp_lg_u32 s4, 0
	s_delay_alu instid0(VALU_DEP_1) | instskip(SKIP_2) | instid1(VALU_DEP_1)
	v_sub_co_u32 v3, s4, v2, s29
	s_subb_u32 s5, s49, s10
	s_cmp_lg_u32 s4, 0
	v_cmp_le_u32_e32 vcc_lo, s29, v3
	v_sub_co_u32 v4, s4, v3, s29
	s_subb_u32 s10, s5, 0
	s_cmp_lg_u32 s4, 0
	v_cndmask_b32_e64 v5, 0, -1, vcc_lo
	s_subb_u32 s4, s10, 0
	s_cmp_eq_u32 s10, 0
	v_mov_b32_e32 v7, s4
	s_cselect_b32 vcc_lo, -1, 0
	s_cmp_eq_u32 s5, 0
	v_cndmask_b32_e32 v5, -1, v5, vcc_lo
	v_cmp_le_u32_e32 vcc_lo, s29, v2
	s_cselect_b32 s4, -1, 0
	v_cndmask_b32_e64 v6, 0, -1, vcc_lo
	s_delay_alu instid0(VALU_DEP_3) | instskip(NEXT) | instid1(VALU_DEP_2)
	v_cmp_ne_u32_e32 vcc_lo, 0, v5
	v_cndmask_b32_e64 v5, -1, v6, s4
	v_cndmask_b32_e32 v6, s10, v7, vcc_lo
	v_cndmask_b32_e32 v4, v3, v4, vcc_lo
	s_delay_alu instid0(VALU_DEP_3) | instskip(NEXT) | instid1(VALU_DEP_3)
	v_cmp_ne_u32_e32 vcc_lo, 0, v5
	v_cndmask_b32_e32 v3, s5, v6, vcc_lo
	s_delay_alu instid0(VALU_DEP_3)
	v_cndmask_b32_e32 v2, v2, v4, vcc_lo
	s_cbranch_execnz .LBB92_201
.LBB92_200:                             ;   in Loop: Header=BB92_12 Depth=1
	v_cvt_f32_u32_e32 v2, s29
	s_sub_i32 s4, 0, s29
	s_delay_alu instid0(VALU_DEP_1) | instskip(SKIP_2) | instid1(VALU_DEP_1)
	v_rcp_iflag_f32_e32 v2, v2
	s_waitcnt_depctr 0xfff
	v_mul_f32_e32 v2, 0x4f7ffffe, v2
	v_cvt_u32_f32_e32 v2, v2
	s_delay_alu instid0(VALU_DEP_1) | instskip(NEXT) | instid1(VALU_DEP_1)
	v_mul_lo_u32 v3, s4, v2
	v_mul_hi_u32 v3, v2, v3
	s_delay_alu instid0(VALU_DEP_1) | instskip(NEXT) | instid1(VALU_DEP_1)
	v_add_nc_u32_e32 v2, v2, v3
	v_mul_hi_u32 v2, s71, v2
	s_delay_alu instid0(VALU_DEP_1) | instskip(NEXT) | instid1(VALU_DEP_1)
	v_mul_lo_u32 v2, v2, s29
	v_sub_nc_u32_e32 v2, s71, v2
	s_delay_alu instid0(VALU_DEP_1) | instskip(SKIP_1) | instid1(VALU_DEP_2)
	v_subrev_nc_u32_e32 v3, s29, v2
	v_cmp_le_u32_e32 vcc_lo, s29, v2
	v_cndmask_b32_e32 v2, v2, v3, vcc_lo
	s_delay_alu instid0(VALU_DEP_1) | instskip(SKIP_1) | instid1(VALU_DEP_2)
	v_subrev_nc_u32_e32 v3, s29, v2
	v_cmp_le_u32_e32 vcc_lo, s29, v2
	v_cndmask_b32_e32 v12, v2, v3, vcc_lo
	s_delay_alu instid0(VALU_DEP_1)
	v_dual_mov_b32 v2, v12 :: v_dual_mov_b32 v3, v13
.LBB92_201:                             ;   in Loop: Header=BB92_12 Depth=1
	s_delay_alu instid0(VALU_DEP_1) | instskip(NEXT) | instid1(VALU_DEP_2)
	v_sub_co_u32 v2, vcc_lo, s71, v2
	v_sub_co_ci_u32_e32 v3, vcc_lo, s49, v3, vcc_lo
	s_mov_b32 s4, 0
	s_mov_b32 s5, exec_lo
                                        ; implicit-def: $vgpr25
	s_delay_alu instid0(VALU_DEP_1)
	v_cmpx_gt_u64_e64 v[2:3], v[0:1]
	s_cbranch_execz .LBB92_210
; %bb.202:                              ;   in Loop: Header=BB92_12 Depth=1
	v_dual_mov_b32 v4, v10 :: v_dual_mov_b32 v5, v11
	v_dual_mov_b32 v7, v1 :: v_dual_mov_b32 v6, v0
                                        ; implicit-def: $sgpr10
	s_set_inst_prefetch_distance 0x1
	s_branch .LBB92_204
	.p2align	6
.LBB92_203:                             ;   in Loop: Header=BB92_204 Depth=2
	s_or_b32 exec_lo, exec_lo, s11
	s_waitcnt vmcnt(0) lgkmcnt(0)
	s_barrier
	buffer_gl0_inv
	ds_load_b64 v[24:25], v13 offset:3072
	v_add_co_u32 v6, vcc_lo, v6, s29
	v_add_co_ci_u32_e32 v7, vcc_lo, 0, v7, vcc_lo
	s_waitcnt lgkmcnt(0)
	s_barrier
	buffer_gl0_inv
	v_cmp_ge_u64_e32 vcc_lo, v[6:7], v[2:3]
	v_readfirstlane_b32 s11, v24
	s_delay_alu instid0(VALU_DEP_1) | instskip(SKIP_1) | instid1(SALU_CYCLE_1)
	s_cmp_lg_u32 s11, 0
	s_cselect_b32 s11, -1, 0
	s_or_b32 s21, vcc_lo, s11
	v_add_co_u32 v4, vcc_lo, v4, s42
	s_and_b32 s21, exec_lo, s21
	v_add_co_ci_u32_e32 v5, vcc_lo, s43, v5, vcc_lo
	s_or_b32 s4, s21, s4
	s_and_not1_b32 s10, s10, exec_lo
	s_and_b32 s11, s11, exec_lo
	s_delay_alu instid0(SALU_CYCLE_1)
	s_or_b32 s10, s10, s11
	s_and_not1_b32 exec_lo, exec_lo, s4
	s_cbranch_execz .LBB92_209
.LBB92_204:                             ;   Parent Loop BB92_12 Depth=1
                                        ; =>  This Inner Loop Header: Depth=2
	s_delay_alu instid0(VALU_DEP_1)
	v_cmp_gt_u64_e32 vcc_lo, s[24:25], v[6:7]
	v_mov_b32_e32 v24, 0
	s_and_saveexec_b32 s11, vcc_lo
	s_cbranch_execz .LBB92_206
; %bb.205:                              ;   in Loop: Header=BB92_204 Depth=2
	global_load_b32 v24, v[4:5], off
.LBB92_206:                             ;   in Loop: Header=BB92_204 Depth=2
	s_or_b32 exec_lo, exec_lo, s11
	s_and_saveexec_b32 s11, vcc_lo
	s_cbranch_execz .LBB92_203
; %bb.207:                              ;   in Loop: Header=BB92_204 Depth=2
	s_waitcnt vmcnt(0)
	v_xor_b32_e32 v8, 0x80000000, v24
	s_delay_alu instid0(VALU_DEP_1) | instskip(NEXT) | instid1(VALU_DEP_1)
	v_and_b32_e32 v8, s88, v8
	v_cmp_eq_u32_e32 vcc_lo, s87, v8
	s_and_b32 exec_lo, exec_lo, vcc_lo
	s_cbranch_execz .LBB92_203
; %bb.208:                              ;   in Loop: Header=BB92_204 Depth=2
	ds_store_b64 v13, v[23:24] offset:3072
	s_branch .LBB92_203
.LBB92_209:                             ;   in Loop: Header=BB92_12 Depth=1
	s_set_inst_prefetch_distance 0x2
	s_or_b32 exec_lo, exec_lo, s4
	s_delay_alu instid0(SALU_CYCLE_1)
	s_and_b32 s4, s10, exec_lo
.LBB92_210:                             ;   in Loop: Header=BB92_12 Depth=1
	s_or_b32 exec_lo, exec_lo, s5
	s_mov_b32 s21, -1
	s_mov_b32 s10, 0
	s_mov_b32 s11, 0
.LBB92_211:                             ;   in Loop: Header=BB92_12 Depth=1
	s_mov_b32 s5, 0
                                        ; implicit-def: $sgpr46
	s_and_saveexec_b32 s22, s4
	s_cbranch_execz .LBB92_273
; %bb.212:                              ;   in Loop: Header=BB92_12 Depth=1
	s_xor_b32 s4, s23, -1
	s_mov_b32 s46, 1
	s_and_not1_b32 vcc_lo, exec_lo, s4
	s_cbranch_vccnz .LBB92_223
; %bb.213:                              ;   in Loop: Header=BB92_12 Depth=1
	v_cmp_gt_u64_e64 s4, s[40:41], s[8:9]
                                        ; implicit-def: $sgpr46
                                        ; implicit-def: $sgpr5
                                        ; implicit-def: $sgpr23
	s_delay_alu instid0(VALU_DEP_1)
	s_and_b32 vcc_lo, exec_lo, s4
	s_mov_b32 s4, -1
	s_cbranch_vccnz .LBB92_219
; %bb.214:                              ;   in Loop: Header=BB92_12 Depth=1
	ds_load_b64 v[2:3], v13 offset:5120
	s_waitcnt lgkmcnt(0)
	v_cmp_ne_u64_e32 vcc_lo, 0, v[2:3]
	s_cbranch_vccnz .LBB92_218
; %bb.215:                              ;   in Loop: Header=BB92_12 Depth=1
	s_and_saveexec_b32 s4, s2
	s_cbranch_execz .LBB92_217
; %bb.216:                              ;   in Loop: Header=BB92_12 Depth=1
	v_dual_mov_b32 v2, s8 :: v_dual_mov_b32 v3, s9
	ds_store_b64 v13, v[2:3] offset:5128
.LBB92_217:                             ;   in Loop: Header=BB92_12 Depth=1
	s_or_b32 exec_lo, exec_lo, s4
	s_waitcnt lgkmcnt(0)
	s_barrier
	buffer_gl0_inv
.LBB92_218:                             ;   in Loop: Header=BB92_12 Depth=1
	s_lshl_b32 s4, 2, s17
	s_and_b32 s5, s87, s18
	s_or_b32 s23, s88, s16
	s_or_b32 s5, s5, s4
	s_mov_b32 s4, 0
	s_mov_b32 s46, 8
.LBB92_219:                             ;   in Loop: Header=BB92_12 Depth=1
	s_and_not1_b32 vcc_lo, exec_lo, s4
	s_cbranch_vccnz .LBB92_221
; %bb.220:                              ;   in Loop: Header=BB92_12 Depth=1
	s_sub_u32 s40, s40, s8
	s_subb_u32 s41, s41, s9
	s_mov_b32 s4, -1
	s_mov_b32 s46, 0
	s_mov_b32 s5, s87
	;; [unrolled: 1-line block ×3, first 2 shown]
.LBB92_221:                             ;   in Loop: Header=BB92_12 Depth=1
	s_delay_alu instid0(SALU_CYCLE_1)
	s_mov_b32 s88, s23
	s_mov_b32 s87, s5
	s_and_not1_b32 vcc_lo, exec_lo, s4
	s_mov_b32 s56, -1
	s_cbranch_vccz .LBB92_224
.LBB92_222:                             ;   in Loop: Header=BB92_12 Depth=1
                                        ; implicit-def: $sgpr8
                                        ; implicit-def: $sgpr18
                                        ; implicit-def: $sgpr9
	s_branch .LBB92_272
.LBB92_223:                             ;   in Loop: Header=BB92_12 Depth=1
	s_mov_b64 s[40:41], 1
	s_mov_b32 s56, -1
	s_cbranch_execnz .LBB92_222
.LBB92_224:                             ;   in Loop: Header=BB92_12 Depth=1
	s_cmp_eq_u64 s[6:7], 1
	s_mov_b32 s23, -1
	s_cselect_b32 s4, -1, 0
	s_cmp_eq_u64 s[40:41], 1
	s_cselect_b32 s5, -1, 0
	s_delay_alu instid0(SALU_CYCLE_1) | instskip(NEXT) | instid1(SALU_CYCLE_1)
	s_and_b32 s17, s4, s5
	s_and_b32 vcc_lo, exec_lo, s17
	s_cbranch_vccz .LBB92_239
; %bb.225:                              ;   in Loop: Header=BB92_12 Depth=1
	ds_load_b64 v[2:3], v13 offset:5120
	s_waitcnt lgkmcnt(0)
	s_barrier
	buffer_gl0_inv
	v_readfirstlane_b32 s8, v2
	v_readfirstlane_b32 s9, v3
	s_and_saveexec_b32 s4, s3
	s_cbranch_execz .LBB92_227
; %bb.226:                              ;   in Loop: Header=BB92_12 Depth=1
	ds_store_b32 v31, v13
.LBB92_227:                             ;   in Loop: Header=BB92_12 Depth=1
	s_or_b32 exec_lo, exec_lo, s4
	s_or_b32 s87, s87, s16
	s_or_b32 s88, s88, s16
	s_cmp_eq_u64 s[8:9], 0
	s_waitcnt lgkmcnt(0)
	s_barrier
	buffer_gl0_inv
	s_cbranch_scc1 .LBB92_242
; %bb.228:                              ;   in Loop: Header=BB92_12 Depth=1
	s_add_u32 s18, s69, s8
	s_addc_u32 s5, s70, s9
	s_mov_b32 s4, s47
	s_delay_alu instid0(SALU_CYCLE_1)
	s_cmp_lg_u64 s[4:5], 0
	s_cbranch_scc0 .LBB92_278
; %bb.229:                              ;   in Loop: Header=BB92_12 Depth=1
	v_cvt_f32_u32_e32 v2, s29
	s_sub_u32 s46, 0, s29
	s_subb_u32 s48, 0, 0
	s_delay_alu instid0(VALU_DEP_1) | instskip(NEXT) | instid1(VALU_DEP_1)
	v_fmac_f32_e64 v2, 0, 0x4f800000
	v_rcp_f32_e32 v2, v2
	s_waitcnt_depctr 0xfff
	v_mul_f32_e32 v2, 0x5f7ffffc, v2
	s_delay_alu instid0(VALU_DEP_1) | instskip(NEXT) | instid1(VALU_DEP_1)
	v_mul_f32_e32 v3, 0x2f800000, v2
	v_trunc_f32_e32 v3, v3
	s_delay_alu instid0(VALU_DEP_1) | instskip(SKIP_1) | instid1(VALU_DEP_2)
	v_fmac_f32_e32 v2, 0xcf800000, v3
	v_cvt_u32_f32_e32 v3, v3
	v_cvt_u32_f32_e32 v2, v2
	s_delay_alu instid0(VALU_DEP_2) | instskip(NEXT) | instid1(VALU_DEP_2)
	v_readfirstlane_b32 s4, v3
	v_readfirstlane_b32 s23, v2
	s_delay_alu instid0(VALU_DEP_2) | instskip(NEXT) | instid1(VALU_DEP_1)
	s_mul_i32 s56, s46, s4
	s_mul_hi_u32 s58, s46, s23
	s_mul_i32 s57, s48, s23
	s_add_i32 s56, s58, s56
	s_mul_i32 s59, s46, s23
	s_add_i32 s56, s56, s57
	s_mul_hi_u32 s58, s23, s59
	s_mul_hi_u32 s60, s4, s59
	s_mul_i32 s57, s4, s59
	s_mul_hi_u32 s59, s23, s56
	s_mul_i32 s23, s23, s56
	s_mul_hi_u32 s61, s4, s56
	s_add_u32 s23, s58, s23
	s_addc_u32 s58, 0, s59
	s_add_u32 s23, s23, s57
	s_mul_i32 s56, s4, s56
	s_addc_u32 s23, s58, s60
	s_addc_u32 s57, s61, 0
	s_add_u32 s23, s23, s56
	s_addc_u32 s56, 0, s57
	v_add_co_u32 v2, s23, v2, s23
	s_delay_alu instid0(VALU_DEP_1) | instskip(SKIP_1) | instid1(VALU_DEP_1)
	s_cmp_lg_u32 s23, 0
	s_addc_u32 s4, s4, s56
	v_readfirstlane_b32 s23, v2
	s_mul_i32 s56, s46, s4
	s_delay_alu instid0(VALU_DEP_1)
	s_mul_hi_u32 s57, s46, s23
	s_mul_i32 s48, s48, s23
	s_add_i32 s56, s57, s56
	s_mul_i32 s46, s46, s23
	s_add_i32 s56, s56, s48
	s_mul_hi_u32 s57, s4, s46
	s_mul_i32 s58, s4, s46
	s_mul_hi_u32 s46, s23, s46
	s_mul_hi_u32 s59, s23, s56
	s_mul_i32 s23, s23, s56
	s_mul_hi_u32 s48, s4, s56
	s_add_u32 s23, s46, s23
	s_addc_u32 s46, 0, s59
	s_add_u32 s23, s23, s58
	s_mul_i32 s56, s4, s56
	s_addc_u32 s23, s46, s57
	s_addc_u32 s46, s48, 0
	s_add_u32 s23, s23, s56
	s_addc_u32 s46, 0, s46
	v_add_co_u32 v2, s23, v2, s23
	s_delay_alu instid0(VALU_DEP_1) | instskip(SKIP_1) | instid1(VALU_DEP_1)
	s_cmp_lg_u32 s23, 0
	s_addc_u32 s4, s4, s46
	v_readfirstlane_b32 s23, v2
	s_mul_i32 s48, s18, s4
	s_mul_hi_u32 s46, s18, s4
	s_mul_hi_u32 s56, s5, s4
	s_mul_i32 s4, s5, s4
	s_mul_hi_u32 s57, s18, s23
	s_mul_hi_u32 s58, s5, s23
	s_mul_i32 s23, s5, s23
	s_add_u32 s48, s57, s48
	s_addc_u32 s46, 0, s46
	s_add_u32 s23, s48, s23
	s_addc_u32 s23, s46, s58
	s_addc_u32 s46, s56, 0
	s_add_u32 s4, s23, s4
	s_addc_u32 s23, 0, s46
	s_mul_hi_u32 s46, s29, s4
	s_mul_i32 s4, s29, s4
	s_mul_i32 s23, s29, s23
	v_sub_co_u32 v2, s4, s18, s4
	s_add_i32 s46, s46, s23
	s_cmp_lg_u32 s4, 0
	s_delay_alu instid0(VALU_DEP_1) | instskip(SKIP_2) | instid1(VALU_DEP_1)
	v_sub_co_u32 v3, s4, v2, s29
	s_subb_u32 s23, s5, s46
	s_cmp_lg_u32 s4, 0
	v_cmp_le_u32_e32 vcc_lo, s29, v3
	v_sub_co_u32 v4, s4, v3, s29
	s_subb_u32 s46, s23, 0
	s_cmp_lg_u32 s4, 0
	v_cndmask_b32_e64 v5, 0, -1, vcc_lo
	s_subb_u32 s4, s46, 0
	s_cmp_eq_u32 s46, 0
	v_mov_b32_e32 v7, s4
	s_cselect_b32 vcc_lo, -1, 0
	s_cmp_eq_u32 s23, 0
	v_cndmask_b32_e32 v5, -1, v5, vcc_lo
	v_cmp_le_u32_e32 vcc_lo, s29, v2
	s_cselect_b32 s4, -1, 0
	v_cndmask_b32_e64 v6, 0, -1, vcc_lo
	s_delay_alu instid0(VALU_DEP_3) | instskip(NEXT) | instid1(VALU_DEP_2)
	v_cmp_ne_u32_e32 vcc_lo, 0, v5
	v_cndmask_b32_e64 v5, -1, v6, s4
	v_cndmask_b32_e32 v6, s46, v7, vcc_lo
	v_cndmask_b32_e32 v4, v3, v4, vcc_lo
	s_delay_alu instid0(VALU_DEP_3) | instskip(NEXT) | instid1(VALU_DEP_3)
	v_cmp_ne_u32_e32 vcc_lo, 0, v5
	v_cndmask_b32_e32 v3, s23, v6, vcc_lo
	s_delay_alu instid0(VALU_DEP_3)
	v_cndmask_b32_e32 v2, v2, v4, vcc_lo
	s_cbranch_execnz .LBB92_231
.LBB92_230:                             ;   in Loop: Header=BB92_12 Depth=1
	v_cvt_f32_u32_e32 v2, s29
	s_sub_i32 s4, 0, s29
	s_delay_alu instid0(VALU_DEP_1) | instskip(SKIP_2) | instid1(VALU_DEP_1)
	v_rcp_iflag_f32_e32 v2, v2
	s_waitcnt_depctr 0xfff
	v_mul_f32_e32 v2, 0x4f7ffffe, v2
	v_cvt_u32_f32_e32 v2, v2
	s_delay_alu instid0(VALU_DEP_1) | instskip(NEXT) | instid1(VALU_DEP_1)
	v_mul_lo_u32 v3, s4, v2
	v_mul_hi_u32 v3, v2, v3
	s_delay_alu instid0(VALU_DEP_1) | instskip(NEXT) | instid1(VALU_DEP_1)
	v_add_nc_u32_e32 v2, v2, v3
	v_mul_hi_u32 v2, s18, v2
	s_delay_alu instid0(VALU_DEP_1) | instskip(NEXT) | instid1(VALU_DEP_1)
	v_mul_lo_u32 v2, v2, s29
	v_sub_nc_u32_e32 v2, s18, v2
	s_delay_alu instid0(VALU_DEP_1) | instskip(SKIP_1) | instid1(VALU_DEP_2)
	v_subrev_nc_u32_e32 v3, s29, v2
	v_cmp_le_u32_e32 vcc_lo, s29, v2
	v_cndmask_b32_e32 v2, v2, v3, vcc_lo
	s_delay_alu instid0(VALU_DEP_1) | instskip(SKIP_1) | instid1(VALU_DEP_2)
	v_subrev_nc_u32_e32 v3, s29, v2
	v_cmp_le_u32_e32 vcc_lo, s29, v2
	v_cndmask_b32_e32 v12, v2, v3, vcc_lo
	s_delay_alu instid0(VALU_DEP_1)
	v_dual_mov_b32 v2, v12 :: v_dual_mov_b32 v3, v13
.LBB92_231:                             ;   in Loop: Header=BB92_12 Depth=1
	s_delay_alu instid0(VALU_DEP_1) | instskip(NEXT) | instid1(VALU_DEP_2)
	v_sub_co_u32 v2, vcc_lo, s18, v2
	v_sub_co_ci_u32_e32 v3, vcc_lo, s5, v3, vcc_lo
	s_mov_b32 s23, 0
	s_mov_b32 s4, exec_lo
                                        ; implicit-def: $vgpr25
	s_delay_alu instid0(VALU_DEP_1)
	v_cmpx_gt_u64_e64 v[2:3], v[0:1]
	s_cbranch_execz .LBB92_244
; %bb.232:                              ;   in Loop: Header=BB92_12 Depth=1
	v_dual_mov_b32 v6, v14 :: v_dual_mov_b32 v5, v1
	v_mov_b32_e32 v4, v0
	s_mov_b32 s5, 0
                                        ; implicit-def: $sgpr18
	s_set_inst_prefetch_distance 0x1
	s_branch .LBB92_234
	.p2align	6
.LBB92_233:                             ;   in Loop: Header=BB92_234 Depth=2
	s_or_b32 exec_lo, exec_lo, s23
	s_waitcnt lgkmcnt(0)
	s_barrier
	buffer_gl0_inv
	ds_load_b64 v[24:25], v13 offset:3072
	v_add_co_u32 v4, vcc_lo, v4, s29
	v_add_co_ci_u32_e32 v5, vcc_lo, 0, v5, vcc_lo
	v_add_nc_u32_e32 v6, s77, v6
	s_waitcnt lgkmcnt(0)
	s_barrier
	s_delay_alu instid0(VALU_DEP_2) | instskip(SKIP_2) | instid1(VALU_DEP_1)
	v_cmp_ge_u64_e32 vcc_lo, v[4:5], v[2:3]
	buffer_gl0_inv
	v_readfirstlane_b32 s23, v24
	s_cmp_lg_u32 s23, 0
	s_cselect_b32 s23, -1, 0
	s_delay_alu instid0(SALU_CYCLE_1) | instskip(NEXT) | instid1(SALU_CYCLE_1)
	s_or_b32 s46, vcc_lo, s23
	s_and_b32 s46, exec_lo, s46
	s_delay_alu instid0(SALU_CYCLE_1) | instskip(SKIP_2) | instid1(SALU_CYCLE_1)
	s_or_b32 s5, s46, s5
	s_and_not1_b32 s18, s18, exec_lo
	s_and_b32 s23, s23, exec_lo
	s_or_b32 s18, s18, s23
	s_and_not1_b32 exec_lo, exec_lo, s5
	s_cbranch_execz .LBB92_243
.LBB92_234:                             ;   Parent Loop BB92_12 Depth=1
                                        ; =>  This Inner Loop Header: Depth=2
	s_delay_alu instid0(VALU_DEP_1)
	v_cmp_gt_u64_e32 vcc_lo, s[8:9], v[4:5]
	v_mov_b32_e32 v24, 0
	s_and_saveexec_b32 s23, vcc_lo
	s_cbranch_execz .LBB92_236
; %bb.235:                              ;   in Loop: Header=BB92_234 Depth=2
	ds_load_b32 v24, v6
.LBB92_236:                             ;   in Loop: Header=BB92_234 Depth=2
	s_or_b32 exec_lo, exec_lo, s23
	s_and_saveexec_b32 s23, vcc_lo
	s_cbranch_execz .LBB92_233
; %bb.237:                              ;   in Loop: Header=BB92_234 Depth=2
	s_waitcnt lgkmcnt(0)
	v_xor_b32_e32 v7, 0x80000000, v24
	s_delay_alu instid0(VALU_DEP_1) | instskip(NEXT) | instid1(VALU_DEP_1)
	v_and_b32_e32 v7, s88, v7
	v_cmp_eq_u32_e32 vcc_lo, s87, v7
	s_and_b32 exec_lo, exec_lo, vcc_lo
	s_cbranch_execz .LBB92_233
; %bb.238:                              ;   in Loop: Header=BB92_234 Depth=2
	ds_store_b64 v13, v[23:24] offset:3072
	s_branch .LBB92_233
.LBB92_239:                             ;   in Loop: Header=BB92_12 Depth=1
                                        ; implicit-def: $sgpr8
                                        ; implicit-def: $sgpr18
                                        ; implicit-def: $sgpr9
	s_branch .LBB92_258
.LBB92_240:                             ;   in Loop: Header=BB92_12 Depth=1
                                        ; implicit-def: $vgpr2_vgpr3
	s_branch .LBB92_183
.LBB92_241:                             ;   in Loop: Header=BB92_12 Depth=1
                                        ; implicit-def: $vgpr2_vgpr3
	s_branch .LBB92_200
.LBB92_242:                             ;   in Loop: Header=BB92_12 Depth=1
	s_mov_b32 s8, -1
	s_mov_b32 s23, 0
                                        ; implicit-def: $sgpr9
                                        ; implicit-def: $vgpr25
	s_mov_b32 s18, s8
	s_cbranch_execnz .LBB92_245
	s_branch .LBB92_258
.LBB92_243:                             ;   in Loop: Header=BB92_12 Depth=1
	s_set_inst_prefetch_distance 0x2
	s_or_b32 exec_lo, exec_lo, s5
	s_delay_alu instid0(SALU_CYCLE_1)
	s_and_b32 s23, s18, exec_lo
.LBB92_244:                             ;   in Loop: Header=BB92_12 Depth=1
	s_or_b32 exec_lo, exec_lo, s4
	s_mov_b32 s9, -1
	s_mov_b32 s8, 0
	s_delay_alu instid0(SALU_CYCLE_1)
	s_mov_b32 s18, s8
	s_branch .LBB92_258
.LBB92_245:                             ;   in Loop: Header=BB92_12 Depth=1
	s_mov_b32 s48, s47
	s_delay_alu instid0(SALU_CYCLE_1)
	s_cmp_lg_u64 s[48:49], 0
	s_cbranch_scc0 .LBB92_279
; %bb.246:                              ;   in Loop: Header=BB92_12 Depth=1
	v_cvt_f32_u32_e32 v2, s29
	s_sub_u32 s8, 0, s29
	s_subb_u32 s9, 0, 0
	s_delay_alu instid0(VALU_DEP_1) | instskip(NEXT) | instid1(VALU_DEP_1)
	v_fmac_f32_e64 v2, 0, 0x4f800000
	v_rcp_f32_e32 v2, v2
	s_waitcnt_depctr 0xfff
	v_mul_f32_e32 v2, 0x5f7ffffc, v2
	s_delay_alu instid0(VALU_DEP_1) | instskip(NEXT) | instid1(VALU_DEP_1)
	v_mul_f32_e32 v3, 0x2f800000, v2
	v_trunc_f32_e32 v3, v3
	s_delay_alu instid0(VALU_DEP_1) | instskip(SKIP_1) | instid1(VALU_DEP_2)
	v_fmac_f32_e32 v2, 0xcf800000, v3
	v_cvt_u32_f32_e32 v3, v3
	v_cvt_u32_f32_e32 v2, v2
	s_delay_alu instid0(VALU_DEP_2) | instskip(NEXT) | instid1(VALU_DEP_2)
	v_readfirstlane_b32 s4, v3
	v_readfirstlane_b32 s5, v2
	s_delay_alu instid0(VALU_DEP_2) | instskip(NEXT) | instid1(VALU_DEP_1)
	s_mul_i32 s18, s8, s4
	s_mul_hi_u32 s46, s8, s5
	s_mul_i32 s23, s9, s5
	s_add_i32 s18, s46, s18
	s_mul_i32 s48, s8, s5
	s_add_i32 s18, s18, s23
	s_mul_hi_u32 s46, s5, s48
	s_mul_hi_u32 s56, s4, s48
	s_mul_i32 s23, s4, s48
	s_mul_hi_u32 s48, s5, s18
	s_mul_i32 s5, s5, s18
	s_mul_hi_u32 s57, s4, s18
	s_add_u32 s5, s46, s5
	s_addc_u32 s46, 0, s48
	s_add_u32 s5, s5, s23
	s_mul_i32 s18, s4, s18
	s_addc_u32 s5, s46, s56
	s_addc_u32 s23, s57, 0
	s_add_u32 s5, s5, s18
	s_addc_u32 s18, 0, s23
	v_add_co_u32 v2, s5, v2, s5
	s_delay_alu instid0(VALU_DEP_1) | instskip(SKIP_1) | instid1(VALU_DEP_1)
	s_cmp_lg_u32 s5, 0
	s_addc_u32 s4, s4, s18
	v_readfirstlane_b32 s5, v2
	s_mul_i32 s18, s8, s4
	s_delay_alu instid0(VALU_DEP_1)
	s_mul_hi_u32 s23, s8, s5
	s_mul_i32 s9, s9, s5
	s_add_i32 s18, s23, s18
	s_mul_i32 s8, s8, s5
	s_add_i32 s18, s18, s9
	s_mul_hi_u32 s23, s4, s8
	s_mul_i32 s46, s4, s8
	s_mul_hi_u32 s8, s5, s8
	s_mul_hi_u32 s48, s5, s18
	s_mul_i32 s5, s5, s18
	s_mul_hi_u32 s9, s4, s18
	s_add_u32 s5, s8, s5
	s_addc_u32 s8, 0, s48
	s_add_u32 s5, s5, s46
	s_mul_i32 s18, s4, s18
	s_addc_u32 s5, s8, s23
	s_addc_u32 s8, s9, 0
	s_add_u32 s5, s5, s18
	s_addc_u32 s8, 0, s8
	v_add_co_u32 v2, s5, v2, s5
	s_delay_alu instid0(VALU_DEP_1) | instskip(SKIP_1) | instid1(VALU_DEP_1)
	s_cmp_lg_u32 s5, 0
	s_addc_u32 s4, s4, s8
	v_readfirstlane_b32 s5, v2
	s_mul_i32 s9, s71, s4
	s_mul_hi_u32 s8, s71, s4
	s_mul_hi_u32 s18, s49, s4
	s_mul_i32 s4, s49, s4
	s_mul_hi_u32 s23, s71, s5
	s_mul_hi_u32 s46, s49, s5
	s_mul_i32 s5, s49, s5
	s_add_u32 s9, s23, s9
	s_addc_u32 s8, 0, s8
	s_add_u32 s5, s9, s5
	s_addc_u32 s5, s8, s46
	s_addc_u32 s8, s18, 0
	s_add_u32 s4, s5, s4
	s_addc_u32 s5, 0, s8
	s_mul_hi_u32 s8, s29, s4
	s_mul_i32 s4, s29, s4
	s_mul_i32 s5, s29, s5
	v_sub_co_u32 v2, s4, s71, s4
	s_add_i32 s8, s8, s5
	s_cmp_lg_u32 s4, 0
	s_delay_alu instid0(VALU_DEP_1) | instskip(SKIP_2) | instid1(VALU_DEP_1)
	v_sub_co_u32 v3, s4, v2, s29
	s_subb_u32 s5, s49, s8
	s_cmp_lg_u32 s4, 0
	v_cmp_le_u32_e32 vcc_lo, s29, v3
	v_sub_co_u32 v4, s4, v3, s29
	s_subb_u32 s8, s5, 0
	s_cmp_lg_u32 s4, 0
	v_cndmask_b32_e64 v5, 0, -1, vcc_lo
	s_subb_u32 s4, s8, 0
	s_cmp_eq_u32 s8, 0
	v_mov_b32_e32 v7, s4
	s_cselect_b32 vcc_lo, -1, 0
	s_cmp_eq_u32 s5, 0
	v_cndmask_b32_e32 v5, -1, v5, vcc_lo
	v_cmp_le_u32_e32 vcc_lo, s29, v2
	s_cselect_b32 s4, -1, 0
	v_cndmask_b32_e64 v6, 0, -1, vcc_lo
	s_delay_alu instid0(VALU_DEP_3) | instskip(NEXT) | instid1(VALU_DEP_2)
	v_cmp_ne_u32_e32 vcc_lo, 0, v5
	v_cndmask_b32_e64 v5, -1, v6, s4
	v_cndmask_b32_e32 v6, s8, v7, vcc_lo
	v_cndmask_b32_e32 v4, v3, v4, vcc_lo
	s_delay_alu instid0(VALU_DEP_3) | instskip(NEXT) | instid1(VALU_DEP_3)
	v_cmp_ne_u32_e32 vcc_lo, 0, v5
	v_cndmask_b32_e32 v3, s5, v6, vcc_lo
	s_delay_alu instid0(VALU_DEP_3)
	v_cndmask_b32_e32 v2, v2, v4, vcc_lo
	s_cbranch_execnz .LBB92_248
.LBB92_247:                             ;   in Loop: Header=BB92_12 Depth=1
	v_cvt_f32_u32_e32 v2, s29
	s_sub_i32 s4, 0, s29
	s_delay_alu instid0(VALU_DEP_1) | instskip(SKIP_2) | instid1(VALU_DEP_1)
	v_rcp_iflag_f32_e32 v2, v2
	s_waitcnt_depctr 0xfff
	v_mul_f32_e32 v2, 0x4f7ffffe, v2
	v_cvt_u32_f32_e32 v2, v2
	s_delay_alu instid0(VALU_DEP_1) | instskip(NEXT) | instid1(VALU_DEP_1)
	v_mul_lo_u32 v3, s4, v2
	v_mul_hi_u32 v3, v2, v3
	s_delay_alu instid0(VALU_DEP_1) | instskip(NEXT) | instid1(VALU_DEP_1)
	v_add_nc_u32_e32 v2, v2, v3
	v_mul_hi_u32 v2, s71, v2
	s_delay_alu instid0(VALU_DEP_1) | instskip(NEXT) | instid1(VALU_DEP_1)
	v_mul_lo_u32 v2, v2, s29
	v_sub_nc_u32_e32 v2, s71, v2
	s_delay_alu instid0(VALU_DEP_1) | instskip(SKIP_1) | instid1(VALU_DEP_2)
	v_subrev_nc_u32_e32 v3, s29, v2
	v_cmp_le_u32_e32 vcc_lo, s29, v2
	v_cndmask_b32_e32 v2, v2, v3, vcc_lo
	s_delay_alu instid0(VALU_DEP_1) | instskip(SKIP_1) | instid1(VALU_DEP_2)
	v_subrev_nc_u32_e32 v3, s29, v2
	v_cmp_le_u32_e32 vcc_lo, s29, v2
	v_cndmask_b32_e32 v12, v2, v3, vcc_lo
	s_delay_alu instid0(VALU_DEP_1)
	v_dual_mov_b32 v2, v12 :: v_dual_mov_b32 v3, v13
.LBB92_248:                             ;   in Loop: Header=BB92_12 Depth=1
	s_delay_alu instid0(VALU_DEP_1) | instskip(NEXT) | instid1(VALU_DEP_2)
	v_sub_co_u32 v2, vcc_lo, s71, v2
	v_sub_co_ci_u32_e32 v3, vcc_lo, s49, v3, vcc_lo
	s_mov_b32 s23, 0
	s_mov_b32 s4, exec_lo
                                        ; implicit-def: $vgpr25
	s_delay_alu instid0(VALU_DEP_1)
	v_cmpx_gt_u64_e64 v[2:3], v[0:1]
	s_cbranch_execz .LBB92_257
; %bb.249:                              ;   in Loop: Header=BB92_12 Depth=1
	v_dual_mov_b32 v4, v10 :: v_dual_mov_b32 v5, v11
	v_dual_mov_b32 v7, v1 :: v_dual_mov_b32 v6, v0
	s_mov_b32 s5, 0
                                        ; implicit-def: $sgpr8
	s_set_inst_prefetch_distance 0x1
	s_branch .LBB92_251
	.p2align	6
.LBB92_250:                             ;   in Loop: Header=BB92_251 Depth=2
	s_or_b32 exec_lo, exec_lo, s9
	s_waitcnt vmcnt(0) lgkmcnt(0)
	s_barrier
	buffer_gl0_inv
	ds_load_b64 v[24:25], v13 offset:3072
	v_add_co_u32 v6, vcc_lo, v6, s29
	v_add_co_ci_u32_e32 v7, vcc_lo, 0, v7, vcc_lo
	s_waitcnt lgkmcnt(0)
	s_barrier
	buffer_gl0_inv
	v_cmp_ge_u64_e32 vcc_lo, v[6:7], v[2:3]
	v_readfirstlane_b32 s9, v24
	s_delay_alu instid0(VALU_DEP_1) | instskip(SKIP_1) | instid1(SALU_CYCLE_1)
	s_cmp_lg_u32 s9, 0
	s_cselect_b32 s9, -1, 0
	s_or_b32 s18, vcc_lo, s9
	v_add_co_u32 v4, vcc_lo, v4, s42
	s_and_b32 s18, exec_lo, s18
	v_add_co_ci_u32_e32 v5, vcc_lo, s43, v5, vcc_lo
	s_or_b32 s5, s18, s5
	s_and_not1_b32 s8, s8, exec_lo
	s_and_b32 s9, s9, exec_lo
	s_delay_alu instid0(SALU_CYCLE_1)
	s_or_b32 s8, s8, s9
	s_and_not1_b32 exec_lo, exec_lo, s5
	s_cbranch_execz .LBB92_256
.LBB92_251:                             ;   Parent Loop BB92_12 Depth=1
                                        ; =>  This Inner Loop Header: Depth=2
	s_delay_alu instid0(VALU_DEP_1)
	v_cmp_gt_u64_e32 vcc_lo, s[24:25], v[6:7]
	v_mov_b32_e32 v24, 0
	s_and_saveexec_b32 s9, vcc_lo
	s_cbranch_execz .LBB92_253
; %bb.252:                              ;   in Loop: Header=BB92_251 Depth=2
	global_load_b32 v24, v[4:5], off
.LBB92_253:                             ;   in Loop: Header=BB92_251 Depth=2
	s_or_b32 exec_lo, exec_lo, s9
	s_and_saveexec_b32 s9, vcc_lo
	s_cbranch_execz .LBB92_250
; %bb.254:                              ;   in Loop: Header=BB92_251 Depth=2
	s_waitcnt vmcnt(0)
	v_xor_b32_e32 v8, 0x80000000, v24
	s_delay_alu instid0(VALU_DEP_1) | instskip(NEXT) | instid1(VALU_DEP_1)
	v_and_b32_e32 v8, s88, v8
	v_cmp_eq_u32_e32 vcc_lo, s87, v8
	s_and_b32 exec_lo, exec_lo, vcc_lo
	s_cbranch_execz .LBB92_250
; %bb.255:                              ;   in Loop: Header=BB92_251 Depth=2
	ds_store_b64 v13, v[23:24] offset:3072
	s_branch .LBB92_250
.LBB92_256:                             ;   in Loop: Header=BB92_12 Depth=1
	s_set_inst_prefetch_distance 0x2
	s_or_b32 exec_lo, exec_lo, s5
	s_delay_alu instid0(SALU_CYCLE_1)
	s_and_b32 s23, s8, exec_lo
.LBB92_257:                             ;   in Loop: Header=BB92_12 Depth=1
	s_or_b32 exec_lo, exec_lo, s4
	s_mov_b32 s18, -1
	s_mov_b32 s8, 0
	s_mov_b32 s9, 0
.LBB92_258:                             ;   in Loop: Header=BB92_12 Depth=1
	s_mov_b32 s56, 0
                                        ; implicit-def: $sgpr46
                                        ; implicit-def: $sgpr4_sgpr5
	s_and_saveexec_b32 s48, s23
	s_cbranch_execz .LBB92_271
; %bb.259:                              ;   in Loop: Header=BB92_12 Depth=1
	s_xor_b32 s17, s17, -1
	s_mov_b64 s[4:5], 1
	s_and_not1_b32 vcc_lo, exec_lo, s17
	s_mov_b32 s46, 1
	s_cbranch_vccnz .LBB92_270
; %bb.260:                              ;   in Loop: Header=BB92_12 Depth=1
	v_cmp_gt_u64_e64 s4, s[40:41], s[6:7]
	s_delay_alu instid0(VALU_DEP_1)
	s_and_b32 vcc_lo, exec_lo, s4
	s_cbranch_vccnz .LBB92_266
; %bb.261:                              ;   in Loop: Header=BB92_12 Depth=1
	ds_load_b64 v[2:3], v13 offset:5120
	s_waitcnt lgkmcnt(0)
	v_cmp_ne_u64_e32 vcc_lo, 0, v[2:3]
	s_cbranch_vccnz .LBB92_265
; %bb.262:                              ;   in Loop: Header=BB92_12 Depth=1
	s_and_saveexec_b32 s4, s2
	s_cbranch_execz .LBB92_264
; %bb.263:                              ;   in Loop: Header=BB92_12 Depth=1
	v_dual_mov_b32 v2, s6 :: v_dual_mov_b32 v3, s7
	ds_store_b64 v13, v[2:3] offset:5128
.LBB92_264:                             ;   in Loop: Header=BB92_12 Depth=1
	s_or_b32 exec_lo, exec_lo, s4
	s_waitcnt lgkmcnt(0)
	s_barrier
	buffer_gl0_inv
.LBB92_265:                             ;   in Loop: Header=BB92_12 Depth=1
	s_or_b32 s17, s87, s16
	s_or_b32 s16, s88, s16
	s_mov_b32 s4, 0
	s_mov_b32 s46, 8
	s_branch .LBB92_267
.LBB92_266:                             ;   in Loop: Header=BB92_12 Depth=1
	s_mov_b32 s4, -1
                                        ; implicit-def: $sgpr46
                                        ; implicit-def: $sgpr17
                                        ; implicit-def: $sgpr16
.LBB92_267:                             ;   in Loop: Header=BB92_12 Depth=1
	s_delay_alu instid0(SALU_CYCLE_1)
	s_and_not1_b32 vcc_lo, exec_lo, s4
	s_cbranch_vccnz .LBB92_269
; %bb.268:                              ;   in Loop: Header=BB92_12 Depth=1
	s_sub_u32 s40, s40, s6
	s_subb_u32 s41, s41, s7
	s_mov_b32 s46, 8
	s_mov_b32 s17, s87
	s_mov_b32 s16, s88
.LBB92_269:                             ;   in Loop: Header=BB92_12 Depth=1
	s_mov_b64 s[4:5], s[40:41]
	s_mov_b32 s87, s17
	s_mov_b32 s88, s16
.LBB92_270:                             ;   in Loop: Header=BB92_12 Depth=1
	s_mov_b32 s56, exec_lo
.LBB92_271:                             ;   in Loop: Header=BB92_12 Depth=1
	s_or_b32 exec_lo, exec_lo, s48
	s_mov_b64 s[40:41], s[4:5]
.LBB92_272:                             ;   in Loop: Header=BB92_12 Depth=1
	s_and_not1_b32 s4, s10, exec_lo
	s_and_b32 s5, s8, exec_lo
	s_and_not1_b32 s6, s11, exec_lo
	s_or_b32 s10, s4, s5
	s_and_not1_b32 s4, s21, exec_lo
	s_and_b32 s5, s18, exec_lo
	s_and_b32 s7, s9, exec_lo
	s_or_b32 s21, s4, s5
	s_or_b32 s11, s6, s7
	s_and_b32 s5, s56, exec_lo
.LBB92_273:                             ;   in Loop: Header=BB92_12 Depth=1
	s_or_b32 exec_lo, exec_lo, s22
.LBB92_274:                             ;   in Loop: Header=BB92_12 Depth=1
	s_delay_alu instid0(SALU_CYCLE_1)
	s_and_not1_b32 s4, s13, exec_lo
	s_and_b32 s6, s10, exec_lo
	s_and_not1_b32 s7, s12, exec_lo
	s_or_b32 s13, s4, s6
	s_and_not1_b32 s4, s19, exec_lo
	s_and_b32 s6, s21, exec_lo
	s_and_b32 s8, s11, exec_lo
	s_or_b32 s19, s4, s6
	s_or_b32 s12, s7, s8
	s_and_b32 s5, s5, exec_lo
.LBB92_275:                             ;   in Loop: Header=BB92_12 Depth=1
	s_or_b32 exec_lo, exec_lo, s20
	s_and_saveexec_b32 s4, s5
	s_delay_alu instid0(SALU_CYCLE_1)
	s_xor_b32 s4, exec_lo, s4
	s_cbranch_execz .LBB92_10
.LBB92_276:                             ;   in Loop: Header=BB92_12 Depth=1
	s_and_b32 s5, s46, -9
	s_delay_alu instid0(SALU_CYCLE_1)
	s_cmp_eq_u32 s5, 0
	s_cbranch_scc1 .LBB92_8
; %bb.277:                              ;   in Loop: Header=BB92_12 Depth=1
	s_mov_b32 s5, -1
	s_mov_b32 s6, -1
                                        ; implicit-def: $sgpr88
                                        ; implicit-def: $sgpr40_sgpr41
                                        ; implicit-def: $sgpr82
                                        ; implicit-def: $sgpr85
	s_branch .LBB92_9
.LBB92_278:                             ;   in Loop: Header=BB92_12 Depth=1
                                        ; implicit-def: $vgpr2_vgpr3
	s_branch .LBB92_230
.LBB92_279:                             ;   in Loop: Header=BB92_12 Depth=1
                                        ; implicit-def: $vgpr2_vgpr3
	s_branch .LBB92_247
.LBB92_280:
	s_or_b32 exec_lo, exec_lo, s78
	s_xor_b32 s4, s81, -1
	s_xor_b32 s1, s79, -1
	;; [unrolled: 1-line block ×3, first 2 shown]
	s_mov_b32 s2, 0
	s_and_saveexec_b32 s5, s1
	s_delay_alu instid0(SALU_CYCLE_1)
	s_xor_b32 s1, exec_lo, s5
	s_cbranch_execz .LBB92_294
; %bb.281:
	s_and_saveexec_b32 s2, s4
	s_delay_alu instid0(SALU_CYCLE_1)
	s_xor_b32 s2, exec_lo, s2
	s_cbranch_execz .LBB92_292
; %bb.282:
	s_and_saveexec_b32 s4, s3
	s_delay_alu instid0(SALU_CYCLE_1)
	s_xor_b32 s3, exec_lo, s4
; %bb.283:
	v_xor_b32_e32 v25, 0x80000000, v2
; %bb.284:
	s_or_b32 exec_lo, exec_lo, s3
	s_mul_i32 s3, s39, s28
	s_mul_hi_u32 s5, s38, s28
	s_mul_i32 s4, s38, s28
	s_add_i32 s5, s5, s3
	v_mov_b32_e32 v2, 0
	s_lshl_b64 s[4:5], s[4:5], 2
	s_delay_alu instid0(SALU_CYCLE_1)
	s_add_u32 s4, s36, s4
	s_addc_u32 s5, s37, s5
	global_store_b32 v2, v25, s[4:5]
	s_and_saveexec_b32 s3, s0
	s_cbranch_execz .LBB92_291
; %bb.285:
	s_mov_b32 s4, 0
                                        ; implicit-def: $sgpr5
                                        ; implicit-def: $sgpr7
                                        ; implicit-def: $sgpr6
	s_set_inst_prefetch_distance 0x1
	s_branch .LBB92_287
	.p2align	6
.LBB92_286:                             ;   in Loop: Header=BB92_287 Depth=1
	s_or_b32 exec_lo, exec_lo, s8
	s_delay_alu instid0(SALU_CYCLE_1) | instskip(NEXT) | instid1(SALU_CYCLE_1)
	s_and_b32 s0, exec_lo, s7
	s_or_b32 s4, s0, s4
	s_and_not1_b32 s0, s5, exec_lo
	s_and_b32 s5, s6, exec_lo
	s_delay_alu instid0(SALU_CYCLE_1)
	s_or_b32 s5, s0, s5
	s_and_not1_b32 exec_lo, exec_lo, s4
	s_cbranch_execz .LBB92_289
.LBB92_287:                             ; =>This Inner Loop Header: Depth=1
	global_load_b32 v4, v[10:11], off
	v_dual_mov_b32 v3, v1 :: v_dual_mov_b32 v2, v0
	s_or_b32 s6, s6, exec_lo
	s_or_b32 s7, s7, exec_lo
	s_mov_b32 s8, exec_lo
                                        ; implicit-def: $vgpr0_vgpr1
	s_waitcnt vmcnt(0)
	v_cmpx_ne_u32_e64 v4, v25
	s_cbranch_execz .LBB92_286
; %bb.288:                              ;   in Loop: Header=BB92_287 Depth=1
	v_add_co_u32 v0, vcc_lo, v2, s29
	v_add_co_ci_u32_e32 v1, vcc_lo, 0, v3, vcc_lo
	v_add_co_u32 v10, s0, v10, s42
	s_delay_alu instid0(VALU_DEP_1) | instskip(NEXT) | instid1(VALU_DEP_3)
	v_add_co_ci_u32_e64 v11, s0, s43, v11, s0
	v_cmp_le_u64_e32 vcc_lo, s[24:25], v[0:1]
	s_and_not1_b32 s0, s7, exec_lo
	s_and_not1_b32 s6, s6, exec_lo
	s_and_b32 s7, vcc_lo, exec_lo
	s_delay_alu instid0(SALU_CYCLE_1)
	s_or_b32 s7, s0, s7
	s_branch .LBB92_286
.LBB92_289:
	s_set_inst_prefetch_distance 0x2
	s_or_b32 exec_lo, exec_lo, s4
	s_and_saveexec_b32 s0, s5
	s_delay_alu instid0(SALU_CYCLE_1)
	s_xor_b32 s0, exec_lo, s0
	s_cbranch_execz .LBB92_291
; %bb.290:
	s_mul_i32 s0, s31, s28
	s_mul_hi_u32 s5, s30, s28
	s_mul_i32 s4, s30, s28
	s_add_i32 s5, s5, s0
	v_mov_b32_e32 v0, 0
	s_lshl_b64 s[4:5], s[4:5], 3
	s_delay_alu instid0(SALU_CYCLE_1)
	s_add_u32 s4, s26, s4
	s_addc_u32 s5, s27, s5
	global_store_b64 v0, v[2:3], s[4:5]
.LBB92_291:
	s_or_b32 exec_lo, exec_lo, s3
.LBB92_292:
	s_or_saveexec_b32 s0, s2
	s_mov_b32 s2, 0
	s_xor_b32 exec_lo, exec_lo, s0
	s_cbranch_execnz .LBB92_300
.LBB92_293:
	s_or_b32 exec_lo, exec_lo, s0
	s_delay_alu instid0(SALU_CYCLE_1)
	s_and_b32 s2, s2, exec_lo
.LBB92_294:
	s_and_not1_saveexec_b32 s0, s1
	s_cbranch_execnz .LBB92_298
; %bb.295:
	s_or_b32 exec_lo, exec_lo, s0
	s_and_saveexec_b32 s0, s2
.LBB92_296:
	; divergent unreachable
.LBB92_297:
	s_nop 0
	s_sendmsg sendmsg(MSG_DEALLOC_VGPRS)
	s_endpgm
.LBB92_298:
	s_cbranch_execnz .LBB92_302
; %bb.299:
	s_or_b32 s2, s2, exec_lo
	s_or_b32 exec_lo, exec_lo, s0
	s_and_saveexec_b32 s0, s2
	s_cbranch_execnz .LBB92_296
	s_branch .LBB92_297
.LBB92_300:
	s_cbranch_execnz .LBB92_304
; %bb.301:
	s_mov_b32 s2, exec_lo
	s_branch .LBB92_293
.LBB92_302:
	s_trap 2
	s_sendmsg_rtn_b32 s0, sendmsg(MSG_RTN_GET_DOORBELL)
	s_mov_b32 ttmp2, m0
	s_waitcnt lgkmcnt(0)
	s_and_b32 s0, s0, 0x3ff
	s_delay_alu instid0(SALU_CYCLE_1) | instskip(NEXT) | instid1(SALU_CYCLE_1)
	s_bitset1_b32 s0, 10
	s_mov_b32 m0, s0
	s_sendmsg sendmsg(MSG_INTERRUPT)
	s_mov_b32 m0, ttmp2
.LBB92_303:                             ; =>This Inner Loop Header: Depth=1
	s_sethalt 5
	s_branch .LBB92_303
.LBB92_304:
	s_trap 2
	s_sendmsg_rtn_b32 s0, sendmsg(MSG_RTN_GET_DOORBELL)
	s_mov_b32 ttmp2, m0
	s_waitcnt lgkmcnt(0)
	s_and_b32 s0, s0, 0x3ff
	s_delay_alu instid0(SALU_CYCLE_1) | instskip(NEXT) | instid1(SALU_CYCLE_1)
	s_bitset1_b32 s0, 10
	s_mov_b32 m0, s0
	s_sendmsg sendmsg(MSG_INTERRUPT)
	s_mov_b32 m0, ttmp2
.LBB92_305:                             ; =>This Inner Loop Header: Depth=1
	s_sethalt 5
	s_branch .LBB92_305
	.section	.rodata,"a",@progbits
	.p2align	6, 0x0
	.amdhsa_kernel _ZN2at6native12_GLOBAL__N_112gatherMedianIimLi1EEEvNS_4cuda6detail10TensorInfoIT_T0_EENS5_IlS7_EENS5_IKS6_S7_EES7_S7_S7_b
		.amdhsa_group_segment_fixed_size 5152
		.amdhsa_private_segment_fixed_size 0
		.amdhsa_kernarg_size 1536
		.amdhsa_user_sgpr_count 13
		.amdhsa_user_sgpr_dispatch_ptr 0
		.amdhsa_user_sgpr_queue_ptr 0
		.amdhsa_user_sgpr_kernarg_segment_ptr 1
		.amdhsa_user_sgpr_dispatch_id 0
		.amdhsa_user_sgpr_private_segment_size 0
		.amdhsa_wavefront_size32 1
		.amdhsa_uses_dynamic_stack 0
		.amdhsa_enable_private_segment 0
		.amdhsa_system_sgpr_workgroup_id_x 1
		.amdhsa_system_sgpr_workgroup_id_y 1
		.amdhsa_system_sgpr_workgroup_id_z 1
		.amdhsa_system_sgpr_workgroup_info 0
		.amdhsa_system_vgpr_workitem_id 0
		.amdhsa_next_free_vgpr 41
		.amdhsa_next_free_sgpr 93
		.amdhsa_reserve_vcc 1
		.amdhsa_float_round_mode_32 0
		.amdhsa_float_round_mode_16_64 0
		.amdhsa_float_denorm_mode_32 3
		.amdhsa_float_denorm_mode_16_64 3
		.amdhsa_dx10_clamp 1
		.amdhsa_ieee_mode 1
		.amdhsa_fp16_overflow 0
		.amdhsa_workgroup_processor_mode 1
		.amdhsa_memory_ordered 1
		.amdhsa_forward_progress 0
		.amdhsa_shared_vgpr_count 0
		.amdhsa_exception_fp_ieee_invalid_op 0
		.amdhsa_exception_fp_denorm_src 0
		.amdhsa_exception_fp_ieee_div_zero 0
		.amdhsa_exception_fp_ieee_overflow 0
		.amdhsa_exception_fp_ieee_underflow 0
		.amdhsa_exception_fp_ieee_inexact 0
		.amdhsa_exception_int_div_zero 0
	.end_amdhsa_kernel
	.section	.text._ZN2at6native12_GLOBAL__N_112gatherMedianIimLi1EEEvNS_4cuda6detail10TensorInfoIT_T0_EENS5_IlS7_EENS5_IKS6_S7_EES7_S7_S7_b,"axG",@progbits,_ZN2at6native12_GLOBAL__N_112gatherMedianIimLi1EEEvNS_4cuda6detail10TensorInfoIT_T0_EENS5_IlS7_EENS5_IKS6_S7_EES7_S7_S7_b,comdat
.Lfunc_end92:
	.size	_ZN2at6native12_GLOBAL__N_112gatherMedianIimLi1EEEvNS_4cuda6detail10TensorInfoIT_T0_EENS5_IlS7_EENS5_IKS6_S7_EES7_S7_S7_b, .Lfunc_end92-_ZN2at6native12_GLOBAL__N_112gatherMedianIimLi1EEEvNS_4cuda6detail10TensorInfoIT_T0_EENS5_IlS7_EENS5_IKS6_S7_EES7_S7_S7_b
                                        ; -- End function
	.section	.AMDGPU.csdata,"",@progbits
; Kernel info:
; codeLenInByte = 16324
; NumSgprs: 95
; NumVgprs: 41
; ScratchSize: 0
; MemoryBound: 0
; FloatMode: 240
; IeeeMode: 1
; LDSByteSize: 5152 bytes/workgroup (compile time only)
; SGPRBlocks: 11
; VGPRBlocks: 5
; NumSGPRsForWavesPerEU: 95
; NumVGPRsForWavesPerEU: 41
; Occupancy: 16
; WaveLimiterHint : 1
; COMPUTE_PGM_RSRC2:SCRATCH_EN: 0
; COMPUTE_PGM_RSRC2:USER_SGPR: 13
; COMPUTE_PGM_RSRC2:TRAP_HANDLER: 0
; COMPUTE_PGM_RSRC2:TGID_X_EN: 1
; COMPUTE_PGM_RSRC2:TGID_Y_EN: 1
; COMPUTE_PGM_RSRC2:TGID_Z_EN: 1
; COMPUTE_PGM_RSRC2:TIDIG_COMP_CNT: 0
	.section	.text._ZN2at6native12_GLOBAL__N_112gatherMedianIimLi2EEEvNS_4cuda6detail10TensorInfoIT_T0_EENS5_IlS7_EENS5_IKS6_S7_EES7_S7_S7_b,"axG",@progbits,_ZN2at6native12_GLOBAL__N_112gatherMedianIimLi2EEEvNS_4cuda6detail10TensorInfoIT_T0_EENS5_IlS7_EENS5_IKS6_S7_EES7_S7_S7_b,comdat
	.globl	_ZN2at6native12_GLOBAL__N_112gatherMedianIimLi2EEEvNS_4cuda6detail10TensorInfoIT_T0_EENS5_IlS7_EENS5_IKS6_S7_EES7_S7_S7_b ; -- Begin function _ZN2at6native12_GLOBAL__N_112gatherMedianIimLi2EEEvNS_4cuda6detail10TensorInfoIT_T0_EENS5_IlS7_EENS5_IKS6_S7_EES7_S7_S7_b
	.p2align	8
	.type	_ZN2at6native12_GLOBAL__N_112gatherMedianIimLi2EEEvNS_4cuda6detail10TensorInfoIT_T0_EENS5_IlS7_EENS5_IKS6_S7_EES7_S7_S7_b,@function
_ZN2at6native12_GLOBAL__N_112gatherMedianIimLi2EEEvNS_4cuda6detail10TensorInfoIT_T0_EENS5_IlS7_EENS5_IKS6_S7_EES7_S7_S7_b: ; @_ZN2at6native12_GLOBAL__N_112gatherMedianIimLi2EEEvNS_4cuda6detail10TensorInfoIT_T0_EENS5_IlS7_EENS5_IKS6_S7_EES7_S7_S7_b
; %bb.0:
	s_clause 0x1
	s_load_b64 s[8:9], s[0:1], 0x500
	s_load_b128 s[24:27], s[0:1], 0x4e0
	s_add_u32 s10, s0, 0x500
	s_addc_u32 s11, s1, 0
	s_mov_b32 s35, 0
	s_waitcnt lgkmcnt(0)
	s_mul_i32 s2, s9, s15
	s_delay_alu instid0(SALU_CYCLE_1) | instskip(NEXT) | instid1(SALU_CYCLE_1)
	s_add_i32 s2, s2, s14
	s_mul_i32 s2, s2, s8
	s_delay_alu instid0(SALU_CYCLE_1) | instskip(NEXT) | instid1(SALU_CYCLE_1)
	s_add_i32 s34, s2, s13
	v_cmp_ge_u64_e64 s2, s[34:35], s[26:27]
	s_delay_alu instid0(VALU_DEP_1)
	s_and_b32 vcc_lo, exec_lo, s2
	s_cbranch_vccnz .LBB93_303
; %bb.1:
	s_clause 0x2
	s_load_b64 s[44:45], s[0:1], 0x10
	s_load_b64 s[14:15], s[0:1], 0x350
	;; [unrolled: 1-line block ×3, first 2 shown]
	s_mov_b64 s[40:41], 0
	s_mov_b64 s[46:47], 0
	s_waitcnt lgkmcnt(0)
	v_cmp_lt_u64_e64 s2, s[34:35], s[44:45]
	s_delay_alu instid0(VALU_DEP_1)
	s_and_b32 vcc_lo, exec_lo, s2
	s_cbranch_vccz .LBB93_292
; %bb.2:
	s_load_b64 s[42:43], s[0:1], 0x4f0
	v_cmp_lt_u64_e64 s2, s[34:35], s[26:27]
	s_delay_alu instid0(VALU_DEP_1)
	s_and_b32 vcc_lo, exec_lo, s2
	s_cbranch_vccz .LBB93_293
.LBB93_3:
	v_cmp_lt_u64_e64 s2, s[34:35], s[14:15]
	s_mov_b64 s[16:17], 0
	s_delay_alu instid0(VALU_DEP_1)
	s_and_b32 vcc_lo, exec_lo, s2
	s_cbranch_vccz .LBB93_294
.LBB93_4:
	v_cmp_eq_u32_e64 s2, 0, v0
	s_delay_alu instid0(VALU_DEP_1)
	s_and_saveexec_b32 s3, s2
	s_cbranch_execz .LBB93_6
.LBB93_5:
	v_mov_b32_e32 v1, 0
	s_waitcnt_depctr 0xfff
	v_mov_b32_e32 v2, v1
	ds_store_b64 v1, v[1:2] offset:5136
.LBB93_6:
	s_or_b32 exec_lo, exec_lo, s3
	v_mov_b32_e32 v1, 0
	s_waitcnt lgkmcnt(0)
	s_barrier
	buffer_gl0_inv
	s_barrier
	buffer_gl0_inv
	ds_load_b64 v[1:2], v1 offset:5136
	s_clause 0x1
	s_load_b32 s3, s[0:1], 0x4f8
	s_load_b64 s[18:19], s[0:1], 0x340
	s_mov_b64 s[52:53], s[24:25]
	s_waitcnt lgkmcnt(0)
	v_readfirstlane_b32 s4, v1
	v_readfirstlane_b32 s5, v2
	s_bitcmp1_b32 s3, 0
	s_cselect_b32 s3, -1, 0
	s_delay_alu instid0(VALU_DEP_1) | instskip(NEXT) | instid1(VALU_DEP_1)
	v_cmp_lt_i64_e64 s6, s[4:5], 1
	s_or_b32 s3, s3, s6
	s_delay_alu instid0(SALU_CYCLE_1)
	s_and_not1_b32 vcc_lo, exec_lo, s3
	s_cbranch_vccnz .LBB93_8
; %bb.7:
	s_not_b64 s[4:5], s[4:5]
	s_delay_alu instid0(SALU_CYCLE_1) | instskip(SKIP_1) | instid1(SALU_CYCLE_1)
	s_add_u32 s4, s4, s24
	s_addc_u32 s5, s5, s25
	s_lshr_b64 s[4:5], s[4:5], 1
	s_delay_alu instid0(SALU_CYCLE_1)
	s_add_u32 s52, s4, 1
	s_addc_u32 s53, s5, 0
.LBB93_8:
	s_clause 0x2
	s_load_b64 s[48:49], s[0:1], 0x1a0
	s_load_b64 s[50:51], s[0:1], 0x0
	s_load_b128 s[4:7], s[0:1], 0x410
	s_and_saveexec_b32 s3, s2
	s_cbranch_execz .LBB93_10
; %bb.9:
	v_dual_mov_b32 v1, 0 :: v_dual_mov_b32 v4, s25
	s_delay_alu instid0(VALU_DEP_1)
	v_dual_mov_b32 v3, s24 :: v_dual_mov_b32 v2, v1
	ds_store_b32 v1, v1 offset:5144
	ds_store_b128 v1, v[1:4] offset:5120
.LBB93_10:
	s_or_b32 exec_lo, exec_lo, s3
	s_mul_i32 s3, s16, s15
	s_mul_hi_u32 s9, s16, s14
	s_mul_i32 s12, s16, s14
	s_add_i32 s9, s9, s3
	s_sub_u32 s3, s34, s12
	s_subb_u32 s9, 0, s9
	s_waitcnt lgkmcnt(0)
	s_mul_i32 s7, s3, s7
	s_mul_hi_u32 s12, s3, s6
	s_mul_i32 s5, s16, s5
	s_add_i32 s7, s12, s7
	s_mul_hi_u32 s12, s16, s4
	s_mul_i32 s4, s16, s4
	s_add_i32 s5, s12, s5
	s_mul_i32 s9, s9, s6
	s_lshl_b64 s[4:5], s[4:5], 2
	s_add_i32 s7, s7, s9
	s_mul_i32 s6, s3, s6
	v_mad_u64_u32 v[2:3], null, v0, s42, 0
	s_add_u32 s3, s18, s4
	s_addc_u32 s9, s19, s5
	s_lshl_b64 s[4:5], s[6:7], 2
	s_clause 0x1
	s_load_b128 s[28:31], s[0:1], 0x270
	s_load_b128 s[36:39], s[0:1], 0xd0
	s_add_u32 s33, s3, s4
	s_waitcnt lgkmcnt(0)
	s_barrier
	buffer_gl0_inv
	s_load_b32 s4, s[10:11], 0xc
	v_dual_mov_b32 v1, v3 :: v_dual_lshlrev_b32 v12, 2, v0
	v_mbcnt_lo_u32_b32 v23, -1, 0
	v_cmp_gt_u32_e32 vcc_lo, 32, v0
	s_addc_u32 s35, s9, s5
	s_delay_alu instid0(VALU_DEP_3) | instskip(NEXT) | instid1(VALU_DEP_3)
	v_mad_u64_u32 v[3:4], null, v0, s43, v[1:2]
	v_cmp_gt_i32_e64 s3, 4, v23
	v_dual_mov_b32 v11, 0 :: v_dual_add_nc_u32 v24, 0xc00, v12
	v_cmp_lt_u64_e64 s70, 0x300, s[24:25]
	v_mov_b32_e32 v16, 1
	s_delay_alu instid0(VALU_DEP_4)
	s_and_b32 s47, vcc_lo, s3
	v_lshlrev_b64 v[2:3], 2, v[2:3]
	v_mov_b32_e32 v1, v11
	v_cmp_eq_u32_e64 s1, 0, v23
	v_cmp_gt_u32_e64 s3, 2, v0
	v_dual_mov_b32 v13, v11 :: v_dual_mov_b32 v18, 0
	s_waitcnt lgkmcnt(0)
	s_and_b32 s41, s4, 0xffff
	s_bfe_u32 s5, s4, 0xb0005
	s_add_u32 s71, s41, -1
	s_addc_u32 s72, 0, -1
	v_add_co_u32 v14, vcc_lo, s33, v2
	v_lshrrev_b32_e32 v2, 3, v0
	s_add_u32 s73, s71, s24
	s_addc_u32 s57, s72, s25
	s_cmp_lt_u32 s13, s8
	v_add_co_ci_u32_e32 v15, vcc_lo, s35, v3, vcc_lo
	s_cselect_b32 s6, 12, 18
	v_and_b32_e32 v25, 0x7c, v2
	v_lshlrev_b64 v[2:3], v23, -1
	s_add_u32 s58, s10, s6
	s_addc_u32 s59, s11, 0
	s_add_i32 s6, s5, -1
	s_bfe_u32 s74, s41, 0x30005
	s_cmp_gt_u32 s6, 6
	v_cmp_gt_u64_e64 s0, s[24:25], v[0:1]
	v_not_b32_e32 v26, v2
	s_cselect_b32 s75, -1, 0
	s_and_b32 s76, s5, 0x7f8
	v_cmp_gt_u16_e64 s77, s4, 31
	v_lshlrev_b32_e32 v27, 4, v0
	v_lshl_or_b32 v28, v23, 3, 0xc00
	s_cmp_lg_u32 s74, 0
	s_mov_b32 s55, 0
	s_cselect_b32 s78, -1, 0
	s_lshl_b32 s79, s41, 2
	s_mov_b32 s84, 30
	s_mov_b32 s80, 0
	;; [unrolled: 1-line block ×5, first 2 shown]
                                        ; implicit-def: $sgpr81
                                        ; implicit-def: $sgpr83
                                        ; implicit-def: $sgpr82
                                        ; implicit-def: $sgpr86
                                        ; implicit-def: $sgpr88
                                        ; implicit-def: $sgpr85
	s_branch .LBB93_15
.LBB93_11:                              ;   in Loop: Header=BB93_15 Depth=1
	s_xor_b32 s87, s87, 1
	s_add_i32 s7, s84, -2
	s_cmp_eq_u32 s84, 0
	s_mov_b32 s5, 0
	s_cselect_b32 s6, -1, 0
	s_mov_b32 s84, s7
.LBB93_12:                              ;   in Loop: Header=BB93_15 Depth=1
	s_and_not1_b32 s7, s13, exec_lo
	s_and_b32 s5, s5, exec_lo
	s_and_not1_b32 s19, s19, exec_lo
	s_or_b32 s13, s7, s5
	s_and_not1_b32 s12, s12, exec_lo
	s_or_not1_b32 s15, s6, exec_lo
.LBB93_13:                              ;   in Loop: Header=BB93_15 Depth=1
	s_or_b32 exec_lo, exec_lo, s4
	s_delay_alu instid0(SALU_CYCLE_1)
	s_and_not1_b32 s4, s85, exec_lo
	s_and_b32 s5, s13, exec_lo
	s_and_not1_b32 s6, s86, exec_lo
	s_or_b32 s85, s4, s5
	s_and_not1_b32 s4, s88, exec_lo
	s_and_b32 s5, s19, exec_lo
	s_and_b32 s7, s12, exec_lo
	s_or_b32 s88, s4, s5
	s_or_b32 s86, s6, s7
	s_or_not1_b32 s19, s15, exec_lo
.LBB93_14:                              ;   in Loop: Header=BB93_15 Depth=1
	s_or_b32 exec_lo, exec_lo, s14
	s_delay_alu instid0(SALU_CYCLE_1)
	s_and_b32 s4, exec_lo, s19
	v_mov_b32_e32 v2, s89
	s_or_b32 s80, s4, s80
	s_and_not1_b32 s4, s82, exec_lo
	s_and_b32 s5, s85, exec_lo
	s_and_not1_b32 s6, s81, exec_lo
	s_or_b32 s82, s4, s5
	s_and_not1_b32 s4, s83, exec_lo
	s_and_b32 s5, s88, exec_lo
	s_and_b32 s7, s86, exec_lo
	s_or_b32 s83, s4, s5
	s_or_b32 s81, s6, s7
	s_and_not1_b32 exec_lo, exec_lo, s80
	s_cbranch_execz .LBB93_283
.LBB93_15:                              ; =>This Loop Header: Depth=1
                                        ;     Child Loop BB93_23 Depth 2
                                        ;     Child Loop BB93_41 Depth 2
	;; [unrolled: 1-line block ×16, first 2 shown]
	ds_load_b128 v[2:5], v11 offset:5120
	s_waitcnt lgkmcnt(0)
	v_readfirstlane_b32 s61, v3
	v_readfirstlane_b32 s60, v2
	s_delay_alu instid0(VALU_DEP_1)
	s_cmp_lg_u64 s[60:61], 0
	s_cbranch_scc1 .LBB93_48
; %bb.16:                               ;   in Loop: Header=BB93_15 Depth=1
	s_and_b32 vcc_lo, exec_lo, s70
	s_cbranch_vccz .LBB93_31
; %bb.17:                               ;   in Loop: Header=BB93_15 Depth=1
	v_cmp_gt_u64_e32 vcc_lo, 0x301, v[4:5]
	s_mov_b32 s6, 0
	s_mov_b32 s4, 0
	s_cbranch_vccz .LBB93_32
; %bb.18:                               ;   in Loop: Header=BB93_15 Depth=1
	v_mov_b32_e32 v4, 0
	s_and_saveexec_b32 s4, s0
	s_cbranch_execz .LBB93_20
; %bb.19:                               ;   in Loop: Header=BB93_15 Depth=1
	global_load_b32 v4, v[14:15], off
.LBB93_20:                              ;   in Loop: Header=BB93_15 Depth=1
	s_or_b32 exec_lo, exec_lo, s4
	s_and_saveexec_b32 s7, s0
	s_cbranch_execz .LBB93_33
; %bb.21:                               ;   in Loop: Header=BB93_15 Depth=1
	global_load_u16 v2, v11, s[58:59]
	s_mov_b32 s8, 0
	s_waitcnt vmcnt(0)
	v_and_b32_e32 v5, 0xffff, v2
	v_dual_mov_b32 v3, v1 :: v_dual_mov_b32 v2, v0
	s_branch .LBB93_23
.LBB93_22:                              ;   in Loop: Header=BB93_23 Depth=2
	s_or_b32 exec_lo, exec_lo, s5
	s_waitcnt vmcnt(0)
	v_mov_b32_e32 v4, v6
	s_and_not1_b32 exec_lo, exec_lo, s8
	s_cbranch_execz .LBB93_33
.LBB93_23:                              ;   Parent Loop BB93_15 Depth=1
                                        ; =>  This Inner Loop Header: Depth=2
	s_delay_alu instid0(VALU_DEP_1) | instskip(NEXT) | instid1(VALU_DEP_2)
	v_add_co_u32 v2, vcc_lo, v2, v5
	v_add_co_ci_u32_e32 v3, vcc_lo, 0, v3, vcc_lo
	s_waitcnt lgkmcnt(0)
	v_dual_mov_b32 v7, 0 :: v_dual_mov_b32 v6, 0
	s_mov_b32 s5, exec_lo
	s_delay_alu instid0(VALU_DEP_2)
	v_cmp_le_u64_e32 vcc_lo, s[24:25], v[2:3]
	v_cmpx_gt_u64_e64 s[24:25], v[2:3]
	s_cbranch_execz .LBB93_25
; %bb.24:                               ;   in Loop: Header=BB93_23 Depth=2
	v_mul_lo_u32 v6, v3, s42
	v_mul_lo_u32 v10, v2, s43
	v_mad_u64_u32 v[8:9], null, v2, s42, 0
	s_delay_alu instid0(VALU_DEP_1) | instskip(NEXT) | instid1(VALU_DEP_1)
	v_add3_u32 v9, v9, v10, v6
	v_lshlrev_b64 v[8:9], 2, v[8:9]
	s_delay_alu instid0(VALU_DEP_1) | instskip(NEXT) | instid1(VALU_DEP_1)
	v_add_co_u32 v8, s4, s33, v8
	v_add_co_ci_u32_e64 v9, s4, s35, v9, s4
	global_load_b32 v6, v[8:9], off
.LBB93_25:                              ;   in Loop: Header=BB93_23 Depth=2
	s_or_b32 exec_lo, exec_lo, s5
	v_xor_b32_e32 v8, 0x80000000, v4
	s_delay_alu instid0(VALU_DEP_1) | instskip(NEXT) | instid1(VALU_DEP_1)
	v_and_b32_e32 v8, s90, v8
	v_cmp_eq_u32_e64 s4, s89, v8
	s_delay_alu instid0(VALU_DEP_1) | instskip(SKIP_1) | instid1(SALU_CYCLE_1)
	s_cmp_lg_u32 s4, 0
	s_cselect_b32 s5, -1, 0
	s_and_b32 s5, s1, s5
	s_delay_alu instid0(SALU_CYCLE_1)
	s_and_saveexec_b32 s9, s5
	s_cbranch_execz .LBB93_29
; %bb.26:                               ;   in Loop: Header=BB93_23 Depth=2
	s_mov_b32 s12, exec_lo
	s_bcnt1_i32_b32 s10, s4
	v_mbcnt_lo_u32_b32 v7, s12, 0
	s_mov_b32 s11, exec_lo
                                        ; implicit-def: $vgpr8
	s_delay_alu instid0(VALU_DEP_1)
	v_cmpx_eq_u32_e32 0, v7
	s_cbranch_execz .LBB93_28
; %bb.27:                               ;   in Loop: Header=BB93_23 Depth=2
	s_bcnt1_i32_b32 s5, s12
	s_delay_alu instid0(SALU_CYCLE_1) | instskip(NEXT) | instid1(SALU_CYCLE_1)
	s_mul_i32 s5, s10, s5
	v_mov_b32_e32 v8, s5
	ds_add_rtn_u32 v8, v11, v8 offset:5144
.LBB93_28:                              ;   in Loop: Header=BB93_23 Depth=2
	s_or_b32 exec_lo, exec_lo, s11
	s_waitcnt lgkmcnt(0)
	v_readfirstlane_b32 s5, v8
	s_delay_alu instid0(VALU_DEP_1)
	v_mad_u32_u24 v7, s10, v7, s5
.LBB93_29:                              ;   in Loop: Header=BB93_23 Depth=2
	s_or_b32 exec_lo, exec_lo, s9
	ds_bpermute_b32 v7, v11, v7
	s_and_b32 s5, exec_lo, vcc_lo
	s_delay_alu instid0(SALU_CYCLE_1)
	s_or_b32 s8, s5, s8
	s_and_saveexec_b32 s5, s4
	s_cbranch_execz .LBB93_22
; %bb.30:                               ;   in Loop: Header=BB93_23 Depth=2
	v_and_b32_e32 v8, s4, v26
	s_delay_alu instid0(VALU_DEP_1) | instskip(NEXT) | instid1(VALU_DEP_1)
	v_bcnt_u32_b32 v8, v8, 0
	v_lshlrev_b32_e32 v8, 2, v8
	s_waitcnt lgkmcnt(0)
	s_delay_alu instid0(VALU_DEP_1)
	v_lshl_add_u32 v7, v7, 2, v8
	ds_store_b32 v7, v4
	s_branch .LBB93_22
.LBB93_31:                              ;   in Loop: Header=BB93_15 Depth=1
	s_mov_b32 s4, 0
                                        ; implicit-def: $sgpr60_sgpr61
	s_cbranch_execnz .LBB93_36
	s_branch .LBB93_46
.LBB93_32:                              ;   in Loop: Header=BB93_15 Depth=1
	s_mov_b64 s[60:61], 0
	s_and_b32 vcc_lo, exec_lo, s6
	s_cbranch_vccnz .LBB93_36
	s_branch .LBB93_46
.LBB93_33:                              ;   in Loop: Header=BB93_15 Depth=1
	s_or_b32 exec_lo, exec_lo, s7
	s_waitcnt vmcnt(0) lgkmcnt(0)
	s_barrier
	buffer_gl0_inv
	s_and_saveexec_b32 s4, s2
	s_cbranch_execz .LBB93_35
; %bb.34:                               ;   in Loop: Header=BB93_15 Depth=1
	ds_load_b32 v2, v11 offset:5144
	s_waitcnt lgkmcnt(0)
	v_ashrrev_i32_e32 v3, 31, v2
	ds_store_b64 v11, v[2:3] offset:5120
.LBB93_35:                              ;   in Loop: Header=BB93_15 Depth=1
	s_or_b32 exec_lo, exec_lo, s4
	s_waitcnt lgkmcnt(0)
	s_mov_b32 s4, -1
	s_barrier
	s_mov_b64 s[60:61], 0
	s_and_b32 vcc_lo, exec_lo, s6
	s_cbranch_vccz .LBB93_46
.LBB93_36:                              ;   in Loop: Header=BB93_15 Depth=1
	v_mov_b32_e32 v4, 0
	s_and_saveexec_b32 s4, s0
	s_cbranch_execz .LBB93_38
; %bb.37:                               ;   in Loop: Header=BB93_15 Depth=1
	global_load_b32 v4, v[14:15], off
.LBB93_38:                              ;   in Loop: Header=BB93_15 Depth=1
	s_or_b32 exec_lo, exec_lo, s4
	s_and_saveexec_b32 s5, s0
	s_cbranch_execz .LBB93_43
; %bb.39:                               ;   in Loop: Header=BB93_15 Depth=1
	global_load_u16 v2, v11, s[58:59]
	s_mov_b32 s6, 0
	s_waitcnt vmcnt(0)
	v_dual_mov_b32 v6, v12 :: v_dual_and_b32 v5, 0xffff, v2
	v_dual_mov_b32 v3, v1 :: v_dual_mov_b32 v2, v0
	s_delay_alu instid0(VALU_DEP_2)
	v_lshlrev_b32_e32 v7, 2, v5
	s_set_inst_prefetch_distance 0x1
	s_branch .LBB93_41
	.p2align	6
.LBB93_40:                              ;   in Loop: Header=BB93_41 Depth=2
	s_or_b32 exec_lo, exec_lo, s7
	ds_store_b32 v6, v4
	v_add_nc_u32_e32 v6, v6, v7
	s_waitcnt vmcnt(0)
	v_mov_b32_e32 v4, v8
	s_and_b32 s4, exec_lo, vcc_lo
	s_delay_alu instid0(SALU_CYCLE_1) | instskip(NEXT) | instid1(SALU_CYCLE_1)
	s_or_b32 s6, s4, s6
	s_and_not1_b32 exec_lo, exec_lo, s6
	s_cbranch_execz .LBB93_43
.LBB93_41:                              ;   Parent Loop BB93_15 Depth=1
                                        ; =>  This Inner Loop Header: Depth=2
	s_delay_alu instid0(VALU_DEP_2) | instskip(SKIP_3) | instid1(VALU_DEP_2)
	v_add_co_u32 v2, vcc_lo, v2, v5
	v_add_co_ci_u32_e32 v3, vcc_lo, 0, v3, vcc_lo
	v_mov_b32_e32 v8, 0
	s_mov_b32 s7, exec_lo
	v_cmp_le_u64_e32 vcc_lo, s[24:25], v[2:3]
	v_cmpx_gt_u64_e64 s[24:25], v[2:3]
	s_cbranch_execz .LBB93_40
; %bb.42:                               ;   in Loop: Header=BB93_41 Depth=2
	v_mul_lo_u32 v10, v3, s42
	v_mul_lo_u32 v17, v2, s43
	v_mad_u64_u32 v[8:9], null, v2, s42, 0
	s_delay_alu instid0(VALU_DEP_1) | instskip(NEXT) | instid1(VALU_DEP_1)
	v_add3_u32 v9, v9, v17, v10
	v_lshlrev_b64 v[8:9], 2, v[8:9]
	s_delay_alu instid0(VALU_DEP_1) | instskip(NEXT) | instid1(VALU_DEP_1)
	v_add_co_u32 v8, s4, s33, v8
	v_add_co_ci_u32_e64 v9, s4, s35, v9, s4
	global_load_b32 v8, v[8:9], off
	s_branch .LBB93_40
.LBB93_43:                              ;   in Loop: Header=BB93_15 Depth=1
	s_set_inst_prefetch_distance 0x2
	s_or_b32 exec_lo, exec_lo, s5
	s_waitcnt vmcnt(0) lgkmcnt(0)
	s_barrier
	buffer_gl0_inv
	s_and_saveexec_b32 s4, s2
	s_cbranch_execz .LBB93_45
; %bb.44:                               ;   in Loop: Header=BB93_15 Depth=1
	v_dual_mov_b32 v2, s24 :: v_dual_mov_b32 v3, s25
	ds_store_b64 v11, v[2:3] offset:5120
.LBB93_45:                              ;   in Loop: Header=BB93_15 Depth=1
	s_or_b32 exec_lo, exec_lo, s4
	s_mov_b32 s4, -1
	s_waitcnt lgkmcnt(0)
	s_barrier
                                        ; implicit-def: $sgpr60_sgpr61
.LBB93_46:                              ;   in Loop: Header=BB93_15 Depth=1
	s_and_b32 vcc_lo, exec_lo, s4
	s_cbranch_vccz .LBB93_48
; %bb.47:                               ;   in Loop: Header=BB93_15 Depth=1
	buffer_gl0_inv
	ds_load_b64 v[2:3], v11 offset:5120
	s_waitcnt lgkmcnt(0)
	v_readfirstlane_b32 s60, v2
.LBB93_48:                              ;   in Loop: Header=BB93_15 Depth=1
	s_delay_alu instid0(VALU_DEP_1)
	s_cmp_lt_i32 s60, 1
	s_cbranch_scc0 .LBB93_63
; %bb.49:                               ;   in Loop: Header=BB93_15 Depth=1
	global_load_u16 v17, v11, s[58:59]
	s_mov_b32 s5, s25
	s_waitcnt vmcnt(0)
	v_readfirstlane_b32 s4, v17
	s_delay_alu instid0(VALU_DEP_1)
	s_and_b32 s6, 0xffff, s4
	s_mov_b32 s4, s55
	s_lshl_b32 s54, s6, 2
	s_cmp_lg_u64 s[4:5], 0
	s_cbranch_scc0 .LBB93_83
; %bb.50:                               ;   in Loop: Header=BB93_15 Depth=1
	v_cvt_f32_u32_e32 v2, s54
	s_sub_u32 s6, 0, s54
	s_subb_u32 s7, 0, 0
	s_delay_alu instid0(VALU_DEP_1) | instskip(NEXT) | instid1(VALU_DEP_1)
	v_fmac_f32_e64 v2, 0, 0x4f800000
	v_rcp_f32_e32 v2, v2
	s_waitcnt_depctr 0xfff
	v_mul_f32_e32 v2, 0x5f7ffffc, v2
	s_delay_alu instid0(VALU_DEP_1) | instskip(NEXT) | instid1(VALU_DEP_1)
	v_mul_f32_e32 v3, 0x2f800000, v2
	v_trunc_f32_e32 v3, v3
	s_delay_alu instid0(VALU_DEP_1) | instskip(SKIP_1) | instid1(VALU_DEP_2)
	v_fmac_f32_e32 v2, 0xcf800000, v3
	v_cvt_u32_f32_e32 v3, v3
	v_cvt_u32_f32_e32 v2, v2
	s_delay_alu instid0(VALU_DEP_2) | instskip(NEXT) | instid1(VALU_DEP_2)
	v_readfirstlane_b32 s4, v3
	v_readfirstlane_b32 s5, v2
	s_delay_alu instid0(VALU_DEP_2) | instskip(NEXT) | instid1(VALU_DEP_1)
	s_mul_i32 s8, s6, s4
	s_mul_hi_u32 s10, s6, s5
	s_mul_i32 s9, s7, s5
	s_add_i32 s8, s10, s8
	s_mul_i32 s11, s6, s5
	s_add_i32 s8, s8, s9
	s_mul_hi_u32 s10, s5, s11
	s_mul_hi_u32 s12, s4, s11
	s_mul_i32 s9, s4, s11
	s_mul_hi_u32 s11, s5, s8
	s_mul_i32 s5, s5, s8
	s_mul_hi_u32 s13, s4, s8
	s_add_u32 s5, s10, s5
	s_addc_u32 s10, 0, s11
	s_add_u32 s5, s5, s9
	s_mul_i32 s8, s4, s8
	s_addc_u32 s5, s10, s12
	s_addc_u32 s9, s13, 0
	s_add_u32 s5, s5, s8
	s_addc_u32 s8, 0, s9
	v_add_co_u32 v2, s5, v2, s5
	s_delay_alu instid0(VALU_DEP_1) | instskip(SKIP_1) | instid1(VALU_DEP_1)
	s_cmp_lg_u32 s5, 0
	s_addc_u32 s4, s4, s8
	v_readfirstlane_b32 s5, v2
	s_mul_i32 s8, s6, s4
	s_delay_alu instid0(VALU_DEP_1)
	s_mul_hi_u32 s9, s6, s5
	s_mul_i32 s7, s7, s5
	s_add_i32 s8, s9, s8
	s_mul_i32 s6, s6, s5
	s_add_i32 s8, s8, s7
	s_mul_hi_u32 s9, s4, s6
	s_mul_i32 s10, s4, s6
	s_mul_hi_u32 s6, s5, s6
	s_mul_hi_u32 s11, s5, s8
	s_mul_i32 s5, s5, s8
	s_mul_hi_u32 s7, s4, s8
	s_add_u32 s5, s6, s5
	s_addc_u32 s6, 0, s11
	s_add_u32 s5, s5, s10
	s_mul_i32 s8, s4, s8
	s_addc_u32 s5, s6, s9
	s_addc_u32 s6, s7, 0
	s_add_u32 s5, s5, s8
	s_addc_u32 s6, 0, s6
	v_add_co_u32 v2, s5, v2, s5
	s_delay_alu instid0(VALU_DEP_1) | instskip(SKIP_1) | instid1(VALU_DEP_1)
	s_cmp_lg_u32 s5, 0
	s_addc_u32 s4, s4, s6
	v_readfirstlane_b32 s5, v2
	s_mul_i32 s7, s24, s4
	s_mul_hi_u32 s6, s24, s4
	s_mul_hi_u32 s8, s25, s4
	s_mul_i32 s4, s25, s4
	s_mul_hi_u32 s9, s24, s5
	s_mul_hi_u32 s10, s25, s5
	s_mul_i32 s5, s25, s5
	s_add_u32 s7, s9, s7
	s_addc_u32 s6, 0, s6
	s_add_u32 s5, s7, s5
	s_addc_u32 s5, s6, s10
	s_addc_u32 s6, s8, 0
	s_add_u32 s4, s5, s4
	s_addc_u32 s5, 0, s6
	s_mul_hi_u32 s6, s54, s4
	s_mul_i32 s4, s54, s4
	s_mul_i32 s5, s54, s5
	v_sub_co_u32 v2, s4, s24, s4
	s_add_i32 s6, s6, s5
	s_cmp_lg_u32 s4, 0
	s_delay_alu instid0(VALU_DEP_1) | instskip(SKIP_2) | instid1(VALU_DEP_1)
	v_sub_co_u32 v3, s4, v2, s54
	s_subb_u32 s5, s25, s6
	s_cmp_lg_u32 s4, 0
	v_cmp_le_u32_e32 vcc_lo, s54, v3
	v_sub_co_u32 v4, s4, v3, s54
	s_subb_u32 s6, s5, 0
	s_cmp_lg_u32 s4, 0
	v_cndmask_b32_e64 v5, 0, -1, vcc_lo
	s_subb_u32 s4, s6, 0
	s_cmp_eq_u32 s6, 0
	v_mov_b32_e32 v7, s4
	s_cselect_b32 vcc_lo, -1, 0
	s_cmp_eq_u32 s5, 0
	v_cndmask_b32_e32 v5, -1, v5, vcc_lo
	v_cmp_le_u32_e32 vcc_lo, s54, v2
	s_cselect_b32 s4, -1, 0
	v_cndmask_b32_e64 v6, 0, -1, vcc_lo
	s_delay_alu instid0(VALU_DEP_3) | instskip(NEXT) | instid1(VALU_DEP_2)
	v_cmp_ne_u32_e32 vcc_lo, 0, v5
	v_cndmask_b32_e64 v5, -1, v6, s4
	v_cndmask_b32_e32 v6, s6, v7, vcc_lo
	v_cndmask_b32_e32 v4, v3, v4, vcc_lo
	s_delay_alu instid0(VALU_DEP_3) | instskip(NEXT) | instid1(VALU_DEP_3)
	v_cmp_ne_u32_e32 vcc_lo, 0, v5
	v_cndmask_b32_e32 v3, s5, v6, vcc_lo
	s_delay_alu instid0(VALU_DEP_3)
	v_cndmask_b32_e32 v2, v2, v4, vcc_lo
	s_cbranch_execnz .LBB93_52
.LBB93_51:                              ;   in Loop: Header=BB93_15 Depth=1
	v_cvt_f32_u32_e32 v2, s54
	s_sub_i32 s4, 0, s54
	s_delay_alu instid0(VALU_DEP_1) | instskip(SKIP_2) | instid1(VALU_DEP_1)
	v_rcp_iflag_f32_e32 v2, v2
	s_waitcnt_depctr 0xfff
	v_mul_f32_e32 v2, 0x4f7ffffe, v2
	v_cvt_u32_f32_e32 v2, v2
	s_delay_alu instid0(VALU_DEP_1) | instskip(NEXT) | instid1(VALU_DEP_1)
	v_mul_lo_u32 v3, s4, v2
	v_mul_hi_u32 v3, v2, v3
	s_delay_alu instid0(VALU_DEP_1) | instskip(NEXT) | instid1(VALU_DEP_1)
	v_add_nc_u32_e32 v2, v2, v3
	v_mul_hi_u32 v2, s24, v2
	s_delay_alu instid0(VALU_DEP_1) | instskip(NEXT) | instid1(VALU_DEP_1)
	v_mul_lo_u32 v2, v2, s54
	v_sub_nc_u32_e32 v2, s24, v2
	s_delay_alu instid0(VALU_DEP_1) | instskip(SKIP_1) | instid1(VALU_DEP_2)
	v_subrev_nc_u32_e32 v3, s54, v2
	v_cmp_le_u32_e32 vcc_lo, s54, v2
	v_cndmask_b32_e32 v2, v2, v3, vcc_lo
	s_delay_alu instid0(VALU_DEP_1) | instskip(SKIP_1) | instid1(VALU_DEP_2)
	v_subrev_nc_u32_e32 v3, s54, v2
	v_cmp_le_u32_e32 vcc_lo, s54, v2
	v_cndmask_b32_e32 v10, v2, v3, vcc_lo
	s_delay_alu instid0(VALU_DEP_1)
	v_dual_mov_b32 v2, v10 :: v_dual_mov_b32 v3, v11
.LBB93_52:                              ;   in Loop: Header=BB93_15 Depth=1
	s_delay_alu instid0(VALU_DEP_1) | instskip(NEXT) | instid1(VALU_DEP_2)
	v_sub_co_u32 v19, vcc_lo, s24, v2
	v_sub_co_ci_u32_e32 v20, vcc_lo, s25, v3, vcc_lo
	v_mov_b32_e32 v2, 0
	v_mov_b32_e32 v3, 0
	s_mov_b64 s[22:23], 0
	s_mov_b32 s56, exec_lo
	s_delay_alu instid0(VALU_DEP_1)
	v_dual_mov_b32 v5, v3 :: v_dual_mov_b32 v4, v2
	v_dual_mov_b32 v7, v3 :: v_dual_mov_b32 v6, v2
	;; [unrolled: 1-line block ×3, first 2 shown]
	v_cmpx_gt_u64_e64 v[19:20], v[12:13]
	s_cbranch_execz .LBB93_56
; %bb.53:                               ;   in Loop: Header=BB93_15 Depth=1
	v_dual_mov_b32 v22, v13 :: v_dual_mov_b32 v21, v12
	s_and_b32 s68, s84, 0xfe
	s_mov_b32 s61, 0
	s_mov_b64 s[62:63], 0
	s_mov_b64 s[64:65], 0
	;; [unrolled: 1-line block ×3, first 2 shown]
.LBB93_54:                              ;   Parent Loop BB93_15 Depth=1
                                        ; =>  This Inner Loop Header: Depth=2
	v_mul_lo_u32 v4, v22, s42
	v_mul_lo_u32 v5, v21, s43
	v_mad_u64_u32 v[2:3], null, v21, s42, 0
	s_lshl_b64 s[4:5], s[42:43], 2
	s_delay_alu instid0(VALU_DEP_1) | instskip(NEXT) | instid1(VALU_DEP_1)
	v_add3_u32 v3, v3, v5, v4
	v_lshlrev_b64 v[2:3], 2, v[2:3]
	s_delay_alu instid0(VALU_DEP_1) | instskip(NEXT) | instid1(VALU_DEP_2)
	v_add_co_u32 v2, vcc_lo, s33, v2
	v_add_co_ci_u32_e32 v3, vcc_lo, s35, v3, vcc_lo
	s_delay_alu instid0(VALU_DEP_2) | instskip(NEXT) | instid1(VALU_DEP_2)
	v_add_co_u32 v4, vcc_lo, v2, s4
	v_add_co_ci_u32_e32 v5, vcc_lo, s5, v3, vcc_lo
	global_load_b32 v6, v[2:3], off
	v_add_co_u32 v2, vcc_lo, v4, s4
	v_add_co_ci_u32_e32 v3, vcc_lo, s5, v5, vcc_lo
	s_clause 0x1
	global_load_b32 v4, v[4:5], off
	global_load_b32 v5, v[2:3], off
	v_add_co_u32 v2, vcc_lo, v2, s4
	v_add_co_ci_u32_e32 v3, vcc_lo, s5, v3, vcc_lo
	v_add_co_u32 v21, vcc_lo, v21, s54
	v_add_co_ci_u32_e32 v22, vcc_lo, 0, v22, vcc_lo
	global_load_b32 v2, v[2:3], off
	v_cmp_ge_u64_e32 vcc_lo, v[21:22], v[19:20]
	s_waitcnt vmcnt(3)
	v_xor_b32_e32 v3, 0x80000000, v6
	s_delay_alu instid0(VALU_DEP_1)
	v_and_b32_e32 v6, s90, v3
	s_waitcnt vmcnt(2)
	v_xor_b32_e32 v4, 0x80000000, v4
	v_bfe_u32 v3, v3, s68, 2
	s_waitcnt vmcnt(1)
	v_xor_b32_e32 v5, 0x80000000, v5
	v_cmp_eq_u32_e64 s4, s89, v6
	v_and_b32_e32 v6, s90, v4
	v_bfe_u32 v4, v4, s68, 2
	v_cmp_eq_u32_e64 s5, 0, v3
	v_cmp_eq_u32_e64 s6, 1, v3
	;; [unrolled: 1-line block ×4, first 2 shown]
	s_waitcnt vmcnt(0)
	v_xor_b32_e32 v2, 0x80000000, v2
	v_and_b32_e32 v3, s90, v5
	v_cmp_eq_u32_e64 s9, s89, v6
	v_bfe_u32 v5, v5, s68, 2
	v_cmp_eq_u32_e64 s10, 0, v4
	s_and_b32 s5, s4, s5
	v_cmp_eq_u32_e64 s13, s89, v3
	v_cndmask_b32_e64 v6, 0, 1, s5
	v_and_b32_e32 v3, s90, v2
	v_bfe_u32 v2, v2, s68, 2
	v_cmp_eq_u32_e64 s14, 0, v5
	s_and_b32 s10, s9, s10
	v_cmp_eq_u32_e64 s5, 1, v4
	v_cmp_eq_u32_e64 s11, 2, v4
	;; [unrolled: 1-line block ×3, first 2 shown]
	v_cmp_ne_u32_e64 s15, 0, v6
	v_cndmask_b32_e64 v4, 0, 1, s10
	v_cmp_eq_u32_e64 s18, s89, v3
	v_cmp_eq_u32_e64 s19, 0, v2
	s_and_b32 s14, s13, s14
	s_bcnt1_i32_b32 s69, s15
	v_cmp_ne_u32_e64 s15, 0, v4
	v_cndmask_b32_e64 v3, 0, 1, s14
	s_and_b32 s19, s18, s19
	v_cmp_eq_u32_e64 s14, 1, v2
	v_cmp_eq_u32_e64 s20, 2, v2
	;; [unrolled: 1-line block ×3, first 2 shown]
	v_cndmask_b32_e64 v2, 0, 1, s19
	s_bcnt1_i32_b32 s19, s15
	v_cmp_ne_u32_e64 s15, 0, v3
	s_add_i32 s69, s19, s69
	v_cmp_eq_u32_e64 s10, 1, v5
	v_cmp_ne_u32_e64 s19, 0, v2
	v_cmp_eq_u32_e64 s16, 2, v5
	s_bcnt1_i32_b32 s15, s15
	v_cmp_eq_u32_e64 s17, 3, v5
	s_add_i32 s15, s69, s15
	s_bcnt1_i32_b32 s19, s19
	s_delay_alu instid0(SALU_CYCLE_1) | instskip(NEXT) | instid1(SALU_CYCLE_1)
	s_add_i32 s15, s15, s19
	s_add_u32 s66, s66, s15
	s_addc_u32 s67, s67, 0
	s_and_b32 s6, s4, s6
	s_and_b32 s5, s9, s5
	v_cndmask_b32_e64 v2, 0, 1, s6
	v_cndmask_b32_e64 v3, 0, 1, s5
	s_and_b32 s5, s13, s10
	s_delay_alu instid0(SALU_CYCLE_1) | instskip(SKIP_1) | instid1(VALU_DEP_2)
	v_cndmask_b32_e64 v4, 0, 1, s5
	s_and_b32 s5, s18, s14
	v_cmp_ne_u32_e64 s6, 0, v3
	v_cndmask_b32_e64 v5, 0, 1, s5
	v_cmp_ne_u32_e64 s5, 0, v2
	v_cmp_ne_u32_e64 s10, 0, v4
	s_delay_alu instid0(VALU_DEP_4) | instskip(NEXT) | instid1(VALU_DEP_3)
	s_bcnt1_i32_b32 s6, s6
	v_cmp_ne_u32_e64 s14, 0, v5
	s_delay_alu instid0(VALU_DEP_3) | instskip(NEXT) | instid1(VALU_DEP_2)
	s_bcnt1_i32_b32 s5, s5
	s_bcnt1_i32_b32 s10, s10
	s_add_i32 s5, s6, s5
	s_delay_alu instid0(VALU_DEP_1) | instskip(SKIP_1) | instid1(SALU_CYCLE_1)
	s_bcnt1_i32_b32 s14, s14
	s_add_i32 s5, s5, s10
	s_add_i32 s5, s5, s14
	s_delay_alu instid0(SALU_CYCLE_1) | instskip(SKIP_2) | instid1(SALU_CYCLE_1)
	s_add_u32 s64, s64, s5
	s_addc_u32 s65, s65, 0
	s_and_b32 s5, s4, s7
	v_cndmask_b32_e64 v2, 0, 1, s5
	s_and_b32 s5, s9, s11
	s_delay_alu instid0(SALU_CYCLE_1) | instskip(SKIP_1) | instid1(SALU_CYCLE_1)
	v_cndmask_b32_e64 v3, 0, 1, s5
	s_and_b32 s5, s13, s16
	v_cndmask_b32_e64 v4, 0, 1, s5
	s_and_b32 s5, s18, s20
	s_delay_alu instid0(VALU_DEP_2) | instskip(SKIP_3) | instid1(VALU_DEP_4)
	v_cmp_ne_u32_e64 s6, 0, v3
	v_cndmask_b32_e64 v5, 0, 1, s5
	v_cmp_ne_u32_e64 s5, 0, v2
	v_cmp_ne_u32_e64 s7, 0, v4
	s_bcnt1_i32_b32 s6, s6
	s_delay_alu instid0(VALU_DEP_3) | instskip(NEXT) | instid1(VALU_DEP_3)
	v_cmp_ne_u32_e64 s10, 0, v5
	s_bcnt1_i32_b32 s5, s5
	s_delay_alu instid0(VALU_DEP_2) | instskip(SKIP_1) | instid1(VALU_DEP_1)
	s_bcnt1_i32_b32 s7, s7
	s_add_i32 s5, s6, s5
	s_bcnt1_i32_b32 s10, s10
	s_add_i32 s5, s5, s7
	s_delay_alu instid0(SALU_CYCLE_1) | instskip(NEXT) | instid1(SALU_CYCLE_1)
	s_add_i32 s5, s5, s10
	s_add_u32 s62, s62, s5
	s_addc_u32 s63, s63, 0
	v_mov_b32_e32 v6, s62
	s_and_b32 s4, s4, s8
	v_mov_b32_e32 v7, s63
	v_cndmask_b32_e64 v2, 0, 1, s4
	s_and_b32 s4, s9, s12
	s_delay_alu instid0(SALU_CYCLE_1) | instskip(SKIP_1) | instid1(SALU_CYCLE_1)
	v_cndmask_b32_e64 v3, 0, 1, s4
	s_and_b32 s4, s13, s17
	v_cndmask_b32_e64 v4, 0, 1, s4
	s_and_b32 s4, s18, s21
	s_delay_alu instid0(VALU_DEP_2)
	v_cmp_ne_u32_e64 s5, 0, v3
	v_cndmask_b32_e64 v5, 0, 1, s4
	v_cmp_ne_u32_e64 s4, 0, v2
	v_cmp_ne_u32_e64 s6, 0, v4
	v_mov_b32_e32 v2, s66
	s_bcnt1_i32_b32 s5, s5
	v_cmp_ne_u32_e64 s7, 0, v5
	s_bcnt1_i32_b32 s4, s4
	s_bcnt1_i32_b32 s6, s6
	s_add_i32 s4, s5, s4
	v_mov_b32_e32 v4, s64
	s_bcnt1_i32_b32 s5, s7
	s_add_i32 s4, s4, s6
	v_mov_b32_e32 v3, s67
	s_add_i32 s4, s4, s5
	v_mov_b32_e32 v5, s65
	s_add_u32 s22, s22, s4
	s_addc_u32 s23, s23, 0
	s_delay_alu instid0(SALU_CYCLE_1) | instskip(SKIP_1) | instid1(SALU_CYCLE_1)
	v_dual_mov_b32 v8, s22 :: v_dual_mov_b32 v9, s23
	s_or_b32 s61, vcc_lo, s61
	s_and_not1_b32 exec_lo, exec_lo, s61
	s_cbranch_execnz .LBB93_54
; %bb.55:                               ;   in Loop: Header=BB93_15 Depth=1
	s_or_b32 exec_lo, exec_lo, s61
.LBB93_56:                              ;   in Loop: Header=BB93_15 Depth=1
	s_delay_alu instid0(SALU_CYCLE_1) | instskip(SKIP_3) | instid1(VALU_DEP_2)
	s_or_b32 exec_lo, exec_lo, s56
	v_add_co_u32 v19, vcc_lo, v19, v0
	v_add_co_ci_u32_e32 v20, vcc_lo, 0, v20, vcc_lo
	v_dual_mov_b32 v21, 0 :: v_dual_and_b32 v10, 0xffff, v17
	v_cmp_gt_u64_e32 vcc_lo, s[24:25], v[19:20]
	s_and_saveexec_b32 s5, vcc_lo
	s_cbranch_execz .LBB93_58
; %bb.57:                               ;   in Loop: Header=BB93_15 Depth=1
	v_mul_lo_u32 v17, v20, s42
	v_mul_lo_u32 v29, v19, s43
	v_mad_u64_u32 v[21:22], null, v19, s42, 0
	s_delay_alu instid0(VALU_DEP_1) | instskip(NEXT) | instid1(VALU_DEP_1)
	v_add3_u32 v22, v22, v29, v17
	v_lshlrev_b64 v[21:22], 2, v[21:22]
	s_delay_alu instid0(VALU_DEP_1) | instskip(NEXT) | instid1(VALU_DEP_1)
	v_add_co_u32 v21, s4, s33, v21
	v_add_co_ci_u32_e64 v22, s4, s35, v22, s4
	global_load_b32 v21, v[21:22], off
.LBB93_58:                              ;   in Loop: Header=BB93_15 Depth=1
	s_or_b32 exec_lo, exec_lo, s5
	s_and_saveexec_b32 s7, vcc_lo
	s_cbranch_execz .LBB93_65
; %bb.59:                               ;   in Loop: Header=BB93_15 Depth=1
	s_and_b32 s9, s84, 0xfe
	s_mov_b32 s8, 0
	s_branch .LBB93_61
.LBB93_60:                              ;   in Loop: Header=BB93_61 Depth=2
	s_or_b32 exec_lo, exec_lo, s5
	s_waitcnt vmcnt(0)
	v_xor_b32_e32 v21, 0x80000000, v21
	s_and_b32 s6, exec_lo, vcc_lo
	s_delay_alu instid0(SALU_CYCLE_1) | instskip(NEXT) | instid1(VALU_DEP_1)
	s_or_b32 s8, s6, s8
	v_and_b32_e32 v22, s90, v21
	v_bfe_u32 v21, v21, s9, 2
	s_delay_alu instid0(VALU_DEP_2) | instskip(NEXT) | instid1(VALU_DEP_2)
	v_cmp_eq_u32_e64 s4, s89, v22
	v_cmp_eq_u32_e64 s5, 0, v21
	v_cmp_eq_u32_e32 vcc_lo, 1, v21
	v_cmp_eq_u32_e64 s6, 2, v21
	s_delay_alu instid0(VALU_DEP_3) | instskip(NEXT) | instid1(SALU_CYCLE_1)
	s_and_b32 s5, s4, s5
	v_cndmask_b32_e64 v22, 0, 1, s5
	s_and_b32 s5, s4, vcc_lo
	v_cmp_eq_u32_e32 vcc_lo, 3, v21
	v_cndmask_b32_e64 v29, 0, 1, s5
	s_and_b32 s5, s4, s6
	s_delay_alu instid0(SALU_CYCLE_1) | instskip(SKIP_1) | instid1(VALU_DEP_3)
	v_cndmask_b32_e64 v21, 0, 1, s5
	v_cmp_ne_u32_e64 s5, 0, v22
	v_cmp_ne_u32_e64 s6, 0, v29
	s_and_b32 s4, s4, vcc_lo
	s_delay_alu instid0(SALU_CYCLE_1) | instskip(NEXT) | instid1(VALU_DEP_3)
	v_cndmask_b32_e64 v22, 0, 1, s4
	s_bcnt1_i32_b32 s4, s5
	v_cmp_ne_u32_e32 vcc_lo, 0, v21
	v_mov_b32_e32 v21, v17
	v_add_co_u32 v2, s4, v2, s4
	s_bcnt1_i32_b32 s5, s6
	v_add_co_ci_u32_e64 v3, s4, 0, v3, s4
	v_add_co_u32 v4, s4, v4, s5
	s_delay_alu instid0(VALU_DEP_1) | instskip(SKIP_3) | instid1(VALU_DEP_1)
	v_add_co_ci_u32_e64 v5, s4, 0, v5, s4
	s_bcnt1_i32_b32 s4, vcc_lo
	v_cmp_ne_u32_e32 vcc_lo, 0, v22
	v_add_co_u32 v6, s4, v6, s4
	v_add_co_ci_u32_e64 v7, s4, 0, v7, s4
	s_bcnt1_i32_b32 s4, vcc_lo
	s_delay_alu instid0(SALU_CYCLE_1)
	v_add_co_u32 v8, vcc_lo, v8, s4
	v_add_co_ci_u32_e32 v9, vcc_lo, 0, v9, vcc_lo
	s_and_not1_b32 exec_lo, exec_lo, s8
	s_cbranch_execz .LBB93_64
.LBB93_61:                              ;   Parent Loop BB93_15 Depth=1
                                        ; =>  This Inner Loop Header: Depth=2
	v_add_co_u32 v19, vcc_lo, v19, v10
	v_add_co_ci_u32_e32 v20, vcc_lo, 0, v20, vcc_lo
	v_mov_b32_e32 v17, 0
	s_mov_b32 s5, exec_lo
	s_delay_alu instid0(VALU_DEP_2)
	v_cmp_le_u64_e32 vcc_lo, s[24:25], v[19:20]
	v_cmpx_gt_u64_e64 s[24:25], v[19:20]
	s_cbranch_execz .LBB93_60
; %bb.62:                               ;   in Loop: Header=BB93_61 Depth=2
	v_mul_lo_u32 v17, v20, s42
	v_mul_lo_u32 v22, v19, s43
	v_mad_u64_u32 v[29:30], null, v19, s42, 0
	s_delay_alu instid0(VALU_DEP_1) | instskip(NEXT) | instid1(VALU_DEP_1)
	v_add3_u32 v30, v30, v22, v17
	v_lshlrev_b64 v[29:30], 2, v[29:30]
	s_delay_alu instid0(VALU_DEP_1) | instskip(NEXT) | instid1(VALU_DEP_1)
	v_add_co_u32 v29, s4, s33, v29
	v_add_co_ci_u32_e64 v30, s4, s35, v30, s4
	global_load_b32 v17, v[29:30], off
	s_branch .LBB93_60
.LBB93_63:                              ;   in Loop: Header=BB93_15 Depth=1
                                        ; implicit-def: $vgpr8_vgpr9
                                        ; implicit-def: $vgpr4_vgpr5
	s_cbranch_execnz .LBB93_66
	s_branch .LBB93_75
.LBB93_64:                              ;   in Loop: Header=BB93_15 Depth=1
	s_or_b32 exec_lo, exec_lo, s8
.LBB93_65:                              ;   in Loop: Header=BB93_15 Depth=1
	s_delay_alu instid0(SALU_CYCLE_1)
	s_or_b32 exec_lo, exec_lo, s7
	s_branch .LBB93_75
.LBB93_66:                              ;   in Loop: Header=BB93_15 Depth=1
	global_load_u16 v8, v11, s[58:59]
	s_mov_b64 s[62:63], 0
	s_mov_b32 s61, exec_lo
	s_waitcnt vmcnt(0)
	v_readfirstlane_b32 s4, v8
	v_and_b32_e32 v17, 0xffff, v8
	s_delay_alu instid0(VALU_DEP_2) | instskip(NEXT) | instid1(SALU_CYCLE_1)
	s_and_b32 s4, 0xffff, s4
	s_lshl_b32 s56, s4, 2
	s_delay_alu instid0(SALU_CYCLE_1) | instskip(SKIP_1) | instid1(VALU_DEP_1)
	v_cvt_f32_u32_e32 v2, s56
	s_sub_i32 s5, 0, s56
	v_rcp_iflag_f32_e32 v2, v2
	s_waitcnt_depctr 0xfff
	v_mul_f32_e32 v2, 0x4f7ffffe, v2
	s_delay_alu instid0(VALU_DEP_1) | instskip(NEXT) | instid1(VALU_DEP_1)
	v_cvt_u32_f32_e32 v2, v2
	v_readfirstlane_b32 s4, v2
	v_mov_b32_e32 v2, 0
	v_mov_b32_e32 v3, 0
	s_delay_alu instid0(VALU_DEP_3) | instskip(NEXT) | instid1(VALU_DEP_1)
	s_mul_i32 s5, s5, s4
	v_dual_mov_b32 v5, v3 :: v_dual_mov_b32 v4, v2
	s_mul_hi_u32 s5, s4, s5
	v_dual_mov_b32 v7, v3 :: v_dual_mov_b32 v6, v2
	s_add_i32 s4, s4, s5
	v_dual_mov_b32 v9, v3 :: v_dual_mov_b32 v8, v2
	s_mul_hi_u32 s4, s60, s4
	s_delay_alu instid0(SALU_CYCLE_1) | instskip(NEXT) | instid1(SALU_CYCLE_1)
	s_mul_i32 s4, s4, s56
	s_sub_i32 s4, s60, s4
	s_delay_alu instid0(SALU_CYCLE_1) | instskip(SKIP_2) | instid1(SALU_CYCLE_1)
	s_sub_i32 s5, s4, s56
	s_cmp_ge_u32 s4, s56
	s_cselect_b32 s4, s5, s4
	s_sub_i32 s5, s4, s56
	s_cmp_ge_u32 s4, s56
	s_cselect_b32 s4, s5, s4
	s_delay_alu instid0(SALU_CYCLE_1) | instskip(NEXT) | instid1(SALU_CYCLE_1)
	s_sub_i32 s54, s60, s4
	v_cmpx_gt_u32_e64 s54, v12
	s_cbranch_execz .LBB93_70
; %bb.67:                               ;   in Loop: Header=BB93_15 Depth=1
	v_dual_mov_b32 v21, v27 :: v_dual_lshlrev_b32 v10, 4, v17
	v_dual_mov_b32 v20, v13 :: v_dual_mov_b32 v19, v12
	s_and_b32 s91, s84, 0xfe
	s_mov_b32 s92, 0
	s_mov_b64 s[64:65], 0
	s_mov_b64 s[66:67], 0
	;; [unrolled: 1-line block ×3, first 2 shown]
.LBB93_68:                              ;   Parent Loop BB93_15 Depth=1
                                        ; =>  This Inner Loop Header: Depth=2
	ds_load_b128 v[2:5], v21
	v_add_co_u32 v19, vcc_lo, v19, s56
	v_add_co_ci_u32_e32 v20, vcc_lo, 0, v20, vcc_lo
	s_delay_alu instid0(VALU_DEP_1)
	v_cmp_le_u64_e32 vcc_lo, s[54:55], v[19:20]
	s_waitcnt lgkmcnt(0)
	v_xor_b32_e32 v2, 0x80000000, v2
	v_xor_b32_e32 v3, 0x80000000, v3
	;; [unrolled: 1-line block ×4, first 2 shown]
	s_delay_alu instid0(VALU_DEP_4)
	v_and_b32_e32 v6, s90, v2
	v_bfe_u32 v2, v2, s91, 2
	v_and_b32_e32 v7, s90, v3
	v_bfe_u32 v3, v3, s91, 2
	;; [unrolled: 2-line block ×3, first 2 shown]
	v_cmp_eq_u32_e64 s4, s89, v6
	v_cmp_eq_u32_e64 s8, 0, v2
	v_and_b32_e32 v9, s90, v5
	v_bfe_u32 v5, v5, s91, 2
	v_cmp_eq_u32_e64 s5, s89, v7
	v_cmp_eq_u32_e64 s9, 0, v3
	;; [unrolled: 1-line block ×4, first 2 shown]
	s_and_b32 s8, s4, s8
	v_cmp_eq_u32_e64 s7, s89, v9
	v_cmp_eq_u32_e64 s11, 0, v5
	;; [unrolled: 1-line block ×5, first 2 shown]
	v_cndmask_b32_e64 v2, 0, 1, s8
	s_and_b32 s8, s5, s9
	v_cmp_eq_u32_e64 s13, 1, v3
	v_cmp_eq_u32_e64 s17, 2, v3
	v_cmp_eq_u32_e64 s21, 3, v3
	v_cndmask_b32_e64 v3, 0, 1, s8
	s_and_b32 s8, s6, s10
	v_cmp_eq_u32_e64 s14, 1, v4
	v_cmp_eq_u32_e64 s18, 2, v4
	v_cmp_eq_u32_e64 s22, 3, v4
	;; [unrolled: 5-line block ×3, first 2 shown]
	v_cndmask_b32_e64 v5, 0, 1, s8
	v_cmp_ne_u32_e64 s8, 0, v2
	v_cmp_ne_u32_e64 s9, 0, v3
	;; [unrolled: 1-line block ×3, first 2 shown]
	s_delay_alu instid0(VALU_DEP_4) | instskip(NEXT) | instid1(VALU_DEP_4)
	v_cmp_ne_u32_e64 s11, 0, v5
	s_bcnt1_i32_b32 s8, s8
	s_delay_alu instid0(VALU_DEP_3) | instskip(NEXT) | instid1(VALU_DEP_2)
	s_bcnt1_i32_b32 s9, s9
	s_bcnt1_i32_b32 s10, s10
	s_add_i32 s8, s9, s8
	s_bcnt1_i32_b32 s11, s11
	s_add_i32 s8, s8, s10
	s_delay_alu instid0(SALU_CYCLE_1) | instskip(NEXT) | instid1(SALU_CYCLE_1)
	s_add_i32 s8, s8, s11
	s_add_u32 s68, s68, s8
	s_addc_u32 s69, s69, 0
	s_and_b32 s8, s4, s12
	v_add_nc_u32_e32 v21, v21, v10
	v_cndmask_b32_e64 v2, 0, 1, s8
	s_and_b32 s8, s5, s13
	s_delay_alu instid0(SALU_CYCLE_1) | instskip(SKIP_1) | instid1(SALU_CYCLE_1)
	v_cndmask_b32_e64 v3, 0, 1, s8
	s_and_b32 s8, s6, s14
	v_cndmask_b32_e64 v4, 0, 1, s8
	s_and_b32 s8, s7, s15
	s_delay_alu instid0(VALU_DEP_2) | instskip(SKIP_3) | instid1(VALU_DEP_4)
	v_cmp_ne_u32_e64 s9, 0, v3
	v_cndmask_b32_e64 v5, 0, 1, s8
	v_cmp_ne_u32_e64 s8, 0, v2
	v_cmp_ne_u32_e64 s10, 0, v4
	s_bcnt1_i32_b32 s9, s9
	s_delay_alu instid0(VALU_DEP_3) | instskip(NEXT) | instid1(VALU_DEP_3)
	v_cmp_ne_u32_e64 s11, 0, v5
	s_bcnt1_i32_b32 s8, s8
	s_delay_alu instid0(VALU_DEP_2) | instskip(SKIP_1) | instid1(VALU_DEP_1)
	s_bcnt1_i32_b32 s10, s10
	s_add_i32 s8, s9, s8
	s_bcnt1_i32_b32 s11, s11
	s_add_i32 s8, s8, s10
	s_delay_alu instid0(SALU_CYCLE_1) | instskip(NEXT) | instid1(SALU_CYCLE_1)
	s_add_i32 s8, s8, s11
	s_add_u32 s66, s66, s8
	s_addc_u32 s67, s67, 0
	s_and_b32 s8, s4, s16
	s_delay_alu instid0(SALU_CYCLE_1) | instskip(SKIP_1) | instid1(SALU_CYCLE_1)
	v_cndmask_b32_e64 v2, 0, 1, s8
	s_and_b32 s8, s5, s17
	v_cndmask_b32_e64 v3, 0, 1, s8
	s_and_b32 s8, s6, s18
	s_delay_alu instid0(SALU_CYCLE_1) | instskip(SKIP_1) | instid1(VALU_DEP_2)
	v_cndmask_b32_e64 v4, 0, 1, s8
	s_and_b32 s8, s7, s19
	v_cmp_ne_u32_e64 s9, 0, v3
	v_cndmask_b32_e64 v5, 0, 1, s8
	v_cmp_ne_u32_e64 s8, 0, v2
	v_cmp_ne_u32_e64 s10, 0, v4
	s_delay_alu instid0(VALU_DEP_4) | instskip(NEXT) | instid1(VALU_DEP_3)
	s_bcnt1_i32_b32 s9, s9
	v_cmp_ne_u32_e64 s11, 0, v5
	s_delay_alu instid0(VALU_DEP_3) | instskip(NEXT) | instid1(VALU_DEP_2)
	s_bcnt1_i32_b32 s8, s8
	s_bcnt1_i32_b32 s10, s10
	s_add_i32 s8, s9, s8
	s_delay_alu instid0(VALU_DEP_1) | instskip(SKIP_1) | instid1(SALU_CYCLE_1)
	s_bcnt1_i32_b32 s11, s11
	s_add_i32 s8, s8, s10
	s_add_i32 s8, s8, s11
	s_delay_alu instid0(SALU_CYCLE_1)
	s_add_u32 s64, s64, s8
	s_addc_u32 s65, s65, 0
	s_and_b32 s4, s4, s20
	v_mov_b32_e32 v6, s64
	v_cndmask_b32_e64 v2, 0, 1, s4
	s_and_b32 s4, s5, s21
	s_delay_alu instid0(SALU_CYCLE_1) | instskip(SKIP_1) | instid1(SALU_CYCLE_1)
	v_cndmask_b32_e64 v3, 0, 1, s4
	s_and_b32 s4, s6, s22
	v_cndmask_b32_e64 v4, 0, 1, s4
	s_and_b32 s4, s7, s23
	s_delay_alu instid0(VALU_DEP_2)
	v_cmp_ne_u32_e64 s5, 0, v3
	v_cndmask_b32_e64 v5, 0, 1, s4
	v_cmp_ne_u32_e64 s4, 0, v2
	v_mov_b32_e32 v2, s68
	v_cmp_ne_u32_e64 s6, 0, v4
	s_bcnt1_i32_b32 s5, s5
	v_cmp_ne_u32_e64 s7, 0, v5
	s_bcnt1_i32_b32 s4, s4
	v_mov_b32_e32 v4, s66
	s_bcnt1_i32_b32 s6, s6
	s_add_i32 s4, s5, s4
	s_bcnt1_i32_b32 s5, s7
	s_add_i32 s4, s4, s6
	v_mov_b32_e32 v3, s69
	s_add_i32 s4, s4, s5
	v_mov_b32_e32 v5, s67
	s_add_u32 s62, s62, s4
	s_addc_u32 s63, s63, 0
	v_dual_mov_b32 v7, s65 :: v_dual_mov_b32 v8, s62
	v_mov_b32_e32 v9, s63
	s_or_b32 s92, vcc_lo, s92
	s_delay_alu instid0(SALU_CYCLE_1)
	s_and_not1_b32 exec_lo, exec_lo, s92
	s_cbranch_execnz .LBB93_68
; %bb.69:                               ;   in Loop: Header=BB93_15 Depth=1
	s_or_b32 exec_lo, exec_lo, s92
.LBB93_70:                              ;   in Loop: Header=BB93_15 Depth=1
	s_delay_alu instid0(SALU_CYCLE_1) | instskip(SKIP_2) | instid1(VALU_DEP_1)
	s_or_b32 exec_lo, exec_lo, s61
	v_add_nc_u32_e32 v10, s54, v0
	s_mov_b32 s9, exec_lo
	v_cmpx_gt_u32_e64 s60, v10
	s_cbranch_execz .LBB93_74
; %bb.71:                               ;   in Loop: Header=BB93_15 Depth=1
	v_dual_mov_b32 v20, v11 :: v_dual_lshlrev_b32 v21, 2, v10
	v_mov_b32_e32 v19, v10
	s_mov_b32 s11, 0
	s_and_b32 s10, s60, 0x7fffffff
	s_and_b32 s13, s84, 0xfe
	s_mov_b32 s12, s11
.LBB93_72:                              ;   Parent Loop BB93_15 Depth=1
                                        ; =>  This Inner Loop Header: Depth=2
	ds_load_b32 v10, v21
	v_add_co_u32 v19, vcc_lo, v19, v17
	v_add_co_ci_u32_e32 v20, vcc_lo, 0, v20, vcc_lo
	v_add_nc_u32_e32 v21, s56, v21
	s_delay_alu instid0(VALU_DEP_2) | instskip(SKIP_2) | instid1(VALU_DEP_1)
	v_cmp_le_u64_e32 vcc_lo, s[10:11], v[19:20]
	s_waitcnt lgkmcnt(0)
	v_xor_b32_e32 v10, 0x80000000, v10
	v_and_b32_e32 v22, s90, v10
	v_bfe_u32 v10, v10, s13, 2
	s_delay_alu instid0(VALU_DEP_2) | instskip(NEXT) | instid1(VALU_DEP_2)
	v_cmp_eq_u32_e64 s4, s89, v22
	v_cmp_eq_u32_e64 s5, 0, v10
	;; [unrolled: 1-line block ×5, first 2 shown]
	s_delay_alu instid0(VALU_DEP_4) | instskip(NEXT) | instid1(SALU_CYCLE_1)
	s_and_b32 s5, s4, s5
	v_cndmask_b32_e64 v10, 0, 1, s5
	s_and_b32 s5, s4, s6
	s_delay_alu instid0(SALU_CYCLE_1)
	v_cndmask_b32_e64 v22, 0, 1, s5
	s_and_b32 s5, s4, s7
	s_and_b32 s4, s4, s8
	v_cndmask_b32_e64 v29, 0, 1, s5
	v_cndmask_b32_e64 v30, 0, 1, s4
	v_cmp_ne_u32_e64 s4, 0, v10
	v_cmp_ne_u32_e64 s5, 0, v22
	s_delay_alu instid0(VALU_DEP_4) | instskip(NEXT) | instid1(VALU_DEP_4)
	v_cmp_ne_u32_e64 s6, 0, v29
	v_cmp_ne_u32_e64 s7, 0, v30
	s_delay_alu instid0(VALU_DEP_4) | instskip(NEXT) | instid1(VALU_DEP_3)
	s_bcnt1_i32_b32 s4, s4
	s_bcnt1_i32_b32 s5, s5
	v_add_co_u32 v2, s4, v2, s4
	s_delay_alu instid0(VALU_DEP_1)
	v_add_co_ci_u32_e64 v3, s4, 0, v3, s4
	v_add_co_u32 v4, s4, v4, s5
	s_bcnt1_i32_b32 s6, s6
	v_add_co_ci_u32_e64 v5, s4, 0, v5, s4
	v_add_co_u32 v6, s4, v6, s6
	s_bcnt1_i32_b32 s7, s7
	v_add_co_ci_u32_e64 v7, s4, 0, v7, s4
	v_add_co_u32 v8, s4, v8, s7
	s_delay_alu instid0(VALU_DEP_1) | instskip(SKIP_1) | instid1(SALU_CYCLE_1)
	v_add_co_ci_u32_e64 v9, s4, 0, v9, s4
	s_or_b32 s12, vcc_lo, s12
	s_and_not1_b32 exec_lo, exec_lo, s12
	s_cbranch_execnz .LBB93_72
; %bb.73:                               ;   in Loop: Header=BB93_15 Depth=1
	s_or_b32 exec_lo, exec_lo, s12
.LBB93_74:                              ;   in Loop: Header=BB93_15 Depth=1
	s_delay_alu instid0(SALU_CYCLE_1)
	s_or_b32 exec_lo, exec_lo, s9
.LBB93_75:                              ;   in Loop: Header=BB93_15 Depth=1
	s_lshl_b32 s4, s87, 7
	s_and_saveexec_b32 s5, s1
	s_cbranch_execz .LBB93_77
; %bb.76:                               ;   in Loop: Header=BB93_15 Depth=1
	v_or_b32_e32 v10, s4, v25
	s_delay_alu instid0(VALU_DEP_1)
	v_lshlrev_b32_e32 v10, 3, v10
	ds_store_b128 v10, v[2:5] offset:3072
	ds_store_b128 v10, v[6:9] offset:3088
.LBB93_77:                              ;   in Loop: Header=BB93_15 Depth=1
	s_or_b32 exec_lo, exec_lo, s5
	s_waitcnt vmcnt(0) lgkmcnt(0)
	s_barrier
	buffer_gl0_inv
	s_and_saveexec_b32 s5, s47
	s_cbranch_execz .LBB93_88
; %bb.78:                               ;   in Loop: Header=BB93_15 Depth=1
	v_mov_b32_e32 v2, 0
	v_mov_b32_e32 v3, 0
	s_and_not1_b32 vcc_lo, exec_lo, s77
	s_cbranch_vccnz .LBB93_87
; %bb.79:                               ;   in Loop: Header=BB93_15 Depth=1
	v_mov_b32_e32 v2, 0
	v_mov_b32_e32 v3, 0
	s_and_not1_b32 vcc_lo, exec_lo, s75
	s_cbranch_vccnz .LBB93_84
; %bb.80:                               ;   in Loop: Header=BB93_15 Depth=1
	v_lshl_add_u32 v4, s87, 10, v28
	s_mov_b32 s6, 0
	s_set_inst_prefetch_distance 0x1
	.p2align	6
.LBB93_81:                              ;   Parent Loop BB93_15 Depth=1
                                        ; =>  This Inner Loop Header: Depth=2
	ds_load_2addr_b64 v[5:8], v4 offset1:4
	ds_load_2addr_b64 v[19:22], v4 offset0:8 offset1:12
	ds_load_2addr_b64 v[29:32], v4 offset0:16 offset1:20
	s_add_i32 s6, s6, 8
	s_delay_alu instid0(SALU_CYCLE_1) | instskip(SKIP_3) | instid1(VALU_DEP_2)
	s_cmp_eq_u32 s76, s6
	s_waitcnt lgkmcnt(2)
	v_add_co_u32 v2, vcc_lo, v5, v2
	v_add_co_ci_u32_e32 v3, vcc_lo, v6, v3, vcc_lo
	v_add_co_u32 v2, vcc_lo, v7, v2
	s_delay_alu instid0(VALU_DEP_2)
	v_add_co_ci_u32_e32 v3, vcc_lo, v8, v3, vcc_lo
	ds_load_2addr_b64 v[5:8], v4 offset0:24 offset1:28
	s_waitcnt lgkmcnt(2)
	v_add_co_u32 v2, vcc_lo, v19, v2
	v_add_co_ci_u32_e32 v3, vcc_lo, v20, v3, vcc_lo
	v_add_nc_u32_e32 v4, 0x100, v4
	s_delay_alu instid0(VALU_DEP_3) | instskip(NEXT) | instid1(VALU_DEP_3)
	v_add_co_u32 v2, vcc_lo, v21, v2
	v_add_co_ci_u32_e32 v3, vcc_lo, v22, v3, vcc_lo
	s_waitcnt lgkmcnt(1)
	s_delay_alu instid0(VALU_DEP_2) | instskip(NEXT) | instid1(VALU_DEP_2)
	v_add_co_u32 v2, vcc_lo, v29, v2
	v_add_co_ci_u32_e32 v3, vcc_lo, v30, v3, vcc_lo
	s_delay_alu instid0(VALU_DEP_2) | instskip(NEXT) | instid1(VALU_DEP_2)
	v_add_co_u32 v2, vcc_lo, v31, v2
	v_add_co_ci_u32_e32 v3, vcc_lo, v32, v3, vcc_lo
	s_waitcnt lgkmcnt(0)
	s_delay_alu instid0(VALU_DEP_2) | instskip(NEXT) | instid1(VALU_DEP_2)
	v_add_co_u32 v2, vcc_lo, v5, v2
	v_add_co_ci_u32_e32 v3, vcc_lo, v6, v3, vcc_lo
	s_delay_alu instid0(VALU_DEP_2) | instskip(NEXT) | instid1(VALU_DEP_2)
	v_add_co_u32 v2, vcc_lo, v7, v2
	v_add_co_ci_u32_e32 v3, vcc_lo, v8, v3, vcc_lo
	s_cbranch_scc0 .LBB93_81
; %bb.82:                               ;   in Loop: Header=BB93_15 Depth=1
	s_set_inst_prefetch_distance 0x2
	s_mov_b32 s6, s76
	s_and_not1_b32 vcc_lo, exec_lo, s78
	s_cbranch_vccz .LBB93_85
	s_branch .LBB93_87
.LBB93_83:                              ;   in Loop: Header=BB93_15 Depth=1
                                        ; implicit-def: $vgpr2_vgpr3
	s_branch .LBB93_51
.LBB93_84:                              ;   in Loop: Header=BB93_15 Depth=1
	s_mov_b32 s6, 0
	s_and_not1_b32 vcc_lo, exec_lo, s78
	s_cbranch_vccnz .LBB93_87
.LBB93_85:                              ;   in Loop: Header=BB93_15 Depth=1
	s_lshl_b32 s7, s87, 10
	s_lshl_b32 s6, s6, 5
	s_delay_alu instid0(SALU_CYCLE_1)
	v_add3_u32 v4, s7, s6, v28
	s_mov_b32 s6, s74
.LBB93_86:                              ;   Parent Loop BB93_15 Depth=1
                                        ; =>  This Inner Loop Header: Depth=2
	ds_load_b64 v[5:6], v4
	v_add_nc_u32_e32 v4, 32, v4
	s_add_i32 s6, s6, -1
	s_delay_alu instid0(SALU_CYCLE_1)
	s_cmp_lg_u32 s6, 0
	s_waitcnt lgkmcnt(0)
	v_add_co_u32 v2, vcc_lo, v5, v2
	v_add_co_ci_u32_e32 v3, vcc_lo, v6, v3, vcc_lo
	s_cbranch_scc1 .LBB93_86
.LBB93_87:                              ;   in Loop: Header=BB93_15 Depth=1
	v_add_lshl_u32 v4, s4, v23, 3
	ds_store_b64 v4, v[2:3] offset:3072
.LBB93_88:                              ;   in Loop: Header=BB93_15 Depth=1
	s_or_b32 exec_lo, exec_lo, s5
	s_lshl_b32 s4, s4, 3
	s_waitcnt lgkmcnt(0)
	v_mov_b32_e32 v6, s4
	s_barrier
	buffer_gl0_inv
	s_and_b32 s17, s84, 0xfe
	s_mov_b32 s19, -1
	ds_load_b128 v[2:5], v6 offset:3072
	ds_load_b128 v[6:9], v6 offset:3088
	s_lshl_b32 s16, 3, s17
	s_delay_alu instid0(SALU_CYCLE_1)
	s_not_b32 s18, s16
	s_waitcnt lgkmcnt(1)
	v_readfirstlane_b32 s13, v3
	v_readfirstlane_b32 s12, v2
	;; [unrolled: 1-line block ×4, first 2 shown]
	s_waitcnt lgkmcnt(0)
	v_readfirstlane_b32 s8, v6
	v_readfirstlane_b32 s9, v7
	s_cmp_eq_u64 s[12:13], 1
	v_readfirstlane_b32 s6, v8
	s_cselect_b32 s4, -1, 0
	s_cmp_eq_u64 s[52:53], 1
	v_readfirstlane_b32 s7, v9
	s_cselect_b32 s5, -1, 0
	s_delay_alu instid0(SALU_CYCLE_1) | instskip(NEXT) | instid1(SALU_CYCLE_1)
	s_and_b32 s20, s4, s5
	s_and_b32 vcc_lo, exec_lo, s20
	s_cbranch_vccz .LBB93_103
; %bb.89:                               ;   in Loop: Header=BB93_15 Depth=1
	ds_load_b64 v[2:3], v11 offset:5120
	s_waitcnt lgkmcnt(0)
	s_barrier
	buffer_gl0_inv
	v_readfirstlane_b32 s14, v2
	v_readfirstlane_b32 s15, v3
	s_and_saveexec_b32 s4, s3
	s_cbranch_execz .LBB93_91
; %bb.90:                               ;   in Loop: Header=BB93_15 Depth=1
	ds_store_b32 v24, v11
.LBB93_91:                              ;   in Loop: Header=BB93_15 Depth=1
	s_or_b32 exec_lo, exec_lo, s4
	s_and_b32 s89, s89, s18
	s_or_b32 s90, s90, s16
	s_cmp_eq_u64 s[14:15], 0
	s_waitcnt lgkmcnt(0)
	s_barrier
	buffer_gl0_inv
	s_cbranch_scc1 .LBB93_104
; %bb.92:                               ;   in Loop: Header=BB93_15 Depth=1
	s_add_u32 s21, s71, s14
	s_addc_u32 s5, s72, s15
	s_mov_b32 s4, s55
	s_delay_alu instid0(SALU_CYCLE_1)
	s_cmp_lg_u64 s[4:5], 0
	s_cbranch_scc0 .LBB93_149
; %bb.93:                               ;   in Loop: Header=BB93_15 Depth=1
	v_cvt_f32_u32_e32 v2, s41
	s_sub_u32 s23, 0, s41
	s_subb_u32 s54, 0, 0
	s_delay_alu instid0(VALU_DEP_1) | instskip(NEXT) | instid1(VALU_DEP_1)
	v_fmac_f32_e64 v2, 0, 0x4f800000
	v_rcp_f32_e32 v2, v2
	s_waitcnt_depctr 0xfff
	v_mul_f32_e32 v2, 0x5f7ffffc, v2
	s_delay_alu instid0(VALU_DEP_1) | instskip(NEXT) | instid1(VALU_DEP_1)
	v_mul_f32_e32 v3, 0x2f800000, v2
	v_trunc_f32_e32 v3, v3
	s_delay_alu instid0(VALU_DEP_1) | instskip(SKIP_1) | instid1(VALU_DEP_2)
	v_fmac_f32_e32 v2, 0xcf800000, v3
	v_cvt_u32_f32_e32 v3, v3
	v_cvt_u32_f32_e32 v2, v2
	s_delay_alu instid0(VALU_DEP_2) | instskip(NEXT) | instid1(VALU_DEP_2)
	v_readfirstlane_b32 s4, v3
	v_readfirstlane_b32 s22, v2
	s_delay_alu instid0(VALU_DEP_2) | instskip(NEXT) | instid1(VALU_DEP_1)
	s_mul_i32 s56, s23, s4
	s_mul_hi_u32 s61, s23, s22
	s_mul_i32 s60, s54, s22
	s_add_i32 s56, s61, s56
	s_mul_i32 s62, s23, s22
	s_add_i32 s56, s56, s60
	s_mul_hi_u32 s61, s22, s62
	s_mul_hi_u32 s63, s4, s62
	s_mul_i32 s60, s4, s62
	s_mul_hi_u32 s62, s22, s56
	s_mul_i32 s22, s22, s56
	s_mul_hi_u32 s64, s4, s56
	s_add_u32 s22, s61, s22
	s_addc_u32 s61, 0, s62
	s_add_u32 s22, s22, s60
	s_mul_i32 s56, s4, s56
	s_addc_u32 s22, s61, s63
	s_addc_u32 s60, s64, 0
	s_add_u32 s22, s22, s56
	s_addc_u32 s56, 0, s60
	v_add_co_u32 v2, s22, v2, s22
	s_delay_alu instid0(VALU_DEP_1) | instskip(SKIP_1) | instid1(VALU_DEP_1)
	s_cmp_lg_u32 s22, 0
	s_addc_u32 s4, s4, s56
	v_readfirstlane_b32 s22, v2
	s_mul_i32 s56, s23, s4
	s_delay_alu instid0(VALU_DEP_1)
	s_mul_hi_u32 s60, s23, s22
	s_mul_i32 s54, s54, s22
	s_add_i32 s56, s60, s56
	s_mul_i32 s23, s23, s22
	s_add_i32 s56, s56, s54
	s_mul_hi_u32 s60, s4, s23
	s_mul_i32 s61, s4, s23
	s_mul_hi_u32 s23, s22, s23
	s_mul_hi_u32 s62, s22, s56
	s_mul_i32 s22, s22, s56
	s_mul_hi_u32 s54, s4, s56
	s_add_u32 s22, s23, s22
	s_addc_u32 s23, 0, s62
	s_add_u32 s22, s22, s61
	s_mul_i32 s56, s4, s56
	s_addc_u32 s22, s23, s60
	s_addc_u32 s23, s54, 0
	s_add_u32 s22, s22, s56
	s_addc_u32 s23, 0, s23
	v_add_co_u32 v2, s22, v2, s22
	s_delay_alu instid0(VALU_DEP_1) | instskip(SKIP_1) | instid1(VALU_DEP_1)
	s_cmp_lg_u32 s22, 0
	s_addc_u32 s4, s4, s23
	v_readfirstlane_b32 s22, v2
	s_mul_i32 s54, s21, s4
	s_mul_hi_u32 s23, s21, s4
	s_mul_hi_u32 s56, s5, s4
	s_mul_i32 s4, s5, s4
	s_mul_hi_u32 s60, s21, s22
	s_mul_hi_u32 s61, s5, s22
	s_mul_i32 s22, s5, s22
	s_add_u32 s54, s60, s54
	s_addc_u32 s23, 0, s23
	s_add_u32 s22, s54, s22
	s_addc_u32 s22, s23, s61
	s_addc_u32 s23, s56, 0
	s_add_u32 s4, s22, s4
	s_addc_u32 s22, 0, s23
	s_mul_hi_u32 s23, s41, s4
	s_mul_i32 s4, s41, s4
	s_mul_i32 s22, s41, s22
	v_sub_co_u32 v2, s4, s21, s4
	s_add_i32 s23, s23, s22
	s_cmp_lg_u32 s4, 0
	s_delay_alu instid0(VALU_DEP_1) | instskip(SKIP_2) | instid1(VALU_DEP_1)
	v_sub_co_u32 v3, s4, v2, s41
	s_subb_u32 s22, s5, s23
	s_cmp_lg_u32 s4, 0
	v_cmp_le_u32_e32 vcc_lo, s41, v3
	v_sub_co_u32 v4, s4, v3, s41
	s_subb_u32 s23, s22, 0
	s_cmp_lg_u32 s4, 0
	v_cndmask_b32_e64 v5, 0, -1, vcc_lo
	s_subb_u32 s4, s23, 0
	s_cmp_eq_u32 s23, 0
	v_mov_b32_e32 v7, s4
	s_cselect_b32 vcc_lo, -1, 0
	s_cmp_eq_u32 s22, 0
	v_cndmask_b32_e32 v5, -1, v5, vcc_lo
	v_cmp_le_u32_e32 vcc_lo, s41, v2
	s_cselect_b32 s4, -1, 0
	v_cndmask_b32_e64 v6, 0, -1, vcc_lo
	s_delay_alu instid0(VALU_DEP_3) | instskip(NEXT) | instid1(VALU_DEP_2)
	v_cmp_ne_u32_e32 vcc_lo, 0, v5
	v_cndmask_b32_e64 v5, -1, v6, s4
	v_cndmask_b32_e32 v6, s23, v7, vcc_lo
	v_cndmask_b32_e32 v4, v3, v4, vcc_lo
	s_delay_alu instid0(VALU_DEP_3) | instskip(NEXT) | instid1(VALU_DEP_3)
	v_cmp_ne_u32_e32 vcc_lo, 0, v5
	v_cndmask_b32_e32 v3, s22, v6, vcc_lo
	s_delay_alu instid0(VALU_DEP_3)
	v_cndmask_b32_e32 v2, v2, v4, vcc_lo
	s_cbranch_execnz .LBB93_95
.LBB93_94:                              ;   in Loop: Header=BB93_15 Depth=1
	v_cvt_f32_u32_e32 v2, s41
	s_sub_i32 s4, 0, s41
	s_delay_alu instid0(VALU_DEP_1) | instskip(SKIP_2) | instid1(VALU_DEP_1)
	v_rcp_iflag_f32_e32 v2, v2
	s_waitcnt_depctr 0xfff
	v_mul_f32_e32 v2, 0x4f7ffffe, v2
	v_cvt_u32_f32_e32 v2, v2
	s_delay_alu instid0(VALU_DEP_1) | instskip(NEXT) | instid1(VALU_DEP_1)
	v_mul_lo_u32 v3, s4, v2
	v_mul_hi_u32 v3, v2, v3
	s_delay_alu instid0(VALU_DEP_1) | instskip(NEXT) | instid1(VALU_DEP_1)
	v_add_nc_u32_e32 v2, v2, v3
	v_mul_hi_u32 v2, s21, v2
	s_delay_alu instid0(VALU_DEP_1) | instskip(NEXT) | instid1(VALU_DEP_1)
	v_mul_lo_u32 v2, v2, s41
	v_sub_nc_u32_e32 v2, s21, v2
	s_delay_alu instid0(VALU_DEP_1) | instskip(SKIP_1) | instid1(VALU_DEP_2)
	v_subrev_nc_u32_e32 v3, s41, v2
	v_cmp_le_u32_e32 vcc_lo, s41, v2
	v_cndmask_b32_e32 v2, v2, v3, vcc_lo
	s_delay_alu instid0(VALU_DEP_1) | instskip(SKIP_1) | instid1(VALU_DEP_2)
	v_subrev_nc_u32_e32 v3, s41, v2
	v_cmp_le_u32_e32 vcc_lo, s41, v2
	v_cndmask_b32_e32 v10, v2, v3, vcc_lo
	s_delay_alu instid0(VALU_DEP_1)
	v_dual_mov_b32 v2, v10 :: v_dual_mov_b32 v3, v11
.LBB93_95:                              ;   in Loop: Header=BB93_15 Depth=1
	s_delay_alu instid0(VALU_DEP_1) | instskip(NEXT) | instid1(VALU_DEP_2)
	v_sub_co_u32 v2, vcc_lo, s21, v2
	v_sub_co_ci_u32_e32 v3, vcc_lo, s5, v3, vcc_lo
	s_mov_b32 s4, 0
	s_mov_b32 s5, exec_lo
                                        ; implicit-def: $vgpr18
	s_delay_alu instid0(VALU_DEP_1)
	v_cmpx_gt_u64_e64 v[2:3], v[0:1]
	s_cbranch_execz .LBB93_106
; %bb.96:                               ;   in Loop: Header=BB93_15 Depth=1
	v_dual_mov_b32 v6, v12 :: v_dual_mov_b32 v5, v1
	v_mov_b32_e32 v4, v0
                                        ; implicit-def: $sgpr21
	s_set_inst_prefetch_distance 0x1
	s_branch .LBB93_98
	.p2align	6
.LBB93_97:                              ;   in Loop: Header=BB93_98 Depth=2
	s_or_b32 exec_lo, exec_lo, s22
	s_waitcnt lgkmcnt(0)
	s_barrier
	buffer_gl0_inv
	ds_load_b64 v[17:18], v11 offset:3072
	v_add_co_u32 v4, vcc_lo, v4, s41
	v_add_co_ci_u32_e32 v5, vcc_lo, 0, v5, vcc_lo
	v_add_nc_u32_e32 v6, s79, v6
	s_waitcnt lgkmcnt(0)
	s_barrier
	s_delay_alu instid0(VALU_DEP_2) | instskip(SKIP_2) | instid1(VALU_DEP_1)
	v_cmp_ge_u64_e32 vcc_lo, v[4:5], v[2:3]
	buffer_gl0_inv
	v_readfirstlane_b32 s22, v17
	s_cmp_lg_u32 s22, 0
	s_cselect_b32 s22, -1, 0
	s_delay_alu instid0(SALU_CYCLE_1) | instskip(NEXT) | instid1(SALU_CYCLE_1)
	s_or_b32 s23, vcc_lo, s22
	s_and_b32 s23, exec_lo, s23
	s_delay_alu instid0(SALU_CYCLE_1) | instskip(SKIP_2) | instid1(SALU_CYCLE_1)
	s_or_b32 s4, s23, s4
	s_and_not1_b32 s21, s21, exec_lo
	s_and_b32 s22, s22, exec_lo
	s_or_b32 s21, s21, s22
	s_and_not1_b32 exec_lo, exec_lo, s4
	s_cbranch_execz .LBB93_105
.LBB93_98:                              ;   Parent Loop BB93_15 Depth=1
                                        ; =>  This Inner Loop Header: Depth=2
	s_delay_alu instid0(VALU_DEP_1)
	v_cmp_gt_u64_e32 vcc_lo, s[14:15], v[4:5]
	v_mov_b32_e32 v17, 0
	s_and_saveexec_b32 s22, vcc_lo
	s_cbranch_execz .LBB93_100
; %bb.99:                               ;   in Loop: Header=BB93_98 Depth=2
	ds_load_b32 v17, v6
.LBB93_100:                             ;   in Loop: Header=BB93_98 Depth=2
	s_or_b32 exec_lo, exec_lo, s22
	s_and_saveexec_b32 s22, vcc_lo
	s_cbranch_execz .LBB93_97
; %bb.101:                              ;   in Loop: Header=BB93_98 Depth=2
	s_waitcnt lgkmcnt(0)
	v_xor_b32_e32 v7, 0x80000000, v17
	s_delay_alu instid0(VALU_DEP_1) | instskip(NEXT) | instid1(VALU_DEP_1)
	v_and_b32_e32 v7, s90, v7
	v_cmp_eq_u32_e32 vcc_lo, s89, v7
	s_and_b32 exec_lo, exec_lo, vcc_lo
	s_cbranch_execz .LBB93_97
; %bb.102:                              ;   in Loop: Header=BB93_98 Depth=2
	ds_store_b64 v11, v[16:17] offset:3072
	s_branch .LBB93_97
.LBB93_103:                             ;   in Loop: Header=BB93_15 Depth=1
	s_mov_b32 s4, -1
                                        ; implicit-def: $sgpr5
                                        ; implicit-def: $sgpr15
                                        ; implicit-def: $sgpr14
	s_branch .LBB93_120
.LBB93_104:                             ;   in Loop: Header=BB93_15 Depth=1
	s_mov_b32 s5, -1
	s_mov_b32 s4, 0
                                        ; implicit-def: $sgpr14
                                        ; implicit-def: $vgpr18
	s_mov_b32 s15, s5
	s_cbranch_execnz .LBB93_107
	s_branch .LBB93_120
.LBB93_105:                             ;   in Loop: Header=BB93_15 Depth=1
	s_set_inst_prefetch_distance 0x2
	s_or_b32 exec_lo, exec_lo, s4
	s_delay_alu instid0(SALU_CYCLE_1)
	s_and_b32 s4, s21, exec_lo
.LBB93_106:                             ;   in Loop: Header=BB93_15 Depth=1
	s_or_b32 exec_lo, exec_lo, s5
	s_mov_b32 s14, -1
	s_mov_b32 s5, 0
	s_delay_alu instid0(SALU_CYCLE_1)
	s_mov_b32 s15, s5
	s_branch .LBB93_120
.LBB93_107:                             ;   in Loop: Header=BB93_15 Depth=1
	s_mov_b32 s56, s55
	s_delay_alu instid0(SALU_CYCLE_1)
	s_cmp_lg_u64 s[56:57], 0
	s_cbranch_scc0 .LBB93_150
; %bb.108:                              ;   in Loop: Header=BB93_15 Depth=1
	v_cvt_f32_u32_e32 v2, s41
	s_sub_u32 s14, 0, s41
	s_subb_u32 s15, 0, 0
	s_delay_alu instid0(VALU_DEP_1) | instskip(NEXT) | instid1(VALU_DEP_1)
	v_fmac_f32_e64 v2, 0, 0x4f800000
	v_rcp_f32_e32 v2, v2
	s_waitcnt_depctr 0xfff
	v_mul_f32_e32 v2, 0x5f7ffffc, v2
	s_delay_alu instid0(VALU_DEP_1) | instskip(NEXT) | instid1(VALU_DEP_1)
	v_mul_f32_e32 v3, 0x2f800000, v2
	v_trunc_f32_e32 v3, v3
	s_delay_alu instid0(VALU_DEP_1) | instskip(SKIP_1) | instid1(VALU_DEP_2)
	v_fmac_f32_e32 v2, 0xcf800000, v3
	v_cvt_u32_f32_e32 v3, v3
	v_cvt_u32_f32_e32 v2, v2
	s_delay_alu instid0(VALU_DEP_2) | instskip(NEXT) | instid1(VALU_DEP_2)
	v_readfirstlane_b32 s4, v3
	v_readfirstlane_b32 s5, v2
	s_delay_alu instid0(VALU_DEP_2) | instskip(NEXT) | instid1(VALU_DEP_1)
	s_mul_i32 s21, s14, s4
	s_mul_hi_u32 s23, s14, s5
	s_mul_i32 s22, s15, s5
	s_add_i32 s21, s23, s21
	s_mul_i32 s54, s14, s5
	s_add_i32 s21, s21, s22
	s_mul_hi_u32 s23, s5, s54
	s_mul_hi_u32 s56, s4, s54
	s_mul_i32 s22, s4, s54
	s_mul_hi_u32 s54, s5, s21
	s_mul_i32 s5, s5, s21
	s_mul_hi_u32 s60, s4, s21
	s_add_u32 s5, s23, s5
	s_addc_u32 s23, 0, s54
	s_add_u32 s5, s5, s22
	s_mul_i32 s21, s4, s21
	s_addc_u32 s5, s23, s56
	s_addc_u32 s22, s60, 0
	s_add_u32 s5, s5, s21
	s_addc_u32 s21, 0, s22
	v_add_co_u32 v2, s5, v2, s5
	s_delay_alu instid0(VALU_DEP_1) | instskip(SKIP_1) | instid1(VALU_DEP_1)
	s_cmp_lg_u32 s5, 0
	s_addc_u32 s4, s4, s21
	v_readfirstlane_b32 s5, v2
	s_mul_i32 s21, s14, s4
	s_delay_alu instid0(VALU_DEP_1)
	s_mul_hi_u32 s22, s14, s5
	s_mul_i32 s15, s15, s5
	s_add_i32 s21, s22, s21
	s_mul_i32 s14, s14, s5
	s_add_i32 s21, s21, s15
	s_mul_hi_u32 s22, s4, s14
	s_mul_i32 s23, s4, s14
	s_mul_hi_u32 s14, s5, s14
	s_mul_hi_u32 s54, s5, s21
	s_mul_i32 s5, s5, s21
	s_mul_hi_u32 s15, s4, s21
	s_add_u32 s5, s14, s5
	s_addc_u32 s14, 0, s54
	s_add_u32 s5, s5, s23
	s_mul_i32 s21, s4, s21
	s_addc_u32 s5, s14, s22
	s_addc_u32 s14, s15, 0
	s_add_u32 s5, s5, s21
	s_addc_u32 s14, 0, s14
	v_add_co_u32 v2, s5, v2, s5
	s_delay_alu instid0(VALU_DEP_1) | instskip(SKIP_1) | instid1(VALU_DEP_1)
	s_cmp_lg_u32 s5, 0
	s_addc_u32 s4, s4, s14
	v_readfirstlane_b32 s5, v2
	s_mul_i32 s15, s73, s4
	s_mul_hi_u32 s14, s73, s4
	s_mul_hi_u32 s21, s57, s4
	s_mul_i32 s4, s57, s4
	s_mul_hi_u32 s22, s73, s5
	s_mul_hi_u32 s23, s57, s5
	s_mul_i32 s5, s57, s5
	s_add_u32 s15, s22, s15
	s_addc_u32 s14, 0, s14
	s_add_u32 s5, s15, s5
	s_addc_u32 s5, s14, s23
	s_addc_u32 s14, s21, 0
	s_add_u32 s4, s5, s4
	s_addc_u32 s5, 0, s14
	s_mul_hi_u32 s14, s41, s4
	s_mul_i32 s4, s41, s4
	s_mul_i32 s5, s41, s5
	v_sub_co_u32 v2, s4, s73, s4
	s_add_i32 s14, s14, s5
	s_cmp_lg_u32 s4, 0
	s_delay_alu instid0(VALU_DEP_1) | instskip(SKIP_2) | instid1(VALU_DEP_1)
	v_sub_co_u32 v3, s4, v2, s41
	s_subb_u32 s5, s57, s14
	s_cmp_lg_u32 s4, 0
	v_cmp_le_u32_e32 vcc_lo, s41, v3
	v_sub_co_u32 v4, s4, v3, s41
	s_subb_u32 s14, s5, 0
	s_cmp_lg_u32 s4, 0
	v_cndmask_b32_e64 v5, 0, -1, vcc_lo
	s_subb_u32 s4, s14, 0
	s_cmp_eq_u32 s14, 0
	v_mov_b32_e32 v7, s4
	s_cselect_b32 vcc_lo, -1, 0
	s_cmp_eq_u32 s5, 0
	v_cndmask_b32_e32 v5, -1, v5, vcc_lo
	v_cmp_le_u32_e32 vcc_lo, s41, v2
	s_cselect_b32 s4, -1, 0
	v_cndmask_b32_e64 v6, 0, -1, vcc_lo
	s_delay_alu instid0(VALU_DEP_3) | instskip(NEXT) | instid1(VALU_DEP_2)
	v_cmp_ne_u32_e32 vcc_lo, 0, v5
	v_cndmask_b32_e64 v5, -1, v6, s4
	v_cndmask_b32_e32 v6, s14, v7, vcc_lo
	v_cndmask_b32_e32 v4, v3, v4, vcc_lo
	s_delay_alu instid0(VALU_DEP_3) | instskip(NEXT) | instid1(VALU_DEP_3)
	v_cmp_ne_u32_e32 vcc_lo, 0, v5
	v_cndmask_b32_e32 v3, s5, v6, vcc_lo
	s_delay_alu instid0(VALU_DEP_3)
	v_cndmask_b32_e32 v2, v2, v4, vcc_lo
	s_cbranch_execnz .LBB93_110
.LBB93_109:                             ;   in Loop: Header=BB93_15 Depth=1
	v_cvt_f32_u32_e32 v2, s41
	s_sub_i32 s4, 0, s41
	s_delay_alu instid0(VALU_DEP_1) | instskip(SKIP_2) | instid1(VALU_DEP_1)
	v_rcp_iflag_f32_e32 v2, v2
	s_waitcnt_depctr 0xfff
	v_mul_f32_e32 v2, 0x4f7ffffe, v2
	v_cvt_u32_f32_e32 v2, v2
	s_delay_alu instid0(VALU_DEP_1) | instskip(NEXT) | instid1(VALU_DEP_1)
	v_mul_lo_u32 v3, s4, v2
	v_mul_hi_u32 v3, v2, v3
	s_delay_alu instid0(VALU_DEP_1) | instskip(NEXT) | instid1(VALU_DEP_1)
	v_add_nc_u32_e32 v2, v2, v3
	v_mul_hi_u32 v2, s73, v2
	s_delay_alu instid0(VALU_DEP_1) | instskip(NEXT) | instid1(VALU_DEP_1)
	v_mul_lo_u32 v2, v2, s41
	v_sub_nc_u32_e32 v2, s73, v2
	s_delay_alu instid0(VALU_DEP_1) | instskip(SKIP_1) | instid1(VALU_DEP_2)
	v_subrev_nc_u32_e32 v3, s41, v2
	v_cmp_le_u32_e32 vcc_lo, s41, v2
	v_cndmask_b32_e32 v2, v2, v3, vcc_lo
	s_delay_alu instid0(VALU_DEP_1) | instskip(SKIP_1) | instid1(VALU_DEP_2)
	v_subrev_nc_u32_e32 v3, s41, v2
	v_cmp_le_u32_e32 vcc_lo, s41, v2
	v_cndmask_b32_e32 v10, v2, v3, vcc_lo
	s_delay_alu instid0(VALU_DEP_1)
	v_dual_mov_b32 v2, v10 :: v_dual_mov_b32 v3, v11
.LBB93_110:                             ;   in Loop: Header=BB93_15 Depth=1
	s_delay_alu instid0(VALU_DEP_1) | instskip(NEXT) | instid1(VALU_DEP_2)
	v_sub_co_u32 v2, vcc_lo, s73, v2
	v_sub_co_ci_u32_e32 v3, vcc_lo, s57, v3, vcc_lo
	s_mov_b32 s4, 0
	s_mov_b32 s5, exec_lo
                                        ; implicit-def: $vgpr18
	s_delay_alu instid0(VALU_DEP_1)
	v_cmpx_gt_u64_e64 v[2:3], v[0:1]
	s_cbranch_execz .LBB93_119
; %bb.111:                              ;   in Loop: Header=BB93_15 Depth=1
	v_dual_mov_b32 v5, v1 :: v_dual_mov_b32 v4, v0
	s_mov_b32 s14, 0
                                        ; implicit-def: $sgpr15
	s_branch .LBB93_113
.LBB93_112:                             ;   in Loop: Header=BB93_113 Depth=2
	s_or_b32 exec_lo, exec_lo, s4
	s_waitcnt vmcnt(0) lgkmcnt(0)
	s_barrier
	buffer_gl0_inv
	ds_load_b64 v[17:18], v11 offset:3072
	v_add_co_u32 v4, vcc_lo, v4, s41
	v_add_co_ci_u32_e32 v5, vcc_lo, 0, v5, vcc_lo
	s_waitcnt lgkmcnt(0)
	s_barrier
	buffer_gl0_inv
	v_cmp_ge_u64_e32 vcc_lo, v[4:5], v[2:3]
	v_readfirstlane_b32 s4, v17
	s_delay_alu instid0(VALU_DEP_1) | instskip(SKIP_1) | instid1(SALU_CYCLE_1)
	s_cmp_lg_u32 s4, 0
	s_cselect_b32 s4, -1, 0
	s_or_b32 s21, vcc_lo, s4
	s_delay_alu instid0(SALU_CYCLE_1) | instskip(NEXT) | instid1(SALU_CYCLE_1)
	s_and_b32 s21, exec_lo, s21
	s_or_b32 s14, s21, s14
	s_and_not1_b32 s15, s15, exec_lo
	s_and_b32 s4, s4, exec_lo
	s_delay_alu instid0(SALU_CYCLE_1)
	s_or_b32 s15, s15, s4
	s_and_not1_b32 exec_lo, exec_lo, s14
	s_cbranch_execz .LBB93_118
.LBB93_113:                             ;   Parent Loop BB93_15 Depth=1
                                        ; =>  This Inner Loop Header: Depth=2
	s_delay_alu instid0(VALU_DEP_1)
	v_cmp_gt_u64_e32 vcc_lo, s[24:25], v[4:5]
	v_mov_b32_e32 v17, 0
	s_and_saveexec_b32 s21, vcc_lo
	s_cbranch_execz .LBB93_115
; %bb.114:                              ;   in Loop: Header=BB93_113 Depth=2
	v_mul_lo_u32 v8, v5, s42
	v_mul_lo_u32 v9, v4, s43
	v_mad_u64_u32 v[6:7], null, v4, s42, 0
	s_delay_alu instid0(VALU_DEP_1) | instskip(NEXT) | instid1(VALU_DEP_1)
	v_add3_u32 v7, v7, v9, v8
	v_lshlrev_b64 v[6:7], 2, v[6:7]
	s_delay_alu instid0(VALU_DEP_1) | instskip(NEXT) | instid1(VALU_DEP_1)
	v_add_co_u32 v6, s4, s33, v6
	v_add_co_ci_u32_e64 v7, s4, s35, v7, s4
	global_load_b32 v17, v[6:7], off
.LBB93_115:                             ;   in Loop: Header=BB93_113 Depth=2
	s_or_b32 exec_lo, exec_lo, s21
	s_and_saveexec_b32 s4, vcc_lo
	s_cbranch_execz .LBB93_112
; %bb.116:                              ;   in Loop: Header=BB93_113 Depth=2
	s_waitcnt vmcnt(0)
	v_xor_b32_e32 v6, 0x80000000, v17
	s_delay_alu instid0(VALU_DEP_1) | instskip(NEXT) | instid1(VALU_DEP_1)
	v_and_b32_e32 v6, s90, v6
	v_cmp_eq_u32_e32 vcc_lo, s89, v6
	s_and_b32 exec_lo, exec_lo, vcc_lo
	s_cbranch_execz .LBB93_112
; %bb.117:                              ;   in Loop: Header=BB93_113 Depth=2
	ds_store_b64 v11, v[16:17] offset:3072
	s_branch .LBB93_112
.LBB93_118:                             ;   in Loop: Header=BB93_15 Depth=1
	s_or_b32 exec_lo, exec_lo, s14
	s_delay_alu instid0(SALU_CYCLE_1)
	s_and_b32 s4, s15, exec_lo
.LBB93_119:                             ;   in Loop: Header=BB93_15 Depth=1
	s_or_b32 exec_lo, exec_lo, s5
	s_mov_b32 s15, -1
	s_mov_b32 s5, 0
	s_mov_b32 s14, 0
.LBB93_120:                             ;   in Loop: Header=BB93_15 Depth=1
	s_and_not1_b32 s21, s85, exec_lo
	s_and_b32 s5, s5, exec_lo
	s_and_b32 s15, s15, exec_lo
	s_or_b32 s85, s21, s5
	s_and_not1_b32 s5, s88, exec_lo
	s_and_not1_b32 s21, s86, exec_lo
	s_and_b32 s14, s14, exec_lo
	s_or_b32 s88, s5, s15
	s_or_b32 s86, s21, s14
	s_and_saveexec_b32 s14, s4
	s_cbranch_execz .LBB93_14
; %bb.121:                              ;   in Loop: Header=BB93_15 Depth=1
	s_xor_b32 s4, s20, -1
	s_mov_b32 s54, 1
	s_and_not1_b32 vcc_lo, exec_lo, s4
	s_cbranch_vccnz .LBB93_132
; %bb.122:                              ;   in Loop: Header=BB93_15 Depth=1
	v_cmp_gt_u64_e64 s4, s[52:53], s[12:13]
                                        ; implicit-def: $sgpr54
                                        ; implicit-def: $sgpr5
                                        ; implicit-def: $sgpr15
	s_delay_alu instid0(VALU_DEP_1)
	s_and_b32 vcc_lo, exec_lo, s4
	s_mov_b32 s4, -1
	s_cbranch_vccnz .LBB93_128
; %bb.123:                              ;   in Loop: Header=BB93_15 Depth=1
	ds_load_b64 v[2:3], v11 offset:5120
	s_waitcnt lgkmcnt(0)
	v_cmp_ne_u64_e32 vcc_lo, 0, v[2:3]
	s_cbranch_vccnz .LBB93_127
; %bb.124:                              ;   in Loop: Header=BB93_15 Depth=1
	s_and_saveexec_b32 s4, s2
	s_cbranch_execz .LBB93_126
; %bb.125:                              ;   in Loop: Header=BB93_15 Depth=1
	v_dual_mov_b32 v2, s12 :: v_dual_mov_b32 v3, s13
	ds_store_b64 v11, v[2:3] offset:5128
.LBB93_126:                             ;   in Loop: Header=BB93_15 Depth=1
	s_or_b32 exec_lo, exec_lo, s4
	s_waitcnt lgkmcnt(0)
	s_barrier
	buffer_gl0_inv
.LBB93_127:                             ;   in Loop: Header=BB93_15 Depth=1
	s_and_b32 s5, s89, s18
	s_or_b32 s15, s90, s16
	s_mov_b32 s4, 0
	s_mov_b32 s54, 8
.LBB93_128:                             ;   in Loop: Header=BB93_15 Depth=1
	s_and_not1_b32 vcc_lo, exec_lo, s4
	s_cbranch_vccnz .LBB93_130
; %bb.129:                              ;   in Loop: Header=BB93_15 Depth=1
	s_sub_u32 s52, s52, s12
	s_subb_u32 s53, s53, s13
	s_mov_b32 s4, -1
	s_mov_b32 s54, 0
	s_mov_b32 s5, s89
	;; [unrolled: 1-line block ×3, first 2 shown]
.LBB93_130:                             ;   in Loop: Header=BB93_15 Depth=1
	s_delay_alu instid0(SALU_CYCLE_1)
	s_mov_b32 s90, s15
	s_mov_b32 s89, s5
	s_and_b32 vcc_lo, exec_lo, s4
	s_mov_b32 s15, -1
	s_cbranch_vccnz .LBB93_133
.LBB93_131:                             ;   in Loop: Header=BB93_15 Depth=1
	s_mov_b32 s5, -1
                                        ; implicit-def: $sgpr12
                                        ; implicit-def: $sgpr19
                                        ; implicit-def: $sgpr13
	s_delay_alu instid0(SALU_CYCLE_1) | instskip(NEXT) | instid1(SALU_CYCLE_1)
	s_and_saveexec_b32 s4, s5
	s_xor_b32 s4, exec_lo, s4
	s_cbranch_execz .LBB93_13
	s_branch .LBB93_279
.LBB93_132:                             ;   in Loop: Header=BB93_15 Depth=1
	s_mov_b64 s[52:53], 1
	s_mov_b32 s15, -1
	s_branch .LBB93_131
.LBB93_133:                             ;   in Loop: Header=BB93_15 Depth=1
	s_cmp_eq_u64 s[10:11], 1
	s_cselect_b32 s4, -1, 0
	s_cmp_eq_u64 s[52:53], 1
	s_cselect_b32 s5, -1, 0
	s_delay_alu instid0(SALU_CYCLE_1)
	s_and_b32 s21, s4, s5
	s_mov_b32 s4, -1
	s_and_b32 vcc_lo, exec_lo, s21
	s_cbranch_vccz .LBB93_148
; %bb.134:                              ;   in Loop: Header=BB93_15 Depth=1
	ds_load_b64 v[2:3], v11 offset:5120
	s_waitcnt lgkmcnt(0)
	s_barrier
	buffer_gl0_inv
	v_readfirstlane_b32 s12, v2
	v_readfirstlane_b32 s13, v3
	s_and_saveexec_b32 s4, s3
	s_cbranch_execz .LBB93_136
; %bb.135:                              ;   in Loop: Header=BB93_15 Depth=1
	ds_store_b32 v24, v11
.LBB93_136:                             ;   in Loop: Header=BB93_15 Depth=1
	s_or_b32 exec_lo, exec_lo, s4
	s_lshl_b32 s4, 1, s17
	s_and_b32 s5, s89, s18
	s_or_b32 s90, s90, s16
	s_or_b32 s89, s5, s4
	s_cmp_eq_u64 s[12:13], 0
	s_waitcnt lgkmcnt(0)
	s_barrier
	buffer_gl0_inv
	s_cbranch_scc1 .LBB93_151
; %bb.137:                              ;   in Loop: Header=BB93_15 Depth=1
	s_add_u32 s19, s71, s12
	s_addc_u32 s5, s72, s13
	s_mov_b32 s4, s55
	s_delay_alu instid0(SALU_CYCLE_1)
	s_cmp_lg_u64 s[4:5], 0
	s_cbranch_scc0 .LBB93_196
; %bb.138:                              ;   in Loop: Header=BB93_15 Depth=1
	v_cvt_f32_u32_e32 v2, s41
	s_sub_u32 s22, 0, s41
	s_subb_u32 s23, 0, 0
	s_delay_alu instid0(VALU_DEP_1) | instskip(NEXT) | instid1(VALU_DEP_1)
	v_fmac_f32_e64 v2, 0, 0x4f800000
	v_rcp_f32_e32 v2, v2
	s_waitcnt_depctr 0xfff
	v_mul_f32_e32 v2, 0x5f7ffffc, v2
	s_delay_alu instid0(VALU_DEP_1) | instskip(NEXT) | instid1(VALU_DEP_1)
	v_mul_f32_e32 v3, 0x2f800000, v2
	v_trunc_f32_e32 v3, v3
	s_delay_alu instid0(VALU_DEP_1) | instskip(SKIP_1) | instid1(VALU_DEP_2)
	v_fmac_f32_e32 v2, 0xcf800000, v3
	v_cvt_u32_f32_e32 v3, v3
	v_cvt_u32_f32_e32 v2, v2
	s_delay_alu instid0(VALU_DEP_2) | instskip(NEXT) | instid1(VALU_DEP_2)
	v_readfirstlane_b32 s4, v3
	v_readfirstlane_b32 s20, v2
	s_delay_alu instid0(VALU_DEP_2) | instskip(NEXT) | instid1(VALU_DEP_1)
	s_mul_i32 s54, s22, s4
	s_mul_hi_u32 s60, s22, s20
	s_mul_i32 s56, s23, s20
	s_add_i32 s54, s60, s54
	s_mul_i32 s61, s22, s20
	s_add_i32 s54, s54, s56
	s_mul_hi_u32 s60, s20, s61
	s_mul_hi_u32 s62, s4, s61
	s_mul_i32 s56, s4, s61
	s_mul_hi_u32 s61, s20, s54
	s_mul_i32 s20, s20, s54
	s_mul_hi_u32 s63, s4, s54
	s_add_u32 s20, s60, s20
	s_addc_u32 s60, 0, s61
	s_add_u32 s20, s20, s56
	s_mul_i32 s54, s4, s54
	s_addc_u32 s20, s60, s62
	s_addc_u32 s56, s63, 0
	s_add_u32 s20, s20, s54
	s_addc_u32 s54, 0, s56
	v_add_co_u32 v2, s20, v2, s20
	s_delay_alu instid0(VALU_DEP_1) | instskip(SKIP_1) | instid1(VALU_DEP_1)
	s_cmp_lg_u32 s20, 0
	s_addc_u32 s4, s4, s54
	v_readfirstlane_b32 s20, v2
	s_mul_i32 s54, s22, s4
	s_delay_alu instid0(VALU_DEP_1)
	s_mul_hi_u32 s56, s22, s20
	s_mul_i32 s23, s23, s20
	s_add_i32 s54, s56, s54
	s_mul_i32 s22, s22, s20
	s_add_i32 s54, s54, s23
	s_mul_hi_u32 s56, s4, s22
	s_mul_i32 s60, s4, s22
	s_mul_hi_u32 s22, s20, s22
	s_mul_hi_u32 s61, s20, s54
	s_mul_i32 s20, s20, s54
	s_mul_hi_u32 s23, s4, s54
	s_add_u32 s20, s22, s20
	s_addc_u32 s22, 0, s61
	s_add_u32 s20, s20, s60
	s_mul_i32 s54, s4, s54
	s_addc_u32 s20, s22, s56
	s_addc_u32 s22, s23, 0
	s_add_u32 s20, s20, s54
	s_addc_u32 s22, 0, s22
	v_add_co_u32 v2, s20, v2, s20
	s_delay_alu instid0(VALU_DEP_1) | instskip(SKIP_1) | instid1(VALU_DEP_1)
	s_cmp_lg_u32 s20, 0
	s_addc_u32 s4, s4, s22
	v_readfirstlane_b32 s20, v2
	s_mul_i32 s23, s19, s4
	s_mul_hi_u32 s22, s19, s4
	s_mul_hi_u32 s54, s5, s4
	s_mul_i32 s4, s5, s4
	s_mul_hi_u32 s56, s19, s20
	s_mul_hi_u32 s60, s5, s20
	s_mul_i32 s20, s5, s20
	s_add_u32 s23, s56, s23
	s_addc_u32 s22, 0, s22
	s_add_u32 s20, s23, s20
	s_addc_u32 s20, s22, s60
	s_addc_u32 s22, s54, 0
	s_add_u32 s4, s20, s4
	s_addc_u32 s20, 0, s22
	s_mul_hi_u32 s22, s41, s4
	s_mul_i32 s4, s41, s4
	s_mul_i32 s20, s41, s20
	v_sub_co_u32 v2, s4, s19, s4
	s_add_i32 s22, s22, s20
	s_cmp_lg_u32 s4, 0
	s_delay_alu instid0(VALU_DEP_1) | instskip(SKIP_2) | instid1(VALU_DEP_1)
	v_sub_co_u32 v3, s4, v2, s41
	s_subb_u32 s20, s5, s22
	s_cmp_lg_u32 s4, 0
	v_cmp_le_u32_e32 vcc_lo, s41, v3
	v_sub_co_u32 v4, s4, v3, s41
	s_subb_u32 s22, s20, 0
	s_cmp_lg_u32 s4, 0
	v_cndmask_b32_e64 v5, 0, -1, vcc_lo
	s_subb_u32 s4, s22, 0
	s_cmp_eq_u32 s22, 0
	v_mov_b32_e32 v7, s4
	s_cselect_b32 vcc_lo, -1, 0
	s_cmp_eq_u32 s20, 0
	v_cndmask_b32_e32 v5, -1, v5, vcc_lo
	v_cmp_le_u32_e32 vcc_lo, s41, v2
	s_cselect_b32 s4, -1, 0
	v_cndmask_b32_e64 v6, 0, -1, vcc_lo
	s_delay_alu instid0(VALU_DEP_3) | instskip(NEXT) | instid1(VALU_DEP_2)
	v_cmp_ne_u32_e32 vcc_lo, 0, v5
	v_cndmask_b32_e64 v5, -1, v6, s4
	v_cndmask_b32_e32 v6, s22, v7, vcc_lo
	v_cndmask_b32_e32 v4, v3, v4, vcc_lo
	s_delay_alu instid0(VALU_DEP_3) | instskip(NEXT) | instid1(VALU_DEP_3)
	v_cmp_ne_u32_e32 vcc_lo, 0, v5
	v_cndmask_b32_e32 v3, s20, v6, vcc_lo
	s_delay_alu instid0(VALU_DEP_3)
	v_cndmask_b32_e32 v2, v2, v4, vcc_lo
	s_cbranch_execnz .LBB93_140
.LBB93_139:                             ;   in Loop: Header=BB93_15 Depth=1
	v_cvt_f32_u32_e32 v2, s41
	s_sub_i32 s4, 0, s41
	s_delay_alu instid0(VALU_DEP_1) | instskip(SKIP_2) | instid1(VALU_DEP_1)
	v_rcp_iflag_f32_e32 v2, v2
	s_waitcnt_depctr 0xfff
	v_mul_f32_e32 v2, 0x4f7ffffe, v2
	v_cvt_u32_f32_e32 v2, v2
	s_delay_alu instid0(VALU_DEP_1) | instskip(NEXT) | instid1(VALU_DEP_1)
	v_mul_lo_u32 v3, s4, v2
	v_mul_hi_u32 v3, v2, v3
	s_delay_alu instid0(VALU_DEP_1) | instskip(NEXT) | instid1(VALU_DEP_1)
	v_add_nc_u32_e32 v2, v2, v3
	v_mul_hi_u32 v2, s19, v2
	s_delay_alu instid0(VALU_DEP_1) | instskip(NEXT) | instid1(VALU_DEP_1)
	v_mul_lo_u32 v2, v2, s41
	v_sub_nc_u32_e32 v2, s19, v2
	s_delay_alu instid0(VALU_DEP_1) | instskip(SKIP_1) | instid1(VALU_DEP_2)
	v_subrev_nc_u32_e32 v3, s41, v2
	v_cmp_le_u32_e32 vcc_lo, s41, v2
	v_cndmask_b32_e32 v2, v2, v3, vcc_lo
	s_delay_alu instid0(VALU_DEP_1) | instskip(SKIP_1) | instid1(VALU_DEP_2)
	v_subrev_nc_u32_e32 v3, s41, v2
	v_cmp_le_u32_e32 vcc_lo, s41, v2
	v_cndmask_b32_e32 v10, v2, v3, vcc_lo
	s_delay_alu instid0(VALU_DEP_1)
	v_dual_mov_b32 v2, v10 :: v_dual_mov_b32 v3, v11
.LBB93_140:                             ;   in Loop: Header=BB93_15 Depth=1
	s_delay_alu instid0(VALU_DEP_1) | instskip(NEXT) | instid1(VALU_DEP_2)
	v_sub_co_u32 v2, vcc_lo, s19, v2
	v_sub_co_ci_u32_e32 v3, vcc_lo, s5, v3, vcc_lo
	s_mov_b32 s4, 0
	s_mov_b32 s5, exec_lo
                                        ; implicit-def: $vgpr18
	s_delay_alu instid0(VALU_DEP_1)
	v_cmpx_gt_u64_e64 v[2:3], v[0:1]
	s_cbranch_execz .LBB93_153
; %bb.141:                              ;   in Loop: Header=BB93_15 Depth=1
	v_dual_mov_b32 v6, v12 :: v_dual_mov_b32 v5, v1
	v_mov_b32_e32 v4, v0
                                        ; implicit-def: $sgpr19
	s_set_inst_prefetch_distance 0x1
	s_branch .LBB93_143
	.p2align	6
.LBB93_142:                             ;   in Loop: Header=BB93_143 Depth=2
	s_or_b32 exec_lo, exec_lo, s20
	s_waitcnt lgkmcnt(0)
	s_barrier
	buffer_gl0_inv
	ds_load_b64 v[17:18], v11 offset:3072
	v_add_co_u32 v4, vcc_lo, v4, s41
	v_add_co_ci_u32_e32 v5, vcc_lo, 0, v5, vcc_lo
	v_add_nc_u32_e32 v6, s79, v6
	s_waitcnt lgkmcnt(0)
	s_barrier
	s_delay_alu instid0(VALU_DEP_2) | instskip(SKIP_2) | instid1(VALU_DEP_1)
	v_cmp_ge_u64_e32 vcc_lo, v[4:5], v[2:3]
	buffer_gl0_inv
	v_readfirstlane_b32 s20, v17
	s_cmp_lg_u32 s20, 0
	s_cselect_b32 s20, -1, 0
	s_delay_alu instid0(SALU_CYCLE_1) | instskip(NEXT) | instid1(SALU_CYCLE_1)
	s_or_b32 s22, vcc_lo, s20
	s_and_b32 s22, exec_lo, s22
	s_delay_alu instid0(SALU_CYCLE_1) | instskip(SKIP_2) | instid1(SALU_CYCLE_1)
	s_or_b32 s4, s22, s4
	s_and_not1_b32 s19, s19, exec_lo
	s_and_b32 s20, s20, exec_lo
	s_or_b32 s19, s19, s20
	s_and_not1_b32 exec_lo, exec_lo, s4
	s_cbranch_execz .LBB93_152
.LBB93_143:                             ;   Parent Loop BB93_15 Depth=1
                                        ; =>  This Inner Loop Header: Depth=2
	s_delay_alu instid0(VALU_DEP_1)
	v_cmp_gt_u64_e32 vcc_lo, s[12:13], v[4:5]
	v_mov_b32_e32 v17, 0
	s_and_saveexec_b32 s20, vcc_lo
	s_cbranch_execz .LBB93_145
; %bb.144:                              ;   in Loop: Header=BB93_143 Depth=2
	ds_load_b32 v17, v6
.LBB93_145:                             ;   in Loop: Header=BB93_143 Depth=2
	s_or_b32 exec_lo, exec_lo, s20
	s_and_saveexec_b32 s20, vcc_lo
	s_cbranch_execz .LBB93_142
; %bb.146:                              ;   in Loop: Header=BB93_143 Depth=2
	s_waitcnt lgkmcnt(0)
	v_xor_b32_e32 v7, 0x80000000, v17
	s_delay_alu instid0(VALU_DEP_1) | instskip(NEXT) | instid1(VALU_DEP_1)
	v_and_b32_e32 v7, s90, v7
	v_cmp_eq_u32_e32 vcc_lo, s89, v7
	s_and_b32 exec_lo, exec_lo, vcc_lo
	s_cbranch_execz .LBB93_142
; %bb.147:                              ;   in Loop: Header=BB93_143 Depth=2
	ds_store_b64 v11, v[16:17] offset:3072
	s_branch .LBB93_142
.LBB93_148:                             ;   in Loop: Header=BB93_15 Depth=1
                                        ; implicit-def: $sgpr13
                                        ; implicit-def: $sgpr19
                                        ; implicit-def: $sgpr12
	s_branch .LBB93_167
.LBB93_149:                             ;   in Loop: Header=BB93_15 Depth=1
                                        ; implicit-def: $vgpr2_vgpr3
	s_branch .LBB93_94
.LBB93_150:                             ;   in Loop: Header=BB93_15 Depth=1
                                        ; implicit-def: $vgpr2_vgpr3
	s_branch .LBB93_109
.LBB93_151:                             ;   in Loop: Header=BB93_15 Depth=1
	s_mov_b32 s13, -1
	s_mov_b32 s4, 0
                                        ; implicit-def: $sgpr12
                                        ; implicit-def: $vgpr18
	s_mov_b32 s19, s13
	s_cbranch_execnz .LBB93_154
	s_branch .LBB93_167
.LBB93_152:                             ;   in Loop: Header=BB93_15 Depth=1
	s_set_inst_prefetch_distance 0x2
	s_or_b32 exec_lo, exec_lo, s4
	s_delay_alu instid0(SALU_CYCLE_1)
	s_and_b32 s4, s19, exec_lo
.LBB93_153:                             ;   in Loop: Header=BB93_15 Depth=1
	s_or_b32 exec_lo, exec_lo, s5
	s_mov_b32 s12, -1
	s_mov_b32 s13, 0
	s_delay_alu instid0(SALU_CYCLE_1)
	s_mov_b32 s19, s13
	s_branch .LBB93_167
.LBB93_154:                             ;   in Loop: Header=BB93_15 Depth=1
	s_mov_b32 s56, s55
	s_delay_alu instid0(SALU_CYCLE_1)
	s_cmp_lg_u64 s[56:57], 0
	s_cbranch_scc0 .LBB93_197
; %bb.155:                              ;   in Loop: Header=BB93_15 Depth=1
	v_cvt_f32_u32_e32 v2, s41
	s_sub_u32 s12, 0, s41
	s_subb_u32 s13, 0, 0
	s_delay_alu instid0(VALU_DEP_1) | instskip(NEXT) | instid1(VALU_DEP_1)
	v_fmac_f32_e64 v2, 0, 0x4f800000
	v_rcp_f32_e32 v2, v2
	s_waitcnt_depctr 0xfff
	v_mul_f32_e32 v2, 0x5f7ffffc, v2
	s_delay_alu instid0(VALU_DEP_1) | instskip(NEXT) | instid1(VALU_DEP_1)
	v_mul_f32_e32 v3, 0x2f800000, v2
	v_trunc_f32_e32 v3, v3
	s_delay_alu instid0(VALU_DEP_1) | instskip(SKIP_1) | instid1(VALU_DEP_2)
	v_fmac_f32_e32 v2, 0xcf800000, v3
	v_cvt_u32_f32_e32 v3, v3
	v_cvt_u32_f32_e32 v2, v2
	s_delay_alu instid0(VALU_DEP_2) | instskip(NEXT) | instid1(VALU_DEP_2)
	v_readfirstlane_b32 s4, v3
	v_readfirstlane_b32 s5, v2
	s_delay_alu instid0(VALU_DEP_2) | instskip(NEXT) | instid1(VALU_DEP_1)
	s_mul_i32 s19, s12, s4
	s_mul_hi_u32 s22, s12, s5
	s_mul_i32 s20, s13, s5
	s_add_i32 s19, s22, s19
	s_mul_i32 s23, s12, s5
	s_add_i32 s19, s19, s20
	s_mul_hi_u32 s22, s5, s23
	s_mul_hi_u32 s54, s4, s23
	s_mul_i32 s20, s4, s23
	s_mul_hi_u32 s23, s5, s19
	s_mul_i32 s5, s5, s19
	s_mul_hi_u32 s56, s4, s19
	s_add_u32 s5, s22, s5
	s_addc_u32 s22, 0, s23
	s_add_u32 s5, s5, s20
	s_mul_i32 s19, s4, s19
	s_addc_u32 s5, s22, s54
	s_addc_u32 s20, s56, 0
	s_add_u32 s5, s5, s19
	s_addc_u32 s19, 0, s20
	v_add_co_u32 v2, s5, v2, s5
	s_delay_alu instid0(VALU_DEP_1) | instskip(SKIP_1) | instid1(VALU_DEP_1)
	s_cmp_lg_u32 s5, 0
	s_addc_u32 s4, s4, s19
	v_readfirstlane_b32 s5, v2
	s_mul_i32 s19, s12, s4
	s_delay_alu instid0(VALU_DEP_1)
	s_mul_hi_u32 s20, s12, s5
	s_mul_i32 s13, s13, s5
	s_add_i32 s19, s20, s19
	s_mul_i32 s12, s12, s5
	s_add_i32 s19, s19, s13
	s_mul_hi_u32 s20, s4, s12
	s_mul_i32 s22, s4, s12
	s_mul_hi_u32 s12, s5, s12
	s_mul_hi_u32 s23, s5, s19
	s_mul_i32 s5, s5, s19
	s_mul_hi_u32 s13, s4, s19
	s_add_u32 s5, s12, s5
	s_addc_u32 s12, 0, s23
	s_add_u32 s5, s5, s22
	s_mul_i32 s19, s4, s19
	s_addc_u32 s5, s12, s20
	s_addc_u32 s12, s13, 0
	s_add_u32 s5, s5, s19
	s_addc_u32 s12, 0, s12
	v_add_co_u32 v2, s5, v2, s5
	s_delay_alu instid0(VALU_DEP_1) | instskip(SKIP_1) | instid1(VALU_DEP_1)
	s_cmp_lg_u32 s5, 0
	s_addc_u32 s4, s4, s12
	v_readfirstlane_b32 s5, v2
	s_mul_i32 s13, s73, s4
	s_mul_hi_u32 s12, s73, s4
	s_mul_hi_u32 s19, s57, s4
	s_mul_i32 s4, s57, s4
	s_mul_hi_u32 s20, s73, s5
	s_mul_hi_u32 s22, s57, s5
	s_mul_i32 s5, s57, s5
	s_add_u32 s13, s20, s13
	s_addc_u32 s12, 0, s12
	s_add_u32 s5, s13, s5
	s_addc_u32 s5, s12, s22
	s_addc_u32 s12, s19, 0
	s_add_u32 s4, s5, s4
	s_addc_u32 s5, 0, s12
	s_mul_hi_u32 s12, s41, s4
	s_mul_i32 s4, s41, s4
	s_mul_i32 s5, s41, s5
	v_sub_co_u32 v2, s4, s73, s4
	s_add_i32 s12, s12, s5
	s_cmp_lg_u32 s4, 0
	s_delay_alu instid0(VALU_DEP_1) | instskip(SKIP_2) | instid1(VALU_DEP_1)
	v_sub_co_u32 v3, s4, v2, s41
	s_subb_u32 s5, s57, s12
	s_cmp_lg_u32 s4, 0
	v_cmp_le_u32_e32 vcc_lo, s41, v3
	v_sub_co_u32 v4, s4, v3, s41
	s_subb_u32 s12, s5, 0
	s_cmp_lg_u32 s4, 0
	v_cndmask_b32_e64 v5, 0, -1, vcc_lo
	s_subb_u32 s4, s12, 0
	s_cmp_eq_u32 s12, 0
	v_mov_b32_e32 v7, s4
	s_cselect_b32 vcc_lo, -1, 0
	s_cmp_eq_u32 s5, 0
	v_cndmask_b32_e32 v5, -1, v5, vcc_lo
	v_cmp_le_u32_e32 vcc_lo, s41, v2
	s_cselect_b32 s4, -1, 0
	v_cndmask_b32_e64 v6, 0, -1, vcc_lo
	s_delay_alu instid0(VALU_DEP_3) | instskip(NEXT) | instid1(VALU_DEP_2)
	v_cmp_ne_u32_e32 vcc_lo, 0, v5
	v_cndmask_b32_e64 v5, -1, v6, s4
	v_cndmask_b32_e32 v6, s12, v7, vcc_lo
	v_cndmask_b32_e32 v4, v3, v4, vcc_lo
	s_delay_alu instid0(VALU_DEP_3) | instskip(NEXT) | instid1(VALU_DEP_3)
	v_cmp_ne_u32_e32 vcc_lo, 0, v5
	v_cndmask_b32_e32 v3, s5, v6, vcc_lo
	s_delay_alu instid0(VALU_DEP_3)
	v_cndmask_b32_e32 v2, v2, v4, vcc_lo
	s_cbranch_execnz .LBB93_157
.LBB93_156:                             ;   in Loop: Header=BB93_15 Depth=1
	v_cvt_f32_u32_e32 v2, s41
	s_sub_i32 s4, 0, s41
	s_delay_alu instid0(VALU_DEP_1) | instskip(SKIP_2) | instid1(VALU_DEP_1)
	v_rcp_iflag_f32_e32 v2, v2
	s_waitcnt_depctr 0xfff
	v_mul_f32_e32 v2, 0x4f7ffffe, v2
	v_cvt_u32_f32_e32 v2, v2
	s_delay_alu instid0(VALU_DEP_1) | instskip(NEXT) | instid1(VALU_DEP_1)
	v_mul_lo_u32 v3, s4, v2
	v_mul_hi_u32 v3, v2, v3
	s_delay_alu instid0(VALU_DEP_1) | instskip(NEXT) | instid1(VALU_DEP_1)
	v_add_nc_u32_e32 v2, v2, v3
	v_mul_hi_u32 v2, s73, v2
	s_delay_alu instid0(VALU_DEP_1) | instskip(NEXT) | instid1(VALU_DEP_1)
	v_mul_lo_u32 v2, v2, s41
	v_sub_nc_u32_e32 v2, s73, v2
	s_delay_alu instid0(VALU_DEP_1) | instskip(SKIP_1) | instid1(VALU_DEP_2)
	v_subrev_nc_u32_e32 v3, s41, v2
	v_cmp_le_u32_e32 vcc_lo, s41, v2
	v_cndmask_b32_e32 v2, v2, v3, vcc_lo
	s_delay_alu instid0(VALU_DEP_1) | instskip(SKIP_1) | instid1(VALU_DEP_2)
	v_subrev_nc_u32_e32 v3, s41, v2
	v_cmp_le_u32_e32 vcc_lo, s41, v2
	v_cndmask_b32_e32 v10, v2, v3, vcc_lo
	s_delay_alu instid0(VALU_DEP_1)
	v_dual_mov_b32 v2, v10 :: v_dual_mov_b32 v3, v11
.LBB93_157:                             ;   in Loop: Header=BB93_15 Depth=1
	s_delay_alu instid0(VALU_DEP_1) | instskip(NEXT) | instid1(VALU_DEP_2)
	v_sub_co_u32 v2, vcc_lo, s73, v2
	v_sub_co_ci_u32_e32 v3, vcc_lo, s57, v3, vcc_lo
	s_mov_b32 s4, 0
	s_mov_b32 s5, exec_lo
                                        ; implicit-def: $vgpr18
	s_delay_alu instid0(VALU_DEP_1)
	v_cmpx_gt_u64_e64 v[2:3], v[0:1]
	s_cbranch_execz .LBB93_166
; %bb.158:                              ;   in Loop: Header=BB93_15 Depth=1
	v_dual_mov_b32 v5, v1 :: v_dual_mov_b32 v4, v0
	s_mov_b32 s12, 0
                                        ; implicit-def: $sgpr13
	s_branch .LBB93_160
.LBB93_159:                             ;   in Loop: Header=BB93_160 Depth=2
	s_or_b32 exec_lo, exec_lo, s4
	s_waitcnt vmcnt(0) lgkmcnt(0)
	s_barrier
	buffer_gl0_inv
	ds_load_b64 v[17:18], v11 offset:3072
	v_add_co_u32 v4, vcc_lo, v4, s41
	v_add_co_ci_u32_e32 v5, vcc_lo, 0, v5, vcc_lo
	s_waitcnt lgkmcnt(0)
	s_barrier
	buffer_gl0_inv
	v_cmp_ge_u64_e32 vcc_lo, v[4:5], v[2:3]
	v_readfirstlane_b32 s4, v17
	s_delay_alu instid0(VALU_DEP_1) | instskip(SKIP_1) | instid1(SALU_CYCLE_1)
	s_cmp_lg_u32 s4, 0
	s_cselect_b32 s4, -1, 0
	s_or_b32 s19, vcc_lo, s4
	s_delay_alu instid0(SALU_CYCLE_1) | instskip(NEXT) | instid1(SALU_CYCLE_1)
	s_and_b32 s19, exec_lo, s19
	s_or_b32 s12, s19, s12
	s_and_not1_b32 s13, s13, exec_lo
	s_and_b32 s4, s4, exec_lo
	s_delay_alu instid0(SALU_CYCLE_1)
	s_or_b32 s13, s13, s4
	s_and_not1_b32 exec_lo, exec_lo, s12
	s_cbranch_execz .LBB93_165
.LBB93_160:                             ;   Parent Loop BB93_15 Depth=1
                                        ; =>  This Inner Loop Header: Depth=2
	s_delay_alu instid0(VALU_DEP_1)
	v_cmp_gt_u64_e32 vcc_lo, s[24:25], v[4:5]
	v_mov_b32_e32 v17, 0
	s_and_saveexec_b32 s19, vcc_lo
	s_cbranch_execz .LBB93_162
; %bb.161:                              ;   in Loop: Header=BB93_160 Depth=2
	v_mul_lo_u32 v8, v5, s42
	v_mul_lo_u32 v9, v4, s43
	v_mad_u64_u32 v[6:7], null, v4, s42, 0
	s_delay_alu instid0(VALU_DEP_1) | instskip(NEXT) | instid1(VALU_DEP_1)
	v_add3_u32 v7, v7, v9, v8
	v_lshlrev_b64 v[6:7], 2, v[6:7]
	s_delay_alu instid0(VALU_DEP_1) | instskip(NEXT) | instid1(VALU_DEP_1)
	v_add_co_u32 v6, s4, s33, v6
	v_add_co_ci_u32_e64 v7, s4, s35, v7, s4
	global_load_b32 v17, v[6:7], off
.LBB93_162:                             ;   in Loop: Header=BB93_160 Depth=2
	s_or_b32 exec_lo, exec_lo, s19
	s_and_saveexec_b32 s4, vcc_lo
	s_cbranch_execz .LBB93_159
; %bb.163:                              ;   in Loop: Header=BB93_160 Depth=2
	s_waitcnt vmcnt(0)
	v_xor_b32_e32 v6, 0x80000000, v17
	s_delay_alu instid0(VALU_DEP_1) | instskip(NEXT) | instid1(VALU_DEP_1)
	v_and_b32_e32 v6, s90, v6
	v_cmp_eq_u32_e32 vcc_lo, s89, v6
	s_and_b32 exec_lo, exec_lo, vcc_lo
	s_cbranch_execz .LBB93_159
; %bb.164:                              ;   in Loop: Header=BB93_160 Depth=2
	ds_store_b64 v11, v[16:17] offset:3072
	s_branch .LBB93_159
.LBB93_165:                             ;   in Loop: Header=BB93_15 Depth=1
	s_or_b32 exec_lo, exec_lo, s12
	s_delay_alu instid0(SALU_CYCLE_1)
	s_and_b32 s4, s13, exec_lo
.LBB93_166:                             ;   in Loop: Header=BB93_15 Depth=1
	s_or_b32 exec_lo, exec_lo, s5
	s_mov_b32 s19, -1
	s_mov_b32 s13, 0
	s_mov_b32 s12, 0
.LBB93_167:                             ;   in Loop: Header=BB93_15 Depth=1
	s_mov_b32 s5, 0
                                        ; implicit-def: $sgpr54
	s_and_saveexec_b32 s20, s4
	s_cbranch_execz .LBB93_278
; %bb.168:                              ;   in Loop: Header=BB93_15 Depth=1
	s_xor_b32 s4, s21, -1
	s_mov_b32 s54, 1
	s_and_not1_b32 vcc_lo, exec_lo, s4
	s_cbranch_vccnz .LBB93_179
; %bb.169:                              ;   in Loop: Header=BB93_15 Depth=1
	v_cmp_gt_u64_e64 s4, s[52:53], s[10:11]
                                        ; implicit-def: $sgpr54
                                        ; implicit-def: $sgpr5
                                        ; implicit-def: $sgpr21
	s_delay_alu instid0(VALU_DEP_1)
	s_and_b32 vcc_lo, exec_lo, s4
	s_mov_b32 s4, -1
	s_cbranch_vccnz .LBB93_175
; %bb.170:                              ;   in Loop: Header=BB93_15 Depth=1
	ds_load_b64 v[2:3], v11 offset:5120
	s_waitcnt lgkmcnt(0)
	v_cmp_ne_u64_e32 vcc_lo, 0, v[2:3]
	s_cbranch_vccnz .LBB93_174
; %bb.171:                              ;   in Loop: Header=BB93_15 Depth=1
	s_and_saveexec_b32 s4, s2
	s_cbranch_execz .LBB93_173
; %bb.172:                              ;   in Loop: Header=BB93_15 Depth=1
	v_dual_mov_b32 v2, s10 :: v_dual_mov_b32 v3, s11
	ds_store_b64 v11, v[2:3] offset:5128
.LBB93_173:                             ;   in Loop: Header=BB93_15 Depth=1
	s_or_b32 exec_lo, exec_lo, s4
	s_waitcnt lgkmcnt(0)
	s_barrier
	buffer_gl0_inv
.LBB93_174:                             ;   in Loop: Header=BB93_15 Depth=1
	s_lshl_b32 s4, 1, s17
	s_and_b32 s5, s89, s18
	s_or_b32 s21, s90, s16
	s_or_b32 s5, s5, s4
	s_mov_b32 s4, 0
	s_mov_b32 s54, 8
.LBB93_175:                             ;   in Loop: Header=BB93_15 Depth=1
	s_and_not1_b32 vcc_lo, exec_lo, s4
	s_cbranch_vccnz .LBB93_177
; %bb.176:                              ;   in Loop: Header=BB93_15 Depth=1
	s_sub_u32 s52, s52, s10
	s_subb_u32 s53, s53, s11
	s_mov_b32 s4, -1
	s_mov_b32 s54, 0
	s_mov_b32 s5, s89
	;; [unrolled: 1-line block ×3, first 2 shown]
.LBB93_177:                             ;   in Loop: Header=BB93_15 Depth=1
	s_delay_alu instid0(SALU_CYCLE_1)
	s_mov_b32 s90, s21
	s_mov_b32 s89, s5
	s_and_not1_b32 vcc_lo, exec_lo, s4
	s_mov_b32 s5, -1
	s_cbranch_vccz .LBB93_180
.LBB93_178:                             ;   in Loop: Header=BB93_15 Depth=1
                                        ; implicit-def: $sgpr11
                                        ; implicit-def: $sgpr21
                                        ; implicit-def: $sgpr10
	s_branch .LBB93_277
.LBB93_179:                             ;   in Loop: Header=BB93_15 Depth=1
	s_mov_b64 s[52:53], 1
	s_mov_b32 s5, -1
	s_cbranch_execnz .LBB93_178
.LBB93_180:                             ;   in Loop: Header=BB93_15 Depth=1
	s_cmp_eq_u64 s[8:9], 1
	s_cselect_b32 s4, -1, 0
	s_cmp_eq_u64 s[52:53], 1
	s_cselect_b32 s5, -1, 0
	s_delay_alu instid0(SALU_CYCLE_1)
	s_and_b32 s23, s4, s5
	s_mov_b32 s4, -1
	s_and_b32 vcc_lo, exec_lo, s23
	s_cbranch_vccz .LBB93_195
; %bb.181:                              ;   in Loop: Header=BB93_15 Depth=1
	ds_load_b64 v[2:3], v11 offset:5120
	s_waitcnt lgkmcnt(0)
	s_barrier
	buffer_gl0_inv
	v_readfirstlane_b32 s10, v2
	v_readfirstlane_b32 s11, v3
	s_and_saveexec_b32 s4, s3
	s_cbranch_execz .LBB93_183
; %bb.182:                              ;   in Loop: Header=BB93_15 Depth=1
	ds_store_b32 v24, v11
.LBB93_183:                             ;   in Loop: Header=BB93_15 Depth=1
	s_or_b32 exec_lo, exec_lo, s4
	s_lshl_b32 s4, 2, s17
	s_and_b32 s5, s89, s18
	s_or_b32 s90, s90, s16
	s_or_b32 s89, s5, s4
	s_cmp_eq_u64 s[10:11], 0
	s_waitcnt lgkmcnt(0)
	s_barrier
	buffer_gl0_inv
	s_cbranch_scc1 .LBB93_198
; %bb.184:                              ;   in Loop: Header=BB93_15 Depth=1
	s_add_u32 s21, s71, s10
	s_addc_u32 s5, s72, s11
	s_mov_b32 s4, s55
	s_delay_alu instid0(SALU_CYCLE_1)
	s_cmp_lg_u64 s[4:5], 0
	s_cbranch_scc0 .LBB93_243
; %bb.185:                              ;   in Loop: Header=BB93_15 Depth=1
	v_cvt_f32_u32_e32 v2, s41
	s_sub_u32 s54, 0, s41
	s_subb_u32 s56, 0, 0
	s_delay_alu instid0(VALU_DEP_1) | instskip(NEXT) | instid1(VALU_DEP_1)
	v_fmac_f32_e64 v2, 0, 0x4f800000
	v_rcp_f32_e32 v2, v2
	s_waitcnt_depctr 0xfff
	v_mul_f32_e32 v2, 0x5f7ffffc, v2
	s_delay_alu instid0(VALU_DEP_1) | instskip(NEXT) | instid1(VALU_DEP_1)
	v_mul_f32_e32 v3, 0x2f800000, v2
	v_trunc_f32_e32 v3, v3
	s_delay_alu instid0(VALU_DEP_1) | instskip(SKIP_1) | instid1(VALU_DEP_2)
	v_fmac_f32_e32 v2, 0xcf800000, v3
	v_cvt_u32_f32_e32 v3, v3
	v_cvt_u32_f32_e32 v2, v2
	s_delay_alu instid0(VALU_DEP_2) | instskip(NEXT) | instid1(VALU_DEP_2)
	v_readfirstlane_b32 s4, v3
	v_readfirstlane_b32 s22, v2
	s_delay_alu instid0(VALU_DEP_2) | instskip(NEXT) | instid1(VALU_DEP_1)
	s_mul_i32 s60, s54, s4
	s_mul_hi_u32 s62, s54, s22
	s_mul_i32 s61, s56, s22
	s_add_i32 s60, s62, s60
	s_mul_i32 s63, s54, s22
	s_add_i32 s60, s60, s61
	s_mul_hi_u32 s62, s22, s63
	s_mul_hi_u32 s64, s4, s63
	s_mul_i32 s61, s4, s63
	s_mul_hi_u32 s63, s22, s60
	s_mul_i32 s22, s22, s60
	s_mul_hi_u32 s65, s4, s60
	s_add_u32 s22, s62, s22
	s_addc_u32 s62, 0, s63
	s_add_u32 s22, s22, s61
	s_mul_i32 s60, s4, s60
	s_addc_u32 s22, s62, s64
	s_addc_u32 s61, s65, 0
	s_add_u32 s22, s22, s60
	s_addc_u32 s60, 0, s61
	v_add_co_u32 v2, s22, v2, s22
	s_delay_alu instid0(VALU_DEP_1) | instskip(SKIP_1) | instid1(VALU_DEP_1)
	s_cmp_lg_u32 s22, 0
	s_addc_u32 s4, s4, s60
	v_readfirstlane_b32 s22, v2
	s_mul_i32 s60, s54, s4
	s_delay_alu instid0(VALU_DEP_1)
	s_mul_hi_u32 s61, s54, s22
	s_mul_i32 s56, s56, s22
	s_add_i32 s60, s61, s60
	s_mul_i32 s54, s54, s22
	s_add_i32 s60, s60, s56
	s_mul_hi_u32 s61, s4, s54
	s_mul_i32 s62, s4, s54
	s_mul_hi_u32 s54, s22, s54
	s_mul_hi_u32 s63, s22, s60
	s_mul_i32 s22, s22, s60
	s_mul_hi_u32 s56, s4, s60
	s_add_u32 s22, s54, s22
	s_addc_u32 s54, 0, s63
	s_add_u32 s22, s22, s62
	s_mul_i32 s60, s4, s60
	s_addc_u32 s22, s54, s61
	s_addc_u32 s54, s56, 0
	s_add_u32 s22, s22, s60
	s_addc_u32 s54, 0, s54
	v_add_co_u32 v2, s22, v2, s22
	s_delay_alu instid0(VALU_DEP_1) | instskip(SKIP_1) | instid1(VALU_DEP_1)
	s_cmp_lg_u32 s22, 0
	s_addc_u32 s4, s4, s54
	v_readfirstlane_b32 s22, v2
	s_mul_i32 s56, s21, s4
	s_mul_hi_u32 s54, s21, s4
	s_mul_hi_u32 s60, s5, s4
	s_mul_i32 s4, s5, s4
	s_mul_hi_u32 s61, s21, s22
	s_mul_hi_u32 s62, s5, s22
	s_mul_i32 s22, s5, s22
	s_add_u32 s56, s61, s56
	s_addc_u32 s54, 0, s54
	s_add_u32 s22, s56, s22
	s_addc_u32 s22, s54, s62
	s_addc_u32 s54, s60, 0
	s_add_u32 s4, s22, s4
	s_addc_u32 s22, 0, s54
	s_mul_hi_u32 s54, s41, s4
	s_mul_i32 s4, s41, s4
	s_mul_i32 s22, s41, s22
	v_sub_co_u32 v2, s4, s21, s4
	s_add_i32 s54, s54, s22
	s_cmp_lg_u32 s4, 0
	s_delay_alu instid0(VALU_DEP_1) | instskip(SKIP_2) | instid1(VALU_DEP_1)
	v_sub_co_u32 v3, s4, v2, s41
	s_subb_u32 s22, s5, s54
	s_cmp_lg_u32 s4, 0
	v_cmp_le_u32_e32 vcc_lo, s41, v3
	v_sub_co_u32 v4, s4, v3, s41
	s_subb_u32 s54, s22, 0
	s_cmp_lg_u32 s4, 0
	v_cndmask_b32_e64 v5, 0, -1, vcc_lo
	s_subb_u32 s4, s54, 0
	s_cmp_eq_u32 s54, 0
	v_mov_b32_e32 v7, s4
	s_cselect_b32 vcc_lo, -1, 0
	s_cmp_eq_u32 s22, 0
	v_cndmask_b32_e32 v5, -1, v5, vcc_lo
	v_cmp_le_u32_e32 vcc_lo, s41, v2
	s_cselect_b32 s4, -1, 0
	v_cndmask_b32_e64 v6, 0, -1, vcc_lo
	s_delay_alu instid0(VALU_DEP_3) | instskip(NEXT) | instid1(VALU_DEP_2)
	v_cmp_ne_u32_e32 vcc_lo, 0, v5
	v_cndmask_b32_e64 v5, -1, v6, s4
	v_cndmask_b32_e32 v6, s54, v7, vcc_lo
	v_cndmask_b32_e32 v4, v3, v4, vcc_lo
	s_delay_alu instid0(VALU_DEP_3) | instskip(NEXT) | instid1(VALU_DEP_3)
	v_cmp_ne_u32_e32 vcc_lo, 0, v5
	v_cndmask_b32_e32 v3, s22, v6, vcc_lo
	s_delay_alu instid0(VALU_DEP_3)
	v_cndmask_b32_e32 v2, v2, v4, vcc_lo
	s_cbranch_execnz .LBB93_187
.LBB93_186:                             ;   in Loop: Header=BB93_15 Depth=1
	v_cvt_f32_u32_e32 v2, s41
	s_sub_i32 s4, 0, s41
	s_delay_alu instid0(VALU_DEP_1) | instskip(SKIP_2) | instid1(VALU_DEP_1)
	v_rcp_iflag_f32_e32 v2, v2
	s_waitcnt_depctr 0xfff
	v_mul_f32_e32 v2, 0x4f7ffffe, v2
	v_cvt_u32_f32_e32 v2, v2
	s_delay_alu instid0(VALU_DEP_1) | instskip(NEXT) | instid1(VALU_DEP_1)
	v_mul_lo_u32 v3, s4, v2
	v_mul_hi_u32 v3, v2, v3
	s_delay_alu instid0(VALU_DEP_1) | instskip(NEXT) | instid1(VALU_DEP_1)
	v_add_nc_u32_e32 v2, v2, v3
	v_mul_hi_u32 v2, s21, v2
	s_delay_alu instid0(VALU_DEP_1) | instskip(NEXT) | instid1(VALU_DEP_1)
	v_mul_lo_u32 v2, v2, s41
	v_sub_nc_u32_e32 v2, s21, v2
	s_delay_alu instid0(VALU_DEP_1) | instskip(SKIP_1) | instid1(VALU_DEP_2)
	v_subrev_nc_u32_e32 v3, s41, v2
	v_cmp_le_u32_e32 vcc_lo, s41, v2
	v_cndmask_b32_e32 v2, v2, v3, vcc_lo
	s_delay_alu instid0(VALU_DEP_1) | instskip(SKIP_1) | instid1(VALU_DEP_2)
	v_subrev_nc_u32_e32 v3, s41, v2
	v_cmp_le_u32_e32 vcc_lo, s41, v2
	v_cndmask_b32_e32 v10, v2, v3, vcc_lo
	s_delay_alu instid0(VALU_DEP_1)
	v_dual_mov_b32 v2, v10 :: v_dual_mov_b32 v3, v11
.LBB93_187:                             ;   in Loop: Header=BB93_15 Depth=1
	s_delay_alu instid0(VALU_DEP_1) | instskip(NEXT) | instid1(VALU_DEP_2)
	v_sub_co_u32 v2, vcc_lo, s21, v2
	v_sub_co_ci_u32_e32 v3, vcc_lo, s5, v3, vcc_lo
	s_mov_b32 s4, 0
	s_mov_b32 s5, exec_lo
                                        ; implicit-def: $vgpr18
	s_delay_alu instid0(VALU_DEP_1)
	v_cmpx_gt_u64_e64 v[2:3], v[0:1]
	s_cbranch_execz .LBB93_200
; %bb.188:                              ;   in Loop: Header=BB93_15 Depth=1
	v_dual_mov_b32 v6, v12 :: v_dual_mov_b32 v5, v1
	v_mov_b32_e32 v4, v0
                                        ; implicit-def: $sgpr21
	s_set_inst_prefetch_distance 0x1
	s_branch .LBB93_190
	.p2align	6
.LBB93_189:                             ;   in Loop: Header=BB93_190 Depth=2
	s_or_b32 exec_lo, exec_lo, s22
	s_waitcnt lgkmcnt(0)
	s_barrier
	buffer_gl0_inv
	ds_load_b64 v[17:18], v11 offset:3072
	v_add_co_u32 v4, vcc_lo, v4, s41
	v_add_co_ci_u32_e32 v5, vcc_lo, 0, v5, vcc_lo
	v_add_nc_u32_e32 v6, s79, v6
	s_waitcnt lgkmcnt(0)
	s_barrier
	s_delay_alu instid0(VALU_DEP_2) | instskip(SKIP_2) | instid1(VALU_DEP_1)
	v_cmp_ge_u64_e32 vcc_lo, v[4:5], v[2:3]
	buffer_gl0_inv
	v_readfirstlane_b32 s22, v17
	s_cmp_lg_u32 s22, 0
	s_cselect_b32 s22, -1, 0
	s_delay_alu instid0(SALU_CYCLE_1) | instskip(NEXT) | instid1(SALU_CYCLE_1)
	s_or_b32 s54, vcc_lo, s22
	s_and_b32 s54, exec_lo, s54
	s_delay_alu instid0(SALU_CYCLE_1) | instskip(SKIP_2) | instid1(SALU_CYCLE_1)
	s_or_b32 s4, s54, s4
	s_and_not1_b32 s21, s21, exec_lo
	s_and_b32 s22, s22, exec_lo
	s_or_b32 s21, s21, s22
	s_and_not1_b32 exec_lo, exec_lo, s4
	s_cbranch_execz .LBB93_199
.LBB93_190:                             ;   Parent Loop BB93_15 Depth=1
                                        ; =>  This Inner Loop Header: Depth=2
	s_delay_alu instid0(VALU_DEP_1)
	v_cmp_gt_u64_e32 vcc_lo, s[10:11], v[4:5]
	v_mov_b32_e32 v17, 0
	s_and_saveexec_b32 s22, vcc_lo
	s_cbranch_execz .LBB93_192
; %bb.191:                              ;   in Loop: Header=BB93_190 Depth=2
	ds_load_b32 v17, v6
.LBB93_192:                             ;   in Loop: Header=BB93_190 Depth=2
	s_or_b32 exec_lo, exec_lo, s22
	s_and_saveexec_b32 s22, vcc_lo
	s_cbranch_execz .LBB93_189
; %bb.193:                              ;   in Loop: Header=BB93_190 Depth=2
	s_waitcnt lgkmcnt(0)
	v_xor_b32_e32 v7, 0x80000000, v17
	s_delay_alu instid0(VALU_DEP_1) | instskip(NEXT) | instid1(VALU_DEP_1)
	v_and_b32_e32 v7, s90, v7
	v_cmp_eq_u32_e32 vcc_lo, s89, v7
	s_and_b32 exec_lo, exec_lo, vcc_lo
	s_cbranch_execz .LBB93_189
; %bb.194:                              ;   in Loop: Header=BB93_190 Depth=2
	ds_store_b64 v11, v[16:17] offset:3072
	s_branch .LBB93_189
.LBB93_195:                             ;   in Loop: Header=BB93_15 Depth=1
                                        ; implicit-def: $sgpr10
                                        ; implicit-def: $sgpr21
                                        ; implicit-def: $sgpr11
	s_branch .LBB93_214
.LBB93_196:                             ;   in Loop: Header=BB93_15 Depth=1
                                        ; implicit-def: $vgpr2_vgpr3
	s_branch .LBB93_139
.LBB93_197:                             ;   in Loop: Header=BB93_15 Depth=1
                                        ; implicit-def: $vgpr2_vgpr3
	s_branch .LBB93_156
.LBB93_198:                             ;   in Loop: Header=BB93_15 Depth=1
	s_mov_b32 s10, -1
	s_mov_b32 s4, 0
                                        ; implicit-def: $sgpr11
                                        ; implicit-def: $vgpr18
	s_mov_b32 s21, s10
	s_cbranch_execnz .LBB93_201
	s_branch .LBB93_214
.LBB93_199:                             ;   in Loop: Header=BB93_15 Depth=1
	s_set_inst_prefetch_distance 0x2
	s_or_b32 exec_lo, exec_lo, s4
	s_delay_alu instid0(SALU_CYCLE_1)
	s_and_b32 s4, s21, exec_lo
.LBB93_200:                             ;   in Loop: Header=BB93_15 Depth=1
	s_or_b32 exec_lo, exec_lo, s5
	s_mov_b32 s11, -1
	s_mov_b32 s10, 0
	s_delay_alu instid0(SALU_CYCLE_1)
	s_mov_b32 s21, s10
	s_branch .LBB93_214
.LBB93_201:                             ;   in Loop: Header=BB93_15 Depth=1
	s_mov_b32 s56, s55
	s_delay_alu instid0(SALU_CYCLE_1)
	s_cmp_lg_u64 s[56:57], 0
	s_cbranch_scc0 .LBB93_244
; %bb.202:                              ;   in Loop: Header=BB93_15 Depth=1
	v_cvt_f32_u32_e32 v2, s41
	s_sub_u32 s10, 0, s41
	s_subb_u32 s11, 0, 0
	s_delay_alu instid0(VALU_DEP_1) | instskip(NEXT) | instid1(VALU_DEP_1)
	v_fmac_f32_e64 v2, 0, 0x4f800000
	v_rcp_f32_e32 v2, v2
	s_waitcnt_depctr 0xfff
	v_mul_f32_e32 v2, 0x5f7ffffc, v2
	s_delay_alu instid0(VALU_DEP_1) | instskip(NEXT) | instid1(VALU_DEP_1)
	v_mul_f32_e32 v3, 0x2f800000, v2
	v_trunc_f32_e32 v3, v3
	s_delay_alu instid0(VALU_DEP_1) | instskip(SKIP_1) | instid1(VALU_DEP_2)
	v_fmac_f32_e32 v2, 0xcf800000, v3
	v_cvt_u32_f32_e32 v3, v3
	v_cvt_u32_f32_e32 v2, v2
	s_delay_alu instid0(VALU_DEP_2) | instskip(NEXT) | instid1(VALU_DEP_2)
	v_readfirstlane_b32 s4, v3
	v_readfirstlane_b32 s5, v2
	s_delay_alu instid0(VALU_DEP_2) | instskip(NEXT) | instid1(VALU_DEP_1)
	s_mul_i32 s21, s10, s4
	s_mul_hi_u32 s54, s10, s5
	s_mul_i32 s22, s11, s5
	s_add_i32 s21, s54, s21
	s_mul_i32 s56, s10, s5
	s_add_i32 s21, s21, s22
	s_mul_hi_u32 s54, s5, s56
	s_mul_hi_u32 s60, s4, s56
	s_mul_i32 s22, s4, s56
	s_mul_hi_u32 s56, s5, s21
	s_mul_i32 s5, s5, s21
	s_mul_hi_u32 s61, s4, s21
	s_add_u32 s5, s54, s5
	s_addc_u32 s54, 0, s56
	s_add_u32 s5, s5, s22
	s_mul_i32 s21, s4, s21
	s_addc_u32 s5, s54, s60
	s_addc_u32 s22, s61, 0
	s_add_u32 s5, s5, s21
	s_addc_u32 s21, 0, s22
	v_add_co_u32 v2, s5, v2, s5
	s_delay_alu instid0(VALU_DEP_1) | instskip(SKIP_1) | instid1(VALU_DEP_1)
	s_cmp_lg_u32 s5, 0
	s_addc_u32 s4, s4, s21
	v_readfirstlane_b32 s5, v2
	s_mul_i32 s21, s10, s4
	s_delay_alu instid0(VALU_DEP_1)
	s_mul_hi_u32 s22, s10, s5
	s_mul_i32 s11, s11, s5
	s_add_i32 s21, s22, s21
	s_mul_i32 s10, s10, s5
	s_add_i32 s21, s21, s11
	s_mul_hi_u32 s22, s4, s10
	s_mul_i32 s54, s4, s10
	s_mul_hi_u32 s10, s5, s10
	s_mul_hi_u32 s56, s5, s21
	s_mul_i32 s5, s5, s21
	s_mul_hi_u32 s11, s4, s21
	s_add_u32 s5, s10, s5
	s_addc_u32 s10, 0, s56
	s_add_u32 s5, s5, s54
	s_mul_i32 s21, s4, s21
	s_addc_u32 s5, s10, s22
	s_addc_u32 s10, s11, 0
	s_add_u32 s5, s5, s21
	s_addc_u32 s10, 0, s10
	v_add_co_u32 v2, s5, v2, s5
	s_delay_alu instid0(VALU_DEP_1) | instskip(SKIP_1) | instid1(VALU_DEP_1)
	s_cmp_lg_u32 s5, 0
	s_addc_u32 s4, s4, s10
	v_readfirstlane_b32 s5, v2
	s_mul_i32 s11, s73, s4
	s_mul_hi_u32 s10, s73, s4
	s_mul_hi_u32 s21, s57, s4
	s_mul_i32 s4, s57, s4
	s_mul_hi_u32 s22, s73, s5
	s_mul_hi_u32 s54, s57, s5
	s_mul_i32 s5, s57, s5
	s_add_u32 s11, s22, s11
	s_addc_u32 s10, 0, s10
	s_add_u32 s5, s11, s5
	s_addc_u32 s5, s10, s54
	s_addc_u32 s10, s21, 0
	s_add_u32 s4, s5, s4
	s_addc_u32 s5, 0, s10
	s_mul_hi_u32 s10, s41, s4
	s_mul_i32 s4, s41, s4
	s_mul_i32 s5, s41, s5
	v_sub_co_u32 v2, s4, s73, s4
	s_add_i32 s10, s10, s5
	s_cmp_lg_u32 s4, 0
	s_delay_alu instid0(VALU_DEP_1) | instskip(SKIP_2) | instid1(VALU_DEP_1)
	v_sub_co_u32 v3, s4, v2, s41
	s_subb_u32 s5, s57, s10
	s_cmp_lg_u32 s4, 0
	v_cmp_le_u32_e32 vcc_lo, s41, v3
	v_sub_co_u32 v4, s4, v3, s41
	s_subb_u32 s10, s5, 0
	s_cmp_lg_u32 s4, 0
	v_cndmask_b32_e64 v5, 0, -1, vcc_lo
	s_subb_u32 s4, s10, 0
	s_cmp_eq_u32 s10, 0
	v_mov_b32_e32 v7, s4
	s_cselect_b32 vcc_lo, -1, 0
	s_cmp_eq_u32 s5, 0
	v_cndmask_b32_e32 v5, -1, v5, vcc_lo
	v_cmp_le_u32_e32 vcc_lo, s41, v2
	s_cselect_b32 s4, -1, 0
	v_cndmask_b32_e64 v6, 0, -1, vcc_lo
	s_delay_alu instid0(VALU_DEP_3) | instskip(NEXT) | instid1(VALU_DEP_2)
	v_cmp_ne_u32_e32 vcc_lo, 0, v5
	v_cndmask_b32_e64 v5, -1, v6, s4
	v_cndmask_b32_e32 v6, s10, v7, vcc_lo
	v_cndmask_b32_e32 v4, v3, v4, vcc_lo
	s_delay_alu instid0(VALU_DEP_3) | instskip(NEXT) | instid1(VALU_DEP_3)
	v_cmp_ne_u32_e32 vcc_lo, 0, v5
	v_cndmask_b32_e32 v3, s5, v6, vcc_lo
	s_delay_alu instid0(VALU_DEP_3)
	v_cndmask_b32_e32 v2, v2, v4, vcc_lo
	s_cbranch_execnz .LBB93_204
.LBB93_203:                             ;   in Loop: Header=BB93_15 Depth=1
	v_cvt_f32_u32_e32 v2, s41
	s_sub_i32 s4, 0, s41
	s_delay_alu instid0(VALU_DEP_1) | instskip(SKIP_2) | instid1(VALU_DEP_1)
	v_rcp_iflag_f32_e32 v2, v2
	s_waitcnt_depctr 0xfff
	v_mul_f32_e32 v2, 0x4f7ffffe, v2
	v_cvt_u32_f32_e32 v2, v2
	s_delay_alu instid0(VALU_DEP_1) | instskip(NEXT) | instid1(VALU_DEP_1)
	v_mul_lo_u32 v3, s4, v2
	v_mul_hi_u32 v3, v2, v3
	s_delay_alu instid0(VALU_DEP_1) | instskip(NEXT) | instid1(VALU_DEP_1)
	v_add_nc_u32_e32 v2, v2, v3
	v_mul_hi_u32 v2, s73, v2
	s_delay_alu instid0(VALU_DEP_1) | instskip(NEXT) | instid1(VALU_DEP_1)
	v_mul_lo_u32 v2, v2, s41
	v_sub_nc_u32_e32 v2, s73, v2
	s_delay_alu instid0(VALU_DEP_1) | instskip(SKIP_1) | instid1(VALU_DEP_2)
	v_subrev_nc_u32_e32 v3, s41, v2
	v_cmp_le_u32_e32 vcc_lo, s41, v2
	v_cndmask_b32_e32 v2, v2, v3, vcc_lo
	s_delay_alu instid0(VALU_DEP_1) | instskip(SKIP_1) | instid1(VALU_DEP_2)
	v_subrev_nc_u32_e32 v3, s41, v2
	v_cmp_le_u32_e32 vcc_lo, s41, v2
	v_cndmask_b32_e32 v10, v2, v3, vcc_lo
	s_delay_alu instid0(VALU_DEP_1)
	v_dual_mov_b32 v2, v10 :: v_dual_mov_b32 v3, v11
.LBB93_204:                             ;   in Loop: Header=BB93_15 Depth=1
	s_delay_alu instid0(VALU_DEP_1) | instskip(NEXT) | instid1(VALU_DEP_2)
	v_sub_co_u32 v2, vcc_lo, s73, v2
	v_sub_co_ci_u32_e32 v3, vcc_lo, s57, v3, vcc_lo
	s_mov_b32 s4, 0
	s_mov_b32 s5, exec_lo
                                        ; implicit-def: $vgpr18
	s_delay_alu instid0(VALU_DEP_1)
	v_cmpx_gt_u64_e64 v[2:3], v[0:1]
	s_cbranch_execz .LBB93_213
; %bb.205:                              ;   in Loop: Header=BB93_15 Depth=1
	v_dual_mov_b32 v5, v1 :: v_dual_mov_b32 v4, v0
	s_mov_b32 s10, 0
                                        ; implicit-def: $sgpr11
	s_branch .LBB93_207
.LBB93_206:                             ;   in Loop: Header=BB93_207 Depth=2
	s_or_b32 exec_lo, exec_lo, s4
	s_waitcnt vmcnt(0) lgkmcnt(0)
	s_barrier
	buffer_gl0_inv
	ds_load_b64 v[17:18], v11 offset:3072
	v_add_co_u32 v4, vcc_lo, v4, s41
	v_add_co_ci_u32_e32 v5, vcc_lo, 0, v5, vcc_lo
	s_waitcnt lgkmcnt(0)
	s_barrier
	buffer_gl0_inv
	v_cmp_ge_u64_e32 vcc_lo, v[4:5], v[2:3]
	v_readfirstlane_b32 s4, v17
	s_delay_alu instid0(VALU_DEP_1) | instskip(SKIP_1) | instid1(SALU_CYCLE_1)
	s_cmp_lg_u32 s4, 0
	s_cselect_b32 s4, -1, 0
	s_or_b32 s21, vcc_lo, s4
	s_delay_alu instid0(SALU_CYCLE_1) | instskip(NEXT) | instid1(SALU_CYCLE_1)
	s_and_b32 s21, exec_lo, s21
	s_or_b32 s10, s21, s10
	s_and_not1_b32 s11, s11, exec_lo
	s_and_b32 s4, s4, exec_lo
	s_delay_alu instid0(SALU_CYCLE_1)
	s_or_b32 s11, s11, s4
	s_and_not1_b32 exec_lo, exec_lo, s10
	s_cbranch_execz .LBB93_212
.LBB93_207:                             ;   Parent Loop BB93_15 Depth=1
                                        ; =>  This Inner Loop Header: Depth=2
	s_delay_alu instid0(VALU_DEP_1)
	v_cmp_gt_u64_e32 vcc_lo, s[24:25], v[4:5]
	v_mov_b32_e32 v17, 0
	s_and_saveexec_b32 s21, vcc_lo
	s_cbranch_execz .LBB93_209
; %bb.208:                              ;   in Loop: Header=BB93_207 Depth=2
	v_mul_lo_u32 v8, v5, s42
	v_mul_lo_u32 v9, v4, s43
	v_mad_u64_u32 v[6:7], null, v4, s42, 0
	s_delay_alu instid0(VALU_DEP_1) | instskip(NEXT) | instid1(VALU_DEP_1)
	v_add3_u32 v7, v7, v9, v8
	v_lshlrev_b64 v[6:7], 2, v[6:7]
	s_delay_alu instid0(VALU_DEP_1) | instskip(NEXT) | instid1(VALU_DEP_1)
	v_add_co_u32 v6, s4, s33, v6
	v_add_co_ci_u32_e64 v7, s4, s35, v7, s4
	global_load_b32 v17, v[6:7], off
.LBB93_209:                             ;   in Loop: Header=BB93_207 Depth=2
	s_or_b32 exec_lo, exec_lo, s21
	s_and_saveexec_b32 s4, vcc_lo
	s_cbranch_execz .LBB93_206
; %bb.210:                              ;   in Loop: Header=BB93_207 Depth=2
	s_waitcnt vmcnt(0)
	v_xor_b32_e32 v6, 0x80000000, v17
	s_delay_alu instid0(VALU_DEP_1) | instskip(NEXT) | instid1(VALU_DEP_1)
	v_and_b32_e32 v6, s90, v6
	v_cmp_eq_u32_e32 vcc_lo, s89, v6
	s_and_b32 exec_lo, exec_lo, vcc_lo
	s_cbranch_execz .LBB93_206
; %bb.211:                              ;   in Loop: Header=BB93_207 Depth=2
	ds_store_b64 v11, v[16:17] offset:3072
	s_branch .LBB93_206
.LBB93_212:                             ;   in Loop: Header=BB93_15 Depth=1
	s_or_b32 exec_lo, exec_lo, s10
	s_delay_alu instid0(SALU_CYCLE_1)
	s_and_b32 s4, s11, exec_lo
.LBB93_213:                             ;   in Loop: Header=BB93_15 Depth=1
	s_or_b32 exec_lo, exec_lo, s5
	s_mov_b32 s21, -1
	s_mov_b32 s10, 0
	s_mov_b32 s11, 0
.LBB93_214:                             ;   in Loop: Header=BB93_15 Depth=1
	s_mov_b32 s5, 0
                                        ; implicit-def: $sgpr54
	s_and_saveexec_b32 s22, s4
	s_cbranch_execz .LBB93_276
; %bb.215:                              ;   in Loop: Header=BB93_15 Depth=1
	s_xor_b32 s4, s23, -1
	s_mov_b32 s54, 1
	s_and_not1_b32 vcc_lo, exec_lo, s4
	s_cbranch_vccnz .LBB93_226
; %bb.216:                              ;   in Loop: Header=BB93_15 Depth=1
	v_cmp_gt_u64_e64 s4, s[52:53], s[8:9]
                                        ; implicit-def: $sgpr54
                                        ; implicit-def: $sgpr5
                                        ; implicit-def: $sgpr23
	s_delay_alu instid0(VALU_DEP_1)
	s_and_b32 vcc_lo, exec_lo, s4
	s_mov_b32 s4, -1
	s_cbranch_vccnz .LBB93_222
; %bb.217:                              ;   in Loop: Header=BB93_15 Depth=1
	ds_load_b64 v[2:3], v11 offset:5120
	s_waitcnt lgkmcnt(0)
	v_cmp_ne_u64_e32 vcc_lo, 0, v[2:3]
	s_cbranch_vccnz .LBB93_221
; %bb.218:                              ;   in Loop: Header=BB93_15 Depth=1
	s_and_saveexec_b32 s4, s2
	s_cbranch_execz .LBB93_220
; %bb.219:                              ;   in Loop: Header=BB93_15 Depth=1
	v_dual_mov_b32 v2, s8 :: v_dual_mov_b32 v3, s9
	ds_store_b64 v11, v[2:3] offset:5128
.LBB93_220:                             ;   in Loop: Header=BB93_15 Depth=1
	s_or_b32 exec_lo, exec_lo, s4
	s_waitcnt lgkmcnt(0)
	s_barrier
	buffer_gl0_inv
.LBB93_221:                             ;   in Loop: Header=BB93_15 Depth=1
	s_lshl_b32 s4, 2, s17
	s_and_b32 s5, s89, s18
	s_or_b32 s23, s90, s16
	s_or_b32 s5, s5, s4
	s_mov_b32 s4, 0
	s_mov_b32 s54, 8
.LBB93_222:                             ;   in Loop: Header=BB93_15 Depth=1
	s_and_not1_b32 vcc_lo, exec_lo, s4
	s_cbranch_vccnz .LBB93_224
; %bb.223:                              ;   in Loop: Header=BB93_15 Depth=1
	s_sub_u32 s52, s52, s8
	s_subb_u32 s53, s53, s9
	s_mov_b32 s4, -1
	s_mov_b32 s54, 0
	s_mov_b32 s5, s89
	;; [unrolled: 1-line block ×3, first 2 shown]
.LBB93_224:                             ;   in Loop: Header=BB93_15 Depth=1
	s_delay_alu instid0(SALU_CYCLE_1)
	s_mov_b32 s90, s23
	s_mov_b32 s89, s5
	s_and_not1_b32 vcc_lo, exec_lo, s4
	s_mov_b32 s60, -1
	s_cbranch_vccz .LBB93_227
.LBB93_225:                             ;   in Loop: Header=BB93_15 Depth=1
                                        ; implicit-def: $sgpr8
                                        ; implicit-def: $sgpr18
                                        ; implicit-def: $sgpr9
	s_branch .LBB93_275
.LBB93_226:                             ;   in Loop: Header=BB93_15 Depth=1
	s_mov_b64 s[52:53], 1
	s_mov_b32 s60, -1
	s_cbranch_execnz .LBB93_225
.LBB93_227:                             ;   in Loop: Header=BB93_15 Depth=1
	s_cmp_eq_u64 s[6:7], 1
	s_mov_b32 s23, -1
	s_cselect_b32 s4, -1, 0
	s_cmp_eq_u64 s[52:53], 1
	s_cselect_b32 s5, -1, 0
	s_delay_alu instid0(SALU_CYCLE_1) | instskip(NEXT) | instid1(SALU_CYCLE_1)
	s_and_b32 s17, s4, s5
	s_and_b32 vcc_lo, exec_lo, s17
	s_cbranch_vccz .LBB93_242
; %bb.228:                              ;   in Loop: Header=BB93_15 Depth=1
	ds_load_b64 v[2:3], v11 offset:5120
	s_waitcnt lgkmcnt(0)
	s_barrier
	buffer_gl0_inv
	v_readfirstlane_b32 s8, v2
	v_readfirstlane_b32 s9, v3
	s_and_saveexec_b32 s4, s3
	s_cbranch_execz .LBB93_230
; %bb.229:                              ;   in Loop: Header=BB93_15 Depth=1
	ds_store_b32 v24, v11
.LBB93_230:                             ;   in Loop: Header=BB93_15 Depth=1
	s_or_b32 exec_lo, exec_lo, s4
	s_or_b32 s89, s89, s16
	s_or_b32 s90, s90, s16
	s_cmp_eq_u64 s[8:9], 0
	s_waitcnt lgkmcnt(0)
	s_barrier
	buffer_gl0_inv
	s_cbranch_scc1 .LBB93_245
; %bb.231:                              ;   in Loop: Header=BB93_15 Depth=1
	s_add_u32 s18, s71, s8
	s_addc_u32 s5, s72, s9
	s_mov_b32 s4, s55
	s_delay_alu instid0(SALU_CYCLE_1)
	s_cmp_lg_u64 s[4:5], 0
	s_cbranch_scc0 .LBB93_281
; %bb.232:                              ;   in Loop: Header=BB93_15 Depth=1
	v_cvt_f32_u32_e32 v2, s41
	s_sub_u32 s54, 0, s41
	s_subb_u32 s56, 0, 0
	s_delay_alu instid0(VALU_DEP_1) | instskip(NEXT) | instid1(VALU_DEP_1)
	v_fmac_f32_e64 v2, 0, 0x4f800000
	v_rcp_f32_e32 v2, v2
	s_waitcnt_depctr 0xfff
	v_mul_f32_e32 v2, 0x5f7ffffc, v2
	s_delay_alu instid0(VALU_DEP_1) | instskip(NEXT) | instid1(VALU_DEP_1)
	v_mul_f32_e32 v3, 0x2f800000, v2
	v_trunc_f32_e32 v3, v3
	s_delay_alu instid0(VALU_DEP_1) | instskip(SKIP_1) | instid1(VALU_DEP_2)
	v_fmac_f32_e32 v2, 0xcf800000, v3
	v_cvt_u32_f32_e32 v3, v3
	v_cvt_u32_f32_e32 v2, v2
	s_delay_alu instid0(VALU_DEP_2) | instskip(NEXT) | instid1(VALU_DEP_2)
	v_readfirstlane_b32 s4, v3
	v_readfirstlane_b32 s23, v2
	s_delay_alu instid0(VALU_DEP_2) | instskip(NEXT) | instid1(VALU_DEP_1)
	s_mul_i32 s60, s54, s4
	s_mul_hi_u32 s62, s54, s23
	s_mul_i32 s61, s56, s23
	s_add_i32 s60, s62, s60
	s_mul_i32 s63, s54, s23
	s_add_i32 s60, s60, s61
	s_mul_hi_u32 s62, s23, s63
	s_mul_hi_u32 s64, s4, s63
	s_mul_i32 s61, s4, s63
	s_mul_hi_u32 s63, s23, s60
	s_mul_i32 s23, s23, s60
	s_mul_hi_u32 s65, s4, s60
	s_add_u32 s23, s62, s23
	s_addc_u32 s62, 0, s63
	s_add_u32 s23, s23, s61
	s_mul_i32 s60, s4, s60
	s_addc_u32 s23, s62, s64
	s_addc_u32 s61, s65, 0
	s_add_u32 s23, s23, s60
	s_addc_u32 s60, 0, s61
	v_add_co_u32 v2, s23, v2, s23
	s_delay_alu instid0(VALU_DEP_1) | instskip(SKIP_1) | instid1(VALU_DEP_1)
	s_cmp_lg_u32 s23, 0
	s_addc_u32 s4, s4, s60
	v_readfirstlane_b32 s23, v2
	s_mul_i32 s60, s54, s4
	s_delay_alu instid0(VALU_DEP_1)
	s_mul_hi_u32 s61, s54, s23
	s_mul_i32 s56, s56, s23
	s_add_i32 s60, s61, s60
	s_mul_i32 s54, s54, s23
	s_add_i32 s60, s60, s56
	s_mul_hi_u32 s61, s4, s54
	s_mul_i32 s62, s4, s54
	s_mul_hi_u32 s54, s23, s54
	s_mul_hi_u32 s63, s23, s60
	s_mul_i32 s23, s23, s60
	s_mul_hi_u32 s56, s4, s60
	s_add_u32 s23, s54, s23
	s_addc_u32 s54, 0, s63
	s_add_u32 s23, s23, s62
	s_mul_i32 s60, s4, s60
	s_addc_u32 s23, s54, s61
	s_addc_u32 s54, s56, 0
	s_add_u32 s23, s23, s60
	s_addc_u32 s54, 0, s54
	v_add_co_u32 v2, s23, v2, s23
	s_delay_alu instid0(VALU_DEP_1) | instskip(SKIP_1) | instid1(VALU_DEP_1)
	s_cmp_lg_u32 s23, 0
	s_addc_u32 s4, s4, s54
	v_readfirstlane_b32 s23, v2
	s_mul_i32 s56, s18, s4
	s_mul_hi_u32 s54, s18, s4
	s_mul_hi_u32 s60, s5, s4
	s_mul_i32 s4, s5, s4
	s_mul_hi_u32 s61, s18, s23
	s_mul_hi_u32 s62, s5, s23
	s_mul_i32 s23, s5, s23
	s_add_u32 s56, s61, s56
	s_addc_u32 s54, 0, s54
	s_add_u32 s23, s56, s23
	s_addc_u32 s23, s54, s62
	s_addc_u32 s54, s60, 0
	s_add_u32 s4, s23, s4
	s_addc_u32 s23, 0, s54
	s_mul_hi_u32 s54, s41, s4
	s_mul_i32 s4, s41, s4
	s_mul_i32 s23, s41, s23
	v_sub_co_u32 v2, s4, s18, s4
	s_add_i32 s54, s54, s23
	s_cmp_lg_u32 s4, 0
	s_delay_alu instid0(VALU_DEP_1) | instskip(SKIP_2) | instid1(VALU_DEP_1)
	v_sub_co_u32 v3, s4, v2, s41
	s_subb_u32 s23, s5, s54
	s_cmp_lg_u32 s4, 0
	v_cmp_le_u32_e32 vcc_lo, s41, v3
	v_sub_co_u32 v4, s4, v3, s41
	s_subb_u32 s54, s23, 0
	s_cmp_lg_u32 s4, 0
	v_cndmask_b32_e64 v5, 0, -1, vcc_lo
	s_subb_u32 s4, s54, 0
	s_cmp_eq_u32 s54, 0
	v_mov_b32_e32 v7, s4
	s_cselect_b32 vcc_lo, -1, 0
	s_cmp_eq_u32 s23, 0
	v_cndmask_b32_e32 v5, -1, v5, vcc_lo
	v_cmp_le_u32_e32 vcc_lo, s41, v2
	s_cselect_b32 s4, -1, 0
	v_cndmask_b32_e64 v6, 0, -1, vcc_lo
	s_delay_alu instid0(VALU_DEP_3) | instskip(NEXT) | instid1(VALU_DEP_2)
	v_cmp_ne_u32_e32 vcc_lo, 0, v5
	v_cndmask_b32_e64 v5, -1, v6, s4
	v_cndmask_b32_e32 v6, s54, v7, vcc_lo
	v_cndmask_b32_e32 v4, v3, v4, vcc_lo
	s_delay_alu instid0(VALU_DEP_3) | instskip(NEXT) | instid1(VALU_DEP_3)
	v_cmp_ne_u32_e32 vcc_lo, 0, v5
	v_cndmask_b32_e32 v3, s23, v6, vcc_lo
	s_delay_alu instid0(VALU_DEP_3)
	v_cndmask_b32_e32 v2, v2, v4, vcc_lo
	s_cbranch_execnz .LBB93_234
.LBB93_233:                             ;   in Loop: Header=BB93_15 Depth=1
	v_cvt_f32_u32_e32 v2, s41
	s_sub_i32 s4, 0, s41
	s_delay_alu instid0(VALU_DEP_1) | instskip(SKIP_2) | instid1(VALU_DEP_1)
	v_rcp_iflag_f32_e32 v2, v2
	s_waitcnt_depctr 0xfff
	v_mul_f32_e32 v2, 0x4f7ffffe, v2
	v_cvt_u32_f32_e32 v2, v2
	s_delay_alu instid0(VALU_DEP_1) | instskip(NEXT) | instid1(VALU_DEP_1)
	v_mul_lo_u32 v3, s4, v2
	v_mul_hi_u32 v3, v2, v3
	s_delay_alu instid0(VALU_DEP_1) | instskip(NEXT) | instid1(VALU_DEP_1)
	v_add_nc_u32_e32 v2, v2, v3
	v_mul_hi_u32 v2, s18, v2
	s_delay_alu instid0(VALU_DEP_1) | instskip(NEXT) | instid1(VALU_DEP_1)
	v_mul_lo_u32 v2, v2, s41
	v_sub_nc_u32_e32 v2, s18, v2
	s_delay_alu instid0(VALU_DEP_1) | instskip(SKIP_1) | instid1(VALU_DEP_2)
	v_subrev_nc_u32_e32 v3, s41, v2
	v_cmp_le_u32_e32 vcc_lo, s41, v2
	v_cndmask_b32_e32 v2, v2, v3, vcc_lo
	s_delay_alu instid0(VALU_DEP_1) | instskip(SKIP_1) | instid1(VALU_DEP_2)
	v_subrev_nc_u32_e32 v3, s41, v2
	v_cmp_le_u32_e32 vcc_lo, s41, v2
	v_cndmask_b32_e32 v10, v2, v3, vcc_lo
	s_delay_alu instid0(VALU_DEP_1)
	v_dual_mov_b32 v2, v10 :: v_dual_mov_b32 v3, v11
.LBB93_234:                             ;   in Loop: Header=BB93_15 Depth=1
	s_delay_alu instid0(VALU_DEP_1) | instskip(NEXT) | instid1(VALU_DEP_2)
	v_sub_co_u32 v2, vcc_lo, s18, v2
	v_sub_co_ci_u32_e32 v3, vcc_lo, s5, v3, vcc_lo
	s_mov_b32 s23, 0
	s_mov_b32 s4, exec_lo
                                        ; implicit-def: $vgpr18
	s_delay_alu instid0(VALU_DEP_1)
	v_cmpx_gt_u64_e64 v[2:3], v[0:1]
	s_cbranch_execz .LBB93_247
; %bb.235:                              ;   in Loop: Header=BB93_15 Depth=1
	v_dual_mov_b32 v6, v12 :: v_dual_mov_b32 v5, v1
	v_mov_b32_e32 v4, v0
	s_mov_b32 s5, 0
                                        ; implicit-def: $sgpr18
	s_set_inst_prefetch_distance 0x1
	s_branch .LBB93_237
	.p2align	6
.LBB93_236:                             ;   in Loop: Header=BB93_237 Depth=2
	s_or_b32 exec_lo, exec_lo, s23
	s_waitcnt lgkmcnt(0)
	s_barrier
	buffer_gl0_inv
	ds_load_b64 v[17:18], v11 offset:3072
	v_add_co_u32 v4, vcc_lo, v4, s41
	v_add_co_ci_u32_e32 v5, vcc_lo, 0, v5, vcc_lo
	v_add_nc_u32_e32 v6, s79, v6
	s_waitcnt lgkmcnt(0)
	s_barrier
	s_delay_alu instid0(VALU_DEP_2) | instskip(SKIP_2) | instid1(VALU_DEP_1)
	v_cmp_ge_u64_e32 vcc_lo, v[4:5], v[2:3]
	buffer_gl0_inv
	v_readfirstlane_b32 s23, v17
	s_cmp_lg_u32 s23, 0
	s_cselect_b32 s23, -1, 0
	s_delay_alu instid0(SALU_CYCLE_1) | instskip(NEXT) | instid1(SALU_CYCLE_1)
	s_or_b32 s54, vcc_lo, s23
	s_and_b32 s54, exec_lo, s54
	s_delay_alu instid0(SALU_CYCLE_1) | instskip(SKIP_2) | instid1(SALU_CYCLE_1)
	s_or_b32 s5, s54, s5
	s_and_not1_b32 s18, s18, exec_lo
	s_and_b32 s23, s23, exec_lo
	s_or_b32 s18, s18, s23
	s_and_not1_b32 exec_lo, exec_lo, s5
	s_cbranch_execz .LBB93_246
.LBB93_237:                             ;   Parent Loop BB93_15 Depth=1
                                        ; =>  This Inner Loop Header: Depth=2
	s_delay_alu instid0(VALU_DEP_1)
	v_cmp_gt_u64_e32 vcc_lo, s[8:9], v[4:5]
	v_mov_b32_e32 v17, 0
	s_and_saveexec_b32 s23, vcc_lo
	s_cbranch_execz .LBB93_239
; %bb.238:                              ;   in Loop: Header=BB93_237 Depth=2
	ds_load_b32 v17, v6
.LBB93_239:                             ;   in Loop: Header=BB93_237 Depth=2
	s_or_b32 exec_lo, exec_lo, s23
	s_and_saveexec_b32 s23, vcc_lo
	s_cbranch_execz .LBB93_236
; %bb.240:                              ;   in Loop: Header=BB93_237 Depth=2
	s_waitcnt lgkmcnt(0)
	v_xor_b32_e32 v7, 0x80000000, v17
	s_delay_alu instid0(VALU_DEP_1) | instskip(NEXT) | instid1(VALU_DEP_1)
	v_and_b32_e32 v7, s90, v7
	v_cmp_eq_u32_e32 vcc_lo, s89, v7
	s_and_b32 exec_lo, exec_lo, vcc_lo
	s_cbranch_execz .LBB93_236
; %bb.241:                              ;   in Loop: Header=BB93_237 Depth=2
	ds_store_b64 v11, v[16:17] offset:3072
	s_branch .LBB93_236
.LBB93_242:                             ;   in Loop: Header=BB93_15 Depth=1
                                        ; implicit-def: $sgpr8
                                        ; implicit-def: $sgpr18
                                        ; implicit-def: $sgpr9
	s_branch .LBB93_261
.LBB93_243:                             ;   in Loop: Header=BB93_15 Depth=1
                                        ; implicit-def: $vgpr2_vgpr3
	s_branch .LBB93_186
.LBB93_244:                             ;   in Loop: Header=BB93_15 Depth=1
                                        ; implicit-def: $vgpr2_vgpr3
	s_branch .LBB93_203
.LBB93_245:                             ;   in Loop: Header=BB93_15 Depth=1
	s_mov_b32 s8, -1
	s_mov_b32 s23, 0
                                        ; implicit-def: $sgpr9
                                        ; implicit-def: $vgpr18
	s_mov_b32 s18, s8
	s_cbranch_execnz .LBB93_248
	s_branch .LBB93_261
.LBB93_246:                             ;   in Loop: Header=BB93_15 Depth=1
	s_set_inst_prefetch_distance 0x2
	s_or_b32 exec_lo, exec_lo, s5
	s_delay_alu instid0(SALU_CYCLE_1)
	s_and_b32 s23, s18, exec_lo
.LBB93_247:                             ;   in Loop: Header=BB93_15 Depth=1
	s_or_b32 exec_lo, exec_lo, s4
	s_mov_b32 s9, -1
	s_mov_b32 s8, 0
	s_delay_alu instid0(SALU_CYCLE_1)
	s_mov_b32 s18, s8
	s_branch .LBB93_261
.LBB93_248:                             ;   in Loop: Header=BB93_15 Depth=1
	s_mov_b32 s56, s55
	s_delay_alu instid0(SALU_CYCLE_1)
	s_cmp_lg_u64 s[56:57], 0
	s_cbranch_scc0 .LBB93_282
; %bb.249:                              ;   in Loop: Header=BB93_15 Depth=1
	v_cvt_f32_u32_e32 v2, s41
	s_sub_u32 s8, 0, s41
	s_subb_u32 s9, 0, 0
	s_delay_alu instid0(VALU_DEP_1) | instskip(NEXT) | instid1(VALU_DEP_1)
	v_fmac_f32_e64 v2, 0, 0x4f800000
	v_rcp_f32_e32 v2, v2
	s_waitcnt_depctr 0xfff
	v_mul_f32_e32 v2, 0x5f7ffffc, v2
	s_delay_alu instid0(VALU_DEP_1) | instskip(NEXT) | instid1(VALU_DEP_1)
	v_mul_f32_e32 v3, 0x2f800000, v2
	v_trunc_f32_e32 v3, v3
	s_delay_alu instid0(VALU_DEP_1) | instskip(SKIP_1) | instid1(VALU_DEP_2)
	v_fmac_f32_e32 v2, 0xcf800000, v3
	v_cvt_u32_f32_e32 v3, v3
	v_cvt_u32_f32_e32 v2, v2
	s_delay_alu instid0(VALU_DEP_2) | instskip(NEXT) | instid1(VALU_DEP_2)
	v_readfirstlane_b32 s4, v3
	v_readfirstlane_b32 s5, v2
	s_delay_alu instid0(VALU_DEP_2) | instskip(NEXT) | instid1(VALU_DEP_1)
	s_mul_i32 s18, s8, s4
	s_mul_hi_u32 s54, s8, s5
	s_mul_i32 s23, s9, s5
	s_add_i32 s18, s54, s18
	s_mul_i32 s56, s8, s5
	s_add_i32 s18, s18, s23
	s_mul_hi_u32 s54, s5, s56
	s_mul_hi_u32 s60, s4, s56
	s_mul_i32 s23, s4, s56
	s_mul_hi_u32 s56, s5, s18
	s_mul_i32 s5, s5, s18
	s_mul_hi_u32 s61, s4, s18
	s_add_u32 s5, s54, s5
	s_addc_u32 s54, 0, s56
	s_add_u32 s5, s5, s23
	s_mul_i32 s18, s4, s18
	s_addc_u32 s5, s54, s60
	s_addc_u32 s23, s61, 0
	s_add_u32 s5, s5, s18
	s_addc_u32 s18, 0, s23
	v_add_co_u32 v2, s5, v2, s5
	s_delay_alu instid0(VALU_DEP_1) | instskip(SKIP_1) | instid1(VALU_DEP_1)
	s_cmp_lg_u32 s5, 0
	s_addc_u32 s4, s4, s18
	v_readfirstlane_b32 s5, v2
	s_mul_i32 s18, s8, s4
	s_delay_alu instid0(VALU_DEP_1)
	s_mul_hi_u32 s23, s8, s5
	s_mul_i32 s9, s9, s5
	s_add_i32 s18, s23, s18
	s_mul_i32 s8, s8, s5
	s_add_i32 s18, s18, s9
	s_mul_hi_u32 s23, s4, s8
	s_mul_i32 s54, s4, s8
	s_mul_hi_u32 s8, s5, s8
	s_mul_hi_u32 s56, s5, s18
	s_mul_i32 s5, s5, s18
	s_mul_hi_u32 s9, s4, s18
	s_add_u32 s5, s8, s5
	s_addc_u32 s8, 0, s56
	s_add_u32 s5, s5, s54
	s_mul_i32 s18, s4, s18
	s_addc_u32 s5, s8, s23
	s_addc_u32 s8, s9, 0
	s_add_u32 s5, s5, s18
	s_addc_u32 s8, 0, s8
	v_add_co_u32 v2, s5, v2, s5
	s_delay_alu instid0(VALU_DEP_1) | instskip(SKIP_1) | instid1(VALU_DEP_1)
	s_cmp_lg_u32 s5, 0
	s_addc_u32 s4, s4, s8
	v_readfirstlane_b32 s5, v2
	s_mul_i32 s9, s73, s4
	s_mul_hi_u32 s8, s73, s4
	s_mul_hi_u32 s18, s57, s4
	s_mul_i32 s4, s57, s4
	s_mul_hi_u32 s23, s73, s5
	s_mul_hi_u32 s54, s57, s5
	s_mul_i32 s5, s57, s5
	s_add_u32 s9, s23, s9
	s_addc_u32 s8, 0, s8
	s_add_u32 s5, s9, s5
	s_addc_u32 s5, s8, s54
	s_addc_u32 s8, s18, 0
	s_add_u32 s4, s5, s4
	s_addc_u32 s5, 0, s8
	s_mul_hi_u32 s8, s41, s4
	s_mul_i32 s4, s41, s4
	s_mul_i32 s5, s41, s5
	v_sub_co_u32 v2, s4, s73, s4
	s_add_i32 s8, s8, s5
	s_cmp_lg_u32 s4, 0
	s_delay_alu instid0(VALU_DEP_1) | instskip(SKIP_2) | instid1(VALU_DEP_1)
	v_sub_co_u32 v3, s4, v2, s41
	s_subb_u32 s5, s57, s8
	s_cmp_lg_u32 s4, 0
	v_cmp_le_u32_e32 vcc_lo, s41, v3
	v_sub_co_u32 v4, s4, v3, s41
	s_subb_u32 s8, s5, 0
	s_cmp_lg_u32 s4, 0
	v_cndmask_b32_e64 v5, 0, -1, vcc_lo
	s_subb_u32 s4, s8, 0
	s_cmp_eq_u32 s8, 0
	v_mov_b32_e32 v7, s4
	s_cselect_b32 vcc_lo, -1, 0
	s_cmp_eq_u32 s5, 0
	v_cndmask_b32_e32 v5, -1, v5, vcc_lo
	v_cmp_le_u32_e32 vcc_lo, s41, v2
	s_cselect_b32 s4, -1, 0
	v_cndmask_b32_e64 v6, 0, -1, vcc_lo
	s_delay_alu instid0(VALU_DEP_3) | instskip(NEXT) | instid1(VALU_DEP_2)
	v_cmp_ne_u32_e32 vcc_lo, 0, v5
	v_cndmask_b32_e64 v5, -1, v6, s4
	v_cndmask_b32_e32 v6, s8, v7, vcc_lo
	v_cndmask_b32_e32 v4, v3, v4, vcc_lo
	s_delay_alu instid0(VALU_DEP_3) | instskip(NEXT) | instid1(VALU_DEP_3)
	v_cmp_ne_u32_e32 vcc_lo, 0, v5
	v_cndmask_b32_e32 v3, s5, v6, vcc_lo
	s_delay_alu instid0(VALU_DEP_3)
	v_cndmask_b32_e32 v2, v2, v4, vcc_lo
	s_cbranch_execnz .LBB93_251
.LBB93_250:                             ;   in Loop: Header=BB93_15 Depth=1
	v_cvt_f32_u32_e32 v2, s41
	s_sub_i32 s4, 0, s41
	s_delay_alu instid0(VALU_DEP_1) | instskip(SKIP_2) | instid1(VALU_DEP_1)
	v_rcp_iflag_f32_e32 v2, v2
	s_waitcnt_depctr 0xfff
	v_mul_f32_e32 v2, 0x4f7ffffe, v2
	v_cvt_u32_f32_e32 v2, v2
	s_delay_alu instid0(VALU_DEP_1) | instskip(NEXT) | instid1(VALU_DEP_1)
	v_mul_lo_u32 v3, s4, v2
	v_mul_hi_u32 v3, v2, v3
	s_delay_alu instid0(VALU_DEP_1) | instskip(NEXT) | instid1(VALU_DEP_1)
	v_add_nc_u32_e32 v2, v2, v3
	v_mul_hi_u32 v2, s73, v2
	s_delay_alu instid0(VALU_DEP_1) | instskip(NEXT) | instid1(VALU_DEP_1)
	v_mul_lo_u32 v2, v2, s41
	v_sub_nc_u32_e32 v2, s73, v2
	s_delay_alu instid0(VALU_DEP_1) | instskip(SKIP_1) | instid1(VALU_DEP_2)
	v_subrev_nc_u32_e32 v3, s41, v2
	v_cmp_le_u32_e32 vcc_lo, s41, v2
	v_cndmask_b32_e32 v2, v2, v3, vcc_lo
	s_delay_alu instid0(VALU_DEP_1) | instskip(SKIP_1) | instid1(VALU_DEP_2)
	v_subrev_nc_u32_e32 v3, s41, v2
	v_cmp_le_u32_e32 vcc_lo, s41, v2
	v_cndmask_b32_e32 v10, v2, v3, vcc_lo
	s_delay_alu instid0(VALU_DEP_1)
	v_dual_mov_b32 v2, v10 :: v_dual_mov_b32 v3, v11
.LBB93_251:                             ;   in Loop: Header=BB93_15 Depth=1
	s_delay_alu instid0(VALU_DEP_1) | instskip(NEXT) | instid1(VALU_DEP_2)
	v_sub_co_u32 v2, vcc_lo, s73, v2
	v_sub_co_ci_u32_e32 v3, vcc_lo, s57, v3, vcc_lo
	s_mov_b32 s23, 0
	s_mov_b32 s5, exec_lo
                                        ; implicit-def: $vgpr18
	s_delay_alu instid0(VALU_DEP_1)
	v_cmpx_gt_u64_e64 v[2:3], v[0:1]
	s_cbranch_execz .LBB93_260
; %bb.252:                              ;   in Loop: Header=BB93_15 Depth=1
	v_dual_mov_b32 v5, v1 :: v_dual_mov_b32 v4, v0
	s_mov_b32 s8, 0
                                        ; implicit-def: $sgpr9
	s_branch .LBB93_254
.LBB93_253:                             ;   in Loop: Header=BB93_254 Depth=2
	s_or_b32 exec_lo, exec_lo, s4
	s_waitcnt vmcnt(0) lgkmcnt(0)
	s_barrier
	buffer_gl0_inv
	ds_load_b64 v[17:18], v11 offset:3072
	v_add_co_u32 v4, vcc_lo, v4, s41
	v_add_co_ci_u32_e32 v5, vcc_lo, 0, v5, vcc_lo
	s_waitcnt lgkmcnt(0)
	s_barrier
	buffer_gl0_inv
	v_cmp_ge_u64_e32 vcc_lo, v[4:5], v[2:3]
	v_readfirstlane_b32 s4, v17
	s_delay_alu instid0(VALU_DEP_1) | instskip(SKIP_1) | instid1(SALU_CYCLE_1)
	s_cmp_lg_u32 s4, 0
	s_cselect_b32 s4, -1, 0
	s_or_b32 s18, vcc_lo, s4
	s_delay_alu instid0(SALU_CYCLE_1) | instskip(NEXT) | instid1(SALU_CYCLE_1)
	s_and_b32 s18, exec_lo, s18
	s_or_b32 s8, s18, s8
	s_and_not1_b32 s9, s9, exec_lo
	s_and_b32 s4, s4, exec_lo
	s_delay_alu instid0(SALU_CYCLE_1)
	s_or_b32 s9, s9, s4
	s_and_not1_b32 exec_lo, exec_lo, s8
	s_cbranch_execz .LBB93_259
.LBB93_254:                             ;   Parent Loop BB93_15 Depth=1
                                        ; =>  This Inner Loop Header: Depth=2
	s_delay_alu instid0(VALU_DEP_1)
	v_cmp_gt_u64_e32 vcc_lo, s[24:25], v[4:5]
	v_mov_b32_e32 v17, 0
	s_and_saveexec_b32 s18, vcc_lo
	s_cbranch_execz .LBB93_256
; %bb.255:                              ;   in Loop: Header=BB93_254 Depth=2
	v_mul_lo_u32 v8, v5, s42
	v_mul_lo_u32 v9, v4, s43
	v_mad_u64_u32 v[6:7], null, v4, s42, 0
	s_delay_alu instid0(VALU_DEP_1) | instskip(NEXT) | instid1(VALU_DEP_1)
	v_add3_u32 v7, v7, v9, v8
	v_lshlrev_b64 v[6:7], 2, v[6:7]
	s_delay_alu instid0(VALU_DEP_1) | instskip(NEXT) | instid1(VALU_DEP_1)
	v_add_co_u32 v6, s4, s33, v6
	v_add_co_ci_u32_e64 v7, s4, s35, v7, s4
	global_load_b32 v17, v[6:7], off
.LBB93_256:                             ;   in Loop: Header=BB93_254 Depth=2
	s_or_b32 exec_lo, exec_lo, s18
	s_and_saveexec_b32 s4, vcc_lo
	s_cbranch_execz .LBB93_253
; %bb.257:                              ;   in Loop: Header=BB93_254 Depth=2
	s_waitcnt vmcnt(0)
	v_xor_b32_e32 v6, 0x80000000, v17
	s_delay_alu instid0(VALU_DEP_1) | instskip(NEXT) | instid1(VALU_DEP_1)
	v_and_b32_e32 v6, s90, v6
	v_cmp_eq_u32_e32 vcc_lo, s89, v6
	s_and_b32 exec_lo, exec_lo, vcc_lo
	s_cbranch_execz .LBB93_253
; %bb.258:                              ;   in Loop: Header=BB93_254 Depth=2
	ds_store_b64 v11, v[16:17] offset:3072
	s_branch .LBB93_253
.LBB93_259:                             ;   in Loop: Header=BB93_15 Depth=1
	s_or_b32 exec_lo, exec_lo, s8
	s_delay_alu instid0(SALU_CYCLE_1)
	s_and_b32 s23, s9, exec_lo
.LBB93_260:                             ;   in Loop: Header=BB93_15 Depth=1
	s_or_b32 exec_lo, exec_lo, s5
	s_mov_b32 s18, -1
	s_mov_b32 s8, 0
	s_mov_b32 s9, 0
.LBB93_261:                             ;   in Loop: Header=BB93_15 Depth=1
	s_mov_b32 s60, 0
                                        ; implicit-def: $sgpr54
                                        ; implicit-def: $sgpr4_sgpr5
	s_and_saveexec_b32 s56, s23
	s_cbranch_execz .LBB93_274
; %bb.262:                              ;   in Loop: Header=BB93_15 Depth=1
	s_xor_b32 s17, s17, -1
	s_mov_b64 s[4:5], 1
	s_and_not1_b32 vcc_lo, exec_lo, s17
	s_mov_b32 s54, 1
	s_cbranch_vccnz .LBB93_273
; %bb.263:                              ;   in Loop: Header=BB93_15 Depth=1
	v_cmp_gt_u64_e64 s4, s[52:53], s[6:7]
	s_delay_alu instid0(VALU_DEP_1)
	s_and_b32 vcc_lo, exec_lo, s4
	s_cbranch_vccnz .LBB93_269
; %bb.264:                              ;   in Loop: Header=BB93_15 Depth=1
	ds_load_b64 v[2:3], v11 offset:5120
	s_waitcnt lgkmcnt(0)
	v_cmp_ne_u64_e32 vcc_lo, 0, v[2:3]
	s_cbranch_vccnz .LBB93_268
; %bb.265:                              ;   in Loop: Header=BB93_15 Depth=1
	s_and_saveexec_b32 s4, s2
	s_cbranch_execz .LBB93_267
; %bb.266:                              ;   in Loop: Header=BB93_15 Depth=1
	v_dual_mov_b32 v2, s6 :: v_dual_mov_b32 v3, s7
	ds_store_b64 v11, v[2:3] offset:5128
.LBB93_267:                             ;   in Loop: Header=BB93_15 Depth=1
	s_or_b32 exec_lo, exec_lo, s4
	s_waitcnt lgkmcnt(0)
	s_barrier
	buffer_gl0_inv
.LBB93_268:                             ;   in Loop: Header=BB93_15 Depth=1
	s_or_b32 s17, s89, s16
	s_or_b32 s16, s90, s16
	s_mov_b32 s4, 0
	s_mov_b32 s54, 8
	s_branch .LBB93_270
.LBB93_269:                             ;   in Loop: Header=BB93_15 Depth=1
	s_mov_b32 s4, -1
                                        ; implicit-def: $sgpr54
                                        ; implicit-def: $sgpr17
                                        ; implicit-def: $sgpr16
.LBB93_270:                             ;   in Loop: Header=BB93_15 Depth=1
	s_delay_alu instid0(SALU_CYCLE_1)
	s_and_not1_b32 vcc_lo, exec_lo, s4
	s_cbranch_vccnz .LBB93_272
; %bb.271:                              ;   in Loop: Header=BB93_15 Depth=1
	s_sub_u32 s52, s52, s6
	s_subb_u32 s53, s53, s7
	s_mov_b32 s54, 8
	s_mov_b32 s17, s89
	;; [unrolled: 1-line block ×3, first 2 shown]
.LBB93_272:                             ;   in Loop: Header=BB93_15 Depth=1
	s_mov_b64 s[4:5], s[52:53]
	s_mov_b32 s89, s17
	s_mov_b32 s90, s16
.LBB93_273:                             ;   in Loop: Header=BB93_15 Depth=1
	s_mov_b32 s60, exec_lo
.LBB93_274:                             ;   in Loop: Header=BB93_15 Depth=1
	s_or_b32 exec_lo, exec_lo, s56
	s_mov_b64 s[52:53], s[4:5]
.LBB93_275:                             ;   in Loop: Header=BB93_15 Depth=1
	s_and_not1_b32 s4, s10, exec_lo
	s_and_b32 s5, s8, exec_lo
	s_and_not1_b32 s6, s11, exec_lo
	s_or_b32 s10, s4, s5
	s_and_not1_b32 s4, s21, exec_lo
	s_and_b32 s5, s18, exec_lo
	s_and_b32 s7, s9, exec_lo
	s_or_b32 s21, s4, s5
	s_or_b32 s11, s6, s7
	s_and_b32 s5, s60, exec_lo
.LBB93_276:                             ;   in Loop: Header=BB93_15 Depth=1
	s_or_b32 exec_lo, exec_lo, s22
.LBB93_277:                             ;   in Loop: Header=BB93_15 Depth=1
	s_delay_alu instid0(SALU_CYCLE_1)
	s_and_not1_b32 s4, s13, exec_lo
	s_and_b32 s6, s10, exec_lo
	s_and_not1_b32 s7, s12, exec_lo
	s_or_b32 s13, s4, s6
	s_and_not1_b32 s4, s19, exec_lo
	s_and_b32 s6, s21, exec_lo
	s_and_b32 s8, s11, exec_lo
	s_or_b32 s19, s4, s6
	s_or_b32 s12, s7, s8
	s_and_b32 s5, s5, exec_lo
.LBB93_278:                             ;   in Loop: Header=BB93_15 Depth=1
	s_or_b32 exec_lo, exec_lo, s20
	s_and_saveexec_b32 s4, s5
	s_delay_alu instid0(SALU_CYCLE_1)
	s_xor_b32 s4, exec_lo, s4
	s_cbranch_execz .LBB93_13
.LBB93_279:                             ;   in Loop: Header=BB93_15 Depth=1
	s_and_b32 s5, s54, -9
	s_delay_alu instid0(SALU_CYCLE_1)
	s_cmp_eq_u32 s5, 0
	s_cbranch_scc1 .LBB93_11
; %bb.280:                              ;   in Loop: Header=BB93_15 Depth=1
	s_mov_b32 s5, -1
	s_mov_b32 s6, -1
                                        ; implicit-def: $sgpr90
                                        ; implicit-def: $sgpr52_sgpr53
                                        ; implicit-def: $sgpr84
                                        ; implicit-def: $sgpr87
	s_branch .LBB93_12
.LBB93_281:                             ;   in Loop: Header=BB93_15 Depth=1
                                        ; implicit-def: $vgpr2_vgpr3
	s_branch .LBB93_233
.LBB93_282:                             ;   in Loop: Header=BB93_15 Depth=1
                                        ; implicit-def: $vgpr2_vgpr3
	s_branch .LBB93_250
.LBB93_283:
	s_or_b32 exec_lo, exec_lo, s80
	s_xor_b32 s4, s83, -1
	s_xor_b32 s1, s81, -1
	;; [unrolled: 1-line block ×3, first 2 shown]
	s_mov_b32 s2, 0
	s_and_saveexec_b32 s5, s1
	s_delay_alu instid0(SALU_CYCLE_1)
	s_xor_b32 s1, exec_lo, s5
	s_cbranch_execz .LBB93_300
; %bb.284:
	s_and_saveexec_b32 s2, s4
	s_delay_alu instid0(SALU_CYCLE_1)
	s_xor_b32 s2, exec_lo, s2
	s_cbranch_execz .LBB93_298
; %bb.285:
	s_and_saveexec_b32 s4, s3
	s_delay_alu instid0(SALU_CYCLE_1)
	s_xor_b32 s3, exec_lo, s4
; %bb.286:
	v_xor_b32_e32 v18, 0x80000000, v2
; %bb.287:
	s_or_b32 exec_lo, exec_lo, s3
	s_mul_i32 s3, s46, s45
	s_mul_hi_u32 s4, s46, s44
	s_mul_i32 s5, s46, s44
	s_add_i32 s4, s4, s3
	s_sub_u32 s3, s34, s5
	s_subb_u32 s4, 0, s4
	s_mul_i32 s5, s3, s39
	s_mul_hi_u32 s6, s3, s38
	s_mul_hi_u32 s7, s46, s36
	s_add_i32 s6, s6, s5
	s_mul_i32 s5, s46, s37
	s_mul_i32 s8, s4, s38
	s_add_i32 s5, s7, s5
	s_mul_i32 s4, s46, s36
	s_add_i32 s7, s6, s8
	s_lshl_b64 s[4:5], s[4:5], 2
	s_mul_i32 s6, s3, s38
	s_add_u32 s3, s50, s4
	s_addc_u32 s8, s51, s5
	s_lshl_b64 s[4:5], s[6:7], 2
	v_mov_b32_e32 v2, 0
	s_add_u32 s4, s3, s4
	s_addc_u32 s5, s8, s5
	global_store_b32 v2, v18, s[4:5]
	s_and_saveexec_b32 s3, s0
	s_cbranch_execz .LBB93_297
; %bb.288:
	s_mov_b32 s0, 0
                                        ; implicit-def: $sgpr4
                                        ; implicit-def: $sgpr6
                                        ; implicit-def: $sgpr5
	s_set_inst_prefetch_distance 0x1
	s_branch .LBB93_290
	.p2align	6
.LBB93_289:                             ;   in Loop: Header=BB93_290 Depth=1
	s_or_b32 exec_lo, exec_lo, s7
	s_delay_alu instid0(SALU_CYCLE_1) | instskip(NEXT) | instid1(SALU_CYCLE_1)
	s_and_b32 s7, exec_lo, s6
	s_or_b32 s0, s7, s0
	s_and_not1_b32 s4, s4, exec_lo
	s_and_b32 s7, s5, exec_lo
	s_delay_alu instid0(SALU_CYCLE_1)
	s_or_b32 s4, s4, s7
	s_and_not1_b32 exec_lo, exec_lo, s0
	s_cbranch_execz .LBB93_295
.LBB93_290:                             ; =>This Inner Loop Header: Depth=1
	v_dual_mov_b32 v3, v1 :: v_dual_mov_b32 v2, v0
	s_or_b32 s5, s5, exec_lo
	s_or_b32 s6, s6, exec_lo
	s_delay_alu instid0(VALU_DEP_1) | instskip(NEXT) | instid1(VALU_DEP_2)
	v_mul_lo_u32 v4, v3, s42
	v_mul_lo_u32 v5, v2, s43
	v_mad_u64_u32 v[0:1], null, v2, s42, 0
	s_delay_alu instid0(VALU_DEP_1) | instskip(NEXT) | instid1(VALU_DEP_1)
	v_add3_u32 v1, v1, v5, v4
	v_lshlrev_b64 v[0:1], 2, v[0:1]
	s_delay_alu instid0(VALU_DEP_1) | instskip(NEXT) | instid1(VALU_DEP_2)
	v_add_co_u32 v0, vcc_lo, s33, v0
	v_add_co_ci_u32_e32 v1, vcc_lo, s35, v1, vcc_lo
	global_load_b32 v0, v[0:1], off
	s_waitcnt vmcnt(0)
	v_cmp_ne_u32_e32 vcc_lo, v0, v18
                                        ; implicit-def: $vgpr0_vgpr1
	s_and_saveexec_b32 s7, vcc_lo
	s_cbranch_execz .LBB93_289
; %bb.291:                              ;   in Loop: Header=BB93_290 Depth=1
	v_add_co_u32 v0, vcc_lo, v2, s41
	v_add_co_ci_u32_e32 v1, vcc_lo, 0, v3, vcc_lo
	s_and_not1_b32 s6, s6, exec_lo
	s_and_not1_b32 s5, s5, exec_lo
	s_delay_alu instid0(VALU_DEP_1) | instskip(SKIP_1) | instid1(SALU_CYCLE_1)
	v_cmp_le_u64_e32 vcc_lo, s[24:25], v[0:1]
	s_and_b32 s8, vcc_lo, exec_lo
	s_or_b32 s6, s6, s8
	s_branch .LBB93_289
.LBB93_292:
	v_cvt_f32_u32_e32 v1, s44
	s_sub_i32 s3, 0, s44
	s_delay_alu instid0(VALU_DEP_1) | instskip(SKIP_2) | instid1(VALU_DEP_1)
	v_rcp_iflag_f32_e32 v1, v1
	s_waitcnt_depctr 0xfff
	v_mul_f32_e32 v1, 0x4f7ffffe, v1
	v_cvt_u32_f32_e32 v1, v1
	s_delay_alu instid0(VALU_DEP_1) | instskip(NEXT) | instid1(VALU_DEP_1)
	v_readfirstlane_b32 s2, v1
	s_mul_i32 s3, s3, s2
	s_delay_alu instid0(SALU_CYCLE_1) | instskip(NEXT) | instid1(SALU_CYCLE_1)
	s_mul_hi_u32 s3, s2, s3
	s_add_i32 s2, s2, s3
	s_delay_alu instid0(SALU_CYCLE_1) | instskip(NEXT) | instid1(SALU_CYCLE_1)
	s_mul_hi_u32 s2, s34, s2
	s_mul_i32 s3, s2, s44
	s_add_i32 s4, s2, 1
	s_sub_i32 s3, s34, s3
	s_delay_alu instid0(SALU_CYCLE_1)
	s_sub_i32 s5, s3, s44
	s_cmp_ge_u32 s3, s44
	s_cselect_b32 s2, s4, s2
	s_cselect_b32 s3, s5, s3
	s_add_i32 s4, s2, 1
	s_cmp_ge_u32 s3, s44
	s_cselect_b32 s46, s4, s2
	s_load_b64 s[42:43], s[0:1], 0x4f0
	v_cmp_lt_u64_e64 s2, s[34:35], s[26:27]
	s_delay_alu instid0(VALU_DEP_1)
	s_and_b32 vcc_lo, exec_lo, s2
	s_cbranch_vccnz .LBB93_3
.LBB93_293:
	v_cvt_f32_u32_e32 v1, s26
	s_sub_i32 s3, 0, s26
	s_delay_alu instid0(VALU_DEP_1) | instskip(SKIP_2) | instid1(VALU_DEP_1)
	v_rcp_iflag_f32_e32 v1, v1
	s_waitcnt_depctr 0xfff
	v_mul_f32_e32 v1, 0x4f7ffffe, v1
	v_cvt_u32_f32_e32 v1, v1
	s_delay_alu instid0(VALU_DEP_1) | instskip(NEXT) | instid1(VALU_DEP_1)
	v_readfirstlane_b32 s2, v1
	s_mul_i32 s3, s3, s2
	s_delay_alu instid0(SALU_CYCLE_1) | instskip(NEXT) | instid1(SALU_CYCLE_1)
	s_mul_hi_u32 s3, s2, s3
	s_add_i32 s2, s2, s3
	s_delay_alu instid0(SALU_CYCLE_1) | instskip(NEXT) | instid1(SALU_CYCLE_1)
	s_mul_hi_u32 s2, s34, s2
	s_mul_i32 s3, s2, s26
	s_add_i32 s4, s2, 1
	s_sub_i32 s3, s34, s3
	s_delay_alu instid0(SALU_CYCLE_1)
	s_sub_i32 s5, s3, s26
	s_cmp_ge_u32 s3, s26
	s_cselect_b32 s2, s4, s2
	s_cselect_b32 s3, s5, s3
	s_add_i32 s4, s2, 1
	s_cmp_ge_u32 s3, s26
	s_cselect_b32 s40, s4, s2
	v_cmp_lt_u64_e64 s2, s[34:35], s[14:15]
	s_mov_b64 s[16:17], 0
	s_delay_alu instid0(VALU_DEP_1)
	s_and_b32 vcc_lo, exec_lo, s2
	s_cbranch_vccnz .LBB93_4
.LBB93_294:
	v_cvt_f32_u32_e32 v1, s14
	s_sub_i32 s3, 0, s14
	s_delay_alu instid0(VALU_DEP_1) | instskip(SKIP_2) | instid1(VALU_DEP_1)
	v_rcp_iflag_f32_e32 v1, v1
	s_waitcnt_depctr 0xfff
	v_mul_f32_e32 v1, 0x4f7ffffe, v1
	v_cvt_u32_f32_e32 v1, v1
	s_delay_alu instid0(VALU_DEP_1) | instskip(NEXT) | instid1(VALU_DEP_1)
	v_readfirstlane_b32 s2, v1
	s_mul_i32 s3, s3, s2
	s_delay_alu instid0(SALU_CYCLE_1) | instskip(NEXT) | instid1(SALU_CYCLE_1)
	s_mul_hi_u32 s3, s2, s3
	s_add_i32 s2, s2, s3
	s_delay_alu instid0(SALU_CYCLE_1) | instskip(NEXT) | instid1(SALU_CYCLE_1)
	s_mul_hi_u32 s2, s34, s2
	s_mul_i32 s3, s2, s14
	s_add_i32 s4, s2, 1
	s_sub_i32 s3, s34, s3
	s_delay_alu instid0(SALU_CYCLE_1)
	s_sub_i32 s5, s3, s14
	s_cmp_ge_u32 s3, s14
	s_cselect_b32 s2, s4, s2
	s_cselect_b32 s3, s5, s3
	s_add_i32 s4, s2, 1
	s_cmp_ge_u32 s3, s14
	s_cselect_b32 s16, s4, s2
	v_cmp_eq_u32_e64 s2, 0, v0
	s_delay_alu instid0(VALU_DEP_1)
	s_and_saveexec_b32 s3, s2
	s_cbranch_execnz .LBB93_5
	s_branch .LBB93_6
.LBB93_295:
	s_set_inst_prefetch_distance 0x2
	s_or_b32 exec_lo, exec_lo, s0
	s_and_saveexec_b32 s0, s4
	s_delay_alu instid0(SALU_CYCLE_1)
	s_xor_b32 s0, exec_lo, s0
	s_cbranch_execz .LBB93_297
; %bb.296:
	s_mul_i32 s0, s40, s27
	s_mul_hi_u32 s4, s40, s26
	s_mul_i32 s5, s40, s26
	s_add_i32 s4, s4, s0
	s_sub_u32 s0, s34, s5
	s_subb_u32 s4, 0, s4
	s_mul_i32 s5, s0, s31
	s_mul_hi_u32 s6, s0, s30
	s_mul_hi_u32 s7, s40, s28
	s_add_i32 s6, s6, s5
	s_mul_i32 s5, s40, s29
	s_mul_i32 s8, s4, s30
	s_add_i32 s5, s7, s5
	s_mul_i32 s4, s40, s28
	s_add_i32 s7, s6, s8
	s_lshl_b64 s[4:5], s[4:5], 3
	s_mul_i32 s6, s0, s30
	s_add_u32 s0, s48, s4
	s_addc_u32 s8, s49, s5
	s_lshl_b64 s[4:5], s[6:7], 3
	v_mov_b32_e32 v0, 0
	s_add_u32 s4, s0, s4
	s_addc_u32 s5, s8, s5
	global_store_b64 v0, v[2:3], s[4:5]
.LBB93_297:
	s_or_b32 exec_lo, exec_lo, s3
.LBB93_298:
	s_or_saveexec_b32 s0, s2
	s_mov_b32 s2, 0
	s_xor_b32 exec_lo, exec_lo, s0
	s_cbranch_execnz .LBB93_306
.LBB93_299:
	s_or_b32 exec_lo, exec_lo, s0
	s_delay_alu instid0(SALU_CYCLE_1)
	s_and_b32 s2, s2, exec_lo
.LBB93_300:
	s_and_not1_saveexec_b32 s0, s1
	s_cbranch_execnz .LBB93_304
; %bb.301:
	s_or_b32 exec_lo, exec_lo, s0
	s_and_saveexec_b32 s0, s2
.LBB93_302:
	; divergent unreachable
.LBB93_303:
	s_nop 0
	s_sendmsg sendmsg(MSG_DEALLOC_VGPRS)
	s_endpgm
.LBB93_304:
	s_cbranch_execnz .LBB93_308
; %bb.305:
	s_or_b32 s2, s2, exec_lo
	s_or_b32 exec_lo, exec_lo, s0
	s_and_saveexec_b32 s0, s2
	s_cbranch_execnz .LBB93_302
	s_branch .LBB93_303
.LBB93_306:
	s_cbranch_execnz .LBB93_310
; %bb.307:
	s_mov_b32 s2, exec_lo
	s_branch .LBB93_299
.LBB93_308:
	s_trap 2
	s_sendmsg_rtn_b32 s0, sendmsg(MSG_RTN_GET_DOORBELL)
	s_mov_b32 ttmp2, m0
	s_waitcnt lgkmcnt(0)
	s_and_b32 s0, s0, 0x3ff
	s_delay_alu instid0(SALU_CYCLE_1) | instskip(NEXT) | instid1(SALU_CYCLE_1)
	s_bitset1_b32 s0, 10
	s_mov_b32 m0, s0
	s_sendmsg sendmsg(MSG_INTERRUPT)
	s_mov_b32 m0, ttmp2
.LBB93_309:                             ; =>This Inner Loop Header: Depth=1
	s_sethalt 5
	s_branch .LBB93_309
.LBB93_310:
	s_trap 2
	s_sendmsg_rtn_b32 s0, sendmsg(MSG_RTN_GET_DOORBELL)
	s_mov_b32 ttmp2, m0
	s_waitcnt lgkmcnt(0)
	s_and_b32 s0, s0, 0x3ff
	s_delay_alu instid0(SALU_CYCLE_1) | instskip(NEXT) | instid1(SALU_CYCLE_1)
	s_bitset1_b32 s0, 10
	s_mov_b32 m0, s0
	s_sendmsg sendmsg(MSG_INTERRUPT)
	s_mov_b32 m0, ttmp2
.LBB93_311:                             ; =>This Inner Loop Header: Depth=1
	s_sethalt 5
	s_branch .LBB93_311
	.section	.rodata,"a",@progbits
	.p2align	6, 0x0
	.amdhsa_kernel _ZN2at6native12_GLOBAL__N_112gatherMedianIimLi2EEEvNS_4cuda6detail10TensorInfoIT_T0_EENS5_IlS7_EENS5_IKS6_S7_EES7_S7_S7_b
		.amdhsa_group_segment_fixed_size 5152
		.amdhsa_private_segment_fixed_size 0
		.amdhsa_kernarg_size 1536
		.amdhsa_user_sgpr_count 13
		.amdhsa_user_sgpr_dispatch_ptr 0
		.amdhsa_user_sgpr_queue_ptr 0
		.amdhsa_user_sgpr_kernarg_segment_ptr 1
		.amdhsa_user_sgpr_dispatch_id 0
		.amdhsa_user_sgpr_private_segment_size 0
		.amdhsa_wavefront_size32 1
		.amdhsa_uses_dynamic_stack 0
		.amdhsa_enable_private_segment 0
		.amdhsa_system_sgpr_workgroup_id_x 1
		.amdhsa_system_sgpr_workgroup_id_y 1
		.amdhsa_system_sgpr_workgroup_id_z 1
		.amdhsa_system_sgpr_workgroup_info 0
		.amdhsa_system_vgpr_workitem_id 0
		.amdhsa_next_free_vgpr 33
		.amdhsa_next_free_sgpr 93
		.amdhsa_reserve_vcc 1
		.amdhsa_float_round_mode_32 0
		.amdhsa_float_round_mode_16_64 0
		.amdhsa_float_denorm_mode_32 3
		.amdhsa_float_denorm_mode_16_64 3
		.amdhsa_dx10_clamp 1
		.amdhsa_ieee_mode 1
		.amdhsa_fp16_overflow 0
		.amdhsa_workgroup_processor_mode 1
		.amdhsa_memory_ordered 1
		.amdhsa_forward_progress 0
		.amdhsa_shared_vgpr_count 0
		.amdhsa_exception_fp_ieee_invalid_op 0
		.amdhsa_exception_fp_denorm_src 0
		.amdhsa_exception_fp_ieee_div_zero 0
		.amdhsa_exception_fp_ieee_overflow 0
		.amdhsa_exception_fp_ieee_underflow 0
		.amdhsa_exception_fp_ieee_inexact 0
		.amdhsa_exception_int_div_zero 0
	.end_amdhsa_kernel
	.section	.text._ZN2at6native12_GLOBAL__N_112gatherMedianIimLi2EEEvNS_4cuda6detail10TensorInfoIT_T0_EENS5_IlS7_EENS5_IKS6_S7_EES7_S7_S7_b,"axG",@progbits,_ZN2at6native12_GLOBAL__N_112gatherMedianIimLi2EEEvNS_4cuda6detail10TensorInfoIT_T0_EENS5_IlS7_EENS5_IKS6_S7_EES7_S7_S7_b,comdat
.Lfunc_end93:
	.size	_ZN2at6native12_GLOBAL__N_112gatherMedianIimLi2EEEvNS_4cuda6detail10TensorInfoIT_T0_EENS5_IlS7_EENS5_IKS6_S7_EES7_S7_S7_b, .Lfunc_end93-_ZN2at6native12_GLOBAL__N_112gatherMedianIimLi2EEEvNS_4cuda6detail10TensorInfoIT_T0_EENS5_IlS7_EENS5_IKS6_S7_EES7_S7_S7_b
                                        ; -- End function
	.section	.AMDGPU.csdata,"",@progbits
; Kernel info:
; codeLenInByte = 17112
; NumSgprs: 95
; NumVgprs: 33
; ScratchSize: 0
; MemoryBound: 0
; FloatMode: 240
; IeeeMode: 1
; LDSByteSize: 5152 bytes/workgroup (compile time only)
; SGPRBlocks: 11
; VGPRBlocks: 4
; NumSGPRsForWavesPerEU: 95
; NumVGPRsForWavesPerEU: 33
; Occupancy: 16
; WaveLimiterHint : 1
; COMPUTE_PGM_RSRC2:SCRATCH_EN: 0
; COMPUTE_PGM_RSRC2:USER_SGPR: 13
; COMPUTE_PGM_RSRC2:TRAP_HANDLER: 0
; COMPUTE_PGM_RSRC2:TGID_X_EN: 1
; COMPUTE_PGM_RSRC2:TGID_Y_EN: 1
; COMPUTE_PGM_RSRC2:TGID_Z_EN: 1
; COMPUTE_PGM_RSRC2:TIDIG_COMP_CNT: 0
	.section	.text._ZN2at6native12_GLOBAL__N_112gatherMedianIimLi3EEEvNS_4cuda6detail10TensorInfoIT_T0_EENS5_IlS7_EENS5_IKS6_S7_EES7_S7_S7_b,"axG",@progbits,_ZN2at6native12_GLOBAL__N_112gatherMedianIimLi3EEEvNS_4cuda6detail10TensorInfoIT_T0_EENS5_IlS7_EENS5_IKS6_S7_EES7_S7_S7_b,comdat
	.globl	_ZN2at6native12_GLOBAL__N_112gatherMedianIimLi3EEEvNS_4cuda6detail10TensorInfoIT_T0_EENS5_IlS7_EENS5_IKS6_S7_EES7_S7_S7_b ; -- Begin function _ZN2at6native12_GLOBAL__N_112gatherMedianIimLi3EEEvNS_4cuda6detail10TensorInfoIT_T0_EENS5_IlS7_EENS5_IKS6_S7_EES7_S7_S7_b
	.p2align	8
	.type	_ZN2at6native12_GLOBAL__N_112gatherMedianIimLi3EEEvNS_4cuda6detail10TensorInfoIT_T0_EENS5_IlS7_EENS5_IKS6_S7_EES7_S7_S7_b,@function
_ZN2at6native12_GLOBAL__N_112gatherMedianIimLi3EEEvNS_4cuda6detail10TensorInfoIT_T0_EENS5_IlS7_EENS5_IKS6_S7_EES7_S7_S7_b: ; @_ZN2at6native12_GLOBAL__N_112gatherMedianIimLi3EEEvNS_4cuda6detail10TensorInfoIT_T0_EENS5_IlS7_EENS5_IKS6_S7_EES7_S7_S7_b
; %bb.0:
	s_clause 0x1
	s_load_b64 s[16:17], s[0:1], 0x500
	s_load_b128 s[24:27], s[0:1], 0x4e0
	s_add_u32 s18, s0, 0x500
	s_addc_u32 s19, s1, 0
	s_mov_b32 s35, 0
	s_waitcnt lgkmcnt(0)
	s_mul_i32 s2, s17, s15
	s_delay_alu instid0(SALU_CYCLE_1) | instskip(NEXT) | instid1(SALU_CYCLE_1)
	s_add_i32 s2, s2, s14
	s_mul_i32 s2, s2, s16
	s_delay_alu instid0(SALU_CYCLE_1) | instskip(NEXT) | instid1(SALU_CYCLE_1)
	s_add_i32 s34, s2, s13
	v_cmp_ge_u64_e64 s2, s[34:35], s[26:27]
	s_delay_alu instid0(VALU_DEP_1)
	s_and_b32 vcc_lo, exec_lo, s2
	s_cbranch_vccnz .LBB94_309
; %bb.1:
	s_load_b128 s[36:39], s[0:1], 0x10
	s_mov_b64 s[50:51], 0
	s_mov_b64 s[52:53], 0
	s_waitcnt lgkmcnt(0)
	v_cmp_lt_u64_e64 s2, s[34:35], s[38:39]
	s_delay_alu instid0(VALU_DEP_1)
	s_and_b32 vcc_lo, exec_lo, s2
	s_cbranch_vccnz .LBB94_3
; %bb.2:
	v_cvt_f32_u32_e32 v1, s38
	s_sub_i32 s3, 0, s38
	s_mov_b32 s53, 0
	s_delay_alu instid0(VALU_DEP_1) | instskip(SKIP_2) | instid1(VALU_DEP_1)
	v_rcp_iflag_f32_e32 v1, v1
	s_waitcnt_depctr 0xfff
	v_mul_f32_e32 v1, 0x4f7ffffe, v1
	v_cvt_u32_f32_e32 v1, v1
	s_delay_alu instid0(VALU_DEP_1) | instskip(NEXT) | instid1(VALU_DEP_1)
	v_readfirstlane_b32 s2, v1
	s_mul_i32 s3, s3, s2
	s_delay_alu instid0(SALU_CYCLE_1) | instskip(NEXT) | instid1(SALU_CYCLE_1)
	s_mul_hi_u32 s3, s2, s3
	s_add_i32 s2, s2, s3
	s_delay_alu instid0(SALU_CYCLE_1) | instskip(NEXT) | instid1(SALU_CYCLE_1)
	s_mul_hi_u32 s2, s34, s2
	s_mul_i32 s3, s2, s38
	s_add_i32 s4, s2, 1
	s_sub_i32 s3, s34, s3
	s_delay_alu instid0(SALU_CYCLE_1)
	s_sub_i32 s5, s3, s38
	s_cmp_ge_u32 s3, s38
	s_cselect_b32 s2, s4, s2
	s_cselect_b32 s3, s5, s3
	s_add_i32 s4, s2, 1
	s_cmp_ge_u32 s3, s38
	s_cselect_b32 s52, s4, s2
.LBB94_3:
	s_load_b128 s[28:31], s[0:1], 0x1b0
	v_cmp_lt_u64_e64 s2, s[52:53], s[36:37]
	s_delay_alu instid0(VALU_DEP_1)
	s_and_b32 vcc_lo, exec_lo, s2
	s_cbranch_vccnz .LBB94_5
; %bb.4:
	v_cvt_f32_u32_e32 v1, s36
	s_sub_i32 s3, 0, s36
	s_delay_alu instid0(VALU_DEP_1) | instskip(SKIP_2) | instid1(VALU_DEP_1)
	v_rcp_iflag_f32_e32 v1, v1
	s_waitcnt_depctr 0xfff
	v_mul_f32_e32 v1, 0x4f7ffffe, v1
	v_cvt_u32_f32_e32 v1, v1
	s_delay_alu instid0(VALU_DEP_1) | instskip(NEXT) | instid1(VALU_DEP_1)
	v_readfirstlane_b32 s2, v1
	s_mul_i32 s3, s3, s2
	s_delay_alu instid0(SALU_CYCLE_1) | instskip(NEXT) | instid1(SALU_CYCLE_1)
	s_mul_hi_u32 s3, s2, s3
	s_add_i32 s2, s2, s3
	s_delay_alu instid0(SALU_CYCLE_1) | instskip(NEXT) | instid1(SALU_CYCLE_1)
	s_mul_hi_u32 s2, s52, s2
	s_mul_i32 s3, s2, s36
	s_add_i32 s4, s2, 1
	s_sub_i32 s3, s52, s3
	s_delay_alu instid0(SALU_CYCLE_1)
	s_sub_i32 s5, s3, s36
	s_cmp_ge_u32 s3, s36
	s_cselect_b32 s2, s4, s2
	s_cselect_b32 s3, s5, s3
	s_add_i32 s4, s2, 1
	s_cmp_ge_u32 s3, s36
	s_cselect_b32 s50, s4, s2
.LBB94_5:
	s_waitcnt lgkmcnt(0)
	v_cmp_lt_u64_e64 s2, s[34:35], s[30:31]
	s_mov_b64 s[26:27], 0
	s_mov_b64 s[48:49], 0
	s_delay_alu instid0(VALU_DEP_1)
	s_and_b32 vcc_lo, exec_lo, s2
	s_cbranch_vccnz .LBB94_7
; %bb.6:
	v_cvt_f32_u32_e32 v1, s30
	s_sub_i32 s3, 0, s30
	s_mov_b32 s49, 0
	s_delay_alu instid0(VALU_DEP_1) | instskip(SKIP_2) | instid1(VALU_DEP_1)
	v_rcp_iflag_f32_e32 v1, v1
	s_waitcnt_depctr 0xfff
	v_mul_f32_e32 v1, 0x4f7ffffe, v1
	v_cvt_u32_f32_e32 v1, v1
	s_delay_alu instid0(VALU_DEP_1) | instskip(NEXT) | instid1(VALU_DEP_1)
	v_readfirstlane_b32 s2, v1
	s_mul_i32 s3, s3, s2
	s_delay_alu instid0(SALU_CYCLE_1) | instskip(NEXT) | instid1(SALU_CYCLE_1)
	s_mul_hi_u32 s3, s2, s3
	s_add_i32 s2, s2, s3
	s_delay_alu instid0(SALU_CYCLE_1) | instskip(NEXT) | instid1(SALU_CYCLE_1)
	s_mul_hi_u32 s2, s34, s2
	s_mul_i32 s3, s2, s30
	s_add_i32 s4, s2, 1
	s_sub_i32 s3, s34, s3
	s_delay_alu instid0(SALU_CYCLE_1)
	s_sub_i32 s5, s3, s30
	s_cmp_ge_u32 s3, s30
	s_cselect_b32 s2, s4, s2
	s_cselect_b32 s3, s5, s3
	s_add_i32 s4, s2, 1
	s_cmp_ge_u32 s3, s30
	s_cselect_b32 s48, s4, s2
.LBB94_7:
	s_load_b128 s[4:7], s[0:1], 0x350
	v_cmp_lt_u64_e64 s2, s[48:49], s[28:29]
	s_delay_alu instid0(VALU_DEP_1)
	s_and_b32 vcc_lo, exec_lo, s2
	s_cbranch_vccnz .LBB94_9
; %bb.8:
	v_cvt_f32_u32_e32 v1, s28
	s_sub_i32 s3, 0, s28
	s_delay_alu instid0(VALU_DEP_1) | instskip(SKIP_2) | instid1(VALU_DEP_1)
	v_rcp_iflag_f32_e32 v1, v1
	s_waitcnt_depctr 0xfff
	v_mul_f32_e32 v1, 0x4f7ffffe, v1
	v_cvt_u32_f32_e32 v1, v1
	s_delay_alu instid0(VALU_DEP_1) | instskip(NEXT) | instid1(VALU_DEP_1)
	v_readfirstlane_b32 s2, v1
	s_mul_i32 s3, s3, s2
	s_delay_alu instid0(SALU_CYCLE_1) | instskip(NEXT) | instid1(SALU_CYCLE_1)
	s_mul_hi_u32 s3, s2, s3
	s_add_i32 s2, s2, s3
	s_delay_alu instid0(SALU_CYCLE_1) | instskip(NEXT) | instid1(SALU_CYCLE_1)
	s_mul_hi_u32 s2, s48, s2
	s_mul_i32 s3, s2, s28
	s_add_i32 s8, s2, 1
	s_sub_i32 s3, s48, s3
	s_delay_alu instid0(SALU_CYCLE_1)
	s_sub_i32 s9, s3, s28
	s_cmp_ge_u32 s3, s28
	s_cselect_b32 s2, s8, s2
	s_cselect_b32 s3, s9, s3
	s_add_i32 s8, s2, 1
	s_cmp_ge_u32 s3, s28
	s_cselect_b32 s26, s8, s2
.LBB94_9:
	s_load_b64 s[54:55], s[0:1], 0x4f0
	s_waitcnt lgkmcnt(0)
	v_cmp_lt_u64_e64 s2, s[34:35], s[6:7]
	s_mov_b64 s[14:15], 0
	s_mov_b64 s[20:21], 0
	s_delay_alu instid0(VALU_DEP_1)
	s_and_b32 vcc_lo, exec_lo, s2
	s_cbranch_vccnz .LBB94_11
; %bb.10:
	v_cvt_f32_u32_e32 v1, s6
	s_sub_i32 s3, 0, s6
	s_mov_b32 s21, 0
	s_delay_alu instid0(VALU_DEP_1) | instskip(SKIP_2) | instid1(VALU_DEP_1)
	v_rcp_iflag_f32_e32 v1, v1
	s_waitcnt_depctr 0xfff
	v_mul_f32_e32 v1, 0x4f7ffffe, v1
	v_cvt_u32_f32_e32 v1, v1
	s_delay_alu instid0(VALU_DEP_1) | instskip(NEXT) | instid1(VALU_DEP_1)
	v_readfirstlane_b32 s2, v1
	s_mul_i32 s3, s3, s2
	s_delay_alu instid0(SALU_CYCLE_1) | instskip(NEXT) | instid1(SALU_CYCLE_1)
	s_mul_hi_u32 s3, s2, s3
	s_add_i32 s2, s2, s3
	s_delay_alu instid0(SALU_CYCLE_1) | instskip(NEXT) | instid1(SALU_CYCLE_1)
	s_mul_hi_u32 s2, s34, s2
	s_mul_i32 s3, s2, s6
	s_add_i32 s8, s2, 1
	s_sub_i32 s3, s34, s3
	s_delay_alu instid0(SALU_CYCLE_1)
	s_sub_i32 s9, s3, s6
	s_cmp_ge_u32 s3, s6
	s_cselect_b32 s2, s8, s2
	s_cselect_b32 s3, s9, s3
	s_add_i32 s8, s2, 1
	s_cmp_ge_u32 s3, s6
	s_cselect_b32 s20, s8, s2
.LBB94_11:
	s_delay_alu instid0(SALU_CYCLE_1) | instskip(NEXT) | instid1(VALU_DEP_1)
	v_cmp_lt_u64_e64 s2, s[20:21], s[4:5]
	s_and_b32 vcc_lo, exec_lo, s2
	s_cbranch_vccnz .LBB94_13
; %bb.12:
	v_cvt_f32_u32_e32 v1, s4
	s_sub_i32 s3, 0, s4
	s_delay_alu instid0(VALU_DEP_1) | instskip(SKIP_2) | instid1(VALU_DEP_1)
	v_rcp_iflag_f32_e32 v1, v1
	s_waitcnt_depctr 0xfff
	v_mul_f32_e32 v1, 0x4f7ffffe, v1
	v_cvt_u32_f32_e32 v1, v1
	s_delay_alu instid0(VALU_DEP_1) | instskip(NEXT) | instid1(VALU_DEP_1)
	v_readfirstlane_b32 s2, v1
	s_mul_i32 s3, s3, s2
	s_delay_alu instid0(SALU_CYCLE_1) | instskip(NEXT) | instid1(SALU_CYCLE_1)
	s_mul_hi_u32 s3, s2, s3
	s_add_i32 s2, s2, s3
	s_delay_alu instid0(SALU_CYCLE_1) | instskip(NEXT) | instid1(SALU_CYCLE_1)
	s_mul_hi_u32 s2, s20, s2
	s_mul_i32 s3, s2, s4
	s_add_i32 s8, s2, 1
	s_sub_i32 s3, s20, s3
	s_delay_alu instid0(SALU_CYCLE_1)
	s_sub_i32 s9, s3, s4
	s_cmp_ge_u32 s3, s4
	s_cselect_b32 s2, s8, s2
	s_cselect_b32 s3, s9, s3
	s_add_i32 s8, s2, 1
	s_cmp_ge_u32 s3, s4
	s_cselect_b32 s14, s8, s2
.LBB94_13:
	s_clause 0x1
	s_load_b64 s[22:23], s[0:1], 0x420
	s_load_b128 s[8:11], s[0:1], 0x410
	v_cmp_eq_u32_e64 s2, 0, v0
	s_delay_alu instid0(VALU_DEP_1)
	s_and_saveexec_b32 s3, s2
	s_cbranch_execz .LBB94_15
; %bb.14:
	v_mov_b32_e32 v1, 0
	s_delay_alu instid0(VALU_DEP_1)
	v_mov_b32_e32 v2, v1
	ds_store_b64 v1, v[1:2] offset:5136
.LBB94_15:
	s_or_b32 exec_lo, exec_lo, s3
	v_mov_b32_e32 v1, 0
	s_waitcnt lgkmcnt(0)
	s_barrier
	buffer_gl0_inv
	s_barrier
	buffer_gl0_inv
	ds_load_b64 v[1:2], v1 offset:5136
	s_clause 0x5
	s_load_b32 s3, s[0:1], 0x4f8
	s_load_b64 s[66:67], s[0:1], 0x340
	s_load_b64 s[56:57], s[0:1], 0x280
	s_load_b128 s[40:43], s[0:1], 0x270
	s_load_b64 s[60:61], s[0:1], 0xe0
	s_load_b128 s[44:47], s[0:1], 0xd0
	s_mov_b64 s[64:65], s[24:25]
	s_waitcnt lgkmcnt(0)
	s_bitcmp1_b32 s3, 0
	v_readfirstlane_b32 s58, v1
	v_readfirstlane_b32 s59, v2
	s_cselect_b32 s3, -1, 0
	s_delay_alu instid0(VALU_DEP_1) | instskip(NEXT) | instid1(VALU_DEP_1)
	v_cmp_lt_i64_e64 s12, s[58:59], 1
	s_or_b32 s3, s3, s12
	s_delay_alu instid0(SALU_CYCLE_1)
	s_and_not1_b32 vcc_lo, exec_lo, s3
	s_cbranch_vccnz .LBB94_17
; %bb.16:
	s_not_b64 s[58:59], s[58:59]
	s_delay_alu instid0(SALU_CYCLE_1) | instskip(SKIP_1) | instid1(SALU_CYCLE_1)
	s_add_u32 s58, s58, s24
	s_addc_u32 s59, s59, s25
	s_lshr_b64 s[58:59], s[58:59], 1
	s_delay_alu instid0(SALU_CYCLE_1)
	s_add_u32 s64, s58, 1
	s_addc_u32 s65, s59, 0
.LBB94_17:
	s_clause 0x1
	s_load_b64 s[58:59], s[0:1], 0x1a0
	s_load_b64 s[62:63], s[0:1], 0x0
	s_and_saveexec_b32 s0, s2
	s_cbranch_execz .LBB94_19
; %bb.18:
	v_dual_mov_b32 v1, 0 :: v_dual_mov_b32 v4, s25
	s_delay_alu instid0(VALU_DEP_1)
	v_dual_mov_b32 v3, s24 :: v_dual_mov_b32 v2, v1
	ds_store_b32 v1, v1 offset:5144
	ds_store_b128 v1, v[1:4] offset:5120
.LBB94_19:
	s_or_b32 exec_lo, exec_lo, s0
	s_mul_i32 s0, s20, s7
	s_mul_hi_u32 s1, s20, s6
	s_mul_i32 s3, s20, s6
	s_add_i32 s1, s1, s0
	s_sub_u32 s0, s34, s3
	s_subb_u32 s1, 0, s1
	s_mul_i32 s3, s0, s23
	s_mul_hi_u32 s6, s0, s22
	s_mul_i32 s1, s1, s22
	s_add_i32 s3, s6, s3
	s_mul_hi_u32 s7, s14, s8
	s_add_i32 s1, s3, s1
	s_mul_i32 s3, s14, s5
	s_mul_hi_u32 s5, s14, s4
	s_mul_i32 s4, s14, s4
	s_add_i32 s5, s5, s3
	s_sub_u32 s3, s20, s4
	s_subb_u32 s5, s21, s5
	s_mul_i32 s4, s3, s11
	s_mul_hi_u32 s6, s3, s10
	s_mul_i32 s0, s0, s22
	s_add_i32 s6, s6, s4
	s_mul_i32 s4, s14, s9
	s_mul_i32 s9, s5, s10
	s_add_i32 s5, s7, s4
	s_mul_i32 s4, s14, s8
	s_add_i32 s7, s6, s9
	s_lshl_b64 s[4:5], s[4:5], 2
	s_mul_i32 s6, s3, s10
	s_add_u32 s3, s66, s4
	s_addc_u32 s8, s67, s5
	s_lshl_b64 s[4:5], s[6:7], 2
	v_mad_u64_u32 v[2:3], null, v0, s54, 0
	s_add_u32 s3, s3, s4
	s_addc_u32 s4, s8, s5
	s_lshl_b64 s[0:1], s[0:1], 2
	s_waitcnt lgkmcnt(0)
	s_add_u32 s27, s3, s0
	s_addc_u32 s33, s4, s1
	s_barrier
	buffer_gl0_inv
	s_load_b32 s4, s[18:19], 0xc
	v_dual_mov_b32 v1, v3 :: v_dual_lshlrev_b32 v12, 2, v0
	v_mbcnt_lo_u32_b32 v23, -1, 0
	v_cmp_gt_u32_e32 vcc_lo, 32, v0
	v_mov_b32_e32 v11, 0
	s_delay_alu instid0(VALU_DEP_4) | instskip(SKIP_2) | instid1(VALU_DEP_4)
	v_mad_u64_u32 v[3:4], null, v0, s55, v[1:2]
	v_add_nc_u32_e32 v24, 0xc00, v12
	v_cmp_gt_i32_e64 s3, 4, v23
	v_dual_mov_b32 v1, v11 :: v_dual_mov_b32 v16, 1
	v_cmp_lt_u64_e64 s82, 0x300, s[24:25]
	v_cmp_eq_u32_e64 s1, 0, v23
	v_lshlrev_b64 v[2:3], 2, v[2:3]
	s_and_b32 s51, vcc_lo, s3
	v_cmp_gt_u64_e64 s0, s[24:25], v[0:1]
	v_cmp_gt_u32_e64 s3, 2, v0
	v_dual_mov_b32 v13, v11 :: v_dual_mov_b32 v18, 0
	s_waitcnt lgkmcnt(0)
	s_and_b32 s35, s4, 0xffff
	s_bfe_u32 s5, s4, 0xb0005
	s_add_u32 s83, s35, -1
	s_addc_u32 s84, 0, -1
	v_add_co_u32 v14, vcc_lo, s27, v2
	v_lshrrev_b32_e32 v2, 3, v0
	s_add_u32 s85, s83, s24
	s_addc_u32 s69, s84, s25
	s_cmp_lt_u32 s13, s16
	v_add_co_ci_u32_e32 v15, vcc_lo, s33, v3, vcc_lo
	s_cselect_b32 s6, 12, 18
	v_and_b32_e32 v25, 0x7c, v2
	v_lshlrev_b64 v[2:3], v23, -1
	s_add_u32 s70, s18, s6
	s_addc_u32 s71, s19, 0
	s_add_i32 s6, s5, -1
	s_bfe_u32 s86, s35, 0x30005
	s_cmp_gt_u32 s6, 6
	v_not_b32_e32 v26, v2
	s_cselect_b32 s87, -1, 0
	s_and_b32 s88, s5, 0x7f8
	v_cmp_gt_u16_e64 s89, s4, 31
	v_lshlrev_b32_e32 v27, 4, v0
	v_lshl_or_b32 v28, v23, 3, 0xc00
	s_cmp_lg_u32 s86, 0
	s_mov_b32 s67, 0
	s_cselect_b32 s90, -1, 0
	s_lshl_b32 s91, s35, 2
	s_mov_b32 s96, 30
	s_mov_b32 s92, 0
	s_mov_b32 s99, 0
	s_mov_b32 s101, 0
	s_mov_b32 s102, 0
                                        ; implicit-def: $sgpr93
                                        ; implicit-def: $sgpr95
                                        ; implicit-def: $sgpr94
                                        ; implicit-def: $sgpr98
                                        ; implicit-def: $sgpr100
                                        ; implicit-def: $sgpr97
	s_branch .LBB94_24
.LBB94_20:                              ;   in Loop: Header=BB94_24 Depth=1
	s_xor_b32 s99, s99, 1
	s_add_i32 s7, s96, -2
	s_cmp_eq_u32 s96, 0
	s_mov_b32 s5, 0
	s_cselect_b32 s6, -1, 0
	s_mov_b32 s96, s7
.LBB94_21:                              ;   in Loop: Header=BB94_24 Depth=1
	s_and_not1_b32 s7, s13, exec_lo
	s_and_b32 s5, s5, exec_lo
	s_and_not1_b32 s19, s19, exec_lo
	s_or_b32 s13, s7, s5
	s_and_not1_b32 s12, s12, exec_lo
	s_or_not1_b32 s15, s6, exec_lo
.LBB94_22:                              ;   in Loop: Header=BB94_24 Depth=1
	s_or_b32 exec_lo, exec_lo, s4
	s_delay_alu instid0(SALU_CYCLE_1)
	s_and_not1_b32 s4, s97, exec_lo
	s_and_b32 s5, s13, exec_lo
	s_and_not1_b32 s6, s98, exec_lo
	s_or_b32 s97, s4, s5
	s_and_not1_b32 s4, s100, exec_lo
	s_and_b32 s5, s19, exec_lo
	s_and_b32 s7, s12, exec_lo
	s_or_b32 s100, s4, s5
	s_or_b32 s98, s6, s7
	s_or_not1_b32 s19, s15, exec_lo
.LBB94_23:                              ;   in Loop: Header=BB94_24 Depth=1
	s_or_b32 exec_lo, exec_lo, s14
	s_delay_alu instid0(SALU_CYCLE_1)
	s_and_b32 s4, exec_lo, s19
	v_mov_b32_e32 v2, s101
	s_or_b32 s92, s4, s92
	s_and_not1_b32 s4, s94, exec_lo
	s_and_b32 s5, s97, exec_lo
	s_and_not1_b32 s6, s93, exec_lo
	s_or_b32 s94, s4, s5
	s_and_not1_b32 s4, s95, exec_lo
	s_and_b32 s5, s100, exec_lo
	s_and_b32 s7, s98, exec_lo
	s_or_b32 s95, s4, s5
	s_or_b32 s93, s6, s7
	s_and_not1_b32 exec_lo, exec_lo, s92
	s_cbranch_execz .LBB94_292
.LBB94_24:                              ; =>This Loop Header: Depth=1
                                        ;     Child Loop BB94_32 Depth 2
                                        ;     Child Loop BB94_50 Depth 2
	;; [unrolled: 1-line block ×16, first 2 shown]
	ds_load_b128 v[2:5], v11 offset:5120
	s_waitcnt lgkmcnt(0)
	v_readfirstlane_b32 s73, v3
	v_readfirstlane_b32 s72, v2
	s_delay_alu instid0(VALU_DEP_1)
	s_cmp_lg_u64 s[72:73], 0
	s_cbranch_scc1 .LBB94_57
; %bb.25:                               ;   in Loop: Header=BB94_24 Depth=1
	s_and_b32 vcc_lo, exec_lo, s82
	s_cbranch_vccz .LBB94_40
; %bb.26:                               ;   in Loop: Header=BB94_24 Depth=1
	v_cmp_gt_u64_e32 vcc_lo, 0x301, v[4:5]
	s_mov_b32 s6, 0
	s_mov_b32 s4, 0
	s_cbranch_vccz .LBB94_41
; %bb.27:                               ;   in Loop: Header=BB94_24 Depth=1
	v_mov_b32_e32 v4, 0
	s_and_saveexec_b32 s4, s0
	s_cbranch_execz .LBB94_29
; %bb.28:                               ;   in Loop: Header=BB94_24 Depth=1
	global_load_b32 v4, v[14:15], off
.LBB94_29:                              ;   in Loop: Header=BB94_24 Depth=1
	s_or_b32 exec_lo, exec_lo, s4
	s_and_saveexec_b32 s7, s0
	s_cbranch_execz .LBB94_42
; %bb.30:                               ;   in Loop: Header=BB94_24 Depth=1
	global_load_u16 v2, v11, s[70:71]
	s_mov_b32 s8, 0
	s_waitcnt vmcnt(0)
	v_and_b32_e32 v5, 0xffff, v2
	v_dual_mov_b32 v3, v1 :: v_dual_mov_b32 v2, v0
	s_branch .LBB94_32
.LBB94_31:                              ;   in Loop: Header=BB94_32 Depth=2
	s_or_b32 exec_lo, exec_lo, s5
	s_waitcnt vmcnt(0)
	v_mov_b32_e32 v4, v6
	s_and_not1_b32 exec_lo, exec_lo, s8
	s_cbranch_execz .LBB94_42
.LBB94_32:                              ;   Parent Loop BB94_24 Depth=1
                                        ; =>  This Inner Loop Header: Depth=2
	s_delay_alu instid0(VALU_DEP_1) | instskip(NEXT) | instid1(VALU_DEP_2)
	v_add_co_u32 v2, vcc_lo, v2, v5
	v_add_co_ci_u32_e32 v3, vcc_lo, 0, v3, vcc_lo
	s_waitcnt lgkmcnt(0)
	v_dual_mov_b32 v7, 0 :: v_dual_mov_b32 v6, 0
	s_mov_b32 s5, exec_lo
	s_delay_alu instid0(VALU_DEP_2)
	v_cmp_le_u64_e32 vcc_lo, s[24:25], v[2:3]
	v_cmpx_gt_u64_e64 s[24:25], v[2:3]
	s_cbranch_execz .LBB94_34
; %bb.33:                               ;   in Loop: Header=BB94_32 Depth=2
	v_mul_lo_u32 v6, v3, s54
	v_mul_lo_u32 v10, v2, s55
	v_mad_u64_u32 v[8:9], null, v2, s54, 0
	s_delay_alu instid0(VALU_DEP_1) | instskip(NEXT) | instid1(VALU_DEP_1)
	v_add3_u32 v9, v9, v10, v6
	v_lshlrev_b64 v[8:9], 2, v[8:9]
	s_delay_alu instid0(VALU_DEP_1) | instskip(NEXT) | instid1(VALU_DEP_1)
	v_add_co_u32 v8, s4, s27, v8
	v_add_co_ci_u32_e64 v9, s4, s33, v9, s4
	global_load_b32 v6, v[8:9], off
.LBB94_34:                              ;   in Loop: Header=BB94_32 Depth=2
	s_or_b32 exec_lo, exec_lo, s5
	v_xor_b32_e32 v8, 0x80000000, v4
	s_delay_alu instid0(VALU_DEP_1) | instskip(NEXT) | instid1(VALU_DEP_1)
	v_and_b32_e32 v8, s102, v8
	v_cmp_eq_u32_e64 s4, s101, v8
	s_delay_alu instid0(VALU_DEP_1) | instskip(SKIP_1) | instid1(SALU_CYCLE_1)
	s_cmp_lg_u32 s4, 0
	s_cselect_b32 s5, -1, 0
	s_and_b32 s5, s1, s5
	s_delay_alu instid0(SALU_CYCLE_1)
	s_and_saveexec_b32 s9, s5
	s_cbranch_execz .LBB94_38
; %bb.35:                               ;   in Loop: Header=BB94_32 Depth=2
	s_mov_b32 s12, exec_lo
	s_bcnt1_i32_b32 s10, s4
	v_mbcnt_lo_u32_b32 v7, s12, 0
	s_mov_b32 s11, exec_lo
                                        ; implicit-def: $vgpr8
	s_delay_alu instid0(VALU_DEP_1)
	v_cmpx_eq_u32_e32 0, v7
	s_cbranch_execz .LBB94_37
; %bb.36:                               ;   in Loop: Header=BB94_32 Depth=2
	s_bcnt1_i32_b32 s5, s12
	s_delay_alu instid0(SALU_CYCLE_1) | instskip(NEXT) | instid1(SALU_CYCLE_1)
	s_mul_i32 s5, s10, s5
	v_mov_b32_e32 v8, s5
	ds_add_rtn_u32 v8, v11, v8 offset:5144
.LBB94_37:                              ;   in Loop: Header=BB94_32 Depth=2
	s_or_b32 exec_lo, exec_lo, s11
	s_waitcnt lgkmcnt(0)
	v_readfirstlane_b32 s5, v8
	s_delay_alu instid0(VALU_DEP_1)
	v_mad_u32_u24 v7, s10, v7, s5
.LBB94_38:                              ;   in Loop: Header=BB94_32 Depth=2
	s_or_b32 exec_lo, exec_lo, s9
	ds_bpermute_b32 v7, v11, v7
	s_and_b32 s5, exec_lo, vcc_lo
	s_delay_alu instid0(SALU_CYCLE_1)
	s_or_b32 s8, s5, s8
	s_and_saveexec_b32 s5, s4
	s_cbranch_execz .LBB94_31
; %bb.39:                               ;   in Loop: Header=BB94_32 Depth=2
	v_and_b32_e32 v8, s4, v26
	s_delay_alu instid0(VALU_DEP_1) | instskip(NEXT) | instid1(VALU_DEP_1)
	v_bcnt_u32_b32 v8, v8, 0
	v_lshlrev_b32_e32 v8, 2, v8
	s_waitcnt lgkmcnt(0)
	s_delay_alu instid0(VALU_DEP_1)
	v_lshl_add_u32 v7, v7, 2, v8
	ds_store_b32 v7, v4
	s_branch .LBB94_31
.LBB94_40:                              ;   in Loop: Header=BB94_24 Depth=1
	s_mov_b32 s4, 0
                                        ; implicit-def: $sgpr72_sgpr73
	s_cbranch_execnz .LBB94_45
	s_branch .LBB94_55
.LBB94_41:                              ;   in Loop: Header=BB94_24 Depth=1
	s_mov_b64 s[72:73], 0
	s_and_b32 vcc_lo, exec_lo, s6
	s_cbranch_vccnz .LBB94_45
	s_branch .LBB94_55
.LBB94_42:                              ;   in Loop: Header=BB94_24 Depth=1
	s_or_b32 exec_lo, exec_lo, s7
	s_waitcnt vmcnt(0) lgkmcnt(0)
	s_barrier
	buffer_gl0_inv
	s_and_saveexec_b32 s4, s2
	s_cbranch_execz .LBB94_44
; %bb.43:                               ;   in Loop: Header=BB94_24 Depth=1
	ds_load_b32 v2, v11 offset:5144
	s_waitcnt lgkmcnt(0)
	v_ashrrev_i32_e32 v3, 31, v2
	ds_store_b64 v11, v[2:3] offset:5120
.LBB94_44:                              ;   in Loop: Header=BB94_24 Depth=1
	s_or_b32 exec_lo, exec_lo, s4
	s_waitcnt lgkmcnt(0)
	s_mov_b32 s4, -1
	s_barrier
	s_mov_b64 s[72:73], 0
	s_and_b32 vcc_lo, exec_lo, s6
	s_cbranch_vccz .LBB94_55
.LBB94_45:                              ;   in Loop: Header=BB94_24 Depth=1
	v_mov_b32_e32 v4, 0
	s_and_saveexec_b32 s4, s0
	s_cbranch_execz .LBB94_47
; %bb.46:                               ;   in Loop: Header=BB94_24 Depth=1
	global_load_b32 v4, v[14:15], off
.LBB94_47:                              ;   in Loop: Header=BB94_24 Depth=1
	s_or_b32 exec_lo, exec_lo, s4
	s_and_saveexec_b32 s5, s0
	s_cbranch_execz .LBB94_52
; %bb.48:                               ;   in Loop: Header=BB94_24 Depth=1
	global_load_u16 v2, v11, s[70:71]
	s_mov_b32 s6, 0
	s_waitcnt vmcnt(0)
	v_dual_mov_b32 v6, v12 :: v_dual_and_b32 v5, 0xffff, v2
	v_dual_mov_b32 v3, v1 :: v_dual_mov_b32 v2, v0
	s_delay_alu instid0(VALU_DEP_2)
	v_lshlrev_b32_e32 v7, 2, v5
	s_set_inst_prefetch_distance 0x1
	s_branch .LBB94_50
	.p2align	6
.LBB94_49:                              ;   in Loop: Header=BB94_50 Depth=2
	s_or_b32 exec_lo, exec_lo, s7
	ds_store_b32 v6, v4
	v_add_nc_u32_e32 v6, v6, v7
	s_waitcnt vmcnt(0)
	v_mov_b32_e32 v4, v8
	s_and_b32 s4, exec_lo, vcc_lo
	s_delay_alu instid0(SALU_CYCLE_1) | instskip(NEXT) | instid1(SALU_CYCLE_1)
	s_or_b32 s6, s4, s6
	s_and_not1_b32 exec_lo, exec_lo, s6
	s_cbranch_execz .LBB94_52
.LBB94_50:                              ;   Parent Loop BB94_24 Depth=1
                                        ; =>  This Inner Loop Header: Depth=2
	s_delay_alu instid0(VALU_DEP_2) | instskip(SKIP_3) | instid1(VALU_DEP_2)
	v_add_co_u32 v2, vcc_lo, v2, v5
	v_add_co_ci_u32_e32 v3, vcc_lo, 0, v3, vcc_lo
	v_mov_b32_e32 v8, 0
	s_mov_b32 s7, exec_lo
	v_cmp_le_u64_e32 vcc_lo, s[24:25], v[2:3]
	v_cmpx_gt_u64_e64 s[24:25], v[2:3]
	s_cbranch_execz .LBB94_49
; %bb.51:                               ;   in Loop: Header=BB94_50 Depth=2
	v_mul_lo_u32 v10, v3, s54
	v_mul_lo_u32 v17, v2, s55
	v_mad_u64_u32 v[8:9], null, v2, s54, 0
	s_delay_alu instid0(VALU_DEP_1) | instskip(NEXT) | instid1(VALU_DEP_1)
	v_add3_u32 v9, v9, v17, v10
	v_lshlrev_b64 v[8:9], 2, v[8:9]
	s_delay_alu instid0(VALU_DEP_1) | instskip(NEXT) | instid1(VALU_DEP_1)
	v_add_co_u32 v8, s4, s27, v8
	v_add_co_ci_u32_e64 v9, s4, s33, v9, s4
	global_load_b32 v8, v[8:9], off
	s_branch .LBB94_49
.LBB94_52:                              ;   in Loop: Header=BB94_24 Depth=1
	s_set_inst_prefetch_distance 0x2
	s_or_b32 exec_lo, exec_lo, s5
	s_waitcnt vmcnt(0) lgkmcnt(0)
	s_barrier
	buffer_gl0_inv
	s_and_saveexec_b32 s4, s2
	s_cbranch_execz .LBB94_54
; %bb.53:                               ;   in Loop: Header=BB94_24 Depth=1
	v_dual_mov_b32 v2, s24 :: v_dual_mov_b32 v3, s25
	ds_store_b64 v11, v[2:3] offset:5120
.LBB94_54:                              ;   in Loop: Header=BB94_24 Depth=1
	s_or_b32 exec_lo, exec_lo, s4
	s_mov_b32 s4, -1
	s_waitcnt lgkmcnt(0)
	s_barrier
                                        ; implicit-def: $sgpr72_sgpr73
.LBB94_55:                              ;   in Loop: Header=BB94_24 Depth=1
	s_and_b32 vcc_lo, exec_lo, s4
	s_cbranch_vccz .LBB94_57
; %bb.56:                               ;   in Loop: Header=BB94_24 Depth=1
	buffer_gl0_inv
	ds_load_b64 v[2:3], v11 offset:5120
	s_waitcnt lgkmcnt(0)
	v_readfirstlane_b32 s72, v2
.LBB94_57:                              ;   in Loop: Header=BB94_24 Depth=1
	s_delay_alu instid0(VALU_DEP_1)
	s_cmp_lt_i32 s72, 1
	s_cbranch_scc0 .LBB94_72
; %bb.58:                               ;   in Loop: Header=BB94_24 Depth=1
	global_load_u16 v17, v11, s[70:71]
	s_mov_b32 s5, s25
	s_waitcnt vmcnt(0)
	v_readfirstlane_b32 s4, v17
	s_delay_alu instid0(VALU_DEP_1)
	s_and_b32 s6, 0xffff, s4
	s_mov_b32 s4, s67
	s_lshl_b32 s66, s6, 2
	s_cmp_lg_u64 s[4:5], 0
	s_cbranch_scc0 .LBB94_92
; %bb.59:                               ;   in Loop: Header=BB94_24 Depth=1
	v_cvt_f32_u32_e32 v2, s66
	s_sub_u32 s6, 0, s66
	s_subb_u32 s7, 0, 0
	s_delay_alu instid0(VALU_DEP_1) | instskip(NEXT) | instid1(VALU_DEP_1)
	v_fmac_f32_e64 v2, 0, 0x4f800000
	v_rcp_f32_e32 v2, v2
	s_waitcnt_depctr 0xfff
	v_mul_f32_e32 v2, 0x5f7ffffc, v2
	s_delay_alu instid0(VALU_DEP_1) | instskip(NEXT) | instid1(VALU_DEP_1)
	v_mul_f32_e32 v3, 0x2f800000, v2
	v_trunc_f32_e32 v3, v3
	s_delay_alu instid0(VALU_DEP_1) | instskip(SKIP_1) | instid1(VALU_DEP_2)
	v_fmac_f32_e32 v2, 0xcf800000, v3
	v_cvt_u32_f32_e32 v3, v3
	v_cvt_u32_f32_e32 v2, v2
	s_delay_alu instid0(VALU_DEP_2) | instskip(NEXT) | instid1(VALU_DEP_2)
	v_readfirstlane_b32 s4, v3
	v_readfirstlane_b32 s5, v2
	s_delay_alu instid0(VALU_DEP_2) | instskip(NEXT) | instid1(VALU_DEP_1)
	s_mul_i32 s8, s6, s4
	s_mul_hi_u32 s10, s6, s5
	s_mul_i32 s9, s7, s5
	s_add_i32 s8, s10, s8
	s_mul_i32 s11, s6, s5
	s_add_i32 s8, s8, s9
	s_mul_hi_u32 s10, s5, s11
	s_mul_hi_u32 s12, s4, s11
	s_mul_i32 s9, s4, s11
	s_mul_hi_u32 s11, s5, s8
	s_mul_i32 s5, s5, s8
	s_mul_hi_u32 s13, s4, s8
	s_add_u32 s5, s10, s5
	s_addc_u32 s10, 0, s11
	s_add_u32 s5, s5, s9
	s_mul_i32 s8, s4, s8
	s_addc_u32 s5, s10, s12
	s_addc_u32 s9, s13, 0
	s_add_u32 s5, s5, s8
	s_addc_u32 s8, 0, s9
	v_add_co_u32 v2, s5, v2, s5
	s_delay_alu instid0(VALU_DEP_1) | instskip(SKIP_1) | instid1(VALU_DEP_1)
	s_cmp_lg_u32 s5, 0
	s_addc_u32 s4, s4, s8
	v_readfirstlane_b32 s5, v2
	s_mul_i32 s8, s6, s4
	s_delay_alu instid0(VALU_DEP_1)
	s_mul_hi_u32 s9, s6, s5
	s_mul_i32 s7, s7, s5
	s_add_i32 s8, s9, s8
	s_mul_i32 s6, s6, s5
	s_add_i32 s8, s8, s7
	s_mul_hi_u32 s9, s4, s6
	s_mul_i32 s10, s4, s6
	s_mul_hi_u32 s6, s5, s6
	s_mul_hi_u32 s11, s5, s8
	s_mul_i32 s5, s5, s8
	s_mul_hi_u32 s7, s4, s8
	s_add_u32 s5, s6, s5
	s_addc_u32 s6, 0, s11
	s_add_u32 s5, s5, s10
	s_mul_i32 s8, s4, s8
	s_addc_u32 s5, s6, s9
	s_addc_u32 s6, s7, 0
	s_add_u32 s5, s5, s8
	s_addc_u32 s6, 0, s6
	v_add_co_u32 v2, s5, v2, s5
	s_delay_alu instid0(VALU_DEP_1) | instskip(SKIP_1) | instid1(VALU_DEP_1)
	s_cmp_lg_u32 s5, 0
	s_addc_u32 s4, s4, s6
	v_readfirstlane_b32 s5, v2
	s_mul_i32 s7, s24, s4
	s_mul_hi_u32 s6, s24, s4
	s_mul_hi_u32 s8, s25, s4
	s_mul_i32 s4, s25, s4
	s_mul_hi_u32 s9, s24, s5
	s_mul_hi_u32 s10, s25, s5
	s_mul_i32 s5, s25, s5
	s_add_u32 s7, s9, s7
	s_addc_u32 s6, 0, s6
	s_add_u32 s5, s7, s5
	s_addc_u32 s5, s6, s10
	s_addc_u32 s6, s8, 0
	s_add_u32 s4, s5, s4
	s_addc_u32 s5, 0, s6
	s_mul_hi_u32 s6, s66, s4
	s_mul_i32 s4, s66, s4
	s_mul_i32 s5, s66, s5
	v_sub_co_u32 v2, s4, s24, s4
	s_add_i32 s6, s6, s5
	s_cmp_lg_u32 s4, 0
	s_delay_alu instid0(VALU_DEP_1) | instskip(SKIP_2) | instid1(VALU_DEP_1)
	v_sub_co_u32 v3, s4, v2, s66
	s_subb_u32 s5, s25, s6
	s_cmp_lg_u32 s4, 0
	v_cmp_le_u32_e32 vcc_lo, s66, v3
	v_sub_co_u32 v4, s4, v3, s66
	s_subb_u32 s6, s5, 0
	s_cmp_lg_u32 s4, 0
	v_cndmask_b32_e64 v5, 0, -1, vcc_lo
	s_subb_u32 s4, s6, 0
	s_cmp_eq_u32 s6, 0
	v_mov_b32_e32 v7, s4
	s_cselect_b32 vcc_lo, -1, 0
	s_cmp_eq_u32 s5, 0
	v_cndmask_b32_e32 v5, -1, v5, vcc_lo
	v_cmp_le_u32_e32 vcc_lo, s66, v2
	s_cselect_b32 s4, -1, 0
	v_cndmask_b32_e64 v6, 0, -1, vcc_lo
	s_delay_alu instid0(VALU_DEP_3) | instskip(NEXT) | instid1(VALU_DEP_2)
	v_cmp_ne_u32_e32 vcc_lo, 0, v5
	v_cndmask_b32_e64 v5, -1, v6, s4
	v_cndmask_b32_e32 v6, s6, v7, vcc_lo
	v_cndmask_b32_e32 v4, v3, v4, vcc_lo
	s_delay_alu instid0(VALU_DEP_3) | instskip(NEXT) | instid1(VALU_DEP_3)
	v_cmp_ne_u32_e32 vcc_lo, 0, v5
	v_cndmask_b32_e32 v3, s5, v6, vcc_lo
	s_delay_alu instid0(VALU_DEP_3)
	v_cndmask_b32_e32 v2, v2, v4, vcc_lo
	s_cbranch_execnz .LBB94_61
.LBB94_60:                              ;   in Loop: Header=BB94_24 Depth=1
	v_cvt_f32_u32_e32 v2, s66
	s_sub_i32 s4, 0, s66
	s_delay_alu instid0(VALU_DEP_1) | instskip(SKIP_2) | instid1(VALU_DEP_1)
	v_rcp_iflag_f32_e32 v2, v2
	s_waitcnt_depctr 0xfff
	v_mul_f32_e32 v2, 0x4f7ffffe, v2
	v_cvt_u32_f32_e32 v2, v2
	s_delay_alu instid0(VALU_DEP_1) | instskip(NEXT) | instid1(VALU_DEP_1)
	v_mul_lo_u32 v3, s4, v2
	v_mul_hi_u32 v3, v2, v3
	s_delay_alu instid0(VALU_DEP_1) | instskip(NEXT) | instid1(VALU_DEP_1)
	v_add_nc_u32_e32 v2, v2, v3
	v_mul_hi_u32 v2, s24, v2
	s_delay_alu instid0(VALU_DEP_1) | instskip(NEXT) | instid1(VALU_DEP_1)
	v_mul_lo_u32 v2, v2, s66
	v_sub_nc_u32_e32 v2, s24, v2
	s_delay_alu instid0(VALU_DEP_1) | instskip(SKIP_1) | instid1(VALU_DEP_2)
	v_subrev_nc_u32_e32 v3, s66, v2
	v_cmp_le_u32_e32 vcc_lo, s66, v2
	v_cndmask_b32_e32 v2, v2, v3, vcc_lo
	s_delay_alu instid0(VALU_DEP_1) | instskip(SKIP_1) | instid1(VALU_DEP_2)
	v_subrev_nc_u32_e32 v3, s66, v2
	v_cmp_le_u32_e32 vcc_lo, s66, v2
	v_cndmask_b32_e32 v10, v2, v3, vcc_lo
	s_delay_alu instid0(VALU_DEP_1)
	v_dual_mov_b32 v2, v10 :: v_dual_mov_b32 v3, v11
.LBB94_61:                              ;   in Loop: Header=BB94_24 Depth=1
	s_delay_alu instid0(VALU_DEP_1) | instskip(NEXT) | instid1(VALU_DEP_2)
	v_sub_co_u32 v19, vcc_lo, s24, v2
	v_sub_co_ci_u32_e32 v20, vcc_lo, s25, v3, vcc_lo
	v_mov_b32_e32 v2, 0
	v_mov_b32_e32 v3, 0
	s_mov_b64 s[22:23], 0
	s_mov_b32 s68, exec_lo
	s_delay_alu instid0(VALU_DEP_1)
	v_dual_mov_b32 v5, v3 :: v_dual_mov_b32 v4, v2
	v_dual_mov_b32 v7, v3 :: v_dual_mov_b32 v6, v2
	;; [unrolled: 1-line block ×3, first 2 shown]
	v_cmpx_gt_u64_e64 v[19:20], v[12:13]
	s_cbranch_execz .LBB94_65
; %bb.62:                               ;   in Loop: Header=BB94_24 Depth=1
	v_dual_mov_b32 v22, v13 :: v_dual_mov_b32 v21, v12
	s_and_b32 s80, s96, 0xfe
	s_mov_b32 s73, 0
	s_mov_b64 s[74:75], 0
	s_mov_b64 s[76:77], 0
	;; [unrolled: 1-line block ×3, first 2 shown]
.LBB94_63:                              ;   Parent Loop BB94_24 Depth=1
                                        ; =>  This Inner Loop Header: Depth=2
	v_mul_lo_u32 v4, v22, s54
	v_mul_lo_u32 v5, v21, s55
	v_mad_u64_u32 v[2:3], null, v21, s54, 0
	s_lshl_b64 s[4:5], s[54:55], 2
	s_delay_alu instid0(VALU_DEP_1) | instskip(NEXT) | instid1(VALU_DEP_1)
	v_add3_u32 v3, v3, v5, v4
	v_lshlrev_b64 v[2:3], 2, v[2:3]
	s_delay_alu instid0(VALU_DEP_1) | instskip(NEXT) | instid1(VALU_DEP_2)
	v_add_co_u32 v2, vcc_lo, s27, v2
	v_add_co_ci_u32_e32 v3, vcc_lo, s33, v3, vcc_lo
	s_delay_alu instid0(VALU_DEP_2) | instskip(NEXT) | instid1(VALU_DEP_2)
	v_add_co_u32 v4, vcc_lo, v2, s4
	v_add_co_ci_u32_e32 v5, vcc_lo, s5, v3, vcc_lo
	global_load_b32 v6, v[2:3], off
	v_add_co_u32 v2, vcc_lo, v4, s4
	v_add_co_ci_u32_e32 v3, vcc_lo, s5, v5, vcc_lo
	global_load_b32 v4, v[4:5], off
	global_load_b32 v5, v[2:3], off
	v_add_co_u32 v2, vcc_lo, v2, s4
	v_add_co_ci_u32_e32 v3, vcc_lo, s5, v3, vcc_lo
	v_add_co_u32 v21, vcc_lo, v21, s66
	v_add_co_ci_u32_e32 v22, vcc_lo, 0, v22, vcc_lo
	global_load_b32 v2, v[2:3], off
	v_cmp_ge_u64_e32 vcc_lo, v[21:22], v[19:20]
	s_waitcnt vmcnt(3)
	v_xor_b32_e32 v3, 0x80000000, v6
	s_delay_alu instid0(VALU_DEP_1)
	v_and_b32_e32 v6, s102, v3
	s_waitcnt vmcnt(2)
	v_xor_b32_e32 v4, 0x80000000, v4
	v_bfe_u32 v3, v3, s80, 2
	s_waitcnt vmcnt(1)
	v_xor_b32_e32 v5, 0x80000000, v5
	v_cmp_eq_u32_e64 s4, s101, v6
	v_and_b32_e32 v6, s102, v4
	v_bfe_u32 v4, v4, s80, 2
	v_cmp_eq_u32_e64 s5, 0, v3
	v_cmp_eq_u32_e64 s6, 1, v3
	;; [unrolled: 1-line block ×4, first 2 shown]
	s_waitcnt vmcnt(0)
	v_xor_b32_e32 v2, 0x80000000, v2
	v_and_b32_e32 v3, s102, v5
	v_cmp_eq_u32_e64 s9, s101, v6
	v_bfe_u32 v5, v5, s80, 2
	v_cmp_eq_u32_e64 s10, 0, v4
	s_and_b32 s5, s4, s5
	v_cmp_eq_u32_e64 s13, s101, v3
	v_cndmask_b32_e64 v6, 0, 1, s5
	v_and_b32_e32 v3, s102, v2
	v_bfe_u32 v2, v2, s80, 2
	v_cmp_eq_u32_e64 s14, 0, v5
	s_and_b32 s10, s9, s10
	v_cmp_eq_u32_e64 s5, 1, v4
	v_cmp_eq_u32_e64 s11, 2, v4
	;; [unrolled: 1-line block ×3, first 2 shown]
	v_cmp_ne_u32_e64 s15, 0, v6
	v_cndmask_b32_e64 v4, 0, 1, s10
	v_cmp_eq_u32_e64 s18, s101, v3
	v_cmp_eq_u32_e64 s19, 0, v2
	s_and_b32 s14, s13, s14
	s_bcnt1_i32_b32 s81, s15
	v_cmp_ne_u32_e64 s15, 0, v4
	v_cndmask_b32_e64 v3, 0, 1, s14
	s_and_b32 s19, s18, s19
	v_cmp_eq_u32_e64 s14, 1, v2
	v_cmp_eq_u32_e64 s20, 2, v2
	;; [unrolled: 1-line block ×3, first 2 shown]
	v_cndmask_b32_e64 v2, 0, 1, s19
	s_bcnt1_i32_b32 s19, s15
	v_cmp_ne_u32_e64 s15, 0, v3
	s_add_i32 s81, s19, s81
	v_cmp_eq_u32_e64 s10, 1, v5
	v_cmp_ne_u32_e64 s19, 0, v2
	v_cmp_eq_u32_e64 s16, 2, v5
	s_bcnt1_i32_b32 s15, s15
	v_cmp_eq_u32_e64 s17, 3, v5
	s_add_i32 s15, s81, s15
	s_bcnt1_i32_b32 s19, s19
	s_delay_alu instid0(SALU_CYCLE_1) | instskip(NEXT) | instid1(SALU_CYCLE_1)
	s_add_i32 s15, s15, s19
	s_add_u32 s78, s78, s15
	s_addc_u32 s79, s79, 0
	s_and_b32 s6, s4, s6
	s_and_b32 s5, s9, s5
	v_cndmask_b32_e64 v2, 0, 1, s6
	v_cndmask_b32_e64 v3, 0, 1, s5
	s_and_b32 s5, s13, s10
	s_delay_alu instid0(SALU_CYCLE_1) | instskip(SKIP_1) | instid1(VALU_DEP_2)
	v_cndmask_b32_e64 v4, 0, 1, s5
	s_and_b32 s5, s18, s14
	v_cmp_ne_u32_e64 s6, 0, v3
	v_cndmask_b32_e64 v5, 0, 1, s5
	v_cmp_ne_u32_e64 s5, 0, v2
	v_cmp_ne_u32_e64 s10, 0, v4
	s_delay_alu instid0(VALU_DEP_4) | instskip(NEXT) | instid1(VALU_DEP_3)
	s_bcnt1_i32_b32 s6, s6
	v_cmp_ne_u32_e64 s14, 0, v5
	s_delay_alu instid0(VALU_DEP_3) | instskip(NEXT) | instid1(VALU_DEP_2)
	s_bcnt1_i32_b32 s5, s5
	s_bcnt1_i32_b32 s10, s10
	s_add_i32 s5, s6, s5
	s_delay_alu instid0(VALU_DEP_1) | instskip(SKIP_1) | instid1(SALU_CYCLE_1)
	s_bcnt1_i32_b32 s14, s14
	s_add_i32 s5, s5, s10
	s_add_i32 s5, s5, s14
	s_delay_alu instid0(SALU_CYCLE_1) | instskip(SKIP_2) | instid1(SALU_CYCLE_1)
	s_add_u32 s76, s76, s5
	s_addc_u32 s77, s77, 0
	s_and_b32 s5, s4, s7
	v_cndmask_b32_e64 v2, 0, 1, s5
	s_and_b32 s5, s9, s11
	s_delay_alu instid0(SALU_CYCLE_1) | instskip(SKIP_1) | instid1(SALU_CYCLE_1)
	v_cndmask_b32_e64 v3, 0, 1, s5
	s_and_b32 s5, s13, s16
	v_cndmask_b32_e64 v4, 0, 1, s5
	s_and_b32 s5, s18, s20
	s_delay_alu instid0(VALU_DEP_2) | instskip(SKIP_3) | instid1(VALU_DEP_4)
	v_cmp_ne_u32_e64 s6, 0, v3
	v_cndmask_b32_e64 v5, 0, 1, s5
	v_cmp_ne_u32_e64 s5, 0, v2
	v_cmp_ne_u32_e64 s7, 0, v4
	s_bcnt1_i32_b32 s6, s6
	s_delay_alu instid0(VALU_DEP_3) | instskip(NEXT) | instid1(VALU_DEP_3)
	v_cmp_ne_u32_e64 s10, 0, v5
	s_bcnt1_i32_b32 s5, s5
	s_delay_alu instid0(VALU_DEP_2) | instskip(SKIP_1) | instid1(VALU_DEP_1)
	s_bcnt1_i32_b32 s7, s7
	s_add_i32 s5, s6, s5
	s_bcnt1_i32_b32 s10, s10
	s_add_i32 s5, s5, s7
	s_delay_alu instid0(SALU_CYCLE_1) | instskip(NEXT) | instid1(SALU_CYCLE_1)
	s_add_i32 s5, s5, s10
	s_add_u32 s74, s74, s5
	s_addc_u32 s75, s75, 0
	v_mov_b32_e32 v6, s74
	s_and_b32 s4, s4, s8
	v_mov_b32_e32 v7, s75
	v_cndmask_b32_e64 v2, 0, 1, s4
	s_and_b32 s4, s9, s12
	s_delay_alu instid0(SALU_CYCLE_1) | instskip(SKIP_1) | instid1(SALU_CYCLE_1)
	v_cndmask_b32_e64 v3, 0, 1, s4
	s_and_b32 s4, s13, s17
	v_cndmask_b32_e64 v4, 0, 1, s4
	s_and_b32 s4, s18, s21
	s_delay_alu instid0(VALU_DEP_2)
	v_cmp_ne_u32_e64 s5, 0, v3
	v_cndmask_b32_e64 v5, 0, 1, s4
	v_cmp_ne_u32_e64 s4, 0, v2
	v_cmp_ne_u32_e64 s6, 0, v4
	v_mov_b32_e32 v2, s78
	s_bcnt1_i32_b32 s5, s5
	v_cmp_ne_u32_e64 s7, 0, v5
	s_bcnt1_i32_b32 s4, s4
	s_bcnt1_i32_b32 s6, s6
	s_add_i32 s4, s5, s4
	v_mov_b32_e32 v4, s76
	s_bcnt1_i32_b32 s5, s7
	s_add_i32 s4, s4, s6
	v_mov_b32_e32 v3, s79
	s_add_i32 s4, s4, s5
	v_mov_b32_e32 v5, s77
	s_add_u32 s22, s22, s4
	s_addc_u32 s23, s23, 0
	s_delay_alu instid0(SALU_CYCLE_1) | instskip(SKIP_1) | instid1(SALU_CYCLE_1)
	v_dual_mov_b32 v8, s22 :: v_dual_mov_b32 v9, s23
	s_or_b32 s73, vcc_lo, s73
	s_and_not1_b32 exec_lo, exec_lo, s73
	s_cbranch_execnz .LBB94_63
; %bb.64:                               ;   in Loop: Header=BB94_24 Depth=1
	s_or_b32 exec_lo, exec_lo, s73
.LBB94_65:                              ;   in Loop: Header=BB94_24 Depth=1
	s_delay_alu instid0(SALU_CYCLE_1) | instskip(SKIP_3) | instid1(VALU_DEP_2)
	s_or_b32 exec_lo, exec_lo, s68
	v_add_co_u32 v19, vcc_lo, v19, v0
	v_add_co_ci_u32_e32 v20, vcc_lo, 0, v20, vcc_lo
	v_dual_mov_b32 v21, 0 :: v_dual_and_b32 v10, 0xffff, v17
	v_cmp_gt_u64_e32 vcc_lo, s[24:25], v[19:20]
	s_and_saveexec_b32 s5, vcc_lo
	s_cbranch_execz .LBB94_67
; %bb.66:                               ;   in Loop: Header=BB94_24 Depth=1
	v_mul_lo_u32 v17, v20, s54
	v_mul_lo_u32 v29, v19, s55
	v_mad_u64_u32 v[21:22], null, v19, s54, 0
	s_delay_alu instid0(VALU_DEP_1) | instskip(NEXT) | instid1(VALU_DEP_1)
	v_add3_u32 v22, v22, v29, v17
	v_lshlrev_b64 v[21:22], 2, v[21:22]
	s_delay_alu instid0(VALU_DEP_1) | instskip(NEXT) | instid1(VALU_DEP_1)
	v_add_co_u32 v21, s4, s27, v21
	v_add_co_ci_u32_e64 v22, s4, s33, v22, s4
	global_load_b32 v21, v[21:22], off
.LBB94_67:                              ;   in Loop: Header=BB94_24 Depth=1
	s_or_b32 exec_lo, exec_lo, s5
	s_and_saveexec_b32 s7, vcc_lo
	s_cbranch_execz .LBB94_74
; %bb.68:                               ;   in Loop: Header=BB94_24 Depth=1
	s_and_b32 s9, s96, 0xfe
	s_mov_b32 s8, 0
	s_branch .LBB94_70
.LBB94_69:                              ;   in Loop: Header=BB94_70 Depth=2
	s_or_b32 exec_lo, exec_lo, s5
	s_waitcnt vmcnt(0)
	v_xor_b32_e32 v21, 0x80000000, v21
	s_and_b32 s6, exec_lo, vcc_lo
	s_delay_alu instid0(SALU_CYCLE_1) | instskip(NEXT) | instid1(VALU_DEP_1)
	s_or_b32 s8, s6, s8
	v_and_b32_e32 v22, s102, v21
	v_bfe_u32 v21, v21, s9, 2
	s_delay_alu instid0(VALU_DEP_2) | instskip(NEXT) | instid1(VALU_DEP_2)
	v_cmp_eq_u32_e64 s4, s101, v22
	v_cmp_eq_u32_e64 s5, 0, v21
	v_cmp_eq_u32_e32 vcc_lo, 1, v21
	v_cmp_eq_u32_e64 s6, 2, v21
	s_delay_alu instid0(VALU_DEP_3) | instskip(NEXT) | instid1(SALU_CYCLE_1)
	s_and_b32 s5, s4, s5
	v_cndmask_b32_e64 v22, 0, 1, s5
	s_and_b32 s5, s4, vcc_lo
	v_cmp_eq_u32_e32 vcc_lo, 3, v21
	v_cndmask_b32_e64 v29, 0, 1, s5
	s_and_b32 s5, s4, s6
	s_delay_alu instid0(SALU_CYCLE_1) | instskip(SKIP_1) | instid1(VALU_DEP_3)
	v_cndmask_b32_e64 v21, 0, 1, s5
	v_cmp_ne_u32_e64 s5, 0, v22
	v_cmp_ne_u32_e64 s6, 0, v29
	s_and_b32 s4, s4, vcc_lo
	s_delay_alu instid0(SALU_CYCLE_1) | instskip(NEXT) | instid1(VALU_DEP_3)
	v_cndmask_b32_e64 v22, 0, 1, s4
	s_bcnt1_i32_b32 s4, s5
	v_cmp_ne_u32_e32 vcc_lo, 0, v21
	v_mov_b32_e32 v21, v17
	v_add_co_u32 v2, s4, v2, s4
	s_bcnt1_i32_b32 s5, s6
	v_add_co_ci_u32_e64 v3, s4, 0, v3, s4
	v_add_co_u32 v4, s4, v4, s5
	s_delay_alu instid0(VALU_DEP_1) | instskip(SKIP_3) | instid1(VALU_DEP_1)
	v_add_co_ci_u32_e64 v5, s4, 0, v5, s4
	s_bcnt1_i32_b32 s4, vcc_lo
	v_cmp_ne_u32_e32 vcc_lo, 0, v22
	v_add_co_u32 v6, s4, v6, s4
	v_add_co_ci_u32_e64 v7, s4, 0, v7, s4
	s_bcnt1_i32_b32 s4, vcc_lo
	s_delay_alu instid0(SALU_CYCLE_1)
	v_add_co_u32 v8, vcc_lo, v8, s4
	v_add_co_ci_u32_e32 v9, vcc_lo, 0, v9, vcc_lo
	s_and_not1_b32 exec_lo, exec_lo, s8
	s_cbranch_execz .LBB94_73
.LBB94_70:                              ;   Parent Loop BB94_24 Depth=1
                                        ; =>  This Inner Loop Header: Depth=2
	v_add_co_u32 v19, vcc_lo, v19, v10
	v_add_co_ci_u32_e32 v20, vcc_lo, 0, v20, vcc_lo
	v_mov_b32_e32 v17, 0
	s_mov_b32 s5, exec_lo
	s_delay_alu instid0(VALU_DEP_2)
	v_cmp_le_u64_e32 vcc_lo, s[24:25], v[19:20]
	v_cmpx_gt_u64_e64 s[24:25], v[19:20]
	s_cbranch_execz .LBB94_69
; %bb.71:                               ;   in Loop: Header=BB94_70 Depth=2
	v_mul_lo_u32 v17, v20, s54
	v_mul_lo_u32 v22, v19, s55
	v_mad_u64_u32 v[29:30], null, v19, s54, 0
	s_delay_alu instid0(VALU_DEP_1) | instskip(NEXT) | instid1(VALU_DEP_1)
	v_add3_u32 v30, v30, v22, v17
	v_lshlrev_b64 v[29:30], 2, v[29:30]
	s_delay_alu instid0(VALU_DEP_1) | instskip(NEXT) | instid1(VALU_DEP_1)
	v_add_co_u32 v29, s4, s27, v29
	v_add_co_ci_u32_e64 v30, s4, s33, v30, s4
	global_load_b32 v17, v[29:30], off
	s_branch .LBB94_69
.LBB94_72:                              ;   in Loop: Header=BB94_24 Depth=1
                                        ; implicit-def: $vgpr8_vgpr9
                                        ; implicit-def: $vgpr4_vgpr5
	s_cbranch_execnz .LBB94_75
	s_branch .LBB94_84
.LBB94_73:                              ;   in Loop: Header=BB94_24 Depth=1
	s_or_b32 exec_lo, exec_lo, s8
.LBB94_74:                              ;   in Loop: Header=BB94_24 Depth=1
	s_delay_alu instid0(SALU_CYCLE_1)
	s_or_b32 exec_lo, exec_lo, s7
	s_branch .LBB94_84
.LBB94_75:                              ;   in Loop: Header=BB94_24 Depth=1
	global_load_u16 v8, v11, s[70:71]
	s_mov_b64 s[74:75], 0
	s_mov_b32 s73, exec_lo
	s_waitcnt vmcnt(0)
	v_readfirstlane_b32 s4, v8
	v_and_b32_e32 v17, 0xffff, v8
	s_delay_alu instid0(VALU_DEP_2) | instskip(NEXT) | instid1(SALU_CYCLE_1)
	s_and_b32 s4, 0xffff, s4
	s_lshl_b32 s68, s4, 2
	s_delay_alu instid0(SALU_CYCLE_1) | instskip(SKIP_1) | instid1(VALU_DEP_1)
	v_cvt_f32_u32_e32 v2, s68
	s_sub_i32 s5, 0, s68
	v_rcp_iflag_f32_e32 v2, v2
	s_waitcnt_depctr 0xfff
	v_mul_f32_e32 v2, 0x4f7ffffe, v2
	s_delay_alu instid0(VALU_DEP_1) | instskip(NEXT) | instid1(VALU_DEP_1)
	v_cvt_u32_f32_e32 v2, v2
	v_readfirstlane_b32 s4, v2
	v_mov_b32_e32 v2, 0
	v_mov_b32_e32 v3, 0
	s_delay_alu instid0(VALU_DEP_3) | instskip(NEXT) | instid1(VALU_DEP_1)
	s_mul_i32 s5, s5, s4
	v_dual_mov_b32 v5, v3 :: v_dual_mov_b32 v4, v2
	s_mul_hi_u32 s5, s4, s5
	v_dual_mov_b32 v7, v3 :: v_dual_mov_b32 v6, v2
	s_add_i32 s4, s4, s5
	v_dual_mov_b32 v9, v3 :: v_dual_mov_b32 v8, v2
	s_mul_hi_u32 s4, s72, s4
	s_delay_alu instid0(SALU_CYCLE_1) | instskip(NEXT) | instid1(SALU_CYCLE_1)
	s_mul_i32 s4, s4, s68
	s_sub_i32 s4, s72, s4
	s_delay_alu instid0(SALU_CYCLE_1) | instskip(SKIP_2) | instid1(SALU_CYCLE_1)
	s_sub_i32 s5, s4, s68
	s_cmp_ge_u32 s4, s68
	s_cselect_b32 s4, s5, s4
	s_sub_i32 s5, s4, s68
	s_cmp_ge_u32 s4, s68
	s_cselect_b32 s4, s5, s4
	s_delay_alu instid0(SALU_CYCLE_1) | instskip(NEXT) | instid1(SALU_CYCLE_1)
	s_sub_i32 s66, s72, s4
	v_cmpx_gt_u32_e64 s66, v12
	s_cbranch_execz .LBB94_79
; %bb.76:                               ;   in Loop: Header=BB94_24 Depth=1
	v_dual_mov_b32 v21, v27 :: v_dual_lshlrev_b32 v10, 4, v17
	v_dual_mov_b32 v20, v13 :: v_dual_mov_b32 v19, v12
	s_and_b32 s103, s96, 0xfe
	s_mov_b32 s104, 0
	s_mov_b64 s[76:77], 0
	s_mov_b64 s[78:79], 0
	;; [unrolled: 1-line block ×3, first 2 shown]
.LBB94_77:                              ;   Parent Loop BB94_24 Depth=1
                                        ; =>  This Inner Loop Header: Depth=2
	ds_load_b128 v[2:5], v21
	v_add_co_u32 v19, vcc_lo, v19, s68
	v_add_co_ci_u32_e32 v20, vcc_lo, 0, v20, vcc_lo
	s_delay_alu instid0(VALU_DEP_1)
	v_cmp_le_u64_e32 vcc_lo, s[66:67], v[19:20]
	s_waitcnt lgkmcnt(0)
	v_xor_b32_e32 v2, 0x80000000, v2
	v_xor_b32_e32 v3, 0x80000000, v3
	;; [unrolled: 1-line block ×4, first 2 shown]
	s_delay_alu instid0(VALU_DEP_4)
	v_and_b32_e32 v6, s102, v2
	v_bfe_u32 v2, v2, s103, 2
	v_and_b32_e32 v7, s102, v3
	v_bfe_u32 v3, v3, s103, 2
	;; [unrolled: 2-line block ×3, first 2 shown]
	v_cmp_eq_u32_e64 s4, s101, v6
	v_cmp_eq_u32_e64 s8, 0, v2
	v_and_b32_e32 v9, s102, v5
	v_bfe_u32 v5, v5, s103, 2
	v_cmp_eq_u32_e64 s5, s101, v7
	v_cmp_eq_u32_e64 s9, 0, v3
	;; [unrolled: 1-line block ×4, first 2 shown]
	s_and_b32 s8, s4, s8
	v_cmp_eq_u32_e64 s7, s101, v9
	v_cmp_eq_u32_e64 s11, 0, v5
	v_cmp_eq_u32_e64 s12, 1, v2
	v_cmp_eq_u32_e64 s16, 2, v2
	v_cmp_eq_u32_e64 s20, 3, v2
	v_cndmask_b32_e64 v2, 0, 1, s8
	s_and_b32 s8, s5, s9
	v_cmp_eq_u32_e64 s13, 1, v3
	v_cmp_eq_u32_e64 s17, 2, v3
	v_cmp_eq_u32_e64 s21, 3, v3
	v_cndmask_b32_e64 v3, 0, 1, s8
	s_and_b32 s8, s6, s10
	v_cmp_eq_u32_e64 s14, 1, v4
	v_cmp_eq_u32_e64 s18, 2, v4
	v_cmp_eq_u32_e64 s22, 3, v4
	;; [unrolled: 5-line block ×3, first 2 shown]
	v_cndmask_b32_e64 v5, 0, 1, s8
	v_cmp_ne_u32_e64 s8, 0, v2
	v_cmp_ne_u32_e64 s9, 0, v3
	;; [unrolled: 1-line block ×3, first 2 shown]
	s_delay_alu instid0(VALU_DEP_4) | instskip(NEXT) | instid1(VALU_DEP_4)
	v_cmp_ne_u32_e64 s11, 0, v5
	s_bcnt1_i32_b32 s8, s8
	s_delay_alu instid0(VALU_DEP_3) | instskip(NEXT) | instid1(VALU_DEP_2)
	s_bcnt1_i32_b32 s9, s9
	s_bcnt1_i32_b32 s10, s10
	s_add_i32 s8, s9, s8
	s_bcnt1_i32_b32 s11, s11
	s_add_i32 s8, s8, s10
	s_delay_alu instid0(SALU_CYCLE_1) | instskip(NEXT) | instid1(SALU_CYCLE_1)
	s_add_i32 s8, s8, s11
	s_add_u32 s80, s80, s8
	s_addc_u32 s81, s81, 0
	s_and_b32 s8, s4, s12
	v_add_nc_u32_e32 v21, v21, v10
	v_cndmask_b32_e64 v2, 0, 1, s8
	s_and_b32 s8, s5, s13
	s_delay_alu instid0(SALU_CYCLE_1) | instskip(SKIP_1) | instid1(SALU_CYCLE_1)
	v_cndmask_b32_e64 v3, 0, 1, s8
	s_and_b32 s8, s6, s14
	v_cndmask_b32_e64 v4, 0, 1, s8
	s_and_b32 s8, s7, s15
	s_delay_alu instid0(VALU_DEP_2) | instskip(SKIP_3) | instid1(VALU_DEP_4)
	v_cmp_ne_u32_e64 s9, 0, v3
	v_cndmask_b32_e64 v5, 0, 1, s8
	v_cmp_ne_u32_e64 s8, 0, v2
	v_cmp_ne_u32_e64 s10, 0, v4
	s_bcnt1_i32_b32 s9, s9
	s_delay_alu instid0(VALU_DEP_3) | instskip(NEXT) | instid1(VALU_DEP_3)
	v_cmp_ne_u32_e64 s11, 0, v5
	s_bcnt1_i32_b32 s8, s8
	s_delay_alu instid0(VALU_DEP_2) | instskip(SKIP_1) | instid1(VALU_DEP_1)
	s_bcnt1_i32_b32 s10, s10
	s_add_i32 s8, s9, s8
	s_bcnt1_i32_b32 s11, s11
	s_add_i32 s8, s8, s10
	s_delay_alu instid0(SALU_CYCLE_1) | instskip(NEXT) | instid1(SALU_CYCLE_1)
	s_add_i32 s8, s8, s11
	s_add_u32 s78, s78, s8
	s_addc_u32 s79, s79, 0
	s_and_b32 s8, s4, s16
	s_delay_alu instid0(SALU_CYCLE_1) | instskip(SKIP_1) | instid1(SALU_CYCLE_1)
	v_cndmask_b32_e64 v2, 0, 1, s8
	s_and_b32 s8, s5, s17
	v_cndmask_b32_e64 v3, 0, 1, s8
	s_and_b32 s8, s6, s18
	s_delay_alu instid0(SALU_CYCLE_1) | instskip(SKIP_1) | instid1(VALU_DEP_2)
	v_cndmask_b32_e64 v4, 0, 1, s8
	s_and_b32 s8, s7, s19
	v_cmp_ne_u32_e64 s9, 0, v3
	v_cndmask_b32_e64 v5, 0, 1, s8
	v_cmp_ne_u32_e64 s8, 0, v2
	v_cmp_ne_u32_e64 s10, 0, v4
	s_delay_alu instid0(VALU_DEP_4) | instskip(NEXT) | instid1(VALU_DEP_3)
	s_bcnt1_i32_b32 s9, s9
	v_cmp_ne_u32_e64 s11, 0, v5
	s_delay_alu instid0(VALU_DEP_3) | instskip(NEXT) | instid1(VALU_DEP_2)
	s_bcnt1_i32_b32 s8, s8
	s_bcnt1_i32_b32 s10, s10
	s_add_i32 s8, s9, s8
	s_delay_alu instid0(VALU_DEP_1) | instskip(SKIP_1) | instid1(SALU_CYCLE_1)
	s_bcnt1_i32_b32 s11, s11
	s_add_i32 s8, s8, s10
	s_add_i32 s8, s8, s11
	s_delay_alu instid0(SALU_CYCLE_1)
	s_add_u32 s76, s76, s8
	s_addc_u32 s77, s77, 0
	s_and_b32 s4, s4, s20
	v_mov_b32_e32 v6, s76
	v_cndmask_b32_e64 v2, 0, 1, s4
	s_and_b32 s4, s5, s21
	s_delay_alu instid0(SALU_CYCLE_1) | instskip(SKIP_1) | instid1(SALU_CYCLE_1)
	v_cndmask_b32_e64 v3, 0, 1, s4
	s_and_b32 s4, s6, s22
	v_cndmask_b32_e64 v4, 0, 1, s4
	s_and_b32 s4, s7, s23
	s_delay_alu instid0(VALU_DEP_2)
	v_cmp_ne_u32_e64 s5, 0, v3
	v_cndmask_b32_e64 v5, 0, 1, s4
	v_cmp_ne_u32_e64 s4, 0, v2
	v_mov_b32_e32 v2, s80
	v_cmp_ne_u32_e64 s6, 0, v4
	s_bcnt1_i32_b32 s5, s5
	v_cmp_ne_u32_e64 s7, 0, v5
	s_bcnt1_i32_b32 s4, s4
	v_mov_b32_e32 v4, s78
	s_bcnt1_i32_b32 s6, s6
	s_add_i32 s4, s5, s4
	s_bcnt1_i32_b32 s5, s7
	s_add_i32 s4, s4, s6
	v_mov_b32_e32 v3, s81
	s_add_i32 s4, s4, s5
	v_mov_b32_e32 v5, s79
	s_add_u32 s74, s74, s4
	s_addc_u32 s75, s75, 0
	v_dual_mov_b32 v7, s77 :: v_dual_mov_b32 v8, s74
	v_mov_b32_e32 v9, s75
	s_or_b32 s104, vcc_lo, s104
	s_delay_alu instid0(SALU_CYCLE_1)
	s_and_not1_b32 exec_lo, exec_lo, s104
	s_cbranch_execnz .LBB94_77
; %bb.78:                               ;   in Loop: Header=BB94_24 Depth=1
	s_or_b32 exec_lo, exec_lo, s104
.LBB94_79:                              ;   in Loop: Header=BB94_24 Depth=1
	s_delay_alu instid0(SALU_CYCLE_1) | instskip(SKIP_2) | instid1(VALU_DEP_1)
	s_or_b32 exec_lo, exec_lo, s73
	v_add_nc_u32_e32 v10, s66, v0
	s_mov_b32 s9, exec_lo
	v_cmpx_gt_u32_e64 s72, v10
	s_cbranch_execz .LBB94_83
; %bb.80:                               ;   in Loop: Header=BB94_24 Depth=1
	v_dual_mov_b32 v20, v11 :: v_dual_lshlrev_b32 v21, 2, v10
	v_mov_b32_e32 v19, v10
	s_mov_b32 s11, 0
	s_and_b32 s10, s72, 0x7fffffff
	s_and_b32 s13, s96, 0xfe
	s_mov_b32 s12, s11
.LBB94_81:                              ;   Parent Loop BB94_24 Depth=1
                                        ; =>  This Inner Loop Header: Depth=2
	ds_load_b32 v10, v21
	v_add_co_u32 v19, vcc_lo, v19, v17
	v_add_co_ci_u32_e32 v20, vcc_lo, 0, v20, vcc_lo
	v_add_nc_u32_e32 v21, s68, v21
	s_delay_alu instid0(VALU_DEP_2) | instskip(SKIP_2) | instid1(VALU_DEP_1)
	v_cmp_le_u64_e32 vcc_lo, s[10:11], v[19:20]
	s_waitcnt lgkmcnt(0)
	v_xor_b32_e32 v10, 0x80000000, v10
	v_and_b32_e32 v22, s102, v10
	v_bfe_u32 v10, v10, s13, 2
	s_delay_alu instid0(VALU_DEP_2) | instskip(NEXT) | instid1(VALU_DEP_2)
	v_cmp_eq_u32_e64 s4, s101, v22
	v_cmp_eq_u32_e64 s5, 0, v10
	;; [unrolled: 1-line block ×5, first 2 shown]
	s_delay_alu instid0(VALU_DEP_4) | instskip(NEXT) | instid1(SALU_CYCLE_1)
	s_and_b32 s5, s4, s5
	v_cndmask_b32_e64 v10, 0, 1, s5
	s_and_b32 s5, s4, s6
	s_delay_alu instid0(SALU_CYCLE_1)
	v_cndmask_b32_e64 v22, 0, 1, s5
	s_and_b32 s5, s4, s7
	s_and_b32 s4, s4, s8
	v_cndmask_b32_e64 v29, 0, 1, s5
	v_cndmask_b32_e64 v30, 0, 1, s4
	v_cmp_ne_u32_e64 s4, 0, v10
	v_cmp_ne_u32_e64 s5, 0, v22
	s_delay_alu instid0(VALU_DEP_4) | instskip(NEXT) | instid1(VALU_DEP_4)
	v_cmp_ne_u32_e64 s6, 0, v29
	v_cmp_ne_u32_e64 s7, 0, v30
	s_delay_alu instid0(VALU_DEP_4) | instskip(NEXT) | instid1(VALU_DEP_3)
	s_bcnt1_i32_b32 s4, s4
	s_bcnt1_i32_b32 s5, s5
	v_add_co_u32 v2, s4, v2, s4
	s_delay_alu instid0(VALU_DEP_1)
	v_add_co_ci_u32_e64 v3, s4, 0, v3, s4
	v_add_co_u32 v4, s4, v4, s5
	s_bcnt1_i32_b32 s6, s6
	v_add_co_ci_u32_e64 v5, s4, 0, v5, s4
	v_add_co_u32 v6, s4, v6, s6
	s_bcnt1_i32_b32 s7, s7
	v_add_co_ci_u32_e64 v7, s4, 0, v7, s4
	v_add_co_u32 v8, s4, v8, s7
	s_delay_alu instid0(VALU_DEP_1) | instskip(SKIP_1) | instid1(SALU_CYCLE_1)
	v_add_co_ci_u32_e64 v9, s4, 0, v9, s4
	s_or_b32 s12, vcc_lo, s12
	s_and_not1_b32 exec_lo, exec_lo, s12
	s_cbranch_execnz .LBB94_81
; %bb.82:                               ;   in Loop: Header=BB94_24 Depth=1
	s_or_b32 exec_lo, exec_lo, s12
.LBB94_83:                              ;   in Loop: Header=BB94_24 Depth=1
	s_delay_alu instid0(SALU_CYCLE_1)
	s_or_b32 exec_lo, exec_lo, s9
.LBB94_84:                              ;   in Loop: Header=BB94_24 Depth=1
	s_lshl_b32 s4, s99, 7
	s_and_saveexec_b32 s5, s1
	s_cbranch_execz .LBB94_86
; %bb.85:                               ;   in Loop: Header=BB94_24 Depth=1
	v_or_b32_e32 v10, s4, v25
	s_delay_alu instid0(VALU_DEP_1)
	v_lshlrev_b32_e32 v10, 3, v10
	ds_store_b128 v10, v[2:5] offset:3072
	ds_store_b128 v10, v[6:9] offset:3088
.LBB94_86:                              ;   in Loop: Header=BB94_24 Depth=1
	s_or_b32 exec_lo, exec_lo, s5
	s_waitcnt vmcnt(0) lgkmcnt(0)
	s_barrier
	buffer_gl0_inv
	s_and_saveexec_b32 s5, s51
	s_cbranch_execz .LBB94_97
; %bb.87:                               ;   in Loop: Header=BB94_24 Depth=1
	v_mov_b32_e32 v2, 0
	v_mov_b32_e32 v3, 0
	s_and_not1_b32 vcc_lo, exec_lo, s89
	s_cbranch_vccnz .LBB94_96
; %bb.88:                               ;   in Loop: Header=BB94_24 Depth=1
	v_mov_b32_e32 v2, 0
	v_mov_b32_e32 v3, 0
	s_and_not1_b32 vcc_lo, exec_lo, s87
	s_cbranch_vccnz .LBB94_93
; %bb.89:                               ;   in Loop: Header=BB94_24 Depth=1
	v_lshl_add_u32 v4, s99, 10, v28
	s_mov_b32 s6, 0
	s_set_inst_prefetch_distance 0x1
	.p2align	6
.LBB94_90:                              ;   Parent Loop BB94_24 Depth=1
                                        ; =>  This Inner Loop Header: Depth=2
	ds_load_2addr_b64 v[5:8], v4 offset1:4
	ds_load_2addr_b64 v[19:22], v4 offset0:8 offset1:12
	ds_load_2addr_b64 v[29:32], v4 offset0:16 offset1:20
	s_add_i32 s6, s6, 8
	s_delay_alu instid0(SALU_CYCLE_1) | instskip(SKIP_3) | instid1(VALU_DEP_2)
	s_cmp_eq_u32 s88, s6
	s_waitcnt lgkmcnt(2)
	v_add_co_u32 v2, vcc_lo, v5, v2
	v_add_co_ci_u32_e32 v3, vcc_lo, v6, v3, vcc_lo
	v_add_co_u32 v2, vcc_lo, v7, v2
	s_delay_alu instid0(VALU_DEP_2)
	v_add_co_ci_u32_e32 v3, vcc_lo, v8, v3, vcc_lo
	ds_load_2addr_b64 v[5:8], v4 offset0:24 offset1:28
	s_waitcnt lgkmcnt(2)
	v_add_co_u32 v2, vcc_lo, v19, v2
	v_add_co_ci_u32_e32 v3, vcc_lo, v20, v3, vcc_lo
	v_add_nc_u32_e32 v4, 0x100, v4
	s_delay_alu instid0(VALU_DEP_3) | instskip(NEXT) | instid1(VALU_DEP_3)
	v_add_co_u32 v2, vcc_lo, v21, v2
	v_add_co_ci_u32_e32 v3, vcc_lo, v22, v3, vcc_lo
	s_waitcnt lgkmcnt(1)
	s_delay_alu instid0(VALU_DEP_2) | instskip(NEXT) | instid1(VALU_DEP_2)
	v_add_co_u32 v2, vcc_lo, v29, v2
	v_add_co_ci_u32_e32 v3, vcc_lo, v30, v3, vcc_lo
	s_delay_alu instid0(VALU_DEP_2) | instskip(NEXT) | instid1(VALU_DEP_2)
	v_add_co_u32 v2, vcc_lo, v31, v2
	v_add_co_ci_u32_e32 v3, vcc_lo, v32, v3, vcc_lo
	s_waitcnt lgkmcnt(0)
	s_delay_alu instid0(VALU_DEP_2) | instskip(NEXT) | instid1(VALU_DEP_2)
	v_add_co_u32 v2, vcc_lo, v5, v2
	v_add_co_ci_u32_e32 v3, vcc_lo, v6, v3, vcc_lo
	s_delay_alu instid0(VALU_DEP_2) | instskip(NEXT) | instid1(VALU_DEP_2)
	v_add_co_u32 v2, vcc_lo, v7, v2
	v_add_co_ci_u32_e32 v3, vcc_lo, v8, v3, vcc_lo
	s_cbranch_scc0 .LBB94_90
; %bb.91:                               ;   in Loop: Header=BB94_24 Depth=1
	s_set_inst_prefetch_distance 0x2
	s_mov_b32 s6, s88
	s_and_not1_b32 vcc_lo, exec_lo, s90
	s_cbranch_vccz .LBB94_94
	s_branch .LBB94_96
.LBB94_92:                              ;   in Loop: Header=BB94_24 Depth=1
                                        ; implicit-def: $vgpr2_vgpr3
	s_branch .LBB94_60
.LBB94_93:                              ;   in Loop: Header=BB94_24 Depth=1
	s_mov_b32 s6, 0
	s_and_not1_b32 vcc_lo, exec_lo, s90
	s_cbranch_vccnz .LBB94_96
.LBB94_94:                              ;   in Loop: Header=BB94_24 Depth=1
	s_lshl_b32 s7, s99, 10
	s_lshl_b32 s6, s6, 5
	s_delay_alu instid0(SALU_CYCLE_1)
	v_add3_u32 v4, s7, s6, v28
	s_mov_b32 s6, s86
.LBB94_95:                              ;   Parent Loop BB94_24 Depth=1
                                        ; =>  This Inner Loop Header: Depth=2
	ds_load_b64 v[5:6], v4
	v_add_nc_u32_e32 v4, 32, v4
	s_add_i32 s6, s6, -1
	s_delay_alu instid0(SALU_CYCLE_1)
	s_cmp_lg_u32 s6, 0
	s_waitcnt lgkmcnt(0)
	v_add_co_u32 v2, vcc_lo, v5, v2
	v_add_co_ci_u32_e32 v3, vcc_lo, v6, v3, vcc_lo
	s_cbranch_scc1 .LBB94_95
.LBB94_96:                              ;   in Loop: Header=BB94_24 Depth=1
	v_add_lshl_u32 v4, s4, v23, 3
	ds_store_b64 v4, v[2:3] offset:3072
.LBB94_97:                              ;   in Loop: Header=BB94_24 Depth=1
	s_or_b32 exec_lo, exec_lo, s5
	s_lshl_b32 s4, s4, 3
	s_waitcnt lgkmcnt(0)
	v_mov_b32_e32 v6, s4
	s_barrier
	buffer_gl0_inv
	s_and_b32 s17, s96, 0xfe
	s_mov_b32 s19, -1
	ds_load_b128 v[2:5], v6 offset:3072
	ds_load_b128 v[6:9], v6 offset:3088
	s_lshl_b32 s16, 3, s17
	s_delay_alu instid0(SALU_CYCLE_1)
	s_not_b32 s18, s16
	s_waitcnt lgkmcnt(1)
	v_readfirstlane_b32 s13, v3
	v_readfirstlane_b32 s12, v2
	;; [unrolled: 1-line block ×4, first 2 shown]
	s_waitcnt lgkmcnt(0)
	v_readfirstlane_b32 s8, v6
	v_readfirstlane_b32 s9, v7
	s_cmp_eq_u64 s[12:13], 1
	v_readfirstlane_b32 s6, v8
	s_cselect_b32 s4, -1, 0
	s_cmp_eq_u64 s[64:65], 1
	v_readfirstlane_b32 s7, v9
	s_cselect_b32 s5, -1, 0
	s_delay_alu instid0(SALU_CYCLE_1) | instskip(NEXT) | instid1(SALU_CYCLE_1)
	s_and_b32 s20, s4, s5
	s_and_b32 vcc_lo, exec_lo, s20
	s_cbranch_vccz .LBB94_112
; %bb.98:                               ;   in Loop: Header=BB94_24 Depth=1
	ds_load_b64 v[2:3], v11 offset:5120
	s_waitcnt lgkmcnt(0)
	s_barrier
	buffer_gl0_inv
	v_readfirstlane_b32 s14, v2
	v_readfirstlane_b32 s15, v3
	s_and_saveexec_b32 s4, s3
	s_cbranch_execz .LBB94_100
; %bb.99:                               ;   in Loop: Header=BB94_24 Depth=1
	ds_store_b32 v24, v11
.LBB94_100:                             ;   in Loop: Header=BB94_24 Depth=1
	s_or_b32 exec_lo, exec_lo, s4
	s_and_b32 s101, s101, s18
	s_or_b32 s102, s102, s16
	s_cmp_eq_u64 s[14:15], 0
	s_waitcnt lgkmcnt(0)
	s_barrier
	buffer_gl0_inv
	s_cbranch_scc1 .LBB94_113
; %bb.101:                              ;   in Loop: Header=BB94_24 Depth=1
	s_add_u32 s21, s83, s14
	s_addc_u32 s5, s84, s15
	s_mov_b32 s4, s67
	s_delay_alu instid0(SALU_CYCLE_1)
	s_cmp_lg_u64 s[4:5], 0
	s_cbranch_scc0 .LBB94_158
; %bb.102:                              ;   in Loop: Header=BB94_24 Depth=1
	v_cvt_f32_u32_e32 v2, s35
	s_sub_u32 s23, 0, s35
	s_subb_u32 s66, 0, 0
	s_delay_alu instid0(VALU_DEP_1) | instskip(NEXT) | instid1(VALU_DEP_1)
	v_fmac_f32_e64 v2, 0, 0x4f800000
	v_rcp_f32_e32 v2, v2
	s_waitcnt_depctr 0xfff
	v_mul_f32_e32 v2, 0x5f7ffffc, v2
	s_delay_alu instid0(VALU_DEP_1) | instskip(NEXT) | instid1(VALU_DEP_1)
	v_mul_f32_e32 v3, 0x2f800000, v2
	v_trunc_f32_e32 v3, v3
	s_delay_alu instid0(VALU_DEP_1) | instskip(SKIP_1) | instid1(VALU_DEP_2)
	v_fmac_f32_e32 v2, 0xcf800000, v3
	v_cvt_u32_f32_e32 v3, v3
	v_cvt_u32_f32_e32 v2, v2
	s_delay_alu instid0(VALU_DEP_2) | instskip(NEXT) | instid1(VALU_DEP_2)
	v_readfirstlane_b32 s4, v3
	v_readfirstlane_b32 s22, v2
	s_delay_alu instid0(VALU_DEP_2) | instskip(NEXT) | instid1(VALU_DEP_1)
	s_mul_i32 s68, s23, s4
	s_mul_hi_u32 s73, s23, s22
	s_mul_i32 s72, s66, s22
	s_add_i32 s68, s73, s68
	s_mul_i32 s74, s23, s22
	s_add_i32 s68, s68, s72
	s_mul_hi_u32 s73, s22, s74
	s_mul_hi_u32 s75, s4, s74
	s_mul_i32 s72, s4, s74
	s_mul_hi_u32 s74, s22, s68
	s_mul_i32 s22, s22, s68
	s_mul_hi_u32 s76, s4, s68
	s_add_u32 s22, s73, s22
	s_addc_u32 s73, 0, s74
	s_add_u32 s22, s22, s72
	s_mul_i32 s68, s4, s68
	s_addc_u32 s22, s73, s75
	s_addc_u32 s72, s76, 0
	s_add_u32 s22, s22, s68
	s_addc_u32 s68, 0, s72
	v_add_co_u32 v2, s22, v2, s22
	s_delay_alu instid0(VALU_DEP_1) | instskip(SKIP_1) | instid1(VALU_DEP_1)
	s_cmp_lg_u32 s22, 0
	s_addc_u32 s4, s4, s68
	v_readfirstlane_b32 s22, v2
	s_mul_i32 s68, s23, s4
	s_delay_alu instid0(VALU_DEP_1)
	s_mul_hi_u32 s72, s23, s22
	s_mul_i32 s66, s66, s22
	s_add_i32 s68, s72, s68
	s_mul_i32 s23, s23, s22
	s_add_i32 s68, s68, s66
	s_mul_hi_u32 s72, s4, s23
	s_mul_i32 s73, s4, s23
	s_mul_hi_u32 s23, s22, s23
	s_mul_hi_u32 s74, s22, s68
	s_mul_i32 s22, s22, s68
	s_mul_hi_u32 s66, s4, s68
	s_add_u32 s22, s23, s22
	s_addc_u32 s23, 0, s74
	s_add_u32 s22, s22, s73
	s_mul_i32 s68, s4, s68
	s_addc_u32 s22, s23, s72
	s_addc_u32 s23, s66, 0
	s_add_u32 s22, s22, s68
	s_addc_u32 s23, 0, s23
	v_add_co_u32 v2, s22, v2, s22
	s_delay_alu instid0(VALU_DEP_1) | instskip(SKIP_1) | instid1(VALU_DEP_1)
	s_cmp_lg_u32 s22, 0
	s_addc_u32 s4, s4, s23
	v_readfirstlane_b32 s22, v2
	s_mul_i32 s66, s21, s4
	s_mul_hi_u32 s23, s21, s4
	s_mul_hi_u32 s68, s5, s4
	s_mul_i32 s4, s5, s4
	s_mul_hi_u32 s72, s21, s22
	s_mul_hi_u32 s73, s5, s22
	s_mul_i32 s22, s5, s22
	s_add_u32 s66, s72, s66
	s_addc_u32 s23, 0, s23
	s_add_u32 s22, s66, s22
	s_addc_u32 s22, s23, s73
	s_addc_u32 s23, s68, 0
	s_add_u32 s4, s22, s4
	s_addc_u32 s22, 0, s23
	s_mul_hi_u32 s23, s35, s4
	s_mul_i32 s4, s35, s4
	s_mul_i32 s22, s35, s22
	v_sub_co_u32 v2, s4, s21, s4
	s_add_i32 s23, s23, s22
	s_cmp_lg_u32 s4, 0
	s_delay_alu instid0(VALU_DEP_1) | instskip(SKIP_2) | instid1(VALU_DEP_1)
	v_sub_co_u32 v3, s4, v2, s35
	s_subb_u32 s22, s5, s23
	s_cmp_lg_u32 s4, 0
	v_cmp_le_u32_e32 vcc_lo, s35, v3
	v_sub_co_u32 v4, s4, v3, s35
	s_subb_u32 s23, s22, 0
	s_cmp_lg_u32 s4, 0
	v_cndmask_b32_e64 v5, 0, -1, vcc_lo
	s_subb_u32 s4, s23, 0
	s_cmp_eq_u32 s23, 0
	v_mov_b32_e32 v7, s4
	s_cselect_b32 vcc_lo, -1, 0
	s_cmp_eq_u32 s22, 0
	v_cndmask_b32_e32 v5, -1, v5, vcc_lo
	v_cmp_le_u32_e32 vcc_lo, s35, v2
	s_cselect_b32 s4, -1, 0
	v_cndmask_b32_e64 v6, 0, -1, vcc_lo
	s_delay_alu instid0(VALU_DEP_3) | instskip(NEXT) | instid1(VALU_DEP_2)
	v_cmp_ne_u32_e32 vcc_lo, 0, v5
	v_cndmask_b32_e64 v5, -1, v6, s4
	v_cndmask_b32_e32 v6, s23, v7, vcc_lo
	v_cndmask_b32_e32 v4, v3, v4, vcc_lo
	s_delay_alu instid0(VALU_DEP_3) | instskip(NEXT) | instid1(VALU_DEP_3)
	v_cmp_ne_u32_e32 vcc_lo, 0, v5
	v_cndmask_b32_e32 v3, s22, v6, vcc_lo
	s_delay_alu instid0(VALU_DEP_3)
	v_cndmask_b32_e32 v2, v2, v4, vcc_lo
	s_cbranch_execnz .LBB94_104
.LBB94_103:                             ;   in Loop: Header=BB94_24 Depth=1
	v_cvt_f32_u32_e32 v2, s35
	s_sub_i32 s4, 0, s35
	s_delay_alu instid0(VALU_DEP_1) | instskip(SKIP_2) | instid1(VALU_DEP_1)
	v_rcp_iflag_f32_e32 v2, v2
	s_waitcnt_depctr 0xfff
	v_mul_f32_e32 v2, 0x4f7ffffe, v2
	v_cvt_u32_f32_e32 v2, v2
	s_delay_alu instid0(VALU_DEP_1) | instskip(NEXT) | instid1(VALU_DEP_1)
	v_mul_lo_u32 v3, s4, v2
	v_mul_hi_u32 v3, v2, v3
	s_delay_alu instid0(VALU_DEP_1) | instskip(NEXT) | instid1(VALU_DEP_1)
	v_add_nc_u32_e32 v2, v2, v3
	v_mul_hi_u32 v2, s21, v2
	s_delay_alu instid0(VALU_DEP_1) | instskip(NEXT) | instid1(VALU_DEP_1)
	v_mul_lo_u32 v2, v2, s35
	v_sub_nc_u32_e32 v2, s21, v2
	s_delay_alu instid0(VALU_DEP_1) | instskip(SKIP_1) | instid1(VALU_DEP_2)
	v_subrev_nc_u32_e32 v3, s35, v2
	v_cmp_le_u32_e32 vcc_lo, s35, v2
	v_cndmask_b32_e32 v2, v2, v3, vcc_lo
	s_delay_alu instid0(VALU_DEP_1) | instskip(SKIP_1) | instid1(VALU_DEP_2)
	v_subrev_nc_u32_e32 v3, s35, v2
	v_cmp_le_u32_e32 vcc_lo, s35, v2
	v_cndmask_b32_e32 v10, v2, v3, vcc_lo
	s_delay_alu instid0(VALU_DEP_1)
	v_dual_mov_b32 v2, v10 :: v_dual_mov_b32 v3, v11
.LBB94_104:                             ;   in Loop: Header=BB94_24 Depth=1
	s_delay_alu instid0(VALU_DEP_1) | instskip(NEXT) | instid1(VALU_DEP_2)
	v_sub_co_u32 v2, vcc_lo, s21, v2
	v_sub_co_ci_u32_e32 v3, vcc_lo, s5, v3, vcc_lo
	s_mov_b32 s4, 0
	s_mov_b32 s5, exec_lo
                                        ; implicit-def: $vgpr18
	s_delay_alu instid0(VALU_DEP_1)
	v_cmpx_gt_u64_e64 v[2:3], v[0:1]
	s_cbranch_execz .LBB94_115
; %bb.105:                              ;   in Loop: Header=BB94_24 Depth=1
	v_dual_mov_b32 v6, v12 :: v_dual_mov_b32 v5, v1
	v_mov_b32_e32 v4, v0
                                        ; implicit-def: $sgpr21
	s_set_inst_prefetch_distance 0x1
	s_branch .LBB94_107
	.p2align	6
.LBB94_106:                             ;   in Loop: Header=BB94_107 Depth=2
	s_or_b32 exec_lo, exec_lo, s22
	s_waitcnt lgkmcnt(0)
	s_barrier
	buffer_gl0_inv
	ds_load_b64 v[17:18], v11 offset:3072
	v_add_co_u32 v4, vcc_lo, v4, s35
	v_add_co_ci_u32_e32 v5, vcc_lo, 0, v5, vcc_lo
	v_add_nc_u32_e32 v6, s91, v6
	s_waitcnt lgkmcnt(0)
	s_barrier
	s_delay_alu instid0(VALU_DEP_2) | instskip(SKIP_2) | instid1(VALU_DEP_1)
	v_cmp_ge_u64_e32 vcc_lo, v[4:5], v[2:3]
	buffer_gl0_inv
	v_readfirstlane_b32 s22, v17
	s_cmp_lg_u32 s22, 0
	s_cselect_b32 s22, -1, 0
	s_delay_alu instid0(SALU_CYCLE_1) | instskip(NEXT) | instid1(SALU_CYCLE_1)
	s_or_b32 s23, vcc_lo, s22
	s_and_b32 s23, exec_lo, s23
	s_delay_alu instid0(SALU_CYCLE_1) | instskip(SKIP_2) | instid1(SALU_CYCLE_1)
	s_or_b32 s4, s23, s4
	s_and_not1_b32 s21, s21, exec_lo
	s_and_b32 s22, s22, exec_lo
	s_or_b32 s21, s21, s22
	s_and_not1_b32 exec_lo, exec_lo, s4
	s_cbranch_execz .LBB94_114
.LBB94_107:                             ;   Parent Loop BB94_24 Depth=1
                                        ; =>  This Inner Loop Header: Depth=2
	s_delay_alu instid0(VALU_DEP_1)
	v_cmp_gt_u64_e32 vcc_lo, s[14:15], v[4:5]
	v_mov_b32_e32 v17, 0
	s_and_saveexec_b32 s22, vcc_lo
	s_cbranch_execz .LBB94_109
; %bb.108:                              ;   in Loop: Header=BB94_107 Depth=2
	ds_load_b32 v17, v6
.LBB94_109:                             ;   in Loop: Header=BB94_107 Depth=2
	s_or_b32 exec_lo, exec_lo, s22
	s_and_saveexec_b32 s22, vcc_lo
	s_cbranch_execz .LBB94_106
; %bb.110:                              ;   in Loop: Header=BB94_107 Depth=2
	s_waitcnt lgkmcnt(0)
	v_xor_b32_e32 v7, 0x80000000, v17
	s_delay_alu instid0(VALU_DEP_1) | instskip(NEXT) | instid1(VALU_DEP_1)
	v_and_b32_e32 v7, s102, v7
	v_cmp_eq_u32_e32 vcc_lo, s101, v7
	s_and_b32 exec_lo, exec_lo, vcc_lo
	s_cbranch_execz .LBB94_106
; %bb.111:                              ;   in Loop: Header=BB94_107 Depth=2
	ds_store_b64 v11, v[16:17] offset:3072
	s_branch .LBB94_106
.LBB94_112:                             ;   in Loop: Header=BB94_24 Depth=1
	s_mov_b32 s4, -1
                                        ; implicit-def: $sgpr5
                                        ; implicit-def: $sgpr15
                                        ; implicit-def: $sgpr14
	s_branch .LBB94_129
.LBB94_113:                             ;   in Loop: Header=BB94_24 Depth=1
	s_mov_b32 s5, -1
	s_mov_b32 s4, 0
                                        ; implicit-def: $sgpr14
                                        ; implicit-def: $vgpr18
	s_mov_b32 s15, s5
	s_cbranch_execnz .LBB94_116
	s_branch .LBB94_129
.LBB94_114:                             ;   in Loop: Header=BB94_24 Depth=1
	s_set_inst_prefetch_distance 0x2
	s_or_b32 exec_lo, exec_lo, s4
	s_delay_alu instid0(SALU_CYCLE_1)
	s_and_b32 s4, s21, exec_lo
.LBB94_115:                             ;   in Loop: Header=BB94_24 Depth=1
	s_or_b32 exec_lo, exec_lo, s5
	s_mov_b32 s14, -1
	s_mov_b32 s5, 0
	s_delay_alu instid0(SALU_CYCLE_1)
	s_mov_b32 s15, s5
	s_branch .LBB94_129
.LBB94_116:                             ;   in Loop: Header=BB94_24 Depth=1
	s_mov_b32 s68, s67
	s_delay_alu instid0(SALU_CYCLE_1)
	s_cmp_lg_u64 s[68:69], 0
	s_cbranch_scc0 .LBB94_159
; %bb.117:                              ;   in Loop: Header=BB94_24 Depth=1
	v_cvt_f32_u32_e32 v2, s35
	s_sub_u32 s14, 0, s35
	s_subb_u32 s15, 0, 0
	s_delay_alu instid0(VALU_DEP_1) | instskip(NEXT) | instid1(VALU_DEP_1)
	v_fmac_f32_e64 v2, 0, 0x4f800000
	v_rcp_f32_e32 v2, v2
	s_waitcnt_depctr 0xfff
	v_mul_f32_e32 v2, 0x5f7ffffc, v2
	s_delay_alu instid0(VALU_DEP_1) | instskip(NEXT) | instid1(VALU_DEP_1)
	v_mul_f32_e32 v3, 0x2f800000, v2
	v_trunc_f32_e32 v3, v3
	s_delay_alu instid0(VALU_DEP_1) | instskip(SKIP_1) | instid1(VALU_DEP_2)
	v_fmac_f32_e32 v2, 0xcf800000, v3
	v_cvt_u32_f32_e32 v3, v3
	v_cvt_u32_f32_e32 v2, v2
	s_delay_alu instid0(VALU_DEP_2) | instskip(NEXT) | instid1(VALU_DEP_2)
	v_readfirstlane_b32 s4, v3
	v_readfirstlane_b32 s5, v2
	s_delay_alu instid0(VALU_DEP_2) | instskip(NEXT) | instid1(VALU_DEP_1)
	s_mul_i32 s21, s14, s4
	s_mul_hi_u32 s23, s14, s5
	s_mul_i32 s22, s15, s5
	s_add_i32 s21, s23, s21
	s_mul_i32 s66, s14, s5
	s_add_i32 s21, s21, s22
	s_mul_hi_u32 s23, s5, s66
	s_mul_hi_u32 s68, s4, s66
	s_mul_i32 s22, s4, s66
	s_mul_hi_u32 s66, s5, s21
	s_mul_i32 s5, s5, s21
	s_mul_hi_u32 s72, s4, s21
	s_add_u32 s5, s23, s5
	s_addc_u32 s23, 0, s66
	s_add_u32 s5, s5, s22
	s_mul_i32 s21, s4, s21
	s_addc_u32 s5, s23, s68
	s_addc_u32 s22, s72, 0
	s_add_u32 s5, s5, s21
	s_addc_u32 s21, 0, s22
	v_add_co_u32 v2, s5, v2, s5
	s_delay_alu instid0(VALU_DEP_1) | instskip(SKIP_1) | instid1(VALU_DEP_1)
	s_cmp_lg_u32 s5, 0
	s_addc_u32 s4, s4, s21
	v_readfirstlane_b32 s5, v2
	s_mul_i32 s21, s14, s4
	s_delay_alu instid0(VALU_DEP_1)
	s_mul_hi_u32 s22, s14, s5
	s_mul_i32 s15, s15, s5
	s_add_i32 s21, s22, s21
	s_mul_i32 s14, s14, s5
	s_add_i32 s21, s21, s15
	s_mul_hi_u32 s22, s4, s14
	s_mul_i32 s23, s4, s14
	s_mul_hi_u32 s14, s5, s14
	s_mul_hi_u32 s66, s5, s21
	s_mul_i32 s5, s5, s21
	s_mul_hi_u32 s15, s4, s21
	s_add_u32 s5, s14, s5
	s_addc_u32 s14, 0, s66
	s_add_u32 s5, s5, s23
	s_mul_i32 s21, s4, s21
	s_addc_u32 s5, s14, s22
	s_addc_u32 s14, s15, 0
	s_add_u32 s5, s5, s21
	s_addc_u32 s14, 0, s14
	v_add_co_u32 v2, s5, v2, s5
	s_delay_alu instid0(VALU_DEP_1) | instskip(SKIP_1) | instid1(VALU_DEP_1)
	s_cmp_lg_u32 s5, 0
	s_addc_u32 s4, s4, s14
	v_readfirstlane_b32 s5, v2
	s_mul_i32 s15, s85, s4
	s_mul_hi_u32 s14, s85, s4
	s_mul_hi_u32 s21, s69, s4
	s_mul_i32 s4, s69, s4
	s_mul_hi_u32 s22, s85, s5
	s_mul_hi_u32 s23, s69, s5
	s_mul_i32 s5, s69, s5
	s_add_u32 s15, s22, s15
	s_addc_u32 s14, 0, s14
	s_add_u32 s5, s15, s5
	s_addc_u32 s5, s14, s23
	s_addc_u32 s14, s21, 0
	s_add_u32 s4, s5, s4
	s_addc_u32 s5, 0, s14
	s_mul_hi_u32 s14, s35, s4
	s_mul_i32 s4, s35, s4
	s_mul_i32 s5, s35, s5
	v_sub_co_u32 v2, s4, s85, s4
	s_add_i32 s14, s14, s5
	s_cmp_lg_u32 s4, 0
	s_delay_alu instid0(VALU_DEP_1) | instskip(SKIP_2) | instid1(VALU_DEP_1)
	v_sub_co_u32 v3, s4, v2, s35
	s_subb_u32 s5, s69, s14
	s_cmp_lg_u32 s4, 0
	v_cmp_le_u32_e32 vcc_lo, s35, v3
	v_sub_co_u32 v4, s4, v3, s35
	s_subb_u32 s14, s5, 0
	s_cmp_lg_u32 s4, 0
	v_cndmask_b32_e64 v5, 0, -1, vcc_lo
	s_subb_u32 s4, s14, 0
	s_cmp_eq_u32 s14, 0
	v_mov_b32_e32 v7, s4
	s_cselect_b32 vcc_lo, -1, 0
	s_cmp_eq_u32 s5, 0
	v_cndmask_b32_e32 v5, -1, v5, vcc_lo
	v_cmp_le_u32_e32 vcc_lo, s35, v2
	s_cselect_b32 s4, -1, 0
	v_cndmask_b32_e64 v6, 0, -1, vcc_lo
	s_delay_alu instid0(VALU_DEP_3) | instskip(NEXT) | instid1(VALU_DEP_2)
	v_cmp_ne_u32_e32 vcc_lo, 0, v5
	v_cndmask_b32_e64 v5, -1, v6, s4
	v_cndmask_b32_e32 v6, s14, v7, vcc_lo
	v_cndmask_b32_e32 v4, v3, v4, vcc_lo
	s_delay_alu instid0(VALU_DEP_3) | instskip(NEXT) | instid1(VALU_DEP_3)
	v_cmp_ne_u32_e32 vcc_lo, 0, v5
	v_cndmask_b32_e32 v3, s5, v6, vcc_lo
	s_delay_alu instid0(VALU_DEP_3)
	v_cndmask_b32_e32 v2, v2, v4, vcc_lo
	s_cbranch_execnz .LBB94_119
.LBB94_118:                             ;   in Loop: Header=BB94_24 Depth=1
	v_cvt_f32_u32_e32 v2, s35
	s_sub_i32 s4, 0, s35
	s_delay_alu instid0(VALU_DEP_1) | instskip(SKIP_2) | instid1(VALU_DEP_1)
	v_rcp_iflag_f32_e32 v2, v2
	s_waitcnt_depctr 0xfff
	v_mul_f32_e32 v2, 0x4f7ffffe, v2
	v_cvt_u32_f32_e32 v2, v2
	s_delay_alu instid0(VALU_DEP_1) | instskip(NEXT) | instid1(VALU_DEP_1)
	v_mul_lo_u32 v3, s4, v2
	v_mul_hi_u32 v3, v2, v3
	s_delay_alu instid0(VALU_DEP_1) | instskip(NEXT) | instid1(VALU_DEP_1)
	v_add_nc_u32_e32 v2, v2, v3
	v_mul_hi_u32 v2, s85, v2
	s_delay_alu instid0(VALU_DEP_1) | instskip(NEXT) | instid1(VALU_DEP_1)
	v_mul_lo_u32 v2, v2, s35
	v_sub_nc_u32_e32 v2, s85, v2
	s_delay_alu instid0(VALU_DEP_1) | instskip(SKIP_1) | instid1(VALU_DEP_2)
	v_subrev_nc_u32_e32 v3, s35, v2
	v_cmp_le_u32_e32 vcc_lo, s35, v2
	v_cndmask_b32_e32 v2, v2, v3, vcc_lo
	s_delay_alu instid0(VALU_DEP_1) | instskip(SKIP_1) | instid1(VALU_DEP_2)
	v_subrev_nc_u32_e32 v3, s35, v2
	v_cmp_le_u32_e32 vcc_lo, s35, v2
	v_cndmask_b32_e32 v10, v2, v3, vcc_lo
	s_delay_alu instid0(VALU_DEP_1)
	v_dual_mov_b32 v2, v10 :: v_dual_mov_b32 v3, v11
.LBB94_119:                             ;   in Loop: Header=BB94_24 Depth=1
	s_delay_alu instid0(VALU_DEP_1) | instskip(NEXT) | instid1(VALU_DEP_2)
	v_sub_co_u32 v2, vcc_lo, s85, v2
	v_sub_co_ci_u32_e32 v3, vcc_lo, s69, v3, vcc_lo
	s_mov_b32 s4, 0
	s_mov_b32 s5, exec_lo
                                        ; implicit-def: $vgpr18
	s_delay_alu instid0(VALU_DEP_1)
	v_cmpx_gt_u64_e64 v[2:3], v[0:1]
	s_cbranch_execz .LBB94_128
; %bb.120:                              ;   in Loop: Header=BB94_24 Depth=1
	v_dual_mov_b32 v5, v1 :: v_dual_mov_b32 v4, v0
	s_mov_b32 s14, 0
                                        ; implicit-def: $sgpr15
	s_branch .LBB94_122
.LBB94_121:                             ;   in Loop: Header=BB94_122 Depth=2
	s_or_b32 exec_lo, exec_lo, s4
	s_waitcnt vmcnt(0) lgkmcnt(0)
	s_barrier
	buffer_gl0_inv
	ds_load_b64 v[17:18], v11 offset:3072
	v_add_co_u32 v4, vcc_lo, v4, s35
	v_add_co_ci_u32_e32 v5, vcc_lo, 0, v5, vcc_lo
	s_waitcnt lgkmcnt(0)
	s_barrier
	buffer_gl0_inv
	v_cmp_ge_u64_e32 vcc_lo, v[4:5], v[2:3]
	v_readfirstlane_b32 s4, v17
	s_delay_alu instid0(VALU_DEP_1) | instskip(SKIP_1) | instid1(SALU_CYCLE_1)
	s_cmp_lg_u32 s4, 0
	s_cselect_b32 s4, -1, 0
	s_or_b32 s21, vcc_lo, s4
	s_delay_alu instid0(SALU_CYCLE_1) | instskip(NEXT) | instid1(SALU_CYCLE_1)
	s_and_b32 s21, exec_lo, s21
	s_or_b32 s14, s21, s14
	s_and_not1_b32 s15, s15, exec_lo
	s_and_b32 s4, s4, exec_lo
	s_delay_alu instid0(SALU_CYCLE_1)
	s_or_b32 s15, s15, s4
	s_and_not1_b32 exec_lo, exec_lo, s14
	s_cbranch_execz .LBB94_127
.LBB94_122:                             ;   Parent Loop BB94_24 Depth=1
                                        ; =>  This Inner Loop Header: Depth=2
	s_delay_alu instid0(VALU_DEP_1)
	v_cmp_gt_u64_e32 vcc_lo, s[24:25], v[4:5]
	v_mov_b32_e32 v17, 0
	s_and_saveexec_b32 s21, vcc_lo
	s_cbranch_execz .LBB94_124
; %bb.123:                              ;   in Loop: Header=BB94_122 Depth=2
	v_mul_lo_u32 v8, v5, s54
	v_mul_lo_u32 v9, v4, s55
	v_mad_u64_u32 v[6:7], null, v4, s54, 0
	s_delay_alu instid0(VALU_DEP_1) | instskip(NEXT) | instid1(VALU_DEP_1)
	v_add3_u32 v7, v7, v9, v8
	v_lshlrev_b64 v[6:7], 2, v[6:7]
	s_delay_alu instid0(VALU_DEP_1) | instskip(NEXT) | instid1(VALU_DEP_1)
	v_add_co_u32 v6, s4, s27, v6
	v_add_co_ci_u32_e64 v7, s4, s33, v7, s4
	global_load_b32 v17, v[6:7], off
.LBB94_124:                             ;   in Loop: Header=BB94_122 Depth=2
	s_or_b32 exec_lo, exec_lo, s21
	s_and_saveexec_b32 s4, vcc_lo
	s_cbranch_execz .LBB94_121
; %bb.125:                              ;   in Loop: Header=BB94_122 Depth=2
	s_waitcnt vmcnt(0)
	v_xor_b32_e32 v6, 0x80000000, v17
	s_delay_alu instid0(VALU_DEP_1) | instskip(NEXT) | instid1(VALU_DEP_1)
	v_and_b32_e32 v6, s102, v6
	v_cmp_eq_u32_e32 vcc_lo, s101, v6
	s_and_b32 exec_lo, exec_lo, vcc_lo
	s_cbranch_execz .LBB94_121
; %bb.126:                              ;   in Loop: Header=BB94_122 Depth=2
	ds_store_b64 v11, v[16:17] offset:3072
	s_branch .LBB94_121
.LBB94_127:                             ;   in Loop: Header=BB94_24 Depth=1
	s_or_b32 exec_lo, exec_lo, s14
	s_delay_alu instid0(SALU_CYCLE_1)
	s_and_b32 s4, s15, exec_lo
.LBB94_128:                             ;   in Loop: Header=BB94_24 Depth=1
	s_or_b32 exec_lo, exec_lo, s5
	s_mov_b32 s15, -1
	s_mov_b32 s5, 0
	s_mov_b32 s14, 0
.LBB94_129:                             ;   in Loop: Header=BB94_24 Depth=1
	s_and_not1_b32 s21, s97, exec_lo
	s_and_b32 s5, s5, exec_lo
	s_and_b32 s15, s15, exec_lo
	s_or_b32 s97, s21, s5
	s_and_not1_b32 s5, s100, exec_lo
	s_and_not1_b32 s21, s98, exec_lo
	s_and_b32 s14, s14, exec_lo
	s_or_b32 s100, s5, s15
	s_or_b32 s98, s21, s14
	s_and_saveexec_b32 s14, s4
	s_cbranch_execz .LBB94_23
; %bb.130:                              ;   in Loop: Header=BB94_24 Depth=1
	s_xor_b32 s4, s20, -1
	s_mov_b32 s66, 1
	s_and_not1_b32 vcc_lo, exec_lo, s4
	s_cbranch_vccnz .LBB94_141
; %bb.131:                              ;   in Loop: Header=BB94_24 Depth=1
	v_cmp_gt_u64_e64 s4, s[64:65], s[12:13]
                                        ; implicit-def: $sgpr66
                                        ; implicit-def: $sgpr5
                                        ; implicit-def: $sgpr15
	s_delay_alu instid0(VALU_DEP_1)
	s_and_b32 vcc_lo, exec_lo, s4
	s_mov_b32 s4, -1
	s_cbranch_vccnz .LBB94_137
; %bb.132:                              ;   in Loop: Header=BB94_24 Depth=1
	ds_load_b64 v[2:3], v11 offset:5120
	s_waitcnt lgkmcnt(0)
	v_cmp_ne_u64_e32 vcc_lo, 0, v[2:3]
	s_cbranch_vccnz .LBB94_136
; %bb.133:                              ;   in Loop: Header=BB94_24 Depth=1
	s_and_saveexec_b32 s4, s2
	s_cbranch_execz .LBB94_135
; %bb.134:                              ;   in Loop: Header=BB94_24 Depth=1
	v_dual_mov_b32 v2, s12 :: v_dual_mov_b32 v3, s13
	ds_store_b64 v11, v[2:3] offset:5128
.LBB94_135:                             ;   in Loop: Header=BB94_24 Depth=1
	s_or_b32 exec_lo, exec_lo, s4
	s_waitcnt lgkmcnt(0)
	s_barrier
	buffer_gl0_inv
.LBB94_136:                             ;   in Loop: Header=BB94_24 Depth=1
	s_and_b32 s5, s101, s18
	s_or_b32 s15, s102, s16
	s_mov_b32 s4, 0
	s_mov_b32 s66, 8
.LBB94_137:                             ;   in Loop: Header=BB94_24 Depth=1
	s_and_not1_b32 vcc_lo, exec_lo, s4
	s_cbranch_vccnz .LBB94_139
; %bb.138:                              ;   in Loop: Header=BB94_24 Depth=1
	s_sub_u32 s64, s64, s12
	s_subb_u32 s65, s65, s13
	s_mov_b32 s4, -1
	s_mov_b32 s66, 0
	s_mov_b32 s5, s101
	s_mov_b32 s15, s102
.LBB94_139:                             ;   in Loop: Header=BB94_24 Depth=1
	s_delay_alu instid0(SALU_CYCLE_1)
	s_mov_b32 s102, s15
	s_mov_b32 s101, s5
	s_and_b32 vcc_lo, exec_lo, s4
	s_mov_b32 s15, -1
	s_cbranch_vccnz .LBB94_142
.LBB94_140:                             ;   in Loop: Header=BB94_24 Depth=1
	s_mov_b32 s5, -1
                                        ; implicit-def: $sgpr12
                                        ; implicit-def: $sgpr19
                                        ; implicit-def: $sgpr13
	s_delay_alu instid0(SALU_CYCLE_1) | instskip(NEXT) | instid1(SALU_CYCLE_1)
	s_and_saveexec_b32 s4, s5
	s_xor_b32 s4, exec_lo, s4
	s_cbranch_execz .LBB94_22
	s_branch .LBB94_288
.LBB94_141:                             ;   in Loop: Header=BB94_24 Depth=1
	s_mov_b64 s[64:65], 1
	s_mov_b32 s15, -1
	s_branch .LBB94_140
.LBB94_142:                             ;   in Loop: Header=BB94_24 Depth=1
	s_cmp_eq_u64 s[10:11], 1
	s_cselect_b32 s4, -1, 0
	s_cmp_eq_u64 s[64:65], 1
	s_cselect_b32 s5, -1, 0
	s_delay_alu instid0(SALU_CYCLE_1)
	s_and_b32 s21, s4, s5
	s_mov_b32 s4, -1
	s_and_b32 vcc_lo, exec_lo, s21
	s_cbranch_vccz .LBB94_157
; %bb.143:                              ;   in Loop: Header=BB94_24 Depth=1
	ds_load_b64 v[2:3], v11 offset:5120
	s_waitcnt lgkmcnt(0)
	s_barrier
	buffer_gl0_inv
	v_readfirstlane_b32 s12, v2
	v_readfirstlane_b32 s13, v3
	s_and_saveexec_b32 s4, s3
	s_cbranch_execz .LBB94_145
; %bb.144:                              ;   in Loop: Header=BB94_24 Depth=1
	ds_store_b32 v24, v11
.LBB94_145:                             ;   in Loop: Header=BB94_24 Depth=1
	s_or_b32 exec_lo, exec_lo, s4
	s_lshl_b32 s4, 1, s17
	s_and_b32 s5, s101, s18
	s_or_b32 s102, s102, s16
	s_or_b32 s101, s5, s4
	s_cmp_eq_u64 s[12:13], 0
	s_waitcnt lgkmcnt(0)
	s_barrier
	buffer_gl0_inv
	s_cbranch_scc1 .LBB94_160
; %bb.146:                              ;   in Loop: Header=BB94_24 Depth=1
	s_add_u32 s19, s83, s12
	s_addc_u32 s5, s84, s13
	s_mov_b32 s4, s67
	s_delay_alu instid0(SALU_CYCLE_1)
	s_cmp_lg_u64 s[4:5], 0
	s_cbranch_scc0 .LBB94_205
; %bb.147:                              ;   in Loop: Header=BB94_24 Depth=1
	v_cvt_f32_u32_e32 v2, s35
	s_sub_u32 s22, 0, s35
	s_subb_u32 s23, 0, 0
	s_delay_alu instid0(VALU_DEP_1) | instskip(NEXT) | instid1(VALU_DEP_1)
	v_fmac_f32_e64 v2, 0, 0x4f800000
	v_rcp_f32_e32 v2, v2
	s_waitcnt_depctr 0xfff
	v_mul_f32_e32 v2, 0x5f7ffffc, v2
	s_delay_alu instid0(VALU_DEP_1) | instskip(NEXT) | instid1(VALU_DEP_1)
	v_mul_f32_e32 v3, 0x2f800000, v2
	v_trunc_f32_e32 v3, v3
	s_delay_alu instid0(VALU_DEP_1) | instskip(SKIP_1) | instid1(VALU_DEP_2)
	v_fmac_f32_e32 v2, 0xcf800000, v3
	v_cvt_u32_f32_e32 v3, v3
	v_cvt_u32_f32_e32 v2, v2
	s_delay_alu instid0(VALU_DEP_2) | instskip(NEXT) | instid1(VALU_DEP_2)
	v_readfirstlane_b32 s4, v3
	v_readfirstlane_b32 s20, v2
	s_delay_alu instid0(VALU_DEP_2) | instskip(NEXT) | instid1(VALU_DEP_1)
	s_mul_i32 s66, s22, s4
	s_mul_hi_u32 s72, s22, s20
	s_mul_i32 s68, s23, s20
	s_add_i32 s66, s72, s66
	s_mul_i32 s73, s22, s20
	s_add_i32 s66, s66, s68
	s_mul_hi_u32 s72, s20, s73
	s_mul_hi_u32 s74, s4, s73
	s_mul_i32 s68, s4, s73
	s_mul_hi_u32 s73, s20, s66
	s_mul_i32 s20, s20, s66
	s_mul_hi_u32 s75, s4, s66
	s_add_u32 s20, s72, s20
	s_addc_u32 s72, 0, s73
	s_add_u32 s20, s20, s68
	s_mul_i32 s66, s4, s66
	s_addc_u32 s20, s72, s74
	s_addc_u32 s68, s75, 0
	s_add_u32 s20, s20, s66
	s_addc_u32 s66, 0, s68
	v_add_co_u32 v2, s20, v2, s20
	s_delay_alu instid0(VALU_DEP_1) | instskip(SKIP_1) | instid1(VALU_DEP_1)
	s_cmp_lg_u32 s20, 0
	s_addc_u32 s4, s4, s66
	v_readfirstlane_b32 s20, v2
	s_mul_i32 s66, s22, s4
	s_delay_alu instid0(VALU_DEP_1)
	s_mul_hi_u32 s68, s22, s20
	s_mul_i32 s23, s23, s20
	s_add_i32 s66, s68, s66
	s_mul_i32 s22, s22, s20
	s_add_i32 s66, s66, s23
	s_mul_hi_u32 s68, s4, s22
	s_mul_i32 s72, s4, s22
	s_mul_hi_u32 s22, s20, s22
	s_mul_hi_u32 s73, s20, s66
	s_mul_i32 s20, s20, s66
	s_mul_hi_u32 s23, s4, s66
	s_add_u32 s20, s22, s20
	s_addc_u32 s22, 0, s73
	s_add_u32 s20, s20, s72
	s_mul_i32 s66, s4, s66
	s_addc_u32 s20, s22, s68
	s_addc_u32 s22, s23, 0
	s_add_u32 s20, s20, s66
	s_addc_u32 s22, 0, s22
	v_add_co_u32 v2, s20, v2, s20
	s_delay_alu instid0(VALU_DEP_1) | instskip(SKIP_1) | instid1(VALU_DEP_1)
	s_cmp_lg_u32 s20, 0
	s_addc_u32 s4, s4, s22
	v_readfirstlane_b32 s20, v2
	s_mul_i32 s23, s19, s4
	s_mul_hi_u32 s22, s19, s4
	s_mul_hi_u32 s66, s5, s4
	s_mul_i32 s4, s5, s4
	s_mul_hi_u32 s68, s19, s20
	s_mul_hi_u32 s72, s5, s20
	s_mul_i32 s20, s5, s20
	s_add_u32 s23, s68, s23
	s_addc_u32 s22, 0, s22
	s_add_u32 s20, s23, s20
	s_addc_u32 s20, s22, s72
	s_addc_u32 s22, s66, 0
	s_add_u32 s4, s20, s4
	s_addc_u32 s20, 0, s22
	s_mul_hi_u32 s22, s35, s4
	s_mul_i32 s4, s35, s4
	s_mul_i32 s20, s35, s20
	v_sub_co_u32 v2, s4, s19, s4
	s_add_i32 s22, s22, s20
	s_cmp_lg_u32 s4, 0
	s_delay_alu instid0(VALU_DEP_1) | instskip(SKIP_2) | instid1(VALU_DEP_1)
	v_sub_co_u32 v3, s4, v2, s35
	s_subb_u32 s20, s5, s22
	s_cmp_lg_u32 s4, 0
	v_cmp_le_u32_e32 vcc_lo, s35, v3
	v_sub_co_u32 v4, s4, v3, s35
	s_subb_u32 s22, s20, 0
	s_cmp_lg_u32 s4, 0
	v_cndmask_b32_e64 v5, 0, -1, vcc_lo
	s_subb_u32 s4, s22, 0
	s_cmp_eq_u32 s22, 0
	v_mov_b32_e32 v7, s4
	s_cselect_b32 vcc_lo, -1, 0
	s_cmp_eq_u32 s20, 0
	v_cndmask_b32_e32 v5, -1, v5, vcc_lo
	v_cmp_le_u32_e32 vcc_lo, s35, v2
	s_cselect_b32 s4, -1, 0
	v_cndmask_b32_e64 v6, 0, -1, vcc_lo
	s_delay_alu instid0(VALU_DEP_3) | instskip(NEXT) | instid1(VALU_DEP_2)
	v_cmp_ne_u32_e32 vcc_lo, 0, v5
	v_cndmask_b32_e64 v5, -1, v6, s4
	v_cndmask_b32_e32 v6, s22, v7, vcc_lo
	v_cndmask_b32_e32 v4, v3, v4, vcc_lo
	s_delay_alu instid0(VALU_DEP_3) | instskip(NEXT) | instid1(VALU_DEP_3)
	v_cmp_ne_u32_e32 vcc_lo, 0, v5
	v_cndmask_b32_e32 v3, s20, v6, vcc_lo
	s_delay_alu instid0(VALU_DEP_3)
	v_cndmask_b32_e32 v2, v2, v4, vcc_lo
	s_cbranch_execnz .LBB94_149
.LBB94_148:                             ;   in Loop: Header=BB94_24 Depth=1
	v_cvt_f32_u32_e32 v2, s35
	s_sub_i32 s4, 0, s35
	s_delay_alu instid0(VALU_DEP_1) | instskip(SKIP_2) | instid1(VALU_DEP_1)
	v_rcp_iflag_f32_e32 v2, v2
	s_waitcnt_depctr 0xfff
	v_mul_f32_e32 v2, 0x4f7ffffe, v2
	v_cvt_u32_f32_e32 v2, v2
	s_delay_alu instid0(VALU_DEP_1) | instskip(NEXT) | instid1(VALU_DEP_1)
	v_mul_lo_u32 v3, s4, v2
	v_mul_hi_u32 v3, v2, v3
	s_delay_alu instid0(VALU_DEP_1) | instskip(NEXT) | instid1(VALU_DEP_1)
	v_add_nc_u32_e32 v2, v2, v3
	v_mul_hi_u32 v2, s19, v2
	s_delay_alu instid0(VALU_DEP_1) | instskip(NEXT) | instid1(VALU_DEP_1)
	v_mul_lo_u32 v2, v2, s35
	v_sub_nc_u32_e32 v2, s19, v2
	s_delay_alu instid0(VALU_DEP_1) | instskip(SKIP_1) | instid1(VALU_DEP_2)
	v_subrev_nc_u32_e32 v3, s35, v2
	v_cmp_le_u32_e32 vcc_lo, s35, v2
	v_cndmask_b32_e32 v2, v2, v3, vcc_lo
	s_delay_alu instid0(VALU_DEP_1) | instskip(SKIP_1) | instid1(VALU_DEP_2)
	v_subrev_nc_u32_e32 v3, s35, v2
	v_cmp_le_u32_e32 vcc_lo, s35, v2
	v_cndmask_b32_e32 v10, v2, v3, vcc_lo
	s_delay_alu instid0(VALU_DEP_1)
	v_dual_mov_b32 v2, v10 :: v_dual_mov_b32 v3, v11
.LBB94_149:                             ;   in Loop: Header=BB94_24 Depth=1
	s_delay_alu instid0(VALU_DEP_1) | instskip(NEXT) | instid1(VALU_DEP_2)
	v_sub_co_u32 v2, vcc_lo, s19, v2
	v_sub_co_ci_u32_e32 v3, vcc_lo, s5, v3, vcc_lo
	s_mov_b32 s4, 0
	s_mov_b32 s5, exec_lo
                                        ; implicit-def: $vgpr18
	s_delay_alu instid0(VALU_DEP_1)
	v_cmpx_gt_u64_e64 v[2:3], v[0:1]
	s_cbranch_execz .LBB94_162
; %bb.150:                              ;   in Loop: Header=BB94_24 Depth=1
	v_dual_mov_b32 v6, v12 :: v_dual_mov_b32 v5, v1
	v_mov_b32_e32 v4, v0
                                        ; implicit-def: $sgpr19
	s_set_inst_prefetch_distance 0x1
	s_branch .LBB94_152
	.p2align	6
.LBB94_151:                             ;   in Loop: Header=BB94_152 Depth=2
	s_or_b32 exec_lo, exec_lo, s20
	s_waitcnt lgkmcnt(0)
	s_barrier
	buffer_gl0_inv
	ds_load_b64 v[17:18], v11 offset:3072
	v_add_co_u32 v4, vcc_lo, v4, s35
	v_add_co_ci_u32_e32 v5, vcc_lo, 0, v5, vcc_lo
	v_add_nc_u32_e32 v6, s91, v6
	s_waitcnt lgkmcnt(0)
	s_barrier
	s_delay_alu instid0(VALU_DEP_2) | instskip(SKIP_2) | instid1(VALU_DEP_1)
	v_cmp_ge_u64_e32 vcc_lo, v[4:5], v[2:3]
	buffer_gl0_inv
	v_readfirstlane_b32 s20, v17
	s_cmp_lg_u32 s20, 0
	s_cselect_b32 s20, -1, 0
	s_delay_alu instid0(SALU_CYCLE_1) | instskip(NEXT) | instid1(SALU_CYCLE_1)
	s_or_b32 s22, vcc_lo, s20
	s_and_b32 s22, exec_lo, s22
	s_delay_alu instid0(SALU_CYCLE_1) | instskip(SKIP_2) | instid1(SALU_CYCLE_1)
	s_or_b32 s4, s22, s4
	s_and_not1_b32 s19, s19, exec_lo
	s_and_b32 s20, s20, exec_lo
	s_or_b32 s19, s19, s20
	s_and_not1_b32 exec_lo, exec_lo, s4
	s_cbranch_execz .LBB94_161
.LBB94_152:                             ;   Parent Loop BB94_24 Depth=1
                                        ; =>  This Inner Loop Header: Depth=2
	s_delay_alu instid0(VALU_DEP_1)
	v_cmp_gt_u64_e32 vcc_lo, s[12:13], v[4:5]
	v_mov_b32_e32 v17, 0
	s_and_saveexec_b32 s20, vcc_lo
	s_cbranch_execz .LBB94_154
; %bb.153:                              ;   in Loop: Header=BB94_152 Depth=2
	ds_load_b32 v17, v6
.LBB94_154:                             ;   in Loop: Header=BB94_152 Depth=2
	s_or_b32 exec_lo, exec_lo, s20
	s_and_saveexec_b32 s20, vcc_lo
	s_cbranch_execz .LBB94_151
; %bb.155:                              ;   in Loop: Header=BB94_152 Depth=2
	s_waitcnt lgkmcnt(0)
	v_xor_b32_e32 v7, 0x80000000, v17
	s_delay_alu instid0(VALU_DEP_1) | instskip(NEXT) | instid1(VALU_DEP_1)
	v_and_b32_e32 v7, s102, v7
	v_cmp_eq_u32_e32 vcc_lo, s101, v7
	s_and_b32 exec_lo, exec_lo, vcc_lo
	s_cbranch_execz .LBB94_151
; %bb.156:                              ;   in Loop: Header=BB94_152 Depth=2
	ds_store_b64 v11, v[16:17] offset:3072
	s_branch .LBB94_151
.LBB94_157:                             ;   in Loop: Header=BB94_24 Depth=1
                                        ; implicit-def: $sgpr13
                                        ; implicit-def: $sgpr19
                                        ; implicit-def: $sgpr12
	s_branch .LBB94_176
.LBB94_158:                             ;   in Loop: Header=BB94_24 Depth=1
                                        ; implicit-def: $vgpr2_vgpr3
	s_branch .LBB94_103
.LBB94_159:                             ;   in Loop: Header=BB94_24 Depth=1
                                        ; implicit-def: $vgpr2_vgpr3
	s_branch .LBB94_118
.LBB94_160:                             ;   in Loop: Header=BB94_24 Depth=1
	s_mov_b32 s13, -1
	s_mov_b32 s4, 0
                                        ; implicit-def: $sgpr12
                                        ; implicit-def: $vgpr18
	s_mov_b32 s19, s13
	s_cbranch_execnz .LBB94_163
	s_branch .LBB94_176
.LBB94_161:                             ;   in Loop: Header=BB94_24 Depth=1
	s_set_inst_prefetch_distance 0x2
	s_or_b32 exec_lo, exec_lo, s4
	s_delay_alu instid0(SALU_CYCLE_1)
	s_and_b32 s4, s19, exec_lo
.LBB94_162:                             ;   in Loop: Header=BB94_24 Depth=1
	s_or_b32 exec_lo, exec_lo, s5
	s_mov_b32 s12, -1
	s_mov_b32 s13, 0
	s_delay_alu instid0(SALU_CYCLE_1)
	s_mov_b32 s19, s13
	s_branch .LBB94_176
.LBB94_163:                             ;   in Loop: Header=BB94_24 Depth=1
	s_mov_b32 s68, s67
	s_delay_alu instid0(SALU_CYCLE_1)
	s_cmp_lg_u64 s[68:69], 0
	s_cbranch_scc0 .LBB94_206
; %bb.164:                              ;   in Loop: Header=BB94_24 Depth=1
	v_cvt_f32_u32_e32 v2, s35
	s_sub_u32 s12, 0, s35
	s_subb_u32 s13, 0, 0
	s_delay_alu instid0(VALU_DEP_1) | instskip(NEXT) | instid1(VALU_DEP_1)
	v_fmac_f32_e64 v2, 0, 0x4f800000
	v_rcp_f32_e32 v2, v2
	s_waitcnt_depctr 0xfff
	v_mul_f32_e32 v2, 0x5f7ffffc, v2
	s_delay_alu instid0(VALU_DEP_1) | instskip(NEXT) | instid1(VALU_DEP_1)
	v_mul_f32_e32 v3, 0x2f800000, v2
	v_trunc_f32_e32 v3, v3
	s_delay_alu instid0(VALU_DEP_1) | instskip(SKIP_1) | instid1(VALU_DEP_2)
	v_fmac_f32_e32 v2, 0xcf800000, v3
	v_cvt_u32_f32_e32 v3, v3
	v_cvt_u32_f32_e32 v2, v2
	s_delay_alu instid0(VALU_DEP_2) | instskip(NEXT) | instid1(VALU_DEP_2)
	v_readfirstlane_b32 s4, v3
	v_readfirstlane_b32 s5, v2
	s_delay_alu instid0(VALU_DEP_2) | instskip(NEXT) | instid1(VALU_DEP_1)
	s_mul_i32 s19, s12, s4
	s_mul_hi_u32 s22, s12, s5
	s_mul_i32 s20, s13, s5
	s_add_i32 s19, s22, s19
	s_mul_i32 s23, s12, s5
	s_add_i32 s19, s19, s20
	s_mul_hi_u32 s22, s5, s23
	s_mul_hi_u32 s66, s4, s23
	s_mul_i32 s20, s4, s23
	s_mul_hi_u32 s23, s5, s19
	s_mul_i32 s5, s5, s19
	s_mul_hi_u32 s68, s4, s19
	s_add_u32 s5, s22, s5
	s_addc_u32 s22, 0, s23
	s_add_u32 s5, s5, s20
	s_mul_i32 s19, s4, s19
	s_addc_u32 s5, s22, s66
	s_addc_u32 s20, s68, 0
	s_add_u32 s5, s5, s19
	s_addc_u32 s19, 0, s20
	v_add_co_u32 v2, s5, v2, s5
	s_delay_alu instid0(VALU_DEP_1) | instskip(SKIP_1) | instid1(VALU_DEP_1)
	s_cmp_lg_u32 s5, 0
	s_addc_u32 s4, s4, s19
	v_readfirstlane_b32 s5, v2
	s_mul_i32 s19, s12, s4
	s_delay_alu instid0(VALU_DEP_1)
	s_mul_hi_u32 s20, s12, s5
	s_mul_i32 s13, s13, s5
	s_add_i32 s19, s20, s19
	s_mul_i32 s12, s12, s5
	s_add_i32 s19, s19, s13
	s_mul_hi_u32 s20, s4, s12
	s_mul_i32 s22, s4, s12
	s_mul_hi_u32 s12, s5, s12
	s_mul_hi_u32 s23, s5, s19
	s_mul_i32 s5, s5, s19
	s_mul_hi_u32 s13, s4, s19
	s_add_u32 s5, s12, s5
	s_addc_u32 s12, 0, s23
	s_add_u32 s5, s5, s22
	s_mul_i32 s19, s4, s19
	s_addc_u32 s5, s12, s20
	s_addc_u32 s12, s13, 0
	s_add_u32 s5, s5, s19
	s_addc_u32 s12, 0, s12
	v_add_co_u32 v2, s5, v2, s5
	s_delay_alu instid0(VALU_DEP_1) | instskip(SKIP_1) | instid1(VALU_DEP_1)
	s_cmp_lg_u32 s5, 0
	s_addc_u32 s4, s4, s12
	v_readfirstlane_b32 s5, v2
	s_mul_i32 s13, s85, s4
	s_mul_hi_u32 s12, s85, s4
	s_mul_hi_u32 s19, s69, s4
	s_mul_i32 s4, s69, s4
	s_mul_hi_u32 s20, s85, s5
	s_mul_hi_u32 s22, s69, s5
	s_mul_i32 s5, s69, s5
	s_add_u32 s13, s20, s13
	s_addc_u32 s12, 0, s12
	s_add_u32 s5, s13, s5
	s_addc_u32 s5, s12, s22
	s_addc_u32 s12, s19, 0
	s_add_u32 s4, s5, s4
	s_addc_u32 s5, 0, s12
	s_mul_hi_u32 s12, s35, s4
	s_mul_i32 s4, s35, s4
	s_mul_i32 s5, s35, s5
	v_sub_co_u32 v2, s4, s85, s4
	s_add_i32 s12, s12, s5
	s_cmp_lg_u32 s4, 0
	s_delay_alu instid0(VALU_DEP_1) | instskip(SKIP_2) | instid1(VALU_DEP_1)
	v_sub_co_u32 v3, s4, v2, s35
	s_subb_u32 s5, s69, s12
	s_cmp_lg_u32 s4, 0
	v_cmp_le_u32_e32 vcc_lo, s35, v3
	v_sub_co_u32 v4, s4, v3, s35
	s_subb_u32 s12, s5, 0
	s_cmp_lg_u32 s4, 0
	v_cndmask_b32_e64 v5, 0, -1, vcc_lo
	s_subb_u32 s4, s12, 0
	s_cmp_eq_u32 s12, 0
	v_mov_b32_e32 v7, s4
	s_cselect_b32 vcc_lo, -1, 0
	s_cmp_eq_u32 s5, 0
	v_cndmask_b32_e32 v5, -1, v5, vcc_lo
	v_cmp_le_u32_e32 vcc_lo, s35, v2
	s_cselect_b32 s4, -1, 0
	v_cndmask_b32_e64 v6, 0, -1, vcc_lo
	s_delay_alu instid0(VALU_DEP_3) | instskip(NEXT) | instid1(VALU_DEP_2)
	v_cmp_ne_u32_e32 vcc_lo, 0, v5
	v_cndmask_b32_e64 v5, -1, v6, s4
	v_cndmask_b32_e32 v6, s12, v7, vcc_lo
	v_cndmask_b32_e32 v4, v3, v4, vcc_lo
	s_delay_alu instid0(VALU_DEP_3) | instskip(NEXT) | instid1(VALU_DEP_3)
	v_cmp_ne_u32_e32 vcc_lo, 0, v5
	v_cndmask_b32_e32 v3, s5, v6, vcc_lo
	s_delay_alu instid0(VALU_DEP_3)
	v_cndmask_b32_e32 v2, v2, v4, vcc_lo
	s_cbranch_execnz .LBB94_166
.LBB94_165:                             ;   in Loop: Header=BB94_24 Depth=1
	v_cvt_f32_u32_e32 v2, s35
	s_sub_i32 s4, 0, s35
	s_delay_alu instid0(VALU_DEP_1) | instskip(SKIP_2) | instid1(VALU_DEP_1)
	v_rcp_iflag_f32_e32 v2, v2
	s_waitcnt_depctr 0xfff
	v_mul_f32_e32 v2, 0x4f7ffffe, v2
	v_cvt_u32_f32_e32 v2, v2
	s_delay_alu instid0(VALU_DEP_1) | instskip(NEXT) | instid1(VALU_DEP_1)
	v_mul_lo_u32 v3, s4, v2
	v_mul_hi_u32 v3, v2, v3
	s_delay_alu instid0(VALU_DEP_1) | instskip(NEXT) | instid1(VALU_DEP_1)
	v_add_nc_u32_e32 v2, v2, v3
	v_mul_hi_u32 v2, s85, v2
	s_delay_alu instid0(VALU_DEP_1) | instskip(NEXT) | instid1(VALU_DEP_1)
	v_mul_lo_u32 v2, v2, s35
	v_sub_nc_u32_e32 v2, s85, v2
	s_delay_alu instid0(VALU_DEP_1) | instskip(SKIP_1) | instid1(VALU_DEP_2)
	v_subrev_nc_u32_e32 v3, s35, v2
	v_cmp_le_u32_e32 vcc_lo, s35, v2
	v_cndmask_b32_e32 v2, v2, v3, vcc_lo
	s_delay_alu instid0(VALU_DEP_1) | instskip(SKIP_1) | instid1(VALU_DEP_2)
	v_subrev_nc_u32_e32 v3, s35, v2
	v_cmp_le_u32_e32 vcc_lo, s35, v2
	v_cndmask_b32_e32 v10, v2, v3, vcc_lo
	s_delay_alu instid0(VALU_DEP_1)
	v_dual_mov_b32 v2, v10 :: v_dual_mov_b32 v3, v11
.LBB94_166:                             ;   in Loop: Header=BB94_24 Depth=1
	s_delay_alu instid0(VALU_DEP_1) | instskip(NEXT) | instid1(VALU_DEP_2)
	v_sub_co_u32 v2, vcc_lo, s85, v2
	v_sub_co_ci_u32_e32 v3, vcc_lo, s69, v3, vcc_lo
	s_mov_b32 s4, 0
	s_mov_b32 s5, exec_lo
                                        ; implicit-def: $vgpr18
	s_delay_alu instid0(VALU_DEP_1)
	v_cmpx_gt_u64_e64 v[2:3], v[0:1]
	s_cbranch_execz .LBB94_175
; %bb.167:                              ;   in Loop: Header=BB94_24 Depth=1
	v_dual_mov_b32 v5, v1 :: v_dual_mov_b32 v4, v0
	s_mov_b32 s12, 0
                                        ; implicit-def: $sgpr13
	s_branch .LBB94_169
.LBB94_168:                             ;   in Loop: Header=BB94_169 Depth=2
	s_or_b32 exec_lo, exec_lo, s4
	s_waitcnt vmcnt(0) lgkmcnt(0)
	s_barrier
	buffer_gl0_inv
	ds_load_b64 v[17:18], v11 offset:3072
	v_add_co_u32 v4, vcc_lo, v4, s35
	v_add_co_ci_u32_e32 v5, vcc_lo, 0, v5, vcc_lo
	s_waitcnt lgkmcnt(0)
	s_barrier
	buffer_gl0_inv
	v_cmp_ge_u64_e32 vcc_lo, v[4:5], v[2:3]
	v_readfirstlane_b32 s4, v17
	s_delay_alu instid0(VALU_DEP_1) | instskip(SKIP_1) | instid1(SALU_CYCLE_1)
	s_cmp_lg_u32 s4, 0
	s_cselect_b32 s4, -1, 0
	s_or_b32 s19, vcc_lo, s4
	s_delay_alu instid0(SALU_CYCLE_1) | instskip(NEXT) | instid1(SALU_CYCLE_1)
	s_and_b32 s19, exec_lo, s19
	s_or_b32 s12, s19, s12
	s_and_not1_b32 s13, s13, exec_lo
	s_and_b32 s4, s4, exec_lo
	s_delay_alu instid0(SALU_CYCLE_1)
	s_or_b32 s13, s13, s4
	s_and_not1_b32 exec_lo, exec_lo, s12
	s_cbranch_execz .LBB94_174
.LBB94_169:                             ;   Parent Loop BB94_24 Depth=1
                                        ; =>  This Inner Loop Header: Depth=2
	s_delay_alu instid0(VALU_DEP_1)
	v_cmp_gt_u64_e32 vcc_lo, s[24:25], v[4:5]
	v_mov_b32_e32 v17, 0
	s_and_saveexec_b32 s19, vcc_lo
	s_cbranch_execz .LBB94_171
; %bb.170:                              ;   in Loop: Header=BB94_169 Depth=2
	v_mul_lo_u32 v8, v5, s54
	v_mul_lo_u32 v9, v4, s55
	v_mad_u64_u32 v[6:7], null, v4, s54, 0
	s_delay_alu instid0(VALU_DEP_1) | instskip(NEXT) | instid1(VALU_DEP_1)
	v_add3_u32 v7, v7, v9, v8
	v_lshlrev_b64 v[6:7], 2, v[6:7]
	s_delay_alu instid0(VALU_DEP_1) | instskip(NEXT) | instid1(VALU_DEP_1)
	v_add_co_u32 v6, s4, s27, v6
	v_add_co_ci_u32_e64 v7, s4, s33, v7, s4
	global_load_b32 v17, v[6:7], off
.LBB94_171:                             ;   in Loop: Header=BB94_169 Depth=2
	s_or_b32 exec_lo, exec_lo, s19
	s_and_saveexec_b32 s4, vcc_lo
	s_cbranch_execz .LBB94_168
; %bb.172:                              ;   in Loop: Header=BB94_169 Depth=2
	s_waitcnt vmcnt(0)
	v_xor_b32_e32 v6, 0x80000000, v17
	s_delay_alu instid0(VALU_DEP_1) | instskip(NEXT) | instid1(VALU_DEP_1)
	v_and_b32_e32 v6, s102, v6
	v_cmp_eq_u32_e32 vcc_lo, s101, v6
	s_and_b32 exec_lo, exec_lo, vcc_lo
	s_cbranch_execz .LBB94_168
; %bb.173:                              ;   in Loop: Header=BB94_169 Depth=2
	ds_store_b64 v11, v[16:17] offset:3072
	s_branch .LBB94_168
.LBB94_174:                             ;   in Loop: Header=BB94_24 Depth=1
	s_or_b32 exec_lo, exec_lo, s12
	s_delay_alu instid0(SALU_CYCLE_1)
	s_and_b32 s4, s13, exec_lo
.LBB94_175:                             ;   in Loop: Header=BB94_24 Depth=1
	s_or_b32 exec_lo, exec_lo, s5
	s_mov_b32 s19, -1
	s_mov_b32 s13, 0
	s_mov_b32 s12, 0
.LBB94_176:                             ;   in Loop: Header=BB94_24 Depth=1
	s_mov_b32 s5, 0
                                        ; implicit-def: $sgpr66
	s_and_saveexec_b32 s20, s4
	s_cbranch_execz .LBB94_287
; %bb.177:                              ;   in Loop: Header=BB94_24 Depth=1
	s_xor_b32 s4, s21, -1
	s_mov_b32 s66, 1
	s_and_not1_b32 vcc_lo, exec_lo, s4
	s_cbranch_vccnz .LBB94_188
; %bb.178:                              ;   in Loop: Header=BB94_24 Depth=1
	v_cmp_gt_u64_e64 s4, s[64:65], s[10:11]
                                        ; implicit-def: $sgpr66
                                        ; implicit-def: $sgpr5
                                        ; implicit-def: $sgpr21
	s_delay_alu instid0(VALU_DEP_1)
	s_and_b32 vcc_lo, exec_lo, s4
	s_mov_b32 s4, -1
	s_cbranch_vccnz .LBB94_184
; %bb.179:                              ;   in Loop: Header=BB94_24 Depth=1
	ds_load_b64 v[2:3], v11 offset:5120
	s_waitcnt lgkmcnt(0)
	v_cmp_ne_u64_e32 vcc_lo, 0, v[2:3]
	s_cbranch_vccnz .LBB94_183
; %bb.180:                              ;   in Loop: Header=BB94_24 Depth=1
	s_and_saveexec_b32 s4, s2
	s_cbranch_execz .LBB94_182
; %bb.181:                              ;   in Loop: Header=BB94_24 Depth=1
	v_dual_mov_b32 v2, s10 :: v_dual_mov_b32 v3, s11
	ds_store_b64 v11, v[2:3] offset:5128
.LBB94_182:                             ;   in Loop: Header=BB94_24 Depth=1
	s_or_b32 exec_lo, exec_lo, s4
	s_waitcnt lgkmcnt(0)
	s_barrier
	buffer_gl0_inv
.LBB94_183:                             ;   in Loop: Header=BB94_24 Depth=1
	s_lshl_b32 s4, 1, s17
	s_and_b32 s5, s101, s18
	s_or_b32 s21, s102, s16
	s_or_b32 s5, s5, s4
	s_mov_b32 s4, 0
	s_mov_b32 s66, 8
.LBB94_184:                             ;   in Loop: Header=BB94_24 Depth=1
	s_and_not1_b32 vcc_lo, exec_lo, s4
	s_cbranch_vccnz .LBB94_186
; %bb.185:                              ;   in Loop: Header=BB94_24 Depth=1
	s_sub_u32 s64, s64, s10
	s_subb_u32 s65, s65, s11
	s_mov_b32 s4, -1
	s_mov_b32 s66, 0
	s_mov_b32 s5, s101
	;; [unrolled: 1-line block ×3, first 2 shown]
.LBB94_186:                             ;   in Loop: Header=BB94_24 Depth=1
	s_delay_alu instid0(SALU_CYCLE_1)
	s_mov_b32 s102, s21
	s_mov_b32 s101, s5
	s_and_not1_b32 vcc_lo, exec_lo, s4
	s_mov_b32 s5, -1
	s_cbranch_vccz .LBB94_189
.LBB94_187:                             ;   in Loop: Header=BB94_24 Depth=1
                                        ; implicit-def: $sgpr11
                                        ; implicit-def: $sgpr21
                                        ; implicit-def: $sgpr10
	s_branch .LBB94_286
.LBB94_188:                             ;   in Loop: Header=BB94_24 Depth=1
	s_mov_b64 s[64:65], 1
	s_mov_b32 s5, -1
	s_cbranch_execnz .LBB94_187
.LBB94_189:                             ;   in Loop: Header=BB94_24 Depth=1
	s_cmp_eq_u64 s[8:9], 1
	s_cselect_b32 s4, -1, 0
	s_cmp_eq_u64 s[64:65], 1
	s_cselect_b32 s5, -1, 0
	s_delay_alu instid0(SALU_CYCLE_1)
	s_and_b32 s23, s4, s5
	s_mov_b32 s4, -1
	s_and_b32 vcc_lo, exec_lo, s23
	s_cbranch_vccz .LBB94_204
; %bb.190:                              ;   in Loop: Header=BB94_24 Depth=1
	ds_load_b64 v[2:3], v11 offset:5120
	s_waitcnt lgkmcnt(0)
	s_barrier
	buffer_gl0_inv
	v_readfirstlane_b32 s10, v2
	v_readfirstlane_b32 s11, v3
	s_and_saveexec_b32 s4, s3
	s_cbranch_execz .LBB94_192
; %bb.191:                              ;   in Loop: Header=BB94_24 Depth=1
	ds_store_b32 v24, v11
.LBB94_192:                             ;   in Loop: Header=BB94_24 Depth=1
	s_or_b32 exec_lo, exec_lo, s4
	s_lshl_b32 s4, 2, s17
	s_and_b32 s5, s101, s18
	s_or_b32 s102, s102, s16
	s_or_b32 s101, s5, s4
	s_cmp_eq_u64 s[10:11], 0
	s_waitcnt lgkmcnt(0)
	s_barrier
	buffer_gl0_inv
	s_cbranch_scc1 .LBB94_207
; %bb.193:                              ;   in Loop: Header=BB94_24 Depth=1
	s_add_u32 s21, s83, s10
	s_addc_u32 s5, s84, s11
	s_mov_b32 s4, s67
	s_delay_alu instid0(SALU_CYCLE_1)
	s_cmp_lg_u64 s[4:5], 0
	s_cbranch_scc0 .LBB94_252
; %bb.194:                              ;   in Loop: Header=BB94_24 Depth=1
	v_cvt_f32_u32_e32 v2, s35
	s_sub_u32 s66, 0, s35
	s_subb_u32 s68, 0, 0
	s_delay_alu instid0(VALU_DEP_1) | instskip(NEXT) | instid1(VALU_DEP_1)
	v_fmac_f32_e64 v2, 0, 0x4f800000
	v_rcp_f32_e32 v2, v2
	s_waitcnt_depctr 0xfff
	v_mul_f32_e32 v2, 0x5f7ffffc, v2
	s_delay_alu instid0(VALU_DEP_1) | instskip(NEXT) | instid1(VALU_DEP_1)
	v_mul_f32_e32 v3, 0x2f800000, v2
	v_trunc_f32_e32 v3, v3
	s_delay_alu instid0(VALU_DEP_1) | instskip(SKIP_1) | instid1(VALU_DEP_2)
	v_fmac_f32_e32 v2, 0xcf800000, v3
	v_cvt_u32_f32_e32 v3, v3
	v_cvt_u32_f32_e32 v2, v2
	s_delay_alu instid0(VALU_DEP_2) | instskip(NEXT) | instid1(VALU_DEP_2)
	v_readfirstlane_b32 s4, v3
	v_readfirstlane_b32 s22, v2
	s_delay_alu instid0(VALU_DEP_2) | instskip(NEXT) | instid1(VALU_DEP_1)
	s_mul_i32 s72, s66, s4
	s_mul_hi_u32 s74, s66, s22
	s_mul_i32 s73, s68, s22
	s_add_i32 s72, s74, s72
	s_mul_i32 s75, s66, s22
	s_add_i32 s72, s72, s73
	s_mul_hi_u32 s74, s22, s75
	s_mul_hi_u32 s76, s4, s75
	s_mul_i32 s73, s4, s75
	s_mul_hi_u32 s75, s22, s72
	s_mul_i32 s22, s22, s72
	s_mul_hi_u32 s77, s4, s72
	s_add_u32 s22, s74, s22
	s_addc_u32 s74, 0, s75
	s_add_u32 s22, s22, s73
	s_mul_i32 s72, s4, s72
	s_addc_u32 s22, s74, s76
	s_addc_u32 s73, s77, 0
	s_add_u32 s22, s22, s72
	s_addc_u32 s72, 0, s73
	v_add_co_u32 v2, s22, v2, s22
	s_delay_alu instid0(VALU_DEP_1) | instskip(SKIP_1) | instid1(VALU_DEP_1)
	s_cmp_lg_u32 s22, 0
	s_addc_u32 s4, s4, s72
	v_readfirstlane_b32 s22, v2
	s_mul_i32 s72, s66, s4
	s_delay_alu instid0(VALU_DEP_1)
	s_mul_hi_u32 s73, s66, s22
	s_mul_i32 s68, s68, s22
	s_add_i32 s72, s73, s72
	s_mul_i32 s66, s66, s22
	s_add_i32 s72, s72, s68
	s_mul_hi_u32 s73, s4, s66
	s_mul_i32 s74, s4, s66
	s_mul_hi_u32 s66, s22, s66
	s_mul_hi_u32 s75, s22, s72
	s_mul_i32 s22, s22, s72
	s_mul_hi_u32 s68, s4, s72
	s_add_u32 s22, s66, s22
	s_addc_u32 s66, 0, s75
	s_add_u32 s22, s22, s74
	s_mul_i32 s72, s4, s72
	s_addc_u32 s22, s66, s73
	s_addc_u32 s66, s68, 0
	s_add_u32 s22, s22, s72
	s_addc_u32 s66, 0, s66
	v_add_co_u32 v2, s22, v2, s22
	s_delay_alu instid0(VALU_DEP_1) | instskip(SKIP_1) | instid1(VALU_DEP_1)
	s_cmp_lg_u32 s22, 0
	s_addc_u32 s4, s4, s66
	v_readfirstlane_b32 s22, v2
	s_mul_i32 s68, s21, s4
	s_mul_hi_u32 s66, s21, s4
	s_mul_hi_u32 s72, s5, s4
	s_mul_i32 s4, s5, s4
	s_mul_hi_u32 s73, s21, s22
	s_mul_hi_u32 s74, s5, s22
	s_mul_i32 s22, s5, s22
	s_add_u32 s68, s73, s68
	s_addc_u32 s66, 0, s66
	s_add_u32 s22, s68, s22
	s_addc_u32 s22, s66, s74
	s_addc_u32 s66, s72, 0
	s_add_u32 s4, s22, s4
	s_addc_u32 s22, 0, s66
	s_mul_hi_u32 s66, s35, s4
	s_mul_i32 s4, s35, s4
	s_mul_i32 s22, s35, s22
	v_sub_co_u32 v2, s4, s21, s4
	s_add_i32 s66, s66, s22
	s_cmp_lg_u32 s4, 0
	s_delay_alu instid0(VALU_DEP_1) | instskip(SKIP_2) | instid1(VALU_DEP_1)
	v_sub_co_u32 v3, s4, v2, s35
	s_subb_u32 s22, s5, s66
	s_cmp_lg_u32 s4, 0
	v_cmp_le_u32_e32 vcc_lo, s35, v3
	v_sub_co_u32 v4, s4, v3, s35
	s_subb_u32 s66, s22, 0
	s_cmp_lg_u32 s4, 0
	v_cndmask_b32_e64 v5, 0, -1, vcc_lo
	s_subb_u32 s4, s66, 0
	s_cmp_eq_u32 s66, 0
	v_mov_b32_e32 v7, s4
	s_cselect_b32 vcc_lo, -1, 0
	s_cmp_eq_u32 s22, 0
	v_cndmask_b32_e32 v5, -1, v5, vcc_lo
	v_cmp_le_u32_e32 vcc_lo, s35, v2
	s_cselect_b32 s4, -1, 0
	v_cndmask_b32_e64 v6, 0, -1, vcc_lo
	s_delay_alu instid0(VALU_DEP_3) | instskip(NEXT) | instid1(VALU_DEP_2)
	v_cmp_ne_u32_e32 vcc_lo, 0, v5
	v_cndmask_b32_e64 v5, -1, v6, s4
	v_cndmask_b32_e32 v6, s66, v7, vcc_lo
	v_cndmask_b32_e32 v4, v3, v4, vcc_lo
	s_delay_alu instid0(VALU_DEP_3) | instskip(NEXT) | instid1(VALU_DEP_3)
	v_cmp_ne_u32_e32 vcc_lo, 0, v5
	v_cndmask_b32_e32 v3, s22, v6, vcc_lo
	s_delay_alu instid0(VALU_DEP_3)
	v_cndmask_b32_e32 v2, v2, v4, vcc_lo
	s_cbranch_execnz .LBB94_196
.LBB94_195:                             ;   in Loop: Header=BB94_24 Depth=1
	v_cvt_f32_u32_e32 v2, s35
	s_sub_i32 s4, 0, s35
	s_delay_alu instid0(VALU_DEP_1) | instskip(SKIP_2) | instid1(VALU_DEP_1)
	v_rcp_iflag_f32_e32 v2, v2
	s_waitcnt_depctr 0xfff
	v_mul_f32_e32 v2, 0x4f7ffffe, v2
	v_cvt_u32_f32_e32 v2, v2
	s_delay_alu instid0(VALU_DEP_1) | instskip(NEXT) | instid1(VALU_DEP_1)
	v_mul_lo_u32 v3, s4, v2
	v_mul_hi_u32 v3, v2, v3
	s_delay_alu instid0(VALU_DEP_1) | instskip(NEXT) | instid1(VALU_DEP_1)
	v_add_nc_u32_e32 v2, v2, v3
	v_mul_hi_u32 v2, s21, v2
	s_delay_alu instid0(VALU_DEP_1) | instskip(NEXT) | instid1(VALU_DEP_1)
	v_mul_lo_u32 v2, v2, s35
	v_sub_nc_u32_e32 v2, s21, v2
	s_delay_alu instid0(VALU_DEP_1) | instskip(SKIP_1) | instid1(VALU_DEP_2)
	v_subrev_nc_u32_e32 v3, s35, v2
	v_cmp_le_u32_e32 vcc_lo, s35, v2
	v_cndmask_b32_e32 v2, v2, v3, vcc_lo
	s_delay_alu instid0(VALU_DEP_1) | instskip(SKIP_1) | instid1(VALU_DEP_2)
	v_subrev_nc_u32_e32 v3, s35, v2
	v_cmp_le_u32_e32 vcc_lo, s35, v2
	v_cndmask_b32_e32 v10, v2, v3, vcc_lo
	s_delay_alu instid0(VALU_DEP_1)
	v_dual_mov_b32 v2, v10 :: v_dual_mov_b32 v3, v11
.LBB94_196:                             ;   in Loop: Header=BB94_24 Depth=1
	s_delay_alu instid0(VALU_DEP_1) | instskip(NEXT) | instid1(VALU_DEP_2)
	v_sub_co_u32 v2, vcc_lo, s21, v2
	v_sub_co_ci_u32_e32 v3, vcc_lo, s5, v3, vcc_lo
	s_mov_b32 s4, 0
	s_mov_b32 s5, exec_lo
                                        ; implicit-def: $vgpr18
	s_delay_alu instid0(VALU_DEP_1)
	v_cmpx_gt_u64_e64 v[2:3], v[0:1]
	s_cbranch_execz .LBB94_209
; %bb.197:                              ;   in Loop: Header=BB94_24 Depth=1
	v_dual_mov_b32 v6, v12 :: v_dual_mov_b32 v5, v1
	v_mov_b32_e32 v4, v0
                                        ; implicit-def: $sgpr21
	s_set_inst_prefetch_distance 0x1
	s_branch .LBB94_199
	.p2align	6
.LBB94_198:                             ;   in Loop: Header=BB94_199 Depth=2
	s_or_b32 exec_lo, exec_lo, s22
	s_waitcnt lgkmcnt(0)
	s_barrier
	buffer_gl0_inv
	ds_load_b64 v[17:18], v11 offset:3072
	v_add_co_u32 v4, vcc_lo, v4, s35
	v_add_co_ci_u32_e32 v5, vcc_lo, 0, v5, vcc_lo
	v_add_nc_u32_e32 v6, s91, v6
	s_waitcnt lgkmcnt(0)
	s_barrier
	s_delay_alu instid0(VALU_DEP_2) | instskip(SKIP_2) | instid1(VALU_DEP_1)
	v_cmp_ge_u64_e32 vcc_lo, v[4:5], v[2:3]
	buffer_gl0_inv
	v_readfirstlane_b32 s22, v17
	s_cmp_lg_u32 s22, 0
	s_cselect_b32 s22, -1, 0
	s_delay_alu instid0(SALU_CYCLE_1) | instskip(NEXT) | instid1(SALU_CYCLE_1)
	s_or_b32 s66, vcc_lo, s22
	s_and_b32 s66, exec_lo, s66
	s_delay_alu instid0(SALU_CYCLE_1) | instskip(SKIP_2) | instid1(SALU_CYCLE_1)
	s_or_b32 s4, s66, s4
	s_and_not1_b32 s21, s21, exec_lo
	s_and_b32 s22, s22, exec_lo
	s_or_b32 s21, s21, s22
	s_and_not1_b32 exec_lo, exec_lo, s4
	s_cbranch_execz .LBB94_208
.LBB94_199:                             ;   Parent Loop BB94_24 Depth=1
                                        ; =>  This Inner Loop Header: Depth=2
	s_delay_alu instid0(VALU_DEP_1)
	v_cmp_gt_u64_e32 vcc_lo, s[10:11], v[4:5]
	v_mov_b32_e32 v17, 0
	s_and_saveexec_b32 s22, vcc_lo
	s_cbranch_execz .LBB94_201
; %bb.200:                              ;   in Loop: Header=BB94_199 Depth=2
	ds_load_b32 v17, v6
.LBB94_201:                             ;   in Loop: Header=BB94_199 Depth=2
	s_or_b32 exec_lo, exec_lo, s22
	s_and_saveexec_b32 s22, vcc_lo
	s_cbranch_execz .LBB94_198
; %bb.202:                              ;   in Loop: Header=BB94_199 Depth=2
	s_waitcnt lgkmcnt(0)
	v_xor_b32_e32 v7, 0x80000000, v17
	s_delay_alu instid0(VALU_DEP_1) | instskip(NEXT) | instid1(VALU_DEP_1)
	v_and_b32_e32 v7, s102, v7
	v_cmp_eq_u32_e32 vcc_lo, s101, v7
	s_and_b32 exec_lo, exec_lo, vcc_lo
	s_cbranch_execz .LBB94_198
; %bb.203:                              ;   in Loop: Header=BB94_199 Depth=2
	ds_store_b64 v11, v[16:17] offset:3072
	s_branch .LBB94_198
.LBB94_204:                             ;   in Loop: Header=BB94_24 Depth=1
                                        ; implicit-def: $sgpr10
                                        ; implicit-def: $sgpr21
                                        ; implicit-def: $sgpr11
	s_branch .LBB94_223
.LBB94_205:                             ;   in Loop: Header=BB94_24 Depth=1
                                        ; implicit-def: $vgpr2_vgpr3
	s_branch .LBB94_148
.LBB94_206:                             ;   in Loop: Header=BB94_24 Depth=1
                                        ; implicit-def: $vgpr2_vgpr3
	s_branch .LBB94_165
.LBB94_207:                             ;   in Loop: Header=BB94_24 Depth=1
	s_mov_b32 s10, -1
	s_mov_b32 s4, 0
                                        ; implicit-def: $sgpr11
                                        ; implicit-def: $vgpr18
	s_mov_b32 s21, s10
	s_cbranch_execnz .LBB94_210
	s_branch .LBB94_223
.LBB94_208:                             ;   in Loop: Header=BB94_24 Depth=1
	s_set_inst_prefetch_distance 0x2
	s_or_b32 exec_lo, exec_lo, s4
	s_delay_alu instid0(SALU_CYCLE_1)
	s_and_b32 s4, s21, exec_lo
.LBB94_209:                             ;   in Loop: Header=BB94_24 Depth=1
	s_or_b32 exec_lo, exec_lo, s5
	s_mov_b32 s11, -1
	s_mov_b32 s10, 0
	s_delay_alu instid0(SALU_CYCLE_1)
	s_mov_b32 s21, s10
	s_branch .LBB94_223
.LBB94_210:                             ;   in Loop: Header=BB94_24 Depth=1
	s_mov_b32 s68, s67
	s_delay_alu instid0(SALU_CYCLE_1)
	s_cmp_lg_u64 s[68:69], 0
	s_cbranch_scc0 .LBB94_253
; %bb.211:                              ;   in Loop: Header=BB94_24 Depth=1
	v_cvt_f32_u32_e32 v2, s35
	s_sub_u32 s10, 0, s35
	s_subb_u32 s11, 0, 0
	s_delay_alu instid0(VALU_DEP_1) | instskip(NEXT) | instid1(VALU_DEP_1)
	v_fmac_f32_e64 v2, 0, 0x4f800000
	v_rcp_f32_e32 v2, v2
	s_waitcnt_depctr 0xfff
	v_mul_f32_e32 v2, 0x5f7ffffc, v2
	s_delay_alu instid0(VALU_DEP_1) | instskip(NEXT) | instid1(VALU_DEP_1)
	v_mul_f32_e32 v3, 0x2f800000, v2
	v_trunc_f32_e32 v3, v3
	s_delay_alu instid0(VALU_DEP_1) | instskip(SKIP_1) | instid1(VALU_DEP_2)
	v_fmac_f32_e32 v2, 0xcf800000, v3
	v_cvt_u32_f32_e32 v3, v3
	v_cvt_u32_f32_e32 v2, v2
	s_delay_alu instid0(VALU_DEP_2) | instskip(NEXT) | instid1(VALU_DEP_2)
	v_readfirstlane_b32 s4, v3
	v_readfirstlane_b32 s5, v2
	s_delay_alu instid0(VALU_DEP_2) | instskip(NEXT) | instid1(VALU_DEP_1)
	s_mul_i32 s21, s10, s4
	s_mul_hi_u32 s66, s10, s5
	s_mul_i32 s22, s11, s5
	s_add_i32 s21, s66, s21
	s_mul_i32 s68, s10, s5
	s_add_i32 s21, s21, s22
	s_mul_hi_u32 s66, s5, s68
	s_mul_hi_u32 s72, s4, s68
	s_mul_i32 s22, s4, s68
	s_mul_hi_u32 s68, s5, s21
	s_mul_i32 s5, s5, s21
	s_mul_hi_u32 s73, s4, s21
	s_add_u32 s5, s66, s5
	s_addc_u32 s66, 0, s68
	s_add_u32 s5, s5, s22
	s_mul_i32 s21, s4, s21
	s_addc_u32 s5, s66, s72
	s_addc_u32 s22, s73, 0
	s_add_u32 s5, s5, s21
	s_addc_u32 s21, 0, s22
	v_add_co_u32 v2, s5, v2, s5
	s_delay_alu instid0(VALU_DEP_1) | instskip(SKIP_1) | instid1(VALU_DEP_1)
	s_cmp_lg_u32 s5, 0
	s_addc_u32 s4, s4, s21
	v_readfirstlane_b32 s5, v2
	s_mul_i32 s21, s10, s4
	s_delay_alu instid0(VALU_DEP_1)
	s_mul_hi_u32 s22, s10, s5
	s_mul_i32 s11, s11, s5
	s_add_i32 s21, s22, s21
	s_mul_i32 s10, s10, s5
	s_add_i32 s21, s21, s11
	s_mul_hi_u32 s22, s4, s10
	s_mul_i32 s66, s4, s10
	s_mul_hi_u32 s10, s5, s10
	s_mul_hi_u32 s68, s5, s21
	s_mul_i32 s5, s5, s21
	s_mul_hi_u32 s11, s4, s21
	s_add_u32 s5, s10, s5
	s_addc_u32 s10, 0, s68
	s_add_u32 s5, s5, s66
	s_mul_i32 s21, s4, s21
	s_addc_u32 s5, s10, s22
	s_addc_u32 s10, s11, 0
	s_add_u32 s5, s5, s21
	s_addc_u32 s10, 0, s10
	v_add_co_u32 v2, s5, v2, s5
	s_delay_alu instid0(VALU_DEP_1) | instskip(SKIP_1) | instid1(VALU_DEP_1)
	s_cmp_lg_u32 s5, 0
	s_addc_u32 s4, s4, s10
	v_readfirstlane_b32 s5, v2
	s_mul_i32 s11, s85, s4
	s_mul_hi_u32 s10, s85, s4
	s_mul_hi_u32 s21, s69, s4
	s_mul_i32 s4, s69, s4
	s_mul_hi_u32 s22, s85, s5
	s_mul_hi_u32 s66, s69, s5
	s_mul_i32 s5, s69, s5
	s_add_u32 s11, s22, s11
	s_addc_u32 s10, 0, s10
	s_add_u32 s5, s11, s5
	s_addc_u32 s5, s10, s66
	s_addc_u32 s10, s21, 0
	s_add_u32 s4, s5, s4
	s_addc_u32 s5, 0, s10
	s_mul_hi_u32 s10, s35, s4
	s_mul_i32 s4, s35, s4
	s_mul_i32 s5, s35, s5
	v_sub_co_u32 v2, s4, s85, s4
	s_add_i32 s10, s10, s5
	s_cmp_lg_u32 s4, 0
	s_delay_alu instid0(VALU_DEP_1) | instskip(SKIP_2) | instid1(VALU_DEP_1)
	v_sub_co_u32 v3, s4, v2, s35
	s_subb_u32 s5, s69, s10
	s_cmp_lg_u32 s4, 0
	v_cmp_le_u32_e32 vcc_lo, s35, v3
	v_sub_co_u32 v4, s4, v3, s35
	s_subb_u32 s10, s5, 0
	s_cmp_lg_u32 s4, 0
	v_cndmask_b32_e64 v5, 0, -1, vcc_lo
	s_subb_u32 s4, s10, 0
	s_cmp_eq_u32 s10, 0
	v_mov_b32_e32 v7, s4
	s_cselect_b32 vcc_lo, -1, 0
	s_cmp_eq_u32 s5, 0
	v_cndmask_b32_e32 v5, -1, v5, vcc_lo
	v_cmp_le_u32_e32 vcc_lo, s35, v2
	s_cselect_b32 s4, -1, 0
	v_cndmask_b32_e64 v6, 0, -1, vcc_lo
	s_delay_alu instid0(VALU_DEP_3) | instskip(NEXT) | instid1(VALU_DEP_2)
	v_cmp_ne_u32_e32 vcc_lo, 0, v5
	v_cndmask_b32_e64 v5, -1, v6, s4
	v_cndmask_b32_e32 v6, s10, v7, vcc_lo
	v_cndmask_b32_e32 v4, v3, v4, vcc_lo
	s_delay_alu instid0(VALU_DEP_3) | instskip(NEXT) | instid1(VALU_DEP_3)
	v_cmp_ne_u32_e32 vcc_lo, 0, v5
	v_cndmask_b32_e32 v3, s5, v6, vcc_lo
	s_delay_alu instid0(VALU_DEP_3)
	v_cndmask_b32_e32 v2, v2, v4, vcc_lo
	s_cbranch_execnz .LBB94_213
.LBB94_212:                             ;   in Loop: Header=BB94_24 Depth=1
	v_cvt_f32_u32_e32 v2, s35
	s_sub_i32 s4, 0, s35
	s_delay_alu instid0(VALU_DEP_1) | instskip(SKIP_2) | instid1(VALU_DEP_1)
	v_rcp_iflag_f32_e32 v2, v2
	s_waitcnt_depctr 0xfff
	v_mul_f32_e32 v2, 0x4f7ffffe, v2
	v_cvt_u32_f32_e32 v2, v2
	s_delay_alu instid0(VALU_DEP_1) | instskip(NEXT) | instid1(VALU_DEP_1)
	v_mul_lo_u32 v3, s4, v2
	v_mul_hi_u32 v3, v2, v3
	s_delay_alu instid0(VALU_DEP_1) | instskip(NEXT) | instid1(VALU_DEP_1)
	v_add_nc_u32_e32 v2, v2, v3
	v_mul_hi_u32 v2, s85, v2
	s_delay_alu instid0(VALU_DEP_1) | instskip(NEXT) | instid1(VALU_DEP_1)
	v_mul_lo_u32 v2, v2, s35
	v_sub_nc_u32_e32 v2, s85, v2
	s_delay_alu instid0(VALU_DEP_1) | instskip(SKIP_1) | instid1(VALU_DEP_2)
	v_subrev_nc_u32_e32 v3, s35, v2
	v_cmp_le_u32_e32 vcc_lo, s35, v2
	v_cndmask_b32_e32 v2, v2, v3, vcc_lo
	s_delay_alu instid0(VALU_DEP_1) | instskip(SKIP_1) | instid1(VALU_DEP_2)
	v_subrev_nc_u32_e32 v3, s35, v2
	v_cmp_le_u32_e32 vcc_lo, s35, v2
	v_cndmask_b32_e32 v10, v2, v3, vcc_lo
	s_delay_alu instid0(VALU_DEP_1)
	v_dual_mov_b32 v2, v10 :: v_dual_mov_b32 v3, v11
.LBB94_213:                             ;   in Loop: Header=BB94_24 Depth=1
	s_delay_alu instid0(VALU_DEP_1) | instskip(NEXT) | instid1(VALU_DEP_2)
	v_sub_co_u32 v2, vcc_lo, s85, v2
	v_sub_co_ci_u32_e32 v3, vcc_lo, s69, v3, vcc_lo
	s_mov_b32 s4, 0
	s_mov_b32 s5, exec_lo
                                        ; implicit-def: $vgpr18
	s_delay_alu instid0(VALU_DEP_1)
	v_cmpx_gt_u64_e64 v[2:3], v[0:1]
	s_cbranch_execz .LBB94_222
; %bb.214:                              ;   in Loop: Header=BB94_24 Depth=1
	v_dual_mov_b32 v5, v1 :: v_dual_mov_b32 v4, v0
	s_mov_b32 s10, 0
                                        ; implicit-def: $sgpr11
	s_branch .LBB94_216
.LBB94_215:                             ;   in Loop: Header=BB94_216 Depth=2
	s_or_b32 exec_lo, exec_lo, s4
	s_waitcnt vmcnt(0) lgkmcnt(0)
	s_barrier
	buffer_gl0_inv
	ds_load_b64 v[17:18], v11 offset:3072
	v_add_co_u32 v4, vcc_lo, v4, s35
	v_add_co_ci_u32_e32 v5, vcc_lo, 0, v5, vcc_lo
	s_waitcnt lgkmcnt(0)
	s_barrier
	buffer_gl0_inv
	v_cmp_ge_u64_e32 vcc_lo, v[4:5], v[2:3]
	v_readfirstlane_b32 s4, v17
	s_delay_alu instid0(VALU_DEP_1) | instskip(SKIP_1) | instid1(SALU_CYCLE_1)
	s_cmp_lg_u32 s4, 0
	s_cselect_b32 s4, -1, 0
	s_or_b32 s21, vcc_lo, s4
	s_delay_alu instid0(SALU_CYCLE_1) | instskip(NEXT) | instid1(SALU_CYCLE_1)
	s_and_b32 s21, exec_lo, s21
	s_or_b32 s10, s21, s10
	s_and_not1_b32 s11, s11, exec_lo
	s_and_b32 s4, s4, exec_lo
	s_delay_alu instid0(SALU_CYCLE_1)
	s_or_b32 s11, s11, s4
	s_and_not1_b32 exec_lo, exec_lo, s10
	s_cbranch_execz .LBB94_221
.LBB94_216:                             ;   Parent Loop BB94_24 Depth=1
                                        ; =>  This Inner Loop Header: Depth=2
	s_delay_alu instid0(VALU_DEP_1)
	v_cmp_gt_u64_e32 vcc_lo, s[24:25], v[4:5]
	v_mov_b32_e32 v17, 0
	s_and_saveexec_b32 s21, vcc_lo
	s_cbranch_execz .LBB94_218
; %bb.217:                              ;   in Loop: Header=BB94_216 Depth=2
	v_mul_lo_u32 v8, v5, s54
	v_mul_lo_u32 v9, v4, s55
	v_mad_u64_u32 v[6:7], null, v4, s54, 0
	s_delay_alu instid0(VALU_DEP_1) | instskip(NEXT) | instid1(VALU_DEP_1)
	v_add3_u32 v7, v7, v9, v8
	v_lshlrev_b64 v[6:7], 2, v[6:7]
	s_delay_alu instid0(VALU_DEP_1) | instskip(NEXT) | instid1(VALU_DEP_1)
	v_add_co_u32 v6, s4, s27, v6
	v_add_co_ci_u32_e64 v7, s4, s33, v7, s4
	global_load_b32 v17, v[6:7], off
.LBB94_218:                             ;   in Loop: Header=BB94_216 Depth=2
	s_or_b32 exec_lo, exec_lo, s21
	s_and_saveexec_b32 s4, vcc_lo
	s_cbranch_execz .LBB94_215
; %bb.219:                              ;   in Loop: Header=BB94_216 Depth=2
	s_waitcnt vmcnt(0)
	v_xor_b32_e32 v6, 0x80000000, v17
	s_delay_alu instid0(VALU_DEP_1) | instskip(NEXT) | instid1(VALU_DEP_1)
	v_and_b32_e32 v6, s102, v6
	v_cmp_eq_u32_e32 vcc_lo, s101, v6
	s_and_b32 exec_lo, exec_lo, vcc_lo
	s_cbranch_execz .LBB94_215
; %bb.220:                              ;   in Loop: Header=BB94_216 Depth=2
	ds_store_b64 v11, v[16:17] offset:3072
	s_branch .LBB94_215
.LBB94_221:                             ;   in Loop: Header=BB94_24 Depth=1
	s_or_b32 exec_lo, exec_lo, s10
	s_delay_alu instid0(SALU_CYCLE_1)
	s_and_b32 s4, s11, exec_lo
.LBB94_222:                             ;   in Loop: Header=BB94_24 Depth=1
	s_or_b32 exec_lo, exec_lo, s5
	s_mov_b32 s21, -1
	s_mov_b32 s10, 0
	s_mov_b32 s11, 0
.LBB94_223:                             ;   in Loop: Header=BB94_24 Depth=1
	s_mov_b32 s5, 0
                                        ; implicit-def: $sgpr66
	s_and_saveexec_b32 s22, s4
	s_cbranch_execz .LBB94_285
; %bb.224:                              ;   in Loop: Header=BB94_24 Depth=1
	s_xor_b32 s4, s23, -1
	s_mov_b32 s66, 1
	s_and_not1_b32 vcc_lo, exec_lo, s4
	s_cbranch_vccnz .LBB94_235
; %bb.225:                              ;   in Loop: Header=BB94_24 Depth=1
	v_cmp_gt_u64_e64 s4, s[64:65], s[8:9]
                                        ; implicit-def: $sgpr66
                                        ; implicit-def: $sgpr5
                                        ; implicit-def: $sgpr23
	s_delay_alu instid0(VALU_DEP_1)
	s_and_b32 vcc_lo, exec_lo, s4
	s_mov_b32 s4, -1
	s_cbranch_vccnz .LBB94_231
; %bb.226:                              ;   in Loop: Header=BB94_24 Depth=1
	ds_load_b64 v[2:3], v11 offset:5120
	s_waitcnt lgkmcnt(0)
	v_cmp_ne_u64_e32 vcc_lo, 0, v[2:3]
	s_cbranch_vccnz .LBB94_230
; %bb.227:                              ;   in Loop: Header=BB94_24 Depth=1
	s_and_saveexec_b32 s4, s2
	s_cbranch_execz .LBB94_229
; %bb.228:                              ;   in Loop: Header=BB94_24 Depth=1
	v_dual_mov_b32 v2, s8 :: v_dual_mov_b32 v3, s9
	ds_store_b64 v11, v[2:3] offset:5128
.LBB94_229:                             ;   in Loop: Header=BB94_24 Depth=1
	s_or_b32 exec_lo, exec_lo, s4
	s_waitcnt lgkmcnt(0)
	s_barrier
	buffer_gl0_inv
.LBB94_230:                             ;   in Loop: Header=BB94_24 Depth=1
	s_lshl_b32 s4, 2, s17
	s_and_b32 s5, s101, s18
	s_or_b32 s23, s102, s16
	s_or_b32 s5, s5, s4
	s_mov_b32 s4, 0
	s_mov_b32 s66, 8
.LBB94_231:                             ;   in Loop: Header=BB94_24 Depth=1
	s_and_not1_b32 vcc_lo, exec_lo, s4
	s_cbranch_vccnz .LBB94_233
; %bb.232:                              ;   in Loop: Header=BB94_24 Depth=1
	s_sub_u32 s64, s64, s8
	s_subb_u32 s65, s65, s9
	s_mov_b32 s4, -1
	s_mov_b32 s66, 0
	s_mov_b32 s5, s101
	;; [unrolled: 1-line block ×3, first 2 shown]
.LBB94_233:                             ;   in Loop: Header=BB94_24 Depth=1
	s_delay_alu instid0(SALU_CYCLE_1)
	s_mov_b32 s102, s23
	s_mov_b32 s101, s5
	s_and_not1_b32 vcc_lo, exec_lo, s4
	s_mov_b32 s72, -1
	s_cbranch_vccz .LBB94_236
.LBB94_234:                             ;   in Loop: Header=BB94_24 Depth=1
                                        ; implicit-def: $sgpr8
                                        ; implicit-def: $sgpr18
                                        ; implicit-def: $sgpr9
	s_branch .LBB94_284
.LBB94_235:                             ;   in Loop: Header=BB94_24 Depth=1
	s_mov_b64 s[64:65], 1
	s_mov_b32 s72, -1
	s_cbranch_execnz .LBB94_234
.LBB94_236:                             ;   in Loop: Header=BB94_24 Depth=1
	s_cmp_eq_u64 s[6:7], 1
	s_mov_b32 s23, -1
	s_cselect_b32 s4, -1, 0
	s_cmp_eq_u64 s[64:65], 1
	s_cselect_b32 s5, -1, 0
	s_delay_alu instid0(SALU_CYCLE_1) | instskip(NEXT) | instid1(SALU_CYCLE_1)
	s_and_b32 s17, s4, s5
	s_and_b32 vcc_lo, exec_lo, s17
	s_cbranch_vccz .LBB94_251
; %bb.237:                              ;   in Loop: Header=BB94_24 Depth=1
	ds_load_b64 v[2:3], v11 offset:5120
	s_waitcnt lgkmcnt(0)
	s_barrier
	buffer_gl0_inv
	v_readfirstlane_b32 s8, v2
	v_readfirstlane_b32 s9, v3
	s_and_saveexec_b32 s4, s3
	s_cbranch_execz .LBB94_239
; %bb.238:                              ;   in Loop: Header=BB94_24 Depth=1
	ds_store_b32 v24, v11
.LBB94_239:                             ;   in Loop: Header=BB94_24 Depth=1
	s_or_b32 exec_lo, exec_lo, s4
	s_or_b32 s101, s101, s16
	s_or_b32 s102, s102, s16
	s_cmp_eq_u64 s[8:9], 0
	s_waitcnt lgkmcnt(0)
	s_barrier
	buffer_gl0_inv
	s_cbranch_scc1 .LBB94_254
; %bb.240:                              ;   in Loop: Header=BB94_24 Depth=1
	s_add_u32 s18, s83, s8
	s_addc_u32 s5, s84, s9
	s_mov_b32 s4, s67
	s_delay_alu instid0(SALU_CYCLE_1)
	s_cmp_lg_u64 s[4:5], 0
	s_cbranch_scc0 .LBB94_290
; %bb.241:                              ;   in Loop: Header=BB94_24 Depth=1
	v_cvt_f32_u32_e32 v2, s35
	s_sub_u32 s66, 0, s35
	s_subb_u32 s68, 0, 0
	s_delay_alu instid0(VALU_DEP_1) | instskip(NEXT) | instid1(VALU_DEP_1)
	v_fmac_f32_e64 v2, 0, 0x4f800000
	v_rcp_f32_e32 v2, v2
	s_waitcnt_depctr 0xfff
	v_mul_f32_e32 v2, 0x5f7ffffc, v2
	s_delay_alu instid0(VALU_DEP_1) | instskip(NEXT) | instid1(VALU_DEP_1)
	v_mul_f32_e32 v3, 0x2f800000, v2
	v_trunc_f32_e32 v3, v3
	s_delay_alu instid0(VALU_DEP_1) | instskip(SKIP_1) | instid1(VALU_DEP_2)
	v_fmac_f32_e32 v2, 0xcf800000, v3
	v_cvt_u32_f32_e32 v3, v3
	v_cvt_u32_f32_e32 v2, v2
	s_delay_alu instid0(VALU_DEP_2) | instskip(NEXT) | instid1(VALU_DEP_2)
	v_readfirstlane_b32 s4, v3
	v_readfirstlane_b32 s23, v2
	s_delay_alu instid0(VALU_DEP_2) | instskip(NEXT) | instid1(VALU_DEP_1)
	s_mul_i32 s72, s66, s4
	s_mul_hi_u32 s74, s66, s23
	s_mul_i32 s73, s68, s23
	s_add_i32 s72, s74, s72
	s_mul_i32 s75, s66, s23
	s_add_i32 s72, s72, s73
	s_mul_hi_u32 s74, s23, s75
	s_mul_hi_u32 s76, s4, s75
	s_mul_i32 s73, s4, s75
	s_mul_hi_u32 s75, s23, s72
	s_mul_i32 s23, s23, s72
	s_mul_hi_u32 s77, s4, s72
	s_add_u32 s23, s74, s23
	s_addc_u32 s74, 0, s75
	s_add_u32 s23, s23, s73
	s_mul_i32 s72, s4, s72
	s_addc_u32 s23, s74, s76
	s_addc_u32 s73, s77, 0
	s_add_u32 s23, s23, s72
	s_addc_u32 s72, 0, s73
	v_add_co_u32 v2, s23, v2, s23
	s_delay_alu instid0(VALU_DEP_1) | instskip(SKIP_1) | instid1(VALU_DEP_1)
	s_cmp_lg_u32 s23, 0
	s_addc_u32 s4, s4, s72
	v_readfirstlane_b32 s23, v2
	s_mul_i32 s72, s66, s4
	s_delay_alu instid0(VALU_DEP_1)
	s_mul_hi_u32 s73, s66, s23
	s_mul_i32 s68, s68, s23
	s_add_i32 s72, s73, s72
	s_mul_i32 s66, s66, s23
	s_add_i32 s72, s72, s68
	s_mul_hi_u32 s73, s4, s66
	s_mul_i32 s74, s4, s66
	s_mul_hi_u32 s66, s23, s66
	s_mul_hi_u32 s75, s23, s72
	s_mul_i32 s23, s23, s72
	s_mul_hi_u32 s68, s4, s72
	s_add_u32 s23, s66, s23
	s_addc_u32 s66, 0, s75
	s_add_u32 s23, s23, s74
	s_mul_i32 s72, s4, s72
	s_addc_u32 s23, s66, s73
	s_addc_u32 s66, s68, 0
	s_add_u32 s23, s23, s72
	s_addc_u32 s66, 0, s66
	v_add_co_u32 v2, s23, v2, s23
	s_delay_alu instid0(VALU_DEP_1) | instskip(SKIP_1) | instid1(VALU_DEP_1)
	s_cmp_lg_u32 s23, 0
	s_addc_u32 s4, s4, s66
	v_readfirstlane_b32 s23, v2
	s_mul_i32 s68, s18, s4
	s_mul_hi_u32 s66, s18, s4
	s_mul_hi_u32 s72, s5, s4
	s_mul_i32 s4, s5, s4
	s_mul_hi_u32 s73, s18, s23
	s_mul_hi_u32 s74, s5, s23
	s_mul_i32 s23, s5, s23
	s_add_u32 s68, s73, s68
	s_addc_u32 s66, 0, s66
	s_add_u32 s23, s68, s23
	s_addc_u32 s23, s66, s74
	s_addc_u32 s66, s72, 0
	s_add_u32 s4, s23, s4
	s_addc_u32 s23, 0, s66
	s_mul_hi_u32 s66, s35, s4
	s_mul_i32 s4, s35, s4
	s_mul_i32 s23, s35, s23
	v_sub_co_u32 v2, s4, s18, s4
	s_add_i32 s66, s66, s23
	s_cmp_lg_u32 s4, 0
	s_delay_alu instid0(VALU_DEP_1) | instskip(SKIP_2) | instid1(VALU_DEP_1)
	v_sub_co_u32 v3, s4, v2, s35
	s_subb_u32 s23, s5, s66
	s_cmp_lg_u32 s4, 0
	v_cmp_le_u32_e32 vcc_lo, s35, v3
	v_sub_co_u32 v4, s4, v3, s35
	s_subb_u32 s66, s23, 0
	s_cmp_lg_u32 s4, 0
	v_cndmask_b32_e64 v5, 0, -1, vcc_lo
	s_subb_u32 s4, s66, 0
	s_cmp_eq_u32 s66, 0
	v_mov_b32_e32 v7, s4
	s_cselect_b32 vcc_lo, -1, 0
	s_cmp_eq_u32 s23, 0
	v_cndmask_b32_e32 v5, -1, v5, vcc_lo
	v_cmp_le_u32_e32 vcc_lo, s35, v2
	s_cselect_b32 s4, -1, 0
	v_cndmask_b32_e64 v6, 0, -1, vcc_lo
	s_delay_alu instid0(VALU_DEP_3) | instskip(NEXT) | instid1(VALU_DEP_2)
	v_cmp_ne_u32_e32 vcc_lo, 0, v5
	v_cndmask_b32_e64 v5, -1, v6, s4
	v_cndmask_b32_e32 v6, s66, v7, vcc_lo
	v_cndmask_b32_e32 v4, v3, v4, vcc_lo
	s_delay_alu instid0(VALU_DEP_3) | instskip(NEXT) | instid1(VALU_DEP_3)
	v_cmp_ne_u32_e32 vcc_lo, 0, v5
	v_cndmask_b32_e32 v3, s23, v6, vcc_lo
	s_delay_alu instid0(VALU_DEP_3)
	v_cndmask_b32_e32 v2, v2, v4, vcc_lo
	s_cbranch_execnz .LBB94_243
.LBB94_242:                             ;   in Loop: Header=BB94_24 Depth=1
	v_cvt_f32_u32_e32 v2, s35
	s_sub_i32 s4, 0, s35
	s_delay_alu instid0(VALU_DEP_1) | instskip(SKIP_2) | instid1(VALU_DEP_1)
	v_rcp_iflag_f32_e32 v2, v2
	s_waitcnt_depctr 0xfff
	v_mul_f32_e32 v2, 0x4f7ffffe, v2
	v_cvt_u32_f32_e32 v2, v2
	s_delay_alu instid0(VALU_DEP_1) | instskip(NEXT) | instid1(VALU_DEP_1)
	v_mul_lo_u32 v3, s4, v2
	v_mul_hi_u32 v3, v2, v3
	s_delay_alu instid0(VALU_DEP_1) | instskip(NEXT) | instid1(VALU_DEP_1)
	v_add_nc_u32_e32 v2, v2, v3
	v_mul_hi_u32 v2, s18, v2
	s_delay_alu instid0(VALU_DEP_1) | instskip(NEXT) | instid1(VALU_DEP_1)
	v_mul_lo_u32 v2, v2, s35
	v_sub_nc_u32_e32 v2, s18, v2
	s_delay_alu instid0(VALU_DEP_1) | instskip(SKIP_1) | instid1(VALU_DEP_2)
	v_subrev_nc_u32_e32 v3, s35, v2
	v_cmp_le_u32_e32 vcc_lo, s35, v2
	v_cndmask_b32_e32 v2, v2, v3, vcc_lo
	s_delay_alu instid0(VALU_DEP_1) | instskip(SKIP_1) | instid1(VALU_DEP_2)
	v_subrev_nc_u32_e32 v3, s35, v2
	v_cmp_le_u32_e32 vcc_lo, s35, v2
	v_cndmask_b32_e32 v10, v2, v3, vcc_lo
	s_delay_alu instid0(VALU_DEP_1)
	v_dual_mov_b32 v2, v10 :: v_dual_mov_b32 v3, v11
.LBB94_243:                             ;   in Loop: Header=BB94_24 Depth=1
	s_delay_alu instid0(VALU_DEP_1) | instskip(NEXT) | instid1(VALU_DEP_2)
	v_sub_co_u32 v2, vcc_lo, s18, v2
	v_sub_co_ci_u32_e32 v3, vcc_lo, s5, v3, vcc_lo
	s_mov_b32 s23, 0
	s_mov_b32 s4, exec_lo
                                        ; implicit-def: $vgpr18
	s_delay_alu instid0(VALU_DEP_1)
	v_cmpx_gt_u64_e64 v[2:3], v[0:1]
	s_cbranch_execz .LBB94_256
; %bb.244:                              ;   in Loop: Header=BB94_24 Depth=1
	v_dual_mov_b32 v6, v12 :: v_dual_mov_b32 v5, v1
	v_mov_b32_e32 v4, v0
	s_mov_b32 s5, 0
                                        ; implicit-def: $sgpr18
	s_set_inst_prefetch_distance 0x1
	s_branch .LBB94_246
	.p2align	6
.LBB94_245:                             ;   in Loop: Header=BB94_246 Depth=2
	s_or_b32 exec_lo, exec_lo, s23
	s_waitcnt lgkmcnt(0)
	s_barrier
	buffer_gl0_inv
	ds_load_b64 v[17:18], v11 offset:3072
	v_add_co_u32 v4, vcc_lo, v4, s35
	v_add_co_ci_u32_e32 v5, vcc_lo, 0, v5, vcc_lo
	v_add_nc_u32_e32 v6, s91, v6
	s_waitcnt lgkmcnt(0)
	s_barrier
	s_delay_alu instid0(VALU_DEP_2) | instskip(SKIP_2) | instid1(VALU_DEP_1)
	v_cmp_ge_u64_e32 vcc_lo, v[4:5], v[2:3]
	buffer_gl0_inv
	v_readfirstlane_b32 s23, v17
	s_cmp_lg_u32 s23, 0
	s_cselect_b32 s23, -1, 0
	s_delay_alu instid0(SALU_CYCLE_1) | instskip(NEXT) | instid1(SALU_CYCLE_1)
	s_or_b32 s66, vcc_lo, s23
	s_and_b32 s66, exec_lo, s66
	s_delay_alu instid0(SALU_CYCLE_1) | instskip(SKIP_2) | instid1(SALU_CYCLE_1)
	s_or_b32 s5, s66, s5
	s_and_not1_b32 s18, s18, exec_lo
	s_and_b32 s23, s23, exec_lo
	s_or_b32 s18, s18, s23
	s_and_not1_b32 exec_lo, exec_lo, s5
	s_cbranch_execz .LBB94_255
.LBB94_246:                             ;   Parent Loop BB94_24 Depth=1
                                        ; =>  This Inner Loop Header: Depth=2
	s_delay_alu instid0(VALU_DEP_1)
	v_cmp_gt_u64_e32 vcc_lo, s[8:9], v[4:5]
	v_mov_b32_e32 v17, 0
	s_and_saveexec_b32 s23, vcc_lo
	s_cbranch_execz .LBB94_248
; %bb.247:                              ;   in Loop: Header=BB94_246 Depth=2
	ds_load_b32 v17, v6
.LBB94_248:                             ;   in Loop: Header=BB94_246 Depth=2
	s_or_b32 exec_lo, exec_lo, s23
	s_and_saveexec_b32 s23, vcc_lo
	s_cbranch_execz .LBB94_245
; %bb.249:                              ;   in Loop: Header=BB94_246 Depth=2
	s_waitcnt lgkmcnt(0)
	v_xor_b32_e32 v7, 0x80000000, v17
	s_delay_alu instid0(VALU_DEP_1) | instskip(NEXT) | instid1(VALU_DEP_1)
	v_and_b32_e32 v7, s102, v7
	v_cmp_eq_u32_e32 vcc_lo, s101, v7
	s_and_b32 exec_lo, exec_lo, vcc_lo
	s_cbranch_execz .LBB94_245
; %bb.250:                              ;   in Loop: Header=BB94_246 Depth=2
	ds_store_b64 v11, v[16:17] offset:3072
	s_branch .LBB94_245
.LBB94_251:                             ;   in Loop: Header=BB94_24 Depth=1
                                        ; implicit-def: $sgpr8
                                        ; implicit-def: $sgpr18
                                        ; implicit-def: $sgpr9
	s_branch .LBB94_270
.LBB94_252:                             ;   in Loop: Header=BB94_24 Depth=1
                                        ; implicit-def: $vgpr2_vgpr3
	s_branch .LBB94_195
.LBB94_253:                             ;   in Loop: Header=BB94_24 Depth=1
                                        ; implicit-def: $vgpr2_vgpr3
	s_branch .LBB94_212
.LBB94_254:                             ;   in Loop: Header=BB94_24 Depth=1
	s_mov_b32 s8, -1
	s_mov_b32 s23, 0
                                        ; implicit-def: $sgpr9
                                        ; implicit-def: $vgpr18
	s_mov_b32 s18, s8
	s_cbranch_execnz .LBB94_257
	s_branch .LBB94_270
.LBB94_255:                             ;   in Loop: Header=BB94_24 Depth=1
	s_set_inst_prefetch_distance 0x2
	s_or_b32 exec_lo, exec_lo, s5
	s_delay_alu instid0(SALU_CYCLE_1)
	s_and_b32 s23, s18, exec_lo
.LBB94_256:                             ;   in Loop: Header=BB94_24 Depth=1
	s_or_b32 exec_lo, exec_lo, s4
	s_mov_b32 s9, -1
	s_mov_b32 s8, 0
	s_delay_alu instid0(SALU_CYCLE_1)
	s_mov_b32 s18, s8
	s_branch .LBB94_270
.LBB94_257:                             ;   in Loop: Header=BB94_24 Depth=1
	s_mov_b32 s68, s67
	s_delay_alu instid0(SALU_CYCLE_1)
	s_cmp_lg_u64 s[68:69], 0
	s_cbranch_scc0 .LBB94_291
; %bb.258:                              ;   in Loop: Header=BB94_24 Depth=1
	v_cvt_f32_u32_e32 v2, s35
	s_sub_u32 s8, 0, s35
	s_subb_u32 s9, 0, 0
	s_delay_alu instid0(VALU_DEP_1) | instskip(NEXT) | instid1(VALU_DEP_1)
	v_fmac_f32_e64 v2, 0, 0x4f800000
	v_rcp_f32_e32 v2, v2
	s_waitcnt_depctr 0xfff
	v_mul_f32_e32 v2, 0x5f7ffffc, v2
	s_delay_alu instid0(VALU_DEP_1) | instskip(NEXT) | instid1(VALU_DEP_1)
	v_mul_f32_e32 v3, 0x2f800000, v2
	v_trunc_f32_e32 v3, v3
	s_delay_alu instid0(VALU_DEP_1) | instskip(SKIP_1) | instid1(VALU_DEP_2)
	v_fmac_f32_e32 v2, 0xcf800000, v3
	v_cvt_u32_f32_e32 v3, v3
	v_cvt_u32_f32_e32 v2, v2
	s_delay_alu instid0(VALU_DEP_2) | instskip(NEXT) | instid1(VALU_DEP_2)
	v_readfirstlane_b32 s4, v3
	v_readfirstlane_b32 s5, v2
	s_delay_alu instid0(VALU_DEP_2) | instskip(NEXT) | instid1(VALU_DEP_1)
	s_mul_i32 s18, s8, s4
	s_mul_hi_u32 s66, s8, s5
	s_mul_i32 s23, s9, s5
	s_add_i32 s18, s66, s18
	s_mul_i32 s68, s8, s5
	s_add_i32 s18, s18, s23
	s_mul_hi_u32 s66, s5, s68
	s_mul_hi_u32 s72, s4, s68
	s_mul_i32 s23, s4, s68
	s_mul_hi_u32 s68, s5, s18
	s_mul_i32 s5, s5, s18
	s_mul_hi_u32 s73, s4, s18
	s_add_u32 s5, s66, s5
	s_addc_u32 s66, 0, s68
	s_add_u32 s5, s5, s23
	s_mul_i32 s18, s4, s18
	s_addc_u32 s5, s66, s72
	s_addc_u32 s23, s73, 0
	s_add_u32 s5, s5, s18
	s_addc_u32 s18, 0, s23
	v_add_co_u32 v2, s5, v2, s5
	s_delay_alu instid0(VALU_DEP_1) | instskip(SKIP_1) | instid1(VALU_DEP_1)
	s_cmp_lg_u32 s5, 0
	s_addc_u32 s4, s4, s18
	v_readfirstlane_b32 s5, v2
	s_mul_i32 s18, s8, s4
	s_delay_alu instid0(VALU_DEP_1)
	s_mul_hi_u32 s23, s8, s5
	s_mul_i32 s9, s9, s5
	s_add_i32 s18, s23, s18
	s_mul_i32 s8, s8, s5
	s_add_i32 s18, s18, s9
	s_mul_hi_u32 s23, s4, s8
	s_mul_i32 s66, s4, s8
	s_mul_hi_u32 s8, s5, s8
	s_mul_hi_u32 s68, s5, s18
	s_mul_i32 s5, s5, s18
	s_mul_hi_u32 s9, s4, s18
	s_add_u32 s5, s8, s5
	s_addc_u32 s8, 0, s68
	s_add_u32 s5, s5, s66
	s_mul_i32 s18, s4, s18
	s_addc_u32 s5, s8, s23
	s_addc_u32 s8, s9, 0
	s_add_u32 s5, s5, s18
	s_addc_u32 s8, 0, s8
	v_add_co_u32 v2, s5, v2, s5
	s_delay_alu instid0(VALU_DEP_1) | instskip(SKIP_1) | instid1(VALU_DEP_1)
	s_cmp_lg_u32 s5, 0
	s_addc_u32 s4, s4, s8
	v_readfirstlane_b32 s5, v2
	s_mul_i32 s9, s85, s4
	s_mul_hi_u32 s8, s85, s4
	s_mul_hi_u32 s18, s69, s4
	s_mul_i32 s4, s69, s4
	s_mul_hi_u32 s23, s85, s5
	s_mul_hi_u32 s66, s69, s5
	s_mul_i32 s5, s69, s5
	s_add_u32 s9, s23, s9
	s_addc_u32 s8, 0, s8
	s_add_u32 s5, s9, s5
	s_addc_u32 s5, s8, s66
	s_addc_u32 s8, s18, 0
	s_add_u32 s4, s5, s4
	s_addc_u32 s5, 0, s8
	s_mul_hi_u32 s8, s35, s4
	s_mul_i32 s4, s35, s4
	s_mul_i32 s5, s35, s5
	v_sub_co_u32 v2, s4, s85, s4
	s_add_i32 s8, s8, s5
	s_cmp_lg_u32 s4, 0
	s_delay_alu instid0(VALU_DEP_1) | instskip(SKIP_2) | instid1(VALU_DEP_1)
	v_sub_co_u32 v3, s4, v2, s35
	s_subb_u32 s5, s69, s8
	s_cmp_lg_u32 s4, 0
	v_cmp_le_u32_e32 vcc_lo, s35, v3
	v_sub_co_u32 v4, s4, v3, s35
	s_subb_u32 s8, s5, 0
	s_cmp_lg_u32 s4, 0
	v_cndmask_b32_e64 v5, 0, -1, vcc_lo
	s_subb_u32 s4, s8, 0
	s_cmp_eq_u32 s8, 0
	v_mov_b32_e32 v7, s4
	s_cselect_b32 vcc_lo, -1, 0
	s_cmp_eq_u32 s5, 0
	v_cndmask_b32_e32 v5, -1, v5, vcc_lo
	v_cmp_le_u32_e32 vcc_lo, s35, v2
	s_cselect_b32 s4, -1, 0
	v_cndmask_b32_e64 v6, 0, -1, vcc_lo
	s_delay_alu instid0(VALU_DEP_3) | instskip(NEXT) | instid1(VALU_DEP_2)
	v_cmp_ne_u32_e32 vcc_lo, 0, v5
	v_cndmask_b32_e64 v5, -1, v6, s4
	v_cndmask_b32_e32 v6, s8, v7, vcc_lo
	v_cndmask_b32_e32 v4, v3, v4, vcc_lo
	s_delay_alu instid0(VALU_DEP_3) | instskip(NEXT) | instid1(VALU_DEP_3)
	v_cmp_ne_u32_e32 vcc_lo, 0, v5
	v_cndmask_b32_e32 v3, s5, v6, vcc_lo
	s_delay_alu instid0(VALU_DEP_3)
	v_cndmask_b32_e32 v2, v2, v4, vcc_lo
	s_cbranch_execnz .LBB94_260
.LBB94_259:                             ;   in Loop: Header=BB94_24 Depth=1
	v_cvt_f32_u32_e32 v2, s35
	s_sub_i32 s4, 0, s35
	s_delay_alu instid0(VALU_DEP_1) | instskip(SKIP_2) | instid1(VALU_DEP_1)
	v_rcp_iflag_f32_e32 v2, v2
	s_waitcnt_depctr 0xfff
	v_mul_f32_e32 v2, 0x4f7ffffe, v2
	v_cvt_u32_f32_e32 v2, v2
	s_delay_alu instid0(VALU_DEP_1) | instskip(NEXT) | instid1(VALU_DEP_1)
	v_mul_lo_u32 v3, s4, v2
	v_mul_hi_u32 v3, v2, v3
	s_delay_alu instid0(VALU_DEP_1) | instskip(NEXT) | instid1(VALU_DEP_1)
	v_add_nc_u32_e32 v2, v2, v3
	v_mul_hi_u32 v2, s85, v2
	s_delay_alu instid0(VALU_DEP_1) | instskip(NEXT) | instid1(VALU_DEP_1)
	v_mul_lo_u32 v2, v2, s35
	v_sub_nc_u32_e32 v2, s85, v2
	s_delay_alu instid0(VALU_DEP_1) | instskip(SKIP_1) | instid1(VALU_DEP_2)
	v_subrev_nc_u32_e32 v3, s35, v2
	v_cmp_le_u32_e32 vcc_lo, s35, v2
	v_cndmask_b32_e32 v2, v2, v3, vcc_lo
	s_delay_alu instid0(VALU_DEP_1) | instskip(SKIP_1) | instid1(VALU_DEP_2)
	v_subrev_nc_u32_e32 v3, s35, v2
	v_cmp_le_u32_e32 vcc_lo, s35, v2
	v_cndmask_b32_e32 v10, v2, v3, vcc_lo
	s_delay_alu instid0(VALU_DEP_1)
	v_dual_mov_b32 v2, v10 :: v_dual_mov_b32 v3, v11
.LBB94_260:                             ;   in Loop: Header=BB94_24 Depth=1
	s_delay_alu instid0(VALU_DEP_1) | instskip(NEXT) | instid1(VALU_DEP_2)
	v_sub_co_u32 v2, vcc_lo, s85, v2
	v_sub_co_ci_u32_e32 v3, vcc_lo, s69, v3, vcc_lo
	s_mov_b32 s23, 0
	s_mov_b32 s5, exec_lo
                                        ; implicit-def: $vgpr18
	s_delay_alu instid0(VALU_DEP_1)
	v_cmpx_gt_u64_e64 v[2:3], v[0:1]
	s_cbranch_execz .LBB94_269
; %bb.261:                              ;   in Loop: Header=BB94_24 Depth=1
	v_dual_mov_b32 v5, v1 :: v_dual_mov_b32 v4, v0
	s_mov_b32 s8, 0
                                        ; implicit-def: $sgpr9
	s_branch .LBB94_263
.LBB94_262:                             ;   in Loop: Header=BB94_263 Depth=2
	s_or_b32 exec_lo, exec_lo, s4
	s_waitcnt vmcnt(0) lgkmcnt(0)
	s_barrier
	buffer_gl0_inv
	ds_load_b64 v[17:18], v11 offset:3072
	v_add_co_u32 v4, vcc_lo, v4, s35
	v_add_co_ci_u32_e32 v5, vcc_lo, 0, v5, vcc_lo
	s_waitcnt lgkmcnt(0)
	s_barrier
	buffer_gl0_inv
	v_cmp_ge_u64_e32 vcc_lo, v[4:5], v[2:3]
	v_readfirstlane_b32 s4, v17
	s_delay_alu instid0(VALU_DEP_1) | instskip(SKIP_1) | instid1(SALU_CYCLE_1)
	s_cmp_lg_u32 s4, 0
	s_cselect_b32 s4, -1, 0
	s_or_b32 s18, vcc_lo, s4
	s_delay_alu instid0(SALU_CYCLE_1) | instskip(NEXT) | instid1(SALU_CYCLE_1)
	s_and_b32 s18, exec_lo, s18
	s_or_b32 s8, s18, s8
	s_and_not1_b32 s9, s9, exec_lo
	s_and_b32 s4, s4, exec_lo
	s_delay_alu instid0(SALU_CYCLE_1)
	s_or_b32 s9, s9, s4
	s_and_not1_b32 exec_lo, exec_lo, s8
	s_cbranch_execz .LBB94_268
.LBB94_263:                             ;   Parent Loop BB94_24 Depth=1
                                        ; =>  This Inner Loop Header: Depth=2
	s_delay_alu instid0(VALU_DEP_1)
	v_cmp_gt_u64_e32 vcc_lo, s[24:25], v[4:5]
	v_mov_b32_e32 v17, 0
	s_and_saveexec_b32 s18, vcc_lo
	s_cbranch_execz .LBB94_265
; %bb.264:                              ;   in Loop: Header=BB94_263 Depth=2
	v_mul_lo_u32 v8, v5, s54
	v_mul_lo_u32 v9, v4, s55
	v_mad_u64_u32 v[6:7], null, v4, s54, 0
	s_delay_alu instid0(VALU_DEP_1) | instskip(NEXT) | instid1(VALU_DEP_1)
	v_add3_u32 v7, v7, v9, v8
	v_lshlrev_b64 v[6:7], 2, v[6:7]
	s_delay_alu instid0(VALU_DEP_1) | instskip(NEXT) | instid1(VALU_DEP_1)
	v_add_co_u32 v6, s4, s27, v6
	v_add_co_ci_u32_e64 v7, s4, s33, v7, s4
	global_load_b32 v17, v[6:7], off
.LBB94_265:                             ;   in Loop: Header=BB94_263 Depth=2
	s_or_b32 exec_lo, exec_lo, s18
	s_and_saveexec_b32 s4, vcc_lo
	s_cbranch_execz .LBB94_262
; %bb.266:                              ;   in Loop: Header=BB94_263 Depth=2
	s_waitcnt vmcnt(0)
	v_xor_b32_e32 v6, 0x80000000, v17
	s_delay_alu instid0(VALU_DEP_1) | instskip(NEXT) | instid1(VALU_DEP_1)
	v_and_b32_e32 v6, s102, v6
	v_cmp_eq_u32_e32 vcc_lo, s101, v6
	s_and_b32 exec_lo, exec_lo, vcc_lo
	s_cbranch_execz .LBB94_262
; %bb.267:                              ;   in Loop: Header=BB94_263 Depth=2
	ds_store_b64 v11, v[16:17] offset:3072
	s_branch .LBB94_262
.LBB94_268:                             ;   in Loop: Header=BB94_24 Depth=1
	s_or_b32 exec_lo, exec_lo, s8
	s_delay_alu instid0(SALU_CYCLE_1)
	s_and_b32 s23, s9, exec_lo
.LBB94_269:                             ;   in Loop: Header=BB94_24 Depth=1
	s_or_b32 exec_lo, exec_lo, s5
	s_mov_b32 s18, -1
	s_mov_b32 s8, 0
	s_mov_b32 s9, 0
.LBB94_270:                             ;   in Loop: Header=BB94_24 Depth=1
	s_mov_b32 s72, 0
                                        ; implicit-def: $sgpr66
                                        ; implicit-def: $sgpr4_sgpr5
	s_and_saveexec_b32 s68, s23
	s_cbranch_execz .LBB94_283
; %bb.271:                              ;   in Loop: Header=BB94_24 Depth=1
	s_xor_b32 s17, s17, -1
	s_mov_b64 s[4:5], 1
	s_and_not1_b32 vcc_lo, exec_lo, s17
	s_mov_b32 s66, 1
	s_cbranch_vccnz .LBB94_282
; %bb.272:                              ;   in Loop: Header=BB94_24 Depth=1
	v_cmp_gt_u64_e64 s4, s[64:65], s[6:7]
	s_delay_alu instid0(VALU_DEP_1)
	s_and_b32 vcc_lo, exec_lo, s4
	s_cbranch_vccnz .LBB94_278
; %bb.273:                              ;   in Loop: Header=BB94_24 Depth=1
	ds_load_b64 v[2:3], v11 offset:5120
	s_waitcnt lgkmcnt(0)
	v_cmp_ne_u64_e32 vcc_lo, 0, v[2:3]
	s_cbranch_vccnz .LBB94_277
; %bb.274:                              ;   in Loop: Header=BB94_24 Depth=1
	s_and_saveexec_b32 s4, s2
	s_cbranch_execz .LBB94_276
; %bb.275:                              ;   in Loop: Header=BB94_24 Depth=1
	v_dual_mov_b32 v2, s6 :: v_dual_mov_b32 v3, s7
	ds_store_b64 v11, v[2:3] offset:5128
.LBB94_276:                             ;   in Loop: Header=BB94_24 Depth=1
	s_or_b32 exec_lo, exec_lo, s4
	s_waitcnt lgkmcnt(0)
	s_barrier
	buffer_gl0_inv
.LBB94_277:                             ;   in Loop: Header=BB94_24 Depth=1
	s_or_b32 s17, s101, s16
	s_or_b32 s16, s102, s16
	s_mov_b32 s4, 0
	s_mov_b32 s66, 8
	s_branch .LBB94_279
.LBB94_278:                             ;   in Loop: Header=BB94_24 Depth=1
	s_mov_b32 s4, -1
                                        ; implicit-def: $sgpr66
                                        ; implicit-def: $sgpr17
                                        ; implicit-def: $sgpr16
.LBB94_279:                             ;   in Loop: Header=BB94_24 Depth=1
	s_delay_alu instid0(SALU_CYCLE_1)
	s_and_not1_b32 vcc_lo, exec_lo, s4
	s_cbranch_vccnz .LBB94_281
; %bb.280:                              ;   in Loop: Header=BB94_24 Depth=1
	s_sub_u32 s64, s64, s6
	s_subb_u32 s65, s65, s7
	s_mov_b32 s66, 8
	s_mov_b32 s17, s101
	;; [unrolled: 1-line block ×3, first 2 shown]
.LBB94_281:                             ;   in Loop: Header=BB94_24 Depth=1
	s_mov_b64 s[4:5], s[64:65]
	s_mov_b32 s101, s17
	s_mov_b32 s102, s16
.LBB94_282:                             ;   in Loop: Header=BB94_24 Depth=1
	s_mov_b32 s72, exec_lo
.LBB94_283:                             ;   in Loop: Header=BB94_24 Depth=1
	s_or_b32 exec_lo, exec_lo, s68
	s_mov_b64 s[64:65], s[4:5]
.LBB94_284:                             ;   in Loop: Header=BB94_24 Depth=1
	s_and_not1_b32 s4, s10, exec_lo
	s_and_b32 s5, s8, exec_lo
	s_and_not1_b32 s6, s11, exec_lo
	s_or_b32 s10, s4, s5
	s_and_not1_b32 s4, s21, exec_lo
	s_and_b32 s5, s18, exec_lo
	s_and_b32 s7, s9, exec_lo
	s_or_b32 s21, s4, s5
	s_or_b32 s11, s6, s7
	s_and_b32 s5, s72, exec_lo
.LBB94_285:                             ;   in Loop: Header=BB94_24 Depth=1
	s_or_b32 exec_lo, exec_lo, s22
.LBB94_286:                             ;   in Loop: Header=BB94_24 Depth=1
	s_delay_alu instid0(SALU_CYCLE_1)
	s_and_not1_b32 s4, s13, exec_lo
	s_and_b32 s6, s10, exec_lo
	s_and_not1_b32 s7, s12, exec_lo
	s_or_b32 s13, s4, s6
	s_and_not1_b32 s4, s19, exec_lo
	s_and_b32 s6, s21, exec_lo
	s_and_b32 s8, s11, exec_lo
	s_or_b32 s19, s4, s6
	s_or_b32 s12, s7, s8
	s_and_b32 s5, s5, exec_lo
.LBB94_287:                             ;   in Loop: Header=BB94_24 Depth=1
	s_or_b32 exec_lo, exec_lo, s20
	s_and_saveexec_b32 s4, s5
	s_delay_alu instid0(SALU_CYCLE_1)
	s_xor_b32 s4, exec_lo, s4
	s_cbranch_execz .LBB94_22
.LBB94_288:                             ;   in Loop: Header=BB94_24 Depth=1
	s_and_b32 s5, s66, -9
	s_delay_alu instid0(SALU_CYCLE_1)
	s_cmp_eq_u32 s5, 0
	s_cbranch_scc1 .LBB94_20
; %bb.289:                              ;   in Loop: Header=BB94_24 Depth=1
	s_mov_b32 s5, -1
	s_mov_b32 s6, -1
                                        ; implicit-def: $sgpr102
                                        ; implicit-def: $sgpr64_sgpr65
                                        ; implicit-def: $sgpr96
                                        ; implicit-def: $sgpr99
	s_branch .LBB94_21
.LBB94_290:                             ;   in Loop: Header=BB94_24 Depth=1
                                        ; implicit-def: $vgpr2_vgpr3
	s_branch .LBB94_242
.LBB94_291:                             ;   in Loop: Header=BB94_24 Depth=1
                                        ; implicit-def: $vgpr2_vgpr3
	s_branch .LBB94_259
.LBB94_292:
	s_or_b32 exec_lo, exec_lo, s92
	s_xor_b32 s4, s95, -1
	s_xor_b32 s1, s93, -1
	;; [unrolled: 1-line block ×3, first 2 shown]
	s_mov_b32 s2, 0
	s_and_saveexec_b32 s5, s1
	s_delay_alu instid0(SALU_CYCLE_1)
	s_xor_b32 s1, exec_lo, s5
	s_cbranch_execz .LBB94_306
; %bb.293:
	s_and_saveexec_b32 s2, s4
	s_delay_alu instid0(SALU_CYCLE_1)
	s_xor_b32 s2, exec_lo, s2
	s_cbranch_execz .LBB94_304
; %bb.294:
	s_and_saveexec_b32 s4, s3
	s_delay_alu instid0(SALU_CYCLE_1)
	s_xor_b32 s3, exec_lo, s4
; %bb.295:
	v_xor_b32_e32 v18, 0x80000000, v2
; %bb.296:
	s_or_b32 exec_lo, exec_lo, s3
	s_mul_i32 s3, s50, s37
	s_mul_hi_u32 s4, s50, s36
	s_mul_i32 s5, s50, s36
	s_add_i32 s4, s4, s3
	s_sub_u32 s3, s52, s5
	s_subb_u32 s4, s53, s4
	s_mul_i32 s5, s3, s47
	s_mul_hi_u32 s6, s3, s46
	s_mul_i32 s4, s4, s46
	s_add_i32 s5, s6, s5
	s_mul_i32 s6, s50, s45
	s_mul_hi_u32 s7, s50, s44
	s_add_i32 s5, s5, s4
	s_mul_i32 s4, s3, s46
	s_add_i32 s7, s7, s6
	s_mul_i32 s3, s52, s39
	s_mul_hi_u32 s6, s52, s38
	s_mul_i32 s8, s52, s38
	s_add_i32 s3, s6, s3
	s_sub_u32 s8, s34, s8
	s_subb_u32 s3, 0, s3
	s_mul_i32 s9, s8, s61
	s_mul_hi_u32 s10, s8, s60
	s_mul_i32 s6, s50, s44
	s_add_i32 s9, s10, s9
	s_mul_i32 s3, s3, s60
	s_lshl_b64 s[6:7], s[6:7], 2
	s_add_i32 s9, s9, s3
	s_add_u32 s3, s62, s6
	s_addc_u32 s6, s63, s7
	s_lshl_b64 s[4:5], s[4:5], 2
	s_mul_i32 s8, s8, s60
	s_add_u32 s3, s3, s4
	s_addc_u32 s6, s6, s5
	s_lshl_b64 s[4:5], s[8:9], 2
	v_mov_b32_e32 v2, 0
	s_add_u32 s4, s3, s4
	s_addc_u32 s5, s6, s5
	global_store_b32 v2, v18, s[4:5]
	s_and_saveexec_b32 s3, s0
	s_cbranch_execz .LBB94_303
; %bb.297:
	s_mov_b32 s0, 0
                                        ; implicit-def: $sgpr4
                                        ; implicit-def: $sgpr6
                                        ; implicit-def: $sgpr5
	s_set_inst_prefetch_distance 0x1
	s_branch .LBB94_299
	.p2align	6
.LBB94_298:                             ;   in Loop: Header=BB94_299 Depth=1
	s_or_b32 exec_lo, exec_lo, s7
	s_delay_alu instid0(SALU_CYCLE_1) | instskip(NEXT) | instid1(SALU_CYCLE_1)
	s_and_b32 s7, exec_lo, s6
	s_or_b32 s0, s7, s0
	s_and_not1_b32 s4, s4, exec_lo
	s_and_b32 s7, s5, exec_lo
	s_delay_alu instid0(SALU_CYCLE_1)
	s_or_b32 s4, s4, s7
	s_and_not1_b32 exec_lo, exec_lo, s0
	s_cbranch_execz .LBB94_301
.LBB94_299:                             ; =>This Inner Loop Header: Depth=1
	v_dual_mov_b32 v3, v1 :: v_dual_mov_b32 v2, v0
	s_or_b32 s5, s5, exec_lo
	s_or_b32 s6, s6, exec_lo
	s_delay_alu instid0(VALU_DEP_1) | instskip(NEXT) | instid1(VALU_DEP_2)
	v_mul_lo_u32 v4, v3, s54
	v_mul_lo_u32 v5, v2, s55
	v_mad_u64_u32 v[0:1], null, v2, s54, 0
	s_delay_alu instid0(VALU_DEP_1) | instskip(NEXT) | instid1(VALU_DEP_1)
	v_add3_u32 v1, v1, v5, v4
	v_lshlrev_b64 v[0:1], 2, v[0:1]
	s_delay_alu instid0(VALU_DEP_1) | instskip(NEXT) | instid1(VALU_DEP_2)
	v_add_co_u32 v0, vcc_lo, s27, v0
	v_add_co_ci_u32_e32 v1, vcc_lo, s33, v1, vcc_lo
	global_load_b32 v0, v[0:1], off
	s_waitcnt vmcnt(0)
	v_cmp_ne_u32_e32 vcc_lo, v0, v18
                                        ; implicit-def: $vgpr0_vgpr1
	s_and_saveexec_b32 s7, vcc_lo
	s_cbranch_execz .LBB94_298
; %bb.300:                              ;   in Loop: Header=BB94_299 Depth=1
	v_add_co_u32 v0, vcc_lo, v2, s35
	v_add_co_ci_u32_e32 v1, vcc_lo, 0, v3, vcc_lo
	s_and_not1_b32 s6, s6, exec_lo
	s_and_not1_b32 s5, s5, exec_lo
	s_delay_alu instid0(VALU_DEP_1) | instskip(SKIP_1) | instid1(SALU_CYCLE_1)
	v_cmp_le_u64_e32 vcc_lo, s[24:25], v[0:1]
	s_and_b32 s8, vcc_lo, exec_lo
	s_or_b32 s6, s6, s8
	s_branch .LBB94_298
.LBB94_301:
	s_set_inst_prefetch_distance 0x2
	s_or_b32 exec_lo, exec_lo, s0
	s_and_saveexec_b32 s0, s4
	s_delay_alu instid0(SALU_CYCLE_1)
	s_xor_b32 s0, exec_lo, s0
	s_cbranch_execz .LBB94_303
; %bb.302:
	s_mul_i32 s0, s26, s29
	s_mul_hi_u32 s4, s26, s28
	s_mul_i32 s5, s26, s28
	s_add_i32 s4, s4, s0
	s_sub_u32 s0, s48, s5
	s_subb_u32 s4, s49, s4
	s_mul_i32 s5, s0, s43
	s_mul_hi_u32 s6, s0, s42
	s_mul_i32 s4, s4, s42
	s_add_i32 s5, s6, s5
	s_mul_i32 s6, s26, s41
	s_mul_hi_u32 s7, s26, s40
	s_add_i32 s5, s5, s4
	s_mul_i32 s4, s0, s42
	s_add_i32 s7, s7, s6
	s_mul_i32 s0, s48, s31
	s_mul_hi_u32 s6, s48, s30
	s_mul_i32 s8, s48, s30
	s_add_i32 s0, s6, s0
	s_sub_u32 s8, s34, s8
	s_subb_u32 s0, 0, s0
	s_mul_i32 s9, s8, s57
	s_mul_hi_u32 s10, s8, s56
	s_mul_i32 s6, s26, s40
	s_add_i32 s9, s10, s9
	s_mul_i32 s0, s0, s56
	s_lshl_b64 s[6:7], s[6:7], 3
	s_add_i32 s9, s9, s0
	s_add_u32 s0, s58, s6
	s_addc_u32 s6, s59, s7
	s_lshl_b64 s[4:5], s[4:5], 3
	s_mul_i32 s8, s8, s56
	s_add_u32 s0, s0, s4
	s_addc_u32 s6, s6, s5
	s_lshl_b64 s[4:5], s[8:9], 3
	v_mov_b32_e32 v0, 0
	s_add_u32 s4, s0, s4
	s_addc_u32 s5, s6, s5
	global_store_b64 v0, v[2:3], s[4:5]
.LBB94_303:
	s_or_b32 exec_lo, exec_lo, s3
.LBB94_304:
	s_or_saveexec_b32 s0, s2
	s_mov_b32 s2, 0
	s_xor_b32 exec_lo, exec_lo, s0
	s_cbranch_execnz .LBB94_312
.LBB94_305:
	s_or_b32 exec_lo, exec_lo, s0
	s_delay_alu instid0(SALU_CYCLE_1)
	s_and_b32 s2, s2, exec_lo
.LBB94_306:
	s_and_not1_saveexec_b32 s0, s1
	s_cbranch_execnz .LBB94_310
; %bb.307:
	s_or_b32 exec_lo, exec_lo, s0
	s_and_saveexec_b32 s0, s2
.LBB94_308:
	; divergent unreachable
.LBB94_309:
	s_nop 0
	s_sendmsg sendmsg(MSG_DEALLOC_VGPRS)
	s_endpgm
.LBB94_310:
	s_cbranch_execnz .LBB94_314
; %bb.311:
	s_or_b32 s2, s2, exec_lo
	s_or_b32 exec_lo, exec_lo, s0
	s_and_saveexec_b32 s0, s2
	s_cbranch_execnz .LBB94_308
	s_branch .LBB94_309
.LBB94_312:
	s_cbranch_execnz .LBB94_316
; %bb.313:
	s_mov_b32 s2, exec_lo
	s_branch .LBB94_305
.LBB94_314:
	s_trap 2
	s_sendmsg_rtn_b32 s0, sendmsg(MSG_RTN_GET_DOORBELL)
	s_mov_b32 ttmp2, m0
	s_waitcnt lgkmcnt(0)
	s_and_b32 s0, s0, 0x3ff
	s_delay_alu instid0(SALU_CYCLE_1) | instskip(NEXT) | instid1(SALU_CYCLE_1)
	s_bitset1_b32 s0, 10
	s_mov_b32 m0, s0
	s_sendmsg sendmsg(MSG_INTERRUPT)
	s_mov_b32 m0, ttmp2
.LBB94_315:                             ; =>This Inner Loop Header: Depth=1
	s_sethalt 5
	s_branch .LBB94_315
.LBB94_316:
	s_trap 2
	s_sendmsg_rtn_b32 s0, sendmsg(MSG_RTN_GET_DOORBELL)
	s_mov_b32 ttmp2, m0
	s_waitcnt lgkmcnt(0)
	s_and_b32 s0, s0, 0x3ff
	s_delay_alu instid0(SALU_CYCLE_1) | instskip(NEXT) | instid1(SALU_CYCLE_1)
	s_bitset1_b32 s0, 10
	s_mov_b32 m0, s0
	s_sendmsg sendmsg(MSG_INTERRUPT)
	s_mov_b32 m0, ttmp2
.LBB94_317:                             ; =>This Inner Loop Header: Depth=1
	s_sethalt 5
	s_branch .LBB94_317
	.section	.rodata,"a",@progbits
	.p2align	6, 0x0
	.amdhsa_kernel _ZN2at6native12_GLOBAL__N_112gatherMedianIimLi3EEEvNS_4cuda6detail10TensorInfoIT_T0_EENS5_IlS7_EENS5_IKS6_S7_EES7_S7_S7_b
		.amdhsa_group_segment_fixed_size 5152
		.amdhsa_private_segment_fixed_size 0
		.amdhsa_kernarg_size 1536
		.amdhsa_user_sgpr_count 13
		.amdhsa_user_sgpr_dispatch_ptr 0
		.amdhsa_user_sgpr_queue_ptr 0
		.amdhsa_user_sgpr_kernarg_segment_ptr 1
		.amdhsa_user_sgpr_dispatch_id 0
		.amdhsa_user_sgpr_private_segment_size 0
		.amdhsa_wavefront_size32 1
		.amdhsa_uses_dynamic_stack 0
		.amdhsa_enable_private_segment 0
		.amdhsa_system_sgpr_workgroup_id_x 1
		.amdhsa_system_sgpr_workgroup_id_y 1
		.amdhsa_system_sgpr_workgroup_id_z 1
		.amdhsa_system_sgpr_workgroup_info 0
		.amdhsa_system_vgpr_workitem_id 0
		.amdhsa_next_free_vgpr 33
		.amdhsa_next_free_sgpr 105
		.amdhsa_reserve_vcc 1
		.amdhsa_float_round_mode_32 0
		.amdhsa_float_round_mode_16_64 0
		.amdhsa_float_denorm_mode_32 3
		.amdhsa_float_denorm_mode_16_64 3
		.amdhsa_dx10_clamp 1
		.amdhsa_ieee_mode 1
		.amdhsa_fp16_overflow 0
		.amdhsa_workgroup_processor_mode 1
		.amdhsa_memory_ordered 1
		.amdhsa_forward_progress 0
		.amdhsa_shared_vgpr_count 0
		.amdhsa_exception_fp_ieee_invalid_op 0
		.amdhsa_exception_fp_denorm_src 0
		.amdhsa_exception_fp_ieee_div_zero 0
		.amdhsa_exception_fp_ieee_overflow 0
		.amdhsa_exception_fp_ieee_underflow 0
		.amdhsa_exception_fp_ieee_inexact 0
		.amdhsa_exception_int_div_zero 0
	.end_amdhsa_kernel
	.section	.text._ZN2at6native12_GLOBAL__N_112gatherMedianIimLi3EEEvNS_4cuda6detail10TensorInfoIT_T0_EENS5_IlS7_EENS5_IKS6_S7_EES7_S7_S7_b,"axG",@progbits,_ZN2at6native12_GLOBAL__N_112gatherMedianIimLi3EEEvNS_4cuda6detail10TensorInfoIT_T0_EENS5_IlS7_EENS5_IKS6_S7_EES7_S7_S7_b,comdat
.Lfunc_end94:
	.size	_ZN2at6native12_GLOBAL__N_112gatherMedianIimLi3EEEvNS_4cuda6detail10TensorInfoIT_T0_EENS5_IlS7_EENS5_IKS6_S7_EES7_S7_S7_b, .Lfunc_end94-_ZN2at6native12_GLOBAL__N_112gatherMedianIimLi3EEEvNS_4cuda6detail10TensorInfoIT_T0_EENS5_IlS7_EENS5_IKS6_S7_EES7_S7_S7_b
                                        ; -- End function
	.section	.AMDGPU.csdata,"",@progbits
; Kernel info:
; codeLenInByte = 17640
; NumSgprs: 107
; NumVgprs: 33
; ScratchSize: 0
; MemoryBound: 0
; FloatMode: 240
; IeeeMode: 1
; LDSByteSize: 5152 bytes/workgroup (compile time only)
; SGPRBlocks: 13
; VGPRBlocks: 4
; NumSGPRsForWavesPerEU: 107
; NumVGPRsForWavesPerEU: 33
; Occupancy: 16
; WaveLimiterHint : 1
; COMPUTE_PGM_RSRC2:SCRATCH_EN: 0
; COMPUTE_PGM_RSRC2:USER_SGPR: 13
; COMPUTE_PGM_RSRC2:TRAP_HANDLER: 0
; COMPUTE_PGM_RSRC2:TGID_X_EN: 1
; COMPUTE_PGM_RSRC2:TGID_Y_EN: 1
; COMPUTE_PGM_RSRC2:TGID_Z_EN: 1
; COMPUTE_PGM_RSRC2:TIDIG_COMP_CNT: 0
	.section	.text._ZN2at6native12_GLOBAL__N_112gatherMedianIimLin1EEEvNS_4cuda6detail10TensorInfoIT_T0_EENS5_IlS7_EENS5_IKS6_S7_EES7_S7_S7_b,"axG",@progbits,_ZN2at6native12_GLOBAL__N_112gatherMedianIimLin1EEEvNS_4cuda6detail10TensorInfoIT_T0_EENS5_IlS7_EENS5_IKS6_S7_EES7_S7_S7_b,comdat
	.globl	_ZN2at6native12_GLOBAL__N_112gatherMedianIimLin1EEEvNS_4cuda6detail10TensorInfoIT_T0_EENS5_IlS7_EENS5_IKS6_S7_EES7_S7_S7_b ; -- Begin function _ZN2at6native12_GLOBAL__N_112gatherMedianIimLin1EEEvNS_4cuda6detail10TensorInfoIT_T0_EENS5_IlS7_EENS5_IKS6_S7_EES7_S7_S7_b
	.p2align	8
	.type	_ZN2at6native12_GLOBAL__N_112gatherMedianIimLin1EEEvNS_4cuda6detail10TensorInfoIT_T0_EENS5_IlS7_EENS5_IKS6_S7_EES7_S7_S7_b,@function
_ZN2at6native12_GLOBAL__N_112gatherMedianIimLin1EEEvNS_4cuda6detail10TensorInfoIT_T0_EENS5_IlS7_EENS5_IKS6_S7_EES7_S7_S7_b: ; @_ZN2at6native12_GLOBAL__N_112gatherMedianIimLin1EEEvNS_4cuda6detail10TensorInfoIT_T0_EENS5_IlS7_EENS5_IKS6_S7_EES7_S7_S7_b
; %bb.0:
	s_clause 0x1
	s_load_b64 s[4:5], s[0:1], 0x500
	s_load_b128 s[24:27], s[0:1], 0x4e0
	s_add_u32 s6, s0, 0x500
	s_addc_u32 s7, s1, 0
	s_mov_b32 s3, 0
	s_waitcnt lgkmcnt(0)
	s_mul_i32 s2, s5, s15
	s_delay_alu instid0(SALU_CYCLE_1) | instskip(NEXT) | instid1(SALU_CYCLE_1)
	s_add_i32 s2, s2, s14
	s_mul_i32 s2, s2, s4
	s_delay_alu instid0(SALU_CYCLE_1) | instskip(NEXT) | instid1(SALU_CYCLE_1)
	s_add_i32 s2, s2, s13
	v_cmp_ge_u64_e64 s5, s[2:3], s[26:27]
	s_delay_alu instid0(VALU_DEP_1)
	s_and_b32 vcc_lo, exec_lo, s5
	s_cbranch_vccnz .LBB95_322
; %bb.1:
	s_clause 0x1
	s_load_b32 s5, s[0:1], 0x198
	s_load_b64 s[28:29], s[0:1], 0x4f0
	s_mov_b64 s[26:27], 0
	s_mov_b64 s[34:35], s[2:3]
	s_waitcnt lgkmcnt(0)
	s_cmp_lt_i32 s5, 2
	s_cbranch_scc1 .LBB95_9
; %bb.2:
	s_mov_b32 s8, 0
	s_add_i32 s10, s5, -1
	s_mov_b32 s11, s8
	s_add_i32 s5, s5, 1
	s_lshl_b64 s[10:11], s[10:11], 3
	s_mov_b64 s[14:15], s[2:3]
	s_add_u32 s9, s10, s0
	s_addc_u32 s11, s11, s1
	s_add_u32 s10, s9, 8
	s_addc_u32 s11, s11, 0
.LBB95_3:                               ; =>This Inner Loop Header: Depth=1
	s_load_b64 s[16:17], s[10:11], 0x0
                                        ; implicit-def: $sgpr34_sgpr35
	s_waitcnt lgkmcnt(0)
	s_or_b64 s[18:19], s[14:15], s[16:17]
	s_delay_alu instid0(SALU_CYCLE_1) | instskip(NEXT) | instid1(SALU_CYCLE_1)
	s_mov_b32 s9, s19
	s_cmp_lg_u64 s[8:9], 0
	s_mov_b32 s9, -1
	s_cbranch_scc0 .LBB95_5
; %bb.4:                                ;   in Loop: Header=BB95_3 Depth=1
	v_cvt_f32_u32_e32 v1, s16
	v_cvt_f32_u32_e32 v2, s17
	s_sub_u32 s18, 0, s16
	s_subb_u32 s19, 0, s17
	s_waitcnt_depctr 0xfff
	v_fmac_f32_e32 v1, 0x4f800000, v2
	s_delay_alu instid0(VALU_DEP_1) | instskip(SKIP_2) | instid1(VALU_DEP_1)
	v_rcp_f32_e32 v1, v1
	s_waitcnt_depctr 0xfff
	v_mul_f32_e32 v1, 0x5f7ffffc, v1
	v_mul_f32_e32 v2, 0x2f800000, v1
	s_delay_alu instid0(VALU_DEP_1) | instskip(NEXT) | instid1(VALU_DEP_1)
	v_trunc_f32_e32 v2, v2
	v_fmac_f32_e32 v1, 0xcf800000, v2
	v_cvt_u32_f32_e32 v2, v2
	s_delay_alu instid0(VALU_DEP_2) | instskip(NEXT) | instid1(VALU_DEP_2)
	v_cvt_u32_f32_e32 v1, v1
	v_readfirstlane_b32 s9, v2
	s_delay_alu instid0(VALU_DEP_2) | instskip(NEXT) | instid1(VALU_DEP_2)
	v_readfirstlane_b32 s12, v1
	s_mul_i32 s20, s18, s9
	s_delay_alu instid0(VALU_DEP_1)
	s_mul_hi_u32 s22, s18, s12
	s_mul_i32 s21, s19, s12
	s_add_i32 s20, s22, s20
	s_mul_i32 s23, s18, s12
	s_add_i32 s20, s20, s21
	s_mul_hi_u32 s22, s12, s23
	s_mul_hi_u32 s30, s9, s23
	s_mul_i32 s21, s9, s23
	s_mul_hi_u32 s23, s12, s20
	s_mul_i32 s12, s12, s20
	s_mul_hi_u32 s31, s9, s20
	s_add_u32 s12, s22, s12
	s_addc_u32 s22, 0, s23
	s_add_u32 s12, s12, s21
	s_mul_i32 s20, s9, s20
	s_addc_u32 s12, s22, s30
	s_addc_u32 s21, s31, 0
	s_add_u32 s12, s12, s20
	s_addc_u32 s20, 0, s21
	v_add_co_u32 v1, s12, v1, s12
	s_delay_alu instid0(VALU_DEP_1) | instskip(SKIP_1) | instid1(VALU_DEP_1)
	s_cmp_lg_u32 s12, 0
	s_addc_u32 s9, s9, s20
	v_readfirstlane_b32 s12, v1
	s_mul_i32 s20, s18, s9
	s_delay_alu instid0(VALU_DEP_1)
	s_mul_hi_u32 s21, s18, s12
	s_mul_i32 s19, s19, s12
	s_add_i32 s20, s21, s20
	s_mul_i32 s18, s18, s12
	s_add_i32 s20, s20, s19
	s_mul_hi_u32 s21, s9, s18
	s_mul_i32 s22, s9, s18
	s_mul_hi_u32 s18, s12, s18
	s_mul_hi_u32 s23, s12, s20
	s_mul_i32 s12, s12, s20
	s_mul_hi_u32 s19, s9, s20
	s_add_u32 s12, s18, s12
	s_addc_u32 s18, 0, s23
	s_add_u32 s12, s12, s22
	s_mul_i32 s20, s9, s20
	s_addc_u32 s12, s18, s21
	s_addc_u32 s18, s19, 0
	s_add_u32 s12, s12, s20
	s_addc_u32 s18, 0, s18
	v_add_co_u32 v1, s12, v1, s12
	s_delay_alu instid0(VALU_DEP_1) | instskip(SKIP_1) | instid1(VALU_DEP_1)
	s_cmp_lg_u32 s12, 0
	s_addc_u32 s9, s9, s18
	v_readfirstlane_b32 s12, v1
	s_mul_i32 s19, s14, s9
	s_mul_hi_u32 s18, s14, s9
	s_mul_hi_u32 s20, s15, s9
	s_mul_i32 s9, s15, s9
	s_mul_hi_u32 s21, s14, s12
	s_mul_hi_u32 s22, s15, s12
	s_mul_i32 s12, s15, s12
	s_add_u32 s19, s21, s19
	s_addc_u32 s18, 0, s18
	s_add_u32 s12, s19, s12
	s_addc_u32 s12, s18, s22
	s_addc_u32 s18, s20, 0
	s_add_u32 s12, s12, s9
	s_addc_u32 s18, 0, s18
	s_mul_hi_u32 s9, s16, s12
	s_mul_i32 s20, s16, s18
	s_mul_i32 s21, s16, s12
	s_add_i32 s9, s9, s20
	v_sub_co_u32 v1, s20, s14, s21
	s_mul_i32 s19, s17, s12
	s_delay_alu instid0(SALU_CYCLE_1) | instskip(NEXT) | instid1(VALU_DEP_1)
	s_add_i32 s9, s9, s19
	v_sub_co_u32 v2, s21, v1, s16
	s_sub_i32 s19, s15, s9
	s_cmp_lg_u32 s20, 0
	s_subb_u32 s19, s19, s17
	s_cmp_lg_u32 s21, 0
	v_readfirstlane_b32 s21, v2
	s_subb_u32 s19, s19, 0
	s_delay_alu instid0(SALU_CYCLE_1) | instskip(SKIP_1) | instid1(VALU_DEP_1)
	s_cmp_ge_u32 s19, s17
	s_cselect_b32 s22, -1, 0
	s_cmp_ge_u32 s21, s16
	s_cselect_b32 s21, -1, 0
	s_cmp_eq_u32 s19, s17
	s_cselect_b32 s19, s21, s22
	s_add_u32 s21, s12, 1
	s_addc_u32 s22, s18, 0
	s_add_u32 s23, s12, 2
	s_addc_u32 s30, s18, 0
	s_cmp_lg_u32 s19, 0
	s_cselect_b32 s19, s23, s21
	s_cselect_b32 s21, s30, s22
	s_cmp_lg_u32 s20, 0
	v_readfirstlane_b32 s20, v1
	s_subb_u32 s9, s15, s9
	s_delay_alu instid0(SALU_CYCLE_1) | instskip(SKIP_1) | instid1(VALU_DEP_1)
	s_cmp_ge_u32 s9, s17
	s_cselect_b32 s22, -1, 0
	s_cmp_ge_u32 s20, s16
	s_cselect_b32 s20, -1, 0
	s_cmp_eq_u32 s9, s17
	s_cselect_b32 s9, s20, s22
	s_delay_alu instid0(SALU_CYCLE_1)
	s_cmp_lg_u32 s9, 0
	s_mov_b32 s9, 0
	s_cselect_b32 s35, s21, s18
	s_cselect_b32 s34, s19, s12
.LBB95_5:                               ;   in Loop: Header=BB95_3 Depth=1
	s_and_not1_b32 vcc_lo, exec_lo, s9
	s_cbranch_vccnz .LBB95_7
; %bb.6:                                ;   in Loop: Header=BB95_3 Depth=1
	v_cvt_f32_u32_e32 v1, s16
	s_sub_i32 s12, 0, s16
	s_mov_b32 s35, s8
	s_waitcnt_depctr 0xfff
	v_rcp_iflag_f32_e32 v1, v1
	s_waitcnt_depctr 0xfff
	v_mul_f32_e32 v1, 0x4f7ffffe, v1
	s_delay_alu instid0(VALU_DEP_1) | instskip(NEXT) | instid1(VALU_DEP_1)
	v_cvt_u32_f32_e32 v1, v1
	v_readfirstlane_b32 s9, v1
	s_delay_alu instid0(VALU_DEP_1) | instskip(NEXT) | instid1(SALU_CYCLE_1)
	s_mul_i32 s12, s12, s9
	s_mul_hi_u32 s12, s9, s12
	s_delay_alu instid0(SALU_CYCLE_1) | instskip(NEXT) | instid1(SALU_CYCLE_1)
	s_add_i32 s9, s9, s12
	s_mul_hi_u32 s9, s14, s9
	s_delay_alu instid0(SALU_CYCLE_1) | instskip(SKIP_2) | instid1(SALU_CYCLE_1)
	s_mul_i32 s12, s9, s16
	s_add_i32 s18, s9, 1
	s_sub_i32 s12, s14, s12
	s_sub_i32 s19, s12, s16
	s_cmp_ge_u32 s12, s16
	s_cselect_b32 s9, s18, s9
	s_cselect_b32 s12, s19, s12
	s_add_i32 s18, s9, 1
	s_cmp_ge_u32 s12, s16
	s_cselect_b32 s34, s18, s9
.LBB95_7:                               ;   in Loop: Header=BB95_3 Depth=1
	s_load_b64 s[18:19], s[10:11], 0xc8
	s_mul_i32 s9, s34, s17
	s_mul_hi_u32 s12, s34, s16
	s_mul_i32 s17, s35, s16
	s_add_i32 s9, s12, s9
	s_mul_i32 s12, s34, s16
	s_add_i32 s9, s9, s17
	s_sub_u32 s12, s14, s12
	s_subb_u32 s9, s15, s9
	s_waitcnt lgkmcnt(0)
	s_mul_i32 s9, s18, s9
	s_mul_hi_u32 s14, s18, s12
	s_mul_i32 s15, s19, s12
	s_add_i32 s9, s14, s9
	s_mul_i32 s12, s18, s12
	s_add_i32 s9, s9, s15
	s_add_u32 s26, s12, s26
	s_addc_u32 s27, s9, s27
	s_add_i32 s5, s5, -1
	s_add_u32 s10, s10, -8
	s_addc_u32 s11, s11, -1
	s_cmp_gt_u32 s5, 2
	s_cbranch_scc0 .LBB95_9
; %bb.8:                                ;   in Loop: Header=BB95_3 Depth=1
	s_mov_b64 s[14:15], s[34:35]
	s_branch .LBB95_3
.LBB95_9:
	s_clause 0x1
	s_load_b32 s5, s[0:1], 0x338
	s_load_b64 s[36:37], s[0:1], 0xd0
	s_add_u32 s8, s0, 0x1a0
	s_addc_u32 s9, s1, 0
	s_mov_b64 s[30:31], 0
	s_mov_b64 s[38:39], s[2:3]
	s_waitcnt lgkmcnt(0)
	s_cmp_lt_i32 s5, 2
	s_cbranch_scc1 .LBB95_17
; %bb.10:
	s_mov_b32 s10, 0
	s_add_i32 s14, s5, -1
	s_mov_b32 s15, s10
	s_add_i32 s5, s5, 1
	s_lshl_b64 s[14:15], s[14:15], 3
	s_mov_b64 s[16:17], s[2:3]
	s_add_u32 s11, s14, s8
	s_addc_u32 s12, s15, s9
	s_add_u32 s14, s11, 8
	s_addc_u32 s15, s12, 0
.LBB95_11:                              ; =>This Inner Loop Header: Depth=1
	s_load_b64 s[18:19], s[14:15], 0x0
                                        ; implicit-def: $sgpr38_sgpr39
	s_waitcnt lgkmcnt(0)
	s_or_b64 s[20:21], s[16:17], s[18:19]
	s_delay_alu instid0(SALU_CYCLE_1) | instskip(NEXT) | instid1(SALU_CYCLE_1)
	s_mov_b32 s11, s21
	s_cmp_lg_u64 s[10:11], 0
	s_mov_b32 s11, -1
	s_cbranch_scc0 .LBB95_13
; %bb.12:                               ;   in Loop: Header=BB95_11 Depth=1
	v_cvt_f32_u32_e32 v1, s18
	v_cvt_f32_u32_e32 v2, s19
	s_sub_u32 s20, 0, s18
	s_subb_u32 s21, 0, s19
	s_waitcnt_depctr 0xfff
	v_fmac_f32_e32 v1, 0x4f800000, v2
	s_delay_alu instid0(VALU_DEP_1) | instskip(SKIP_2) | instid1(VALU_DEP_1)
	v_rcp_f32_e32 v1, v1
	s_waitcnt_depctr 0xfff
	v_mul_f32_e32 v1, 0x5f7ffffc, v1
	v_mul_f32_e32 v2, 0x2f800000, v1
	s_delay_alu instid0(VALU_DEP_1) | instskip(NEXT) | instid1(VALU_DEP_1)
	v_trunc_f32_e32 v2, v2
	v_fmac_f32_e32 v1, 0xcf800000, v2
	v_cvt_u32_f32_e32 v2, v2
	s_delay_alu instid0(VALU_DEP_2) | instskip(NEXT) | instid1(VALU_DEP_2)
	v_cvt_u32_f32_e32 v1, v1
	v_readfirstlane_b32 s11, v2
	s_delay_alu instid0(VALU_DEP_2) | instskip(NEXT) | instid1(VALU_DEP_2)
	v_readfirstlane_b32 s12, v1
	s_mul_i32 s22, s20, s11
	s_delay_alu instid0(VALU_DEP_1)
	s_mul_hi_u32 s33, s20, s12
	s_mul_i32 s23, s21, s12
	s_add_i32 s22, s33, s22
	s_mul_i32 s38, s20, s12
	s_add_i32 s22, s22, s23
	s_mul_hi_u32 s33, s12, s38
	s_mul_hi_u32 s39, s11, s38
	s_mul_i32 s23, s11, s38
	s_mul_hi_u32 s38, s12, s22
	s_mul_i32 s12, s12, s22
	s_mul_hi_u32 s40, s11, s22
	s_add_u32 s12, s33, s12
	s_addc_u32 s33, 0, s38
	s_add_u32 s12, s12, s23
	s_mul_i32 s22, s11, s22
	s_addc_u32 s12, s33, s39
	s_addc_u32 s23, s40, 0
	s_add_u32 s12, s12, s22
	s_addc_u32 s22, 0, s23
	v_add_co_u32 v1, s12, v1, s12
	s_delay_alu instid0(VALU_DEP_1) | instskip(SKIP_1) | instid1(VALU_DEP_1)
	s_cmp_lg_u32 s12, 0
	s_addc_u32 s11, s11, s22
	v_readfirstlane_b32 s12, v1
	s_mul_i32 s22, s20, s11
	s_delay_alu instid0(VALU_DEP_1)
	s_mul_hi_u32 s23, s20, s12
	s_mul_i32 s21, s21, s12
	s_add_i32 s22, s23, s22
	s_mul_i32 s20, s20, s12
	s_add_i32 s22, s22, s21
	s_mul_hi_u32 s23, s11, s20
	s_mul_i32 s33, s11, s20
	s_mul_hi_u32 s20, s12, s20
	s_mul_hi_u32 s38, s12, s22
	s_mul_i32 s12, s12, s22
	s_mul_hi_u32 s21, s11, s22
	s_add_u32 s12, s20, s12
	s_addc_u32 s20, 0, s38
	s_add_u32 s12, s12, s33
	s_mul_i32 s22, s11, s22
	s_addc_u32 s12, s20, s23
	s_addc_u32 s20, s21, 0
	s_add_u32 s12, s12, s22
	s_addc_u32 s20, 0, s20
	v_add_co_u32 v1, s12, v1, s12
	s_delay_alu instid0(VALU_DEP_1) | instskip(SKIP_1) | instid1(VALU_DEP_1)
	s_cmp_lg_u32 s12, 0
	s_addc_u32 s11, s11, s20
	v_readfirstlane_b32 s12, v1
	s_mul_i32 s21, s16, s11
	s_mul_hi_u32 s20, s16, s11
	s_mul_hi_u32 s22, s17, s11
	s_mul_i32 s11, s17, s11
	s_mul_hi_u32 s23, s16, s12
	s_mul_hi_u32 s33, s17, s12
	s_mul_i32 s12, s17, s12
	s_add_u32 s21, s23, s21
	s_addc_u32 s20, 0, s20
	s_add_u32 s12, s21, s12
	s_addc_u32 s12, s20, s33
	s_addc_u32 s20, s22, 0
	s_add_u32 s12, s12, s11
	s_addc_u32 s20, 0, s20
	s_mul_hi_u32 s11, s18, s12
	s_mul_i32 s22, s18, s20
	s_mul_i32 s23, s18, s12
	s_add_i32 s11, s11, s22
	v_sub_co_u32 v1, s22, s16, s23
	s_mul_i32 s21, s19, s12
	s_delay_alu instid0(SALU_CYCLE_1) | instskip(NEXT) | instid1(VALU_DEP_1)
	s_add_i32 s11, s11, s21
	v_sub_co_u32 v2, s23, v1, s18
	s_sub_i32 s21, s17, s11
	s_cmp_lg_u32 s22, 0
	s_subb_u32 s21, s21, s19
	s_cmp_lg_u32 s23, 0
	v_readfirstlane_b32 s23, v2
	s_subb_u32 s21, s21, 0
	s_delay_alu instid0(SALU_CYCLE_1) | instskip(SKIP_1) | instid1(VALU_DEP_1)
	s_cmp_ge_u32 s21, s19
	s_cselect_b32 s33, -1, 0
	s_cmp_ge_u32 s23, s18
	s_cselect_b32 s23, -1, 0
	s_cmp_eq_u32 s21, s19
	s_cselect_b32 s21, s23, s33
	s_add_u32 s23, s12, 1
	s_addc_u32 s33, s20, 0
	s_add_u32 s38, s12, 2
	s_addc_u32 s39, s20, 0
	s_cmp_lg_u32 s21, 0
	s_cselect_b32 s21, s38, s23
	s_cselect_b32 s23, s39, s33
	s_cmp_lg_u32 s22, 0
	v_readfirstlane_b32 s22, v1
	s_subb_u32 s11, s17, s11
	s_delay_alu instid0(SALU_CYCLE_1) | instskip(SKIP_1) | instid1(VALU_DEP_1)
	s_cmp_ge_u32 s11, s19
	s_cselect_b32 s33, -1, 0
	s_cmp_ge_u32 s22, s18
	s_cselect_b32 s22, -1, 0
	s_cmp_eq_u32 s11, s19
	s_cselect_b32 s11, s22, s33
	s_delay_alu instid0(SALU_CYCLE_1)
	s_cmp_lg_u32 s11, 0
	s_mov_b32 s11, 0
	s_cselect_b32 s39, s23, s20
	s_cselect_b32 s38, s21, s12
.LBB95_13:                              ;   in Loop: Header=BB95_11 Depth=1
	s_and_not1_b32 vcc_lo, exec_lo, s11
	s_cbranch_vccnz .LBB95_15
; %bb.14:                               ;   in Loop: Header=BB95_11 Depth=1
	v_cvt_f32_u32_e32 v1, s18
	s_sub_i32 s12, 0, s18
	s_mov_b32 s39, s10
	s_waitcnt_depctr 0xfff
	v_rcp_iflag_f32_e32 v1, v1
	s_waitcnt_depctr 0xfff
	v_mul_f32_e32 v1, 0x4f7ffffe, v1
	s_delay_alu instid0(VALU_DEP_1) | instskip(NEXT) | instid1(VALU_DEP_1)
	v_cvt_u32_f32_e32 v1, v1
	v_readfirstlane_b32 s11, v1
	s_delay_alu instid0(VALU_DEP_1) | instskip(NEXT) | instid1(SALU_CYCLE_1)
	s_mul_i32 s12, s12, s11
	s_mul_hi_u32 s12, s11, s12
	s_delay_alu instid0(SALU_CYCLE_1) | instskip(NEXT) | instid1(SALU_CYCLE_1)
	s_add_i32 s11, s11, s12
	s_mul_hi_u32 s11, s16, s11
	s_delay_alu instid0(SALU_CYCLE_1) | instskip(SKIP_2) | instid1(SALU_CYCLE_1)
	s_mul_i32 s12, s11, s18
	s_add_i32 s20, s11, 1
	s_sub_i32 s12, s16, s12
	s_sub_i32 s21, s12, s18
	s_cmp_ge_u32 s12, s18
	s_cselect_b32 s11, s20, s11
	s_cselect_b32 s12, s21, s12
	s_add_i32 s20, s11, 1
	s_cmp_ge_u32 s12, s18
	s_cselect_b32 s38, s20, s11
.LBB95_15:                              ;   in Loop: Header=BB95_11 Depth=1
	s_load_b64 s[20:21], s[14:15], 0xc8
	s_mul_i32 s11, s38, s19
	s_mul_hi_u32 s12, s38, s18
	s_mul_i32 s19, s39, s18
	s_add_i32 s11, s12, s11
	s_mul_i32 s12, s38, s18
	s_add_i32 s11, s11, s19
	s_sub_u32 s12, s16, s12
	s_subb_u32 s11, s17, s11
	s_waitcnt lgkmcnt(0)
	s_mul_i32 s11, s20, s11
	s_mul_hi_u32 s16, s20, s12
	s_mul_i32 s17, s21, s12
	s_add_i32 s11, s16, s11
	s_mul_i32 s12, s20, s12
	s_add_i32 s11, s11, s17
	s_add_u32 s30, s12, s30
	s_addc_u32 s31, s11, s31
	s_add_i32 s5, s5, -1
	s_add_u32 s14, s14, -8
	s_addc_u32 s15, s15, -1
	s_cmp_gt_u32 s5, 2
	s_cbranch_scc0 .LBB95_17
; %bb.16:                               ;   in Loop: Header=BB95_11 Depth=1
	s_mov_b64 s[16:17], s[38:39]
	s_branch .LBB95_11
.LBB95_17:
	s_clause 0x1
	s_load_b32 s5, s[0:1], 0x4d8
	s_load_b64 s[40:41], s[8:9], 0xd0
	s_add_u32 s11, s0, 0x340
	s_addc_u32 s12, s1, 0
	s_mov_b64 s[8:9], 0
	s_waitcnt lgkmcnt(0)
	s_cmp_lt_i32 s5, 2
	s_cbranch_scc1 .LBB95_25
; %bb.18:
	s_mov_b32 s10, 0
	s_add_i32 s8, s5, -1
	s_mov_b32 s9, s10
	s_add_i32 s5, s5, 1
	s_lshl_b64 s[8:9], s[8:9], 3
	s_delay_alu instid0(SALU_CYCLE_1)
	s_add_u32 s8, s8, s11
	s_addc_u32 s9, s9, s12
	s_add_u32 s14, s8, 8
	s_addc_u32 s15, s9, 0
	s_mov_b64 s[8:9], 0
.LBB95_19:                              ; =>This Inner Loop Header: Depth=1
	s_load_b64 s[16:17], s[14:15], 0x0
	s_waitcnt lgkmcnt(0)
	s_or_b64 s[18:19], s[2:3], s[16:17]
	s_delay_alu instid0(SALU_CYCLE_1) | instskip(NEXT) | instid1(SALU_CYCLE_1)
	s_mov_b32 s11, s19
                                        ; implicit-def: $sgpr18_sgpr19
	s_cmp_lg_u64 s[10:11], 0
	s_mov_b32 s11, -1
	s_cbranch_scc0 .LBB95_21
; %bb.20:                               ;   in Loop: Header=BB95_19 Depth=1
	v_cvt_f32_u32_e32 v1, s16
	v_cvt_f32_u32_e32 v2, s17
	s_sub_u32 s18, 0, s16
	s_subb_u32 s19, 0, s17
	s_waitcnt_depctr 0xfff
	v_fmac_f32_e32 v1, 0x4f800000, v2
	s_delay_alu instid0(VALU_DEP_1) | instskip(SKIP_2) | instid1(VALU_DEP_1)
	v_rcp_f32_e32 v1, v1
	s_waitcnt_depctr 0xfff
	v_mul_f32_e32 v1, 0x5f7ffffc, v1
	v_mul_f32_e32 v2, 0x2f800000, v1
	s_delay_alu instid0(VALU_DEP_1) | instskip(NEXT) | instid1(VALU_DEP_1)
	v_trunc_f32_e32 v2, v2
	v_fmac_f32_e32 v1, 0xcf800000, v2
	v_cvt_u32_f32_e32 v2, v2
	s_delay_alu instid0(VALU_DEP_2) | instskip(NEXT) | instid1(VALU_DEP_2)
	v_cvt_u32_f32_e32 v1, v1
	v_readfirstlane_b32 s11, v2
	s_delay_alu instid0(VALU_DEP_2) | instskip(NEXT) | instid1(VALU_DEP_2)
	v_readfirstlane_b32 s12, v1
	s_mul_i32 s20, s18, s11
	s_delay_alu instid0(VALU_DEP_1)
	s_mul_hi_u32 s22, s18, s12
	s_mul_i32 s21, s19, s12
	s_add_i32 s20, s22, s20
	s_mul_i32 s23, s18, s12
	s_add_i32 s20, s20, s21
	s_mul_hi_u32 s22, s12, s23
	s_mul_hi_u32 s33, s11, s23
	s_mul_i32 s21, s11, s23
	s_mul_hi_u32 s23, s12, s20
	s_mul_i32 s12, s12, s20
	s_mul_hi_u32 s42, s11, s20
	s_add_u32 s12, s22, s12
	s_addc_u32 s22, 0, s23
	s_add_u32 s12, s12, s21
	s_mul_i32 s20, s11, s20
	s_addc_u32 s12, s22, s33
	s_addc_u32 s21, s42, 0
	s_add_u32 s12, s12, s20
	s_addc_u32 s20, 0, s21
	v_add_co_u32 v1, s12, v1, s12
	s_delay_alu instid0(VALU_DEP_1) | instskip(SKIP_1) | instid1(VALU_DEP_1)
	s_cmp_lg_u32 s12, 0
	s_addc_u32 s11, s11, s20
	v_readfirstlane_b32 s12, v1
	s_mul_i32 s20, s18, s11
	s_delay_alu instid0(VALU_DEP_1)
	s_mul_hi_u32 s21, s18, s12
	s_mul_i32 s19, s19, s12
	s_add_i32 s20, s21, s20
	s_mul_i32 s18, s18, s12
	s_add_i32 s20, s20, s19
	s_mul_hi_u32 s21, s11, s18
	s_mul_i32 s22, s11, s18
	s_mul_hi_u32 s18, s12, s18
	s_mul_hi_u32 s23, s12, s20
	s_mul_i32 s12, s12, s20
	s_mul_hi_u32 s19, s11, s20
	s_add_u32 s12, s18, s12
	s_addc_u32 s18, 0, s23
	s_add_u32 s12, s12, s22
	s_mul_i32 s20, s11, s20
	s_addc_u32 s12, s18, s21
	s_addc_u32 s18, s19, 0
	s_add_u32 s12, s12, s20
	s_addc_u32 s18, 0, s18
	v_add_co_u32 v1, s12, v1, s12
	s_delay_alu instid0(VALU_DEP_1) | instskip(SKIP_1) | instid1(VALU_DEP_1)
	s_cmp_lg_u32 s12, 0
	s_addc_u32 s11, s11, s18
	v_readfirstlane_b32 s12, v1
	s_mul_i32 s19, s2, s11
	s_mul_hi_u32 s18, s2, s11
	s_mul_hi_u32 s20, s3, s11
	s_mul_i32 s11, s3, s11
	s_mul_hi_u32 s21, s2, s12
	s_mul_hi_u32 s22, s3, s12
	s_mul_i32 s12, s3, s12
	s_add_u32 s19, s21, s19
	s_addc_u32 s18, 0, s18
	s_add_u32 s12, s19, s12
	s_addc_u32 s12, s18, s22
	s_addc_u32 s18, s20, 0
	s_add_u32 s12, s12, s11
	s_addc_u32 s18, 0, s18
	s_mul_hi_u32 s11, s16, s12
	s_mul_i32 s20, s16, s18
	s_mul_i32 s21, s16, s12
	s_add_i32 s11, s11, s20
	v_sub_co_u32 v1, s20, s2, s21
	s_mul_i32 s19, s17, s12
	s_delay_alu instid0(SALU_CYCLE_1) | instskip(NEXT) | instid1(VALU_DEP_1)
	s_add_i32 s11, s11, s19
	v_sub_co_u32 v2, s21, v1, s16
	s_sub_i32 s19, s3, s11
	s_cmp_lg_u32 s20, 0
	s_subb_u32 s19, s19, s17
	s_cmp_lg_u32 s21, 0
	v_readfirstlane_b32 s21, v2
	s_subb_u32 s19, s19, 0
	s_delay_alu instid0(SALU_CYCLE_1) | instskip(SKIP_1) | instid1(VALU_DEP_1)
	s_cmp_ge_u32 s19, s17
	s_cselect_b32 s22, -1, 0
	s_cmp_ge_u32 s21, s16
	s_cselect_b32 s21, -1, 0
	s_cmp_eq_u32 s19, s17
	s_cselect_b32 s19, s21, s22
	s_add_u32 s21, s12, 1
	s_addc_u32 s22, s18, 0
	s_add_u32 s23, s12, 2
	s_addc_u32 s33, s18, 0
	s_cmp_lg_u32 s19, 0
	s_cselect_b32 s21, s23, s21
	s_cselect_b32 s19, s33, s22
	s_cmp_lg_u32 s20, 0
	v_readfirstlane_b32 s20, v1
	s_subb_u32 s11, s3, s11
	s_delay_alu instid0(SALU_CYCLE_1) | instskip(SKIP_1) | instid1(VALU_DEP_1)
	s_cmp_ge_u32 s11, s17
	s_cselect_b32 s22, -1, 0
	s_cmp_ge_u32 s20, s16
	s_cselect_b32 s20, -1, 0
	s_cmp_eq_u32 s11, s17
	s_cselect_b32 s11, s20, s22
	s_delay_alu instid0(SALU_CYCLE_1)
	s_cmp_lg_u32 s11, 0
	s_mov_b32 s11, 0
	s_cselect_b32 s19, s19, s18
	s_cselect_b32 s18, s21, s12
.LBB95_21:                              ;   in Loop: Header=BB95_19 Depth=1
	s_and_not1_b32 vcc_lo, exec_lo, s11
	s_cbranch_vccnz .LBB95_23
; %bb.22:                               ;   in Loop: Header=BB95_19 Depth=1
	v_cvt_f32_u32_e32 v1, s16
	s_sub_i32 s12, 0, s16
	s_waitcnt_depctr 0xfff
	v_rcp_iflag_f32_e32 v1, v1
	s_waitcnt_depctr 0xfff
	v_mul_f32_e32 v1, 0x4f7ffffe, v1
	s_delay_alu instid0(VALU_DEP_1) | instskip(NEXT) | instid1(VALU_DEP_1)
	v_cvt_u32_f32_e32 v1, v1
	v_readfirstlane_b32 s11, v1
	s_delay_alu instid0(VALU_DEP_1) | instskip(NEXT) | instid1(SALU_CYCLE_1)
	s_mul_i32 s12, s12, s11
	s_mul_hi_u32 s12, s11, s12
	s_delay_alu instid0(SALU_CYCLE_1) | instskip(NEXT) | instid1(SALU_CYCLE_1)
	s_add_i32 s11, s11, s12
	s_mul_hi_u32 s11, s2, s11
	s_delay_alu instid0(SALU_CYCLE_1) | instskip(SKIP_2) | instid1(SALU_CYCLE_1)
	s_mul_i32 s12, s11, s16
	s_add_i32 s18, s11, 1
	s_sub_i32 s12, s2, s12
	s_sub_i32 s19, s12, s16
	s_cmp_ge_u32 s12, s16
	s_cselect_b32 s11, s18, s11
	s_cselect_b32 s12, s19, s12
	s_add_i32 s18, s11, 1
	s_cmp_ge_u32 s12, s16
	s_mov_b32 s19, s10
	s_cselect_b32 s18, s18, s11
.LBB95_23:                              ;   in Loop: Header=BB95_19 Depth=1
	s_load_b64 s[20:21], s[14:15], 0xc8
	s_mul_i32 s11, s18, s17
	s_mul_hi_u32 s12, s18, s16
	s_mul_i32 s17, s19, s16
	s_add_i32 s11, s12, s11
	s_mul_i32 s12, s18, s16
	s_add_i32 s11, s11, s17
	s_sub_u32 s2, s2, s12
	s_subb_u32 s3, s3, s11
	s_waitcnt lgkmcnt(0)
	s_mul_i32 s3, s20, s3
	s_mul_hi_u32 s11, s20, s2
	s_mul_i32 s12, s21, s2
	s_add_i32 s3, s11, s3
	s_mul_i32 s2, s20, s2
	s_add_i32 s3, s3, s12
	s_add_u32 s8, s2, s8
	s_addc_u32 s9, s3, s9
	s_add_i32 s5, s5, -1
	s_add_u32 s14, s14, -8
	s_addc_u32 s15, s15, -1
	s_cmp_gt_u32 s5, 2
	s_cbranch_scc0 .LBB95_26
; %bb.24:                               ;   in Loop: Header=BB95_19 Depth=1
	s_mov_b64 s[2:3], s[18:19]
	s_branch .LBB95_19
.LBB95_25:
	s_mov_b64 s[18:19], s[2:3]
.LBB95_26:
	v_cmp_eq_u32_e64 s2, 0, v0
	s_delay_alu instid0(VALU_DEP_1)
	s_and_saveexec_b32 s3, s2
	s_cbranch_execz .LBB95_28
; %bb.27:
	v_mov_b32_e32 v1, 0
	s_delay_alu instid0(VALU_DEP_1)
	v_mov_b32_e32 v2, v1
	ds_store_b64 v1, v[1:2] offset:5136
.LBB95_28:
	s_or_b32 exec_lo, exec_lo, s3
	v_mov_b32_e32 v1, 0
	s_waitcnt lgkmcnt(0)
	s_barrier
	buffer_gl0_inv
	s_barrier
	buffer_gl0_inv
	ds_load_b64 v[1:2], v1 offset:5136
	s_clause 0x2
	s_load_b32 s3, s[0:1], 0x4f8
	s_load_b64 s[14:15], s[0:1], 0x410
	s_load_b64 s[10:11], s[0:1], 0x340
	s_mov_b64 s[46:47], s[24:25]
	s_waitcnt lgkmcnt(0)
	v_readfirstlane_b32 s16, v1
	v_readfirstlane_b32 s17, v2
	s_bitcmp1_b32 s3, 0
	s_cselect_b32 s3, -1, 0
	s_delay_alu instid0(VALU_DEP_1) | instskip(NEXT) | instid1(VALU_DEP_1)
	v_cmp_lt_i64_e64 s5, s[16:17], 1
	s_or_b32 s3, s3, s5
	s_delay_alu instid0(SALU_CYCLE_1)
	s_and_not1_b32 vcc_lo, exec_lo, s3
	s_cbranch_vccnz .LBB95_30
; %bb.29:
	s_not_b64 s[16:17], s[16:17]
	s_delay_alu instid0(SALU_CYCLE_1) | instskip(SKIP_1) | instid1(SALU_CYCLE_1)
	s_add_u32 s16, s16, s24
	s_addc_u32 s17, s17, s25
	s_lshr_b64 s[16:17], s[16:17], 1
	s_delay_alu instid0(SALU_CYCLE_1)
	s_add_u32 s46, s16, 1
	s_addc_u32 s47, s17, 0
.LBB95_30:
	s_clause 0x1
	s_load_b64 s[44:45], s[0:1], 0x0
	s_load_b64 s[42:43], s[0:1], 0x1a0
	s_and_saveexec_b32 s0, s2
	s_cbranch_execz .LBB95_32
; %bb.31:
	v_dual_mov_b32 v1, 0 :: v_dual_mov_b32 v4, s25
	s_delay_alu instid0(VALU_DEP_1)
	v_dual_mov_b32 v3, s24 :: v_dual_mov_b32 v2, v1
	ds_store_b32 v1, v1 offset:5144
	ds_store_b128 v1, v[1:4] offset:5120
.LBB95_32:
	s_or_b32 exec_lo, exec_lo, s0
	v_mad_u64_u32 v[2:3], null, v0, s28, 0
	s_waitcnt lgkmcnt(0)
	s_barrier
	buffer_gl0_inv
	s_load_b32 s5, s[6:7], 0xc
	s_mul_i32 s0, s14, s19
	s_mul_hi_u32 s1, s14, s18
	v_dual_mov_b32 v1, v3 :: v_dual_lshlrev_b32 v14, 2, v0
	v_mov_b32_e32 v11, 0
	s_mul_i32 s3, s15, s18
	s_add_i32 s0, s1, s0
	s_delay_alu instid0(VALU_DEP_2) | instskip(NEXT) | instid1(VALU_DEP_2)
	v_mad_u64_u32 v[3:4], null, v0, s29, v[1:2]
	v_dual_mov_b32 v1, v11 :: v_dual_add_nc_u32 v42, 0xc00, v14
	v_lshlrev_b32_e32 v44, 4, v0
	v_mbcnt_lo_u32_b32 v41, -1, 0
	s_add_i32 s1, s0, s3
	s_mul_i32 s0, s14, s18
	s_lshl_b64 s[48:49], s[8:9], 2
	s_lshl_b64 s[14:15], s[0:1], 2
	v_or_b32_e32 v12, 12, v44
	v_or_b32_e32 v24, 8, v44
	s_add_u32 s8, s10, s14
	v_cmp_gt_u32_e32 vcc_lo, 32, v0
	v_cmp_gt_i32_e64 s3, 4, v41
	v_lshrrev_b32_e32 v6, 3, v0
	s_addc_u32 s9, s11, s15
	s_add_u32 s74, s8, s48
	v_or_b32_e32 v25, 4, v44
	v_mad_u64_u32 v[18:19], null, s28, v12, s[8:9]
	v_mad_u64_u32 v[20:21], null, s28, v24, s[8:9]
	s_addc_u32 s75, s9, s49
	s_waitcnt lgkmcnt(0)
	s_and_b32 s33, s5, 0xffff
	s_and_b32 s76, vcc_lo, s3
	s_bfe_u32 s12, s5, 0xb0005
	v_and_b32_e32 v43, 0x7c, v6
	v_lshlrev_b64 v[6:7], v41, -1
	s_add_u32 s78, s33, -1
	s_addc_u32 s79, 0, -1
	s_add_u32 s80, s78, s24
	v_mad_u64_u32 v[22:23], null, s28, v25, s[8:9]
	s_addc_u32 s55, s79, s25
	s_cmp_lt_u32 s13, s4
	v_not_b32_e32 v45, v6
	v_dual_mov_b32 v6, v19 :: v_dual_mov_b32 v7, v21
	s_cselect_b32 s4, 12, 18
	s_delay_alu instid0(VALU_DEP_3)
	v_mov_b32_e32 v8, v23
	s_add_u32 s56, s6, s4
	s_addc_u32 s57, s7, 0
	s_add_i32 s4, s12, -1
	s_bfe_u32 s81, s33, 0x30005
	v_mad_u64_u32 v[9:10], null, s29, v12, v[6:7]
	s_cmp_gt_u32 s4, 6
	v_lshlrev_b64 v[4:5], 2, v[2:3]
	s_cselect_b32 s82, -1, 0
	s_and_b32 s83, s12, 0x7f8
	s_cmp_lg_u32 s81, 0
	v_lshlrev_b64 v[2:3], 4, v[2:3]
	s_cselect_b32 s85, -1, 0
	s_add_u32 s4, s14, s48
	v_mad_u64_u32 v[12:13], null, s29, v24, v[7:8]
	v_cmp_gt_u16_e64 s84, s5, 31
	s_addc_u32 s5, s15, s49
	v_add_co_u32 v16, vcc_lo, s74, v4
	v_mad_u64_u32 v[6:7], null, s29, v25, v[8:9]
	s_add_u32 s58, s10, s4
	s_addc_u32 s59, s11, s5
	s_lshl_b64 s[60:61], s[28:29], 2
	s_lshl_b64 s[62:63], s[28:29], 4
	s_lshl_b32 s86, s33, 2
	v_add_co_ci_u32_e32 v17, vcc_lo, s75, v5, vcc_lo
	s_add_u32 s4, s10, s48
	v_add_co_u32 v24, vcc_lo, s8, v2
	s_addc_u32 s5, s11, s49
	s_add_u32 s6, s4, s14
	v_add_co_ci_u32_e32 v25, vcc_lo, s9, v3, vcc_lo
	v_mov_b32_e32 v21, v12
	s_addc_u32 s8, s5, s15
	v_add_co_u32 v12, vcc_lo, s6, v4
	v_cmp_gt_u64_e64 s0, s[24:25], v[0:1]
	v_cmp_lt_u64_e64 s77, 0x300, s[24:25]
	s_mul_i32 s4, s29, s33
	s_mul_hi_u32 s7, s28, s33
	v_cmp_eq_u32_e64 s1, 0, v41
	v_cmp_gt_u32_e64 s3, 2, v0
	v_dual_mov_b32 v15, v11 :: v_dual_mov_b32 v26, 1
	v_dual_mov_b32 v19, v9 :: v_dual_mov_b32 v28, 0
	v_mov_b32_e32 v23, v6
	v_lshl_or_b32 v46, v41, 3, 0xc00
	v_add_co_ci_u32_e32 v13, vcc_lo, s8, v5, vcc_lo
	s_add_i32 s5, s7, s4
	s_mul_i32 s4, s28, s33
	s_mov_b32 s53, 0
	s_lshl_b64 s[50:51], s[4:5], 2
	s_mov_b32 s91, 30
	s_mov_b32 s87, 0
	;; [unrolled: 1-line block ×5, first 2 shown]
                                        ; implicit-def: $sgpr88
                                        ; implicit-def: $sgpr90
                                        ; implicit-def: $sgpr89
                                        ; implicit-def: $sgpr93
                                        ; implicit-def: $sgpr95
                                        ; implicit-def: $sgpr92
	s_branch .LBB95_37
.LBB95_33:                              ;   in Loop: Header=BB95_37 Depth=1
	s_xor_b32 s94, s94, 1
	s_add_i32 s7, s91, -2
	s_cmp_eq_u32 s91, 0
	s_mov_b32 s5, 0
	s_cselect_b32 s6, -1, 0
	s_mov_b32 s91, s7
.LBB95_34:                              ;   in Loop: Header=BB95_37 Depth=1
	s_and_not1_b32 s7, s13, exec_lo
	s_and_b32 s5, s5, exec_lo
	s_and_not1_b32 s19, s19, exec_lo
	s_or_b32 s13, s7, s5
	s_and_not1_b32 s12, s12, exec_lo
	s_or_not1_b32 s15, s6, exec_lo
.LBB95_35:                              ;   in Loop: Header=BB95_37 Depth=1
	s_or_b32 exec_lo, exec_lo, s4
	s_delay_alu instid0(SALU_CYCLE_1)
	s_and_not1_b32 s4, s92, exec_lo
	s_and_b32 s5, s13, exec_lo
	s_and_not1_b32 s6, s93, exec_lo
	s_or_b32 s92, s4, s5
	s_and_not1_b32 s4, s95, exec_lo
	s_and_b32 s5, s19, exec_lo
	s_and_b32 s7, s12, exec_lo
	s_or_b32 s95, s4, s5
	s_or_b32 s93, s6, s7
	s_or_not1_b32 s19, s15, exec_lo
.LBB95_36:                              ;   in Loop: Header=BB95_37 Depth=1
	s_or_b32 exec_lo, exec_lo, s14
	s_delay_alu instid0(SALU_CYCLE_1)
	s_and_b32 s4, exec_lo, s19
	v_mov_b32_e32 v2, s96
	s_or_b32 s87, s4, s87
	s_and_not1_b32 s4, s89, exec_lo
	s_and_b32 s5, s92, exec_lo
	s_and_not1_b32 s6, s88, exec_lo
	s_or_b32 s89, s4, s5
	s_and_not1_b32 s4, s90, exec_lo
	s_and_b32 s5, s95, exec_lo
	s_and_b32 s7, s93, exec_lo
	s_or_b32 s90, s4, s5
	s_or_b32 s88, s6, s7
	s_and_not1_b32 exec_lo, exec_lo, s87
	s_cbranch_execz .LBB95_305
.LBB95_37:                              ; =>This Loop Header: Depth=1
                                        ;     Child Loop BB95_45 Depth 2
                                        ;     Child Loop BB95_63 Depth 2
	;; [unrolled: 1-line block ×16, first 2 shown]
	ds_load_b128 v[2:5], v11 offset:5120
	s_waitcnt lgkmcnt(0)
	v_readfirstlane_b32 s65, v3
	v_readfirstlane_b32 s64, v2
	s_delay_alu instid0(VALU_DEP_1)
	s_cmp_lg_u64 s[64:65], 0
	s_cbranch_scc1 .LBB95_70
; %bb.38:                               ;   in Loop: Header=BB95_37 Depth=1
	s_and_b32 vcc_lo, exec_lo, s77
	s_cbranch_vccz .LBB95_53
; %bb.39:                               ;   in Loop: Header=BB95_37 Depth=1
	v_cmp_gt_u64_e32 vcc_lo, 0x301, v[4:5]
	s_mov_b32 s6, 0
	s_mov_b32 s4, 0
	s_cbranch_vccz .LBB95_54
; %bb.40:                               ;   in Loop: Header=BB95_37 Depth=1
	v_mov_b32_e32 v6, 0
	s_and_saveexec_b32 s4, s0
	s_cbranch_execz .LBB95_42
; %bb.41:                               ;   in Loop: Header=BB95_37 Depth=1
	global_load_b32 v6, v[16:17], off
.LBB95_42:                              ;   in Loop: Header=BB95_37 Depth=1
	s_or_b32 exec_lo, exec_lo, s4
	s_and_saveexec_b32 s7, s0
	s_cbranch_execz .LBB95_55
; %bb.43:                               ;   in Loop: Header=BB95_37 Depth=1
	global_load_u16 v7, v11, s[56:57]
	s_mov_b32 s10, 0
	s_waitcnt vmcnt(0)
	v_readfirstlane_b32 s4, v7
	v_and_b32_e32 v7, 0xffff, v7
	s_delay_alu instid0(VALU_DEP_2) | instskip(NEXT) | instid1(SALU_CYCLE_1)
	s_and_b32 s4, 0xffff, s4
	v_add_nc_u32_e32 v8, s4, v0
	s_mul_i32 s5, s61, s4
	s_mul_hi_u32 s8, s60, s4
	s_mul_i32 s9, s60, s4
	s_add_i32 s8, s8, s5
	v_mad_u64_u32 v[2:3], null, s60, v8, s[58:59]
	s_delay_alu instid0(VALU_DEP_1) | instskip(NEXT) | instid1(VALU_DEP_1)
	v_mad_u64_u32 v[4:5], null, s61, v8, v[3:4]
	v_mov_b32_e32 v3, v4
	v_dual_mov_b32 v5, v1 :: v_dual_mov_b32 v4, v0
	s_branch .LBB95_45
.LBB95_44:                              ;   in Loop: Header=BB95_45 Depth=2
	s_or_b32 exec_lo, exec_lo, s5
	v_add_co_u32 v2, vcc_lo, v2, s9
	v_add_co_ci_u32_e32 v3, vcc_lo, s8, v3, vcc_lo
	s_waitcnt vmcnt(0)
	v_mov_b32_e32 v6, v8
	s_and_not1_b32 exec_lo, exec_lo, s10
	s_cbranch_execz .LBB95_55
.LBB95_45:                              ;   Parent Loop BB95_37 Depth=1
                                        ; =>  This Inner Loop Header: Depth=2
	s_delay_alu instid0(VALU_DEP_1) | instskip(NEXT) | instid1(VALU_DEP_2)
	v_add_co_u32 v4, vcc_lo, v4, v7
	v_add_co_ci_u32_e32 v5, vcc_lo, 0, v5, vcc_lo
	s_waitcnt lgkmcnt(0)
	v_dual_mov_b32 v9, 0 :: v_dual_mov_b32 v8, 0
	s_mov_b32 s5, exec_lo
	s_delay_alu instid0(VALU_DEP_2)
	v_cmp_le_u64_e32 vcc_lo, s[24:25], v[4:5]
	v_cmpx_gt_u64_e64 s[24:25], v[4:5]
	s_cbranch_execz .LBB95_47
; %bb.46:                               ;   in Loop: Header=BB95_45 Depth=2
	global_load_b32 v8, v[2:3], off
.LBB95_47:                              ;   in Loop: Header=BB95_45 Depth=2
	s_or_b32 exec_lo, exec_lo, s5
	v_xor_b32_e32 v10, 0x80000000, v6
	s_delay_alu instid0(VALU_DEP_1) | instskip(NEXT) | instid1(VALU_DEP_1)
	v_and_b32_e32 v10, s97, v10
	v_cmp_eq_u32_e64 s4, s96, v10
	s_delay_alu instid0(VALU_DEP_1) | instskip(SKIP_1) | instid1(SALU_CYCLE_1)
	s_cmp_lg_u32 s4, 0
	s_cselect_b32 s5, -1, 0
	s_and_b32 s5, s1, s5
	s_delay_alu instid0(SALU_CYCLE_1)
	s_and_saveexec_b32 s11, s5
	s_cbranch_execz .LBB95_51
; %bb.48:                               ;   in Loop: Header=BB95_45 Depth=2
	s_mov_b32 s14, exec_lo
	s_bcnt1_i32_b32 s12, s4
	v_mbcnt_lo_u32_b32 v9, s14, 0
	s_mov_b32 s13, exec_lo
                                        ; implicit-def: $vgpr10
	s_delay_alu instid0(VALU_DEP_1)
	v_cmpx_eq_u32_e32 0, v9
	s_cbranch_execz .LBB95_50
; %bb.49:                               ;   in Loop: Header=BB95_45 Depth=2
	s_bcnt1_i32_b32 s5, s14
	s_delay_alu instid0(SALU_CYCLE_1) | instskip(NEXT) | instid1(SALU_CYCLE_1)
	s_mul_i32 s5, s12, s5
	v_mov_b32_e32 v10, s5
	ds_add_rtn_u32 v10, v11, v10 offset:5144
.LBB95_50:                              ;   in Loop: Header=BB95_45 Depth=2
	s_or_b32 exec_lo, exec_lo, s13
	s_waitcnt lgkmcnt(0)
	v_readfirstlane_b32 s5, v10
	s_delay_alu instid0(VALU_DEP_1)
	v_mad_u32_u24 v9, s12, v9, s5
.LBB95_51:                              ;   in Loop: Header=BB95_45 Depth=2
	s_or_b32 exec_lo, exec_lo, s11
	ds_bpermute_b32 v9, v11, v9
	s_and_b32 s5, exec_lo, vcc_lo
	s_delay_alu instid0(SALU_CYCLE_1)
	s_or_b32 s10, s5, s10
	s_and_saveexec_b32 s5, s4
	s_cbranch_execz .LBB95_44
; %bb.52:                               ;   in Loop: Header=BB95_45 Depth=2
	v_and_b32_e32 v10, s4, v45
	s_delay_alu instid0(VALU_DEP_1) | instskip(NEXT) | instid1(VALU_DEP_1)
	v_bcnt_u32_b32 v10, v10, 0
	v_lshlrev_b32_e32 v10, 2, v10
	s_waitcnt lgkmcnt(0)
	s_delay_alu instid0(VALU_DEP_1)
	v_lshl_add_u32 v9, v9, 2, v10
	ds_store_b32 v9, v6
	s_branch .LBB95_44
.LBB95_53:                              ;   in Loop: Header=BB95_37 Depth=1
	s_mov_b32 s4, 0
                                        ; implicit-def: $sgpr64_sgpr65
	s_cbranch_execnz .LBB95_58
	s_branch .LBB95_68
.LBB95_54:                              ;   in Loop: Header=BB95_37 Depth=1
	s_mov_b64 s[64:65], 0
	s_and_b32 vcc_lo, exec_lo, s6
	s_cbranch_vccnz .LBB95_58
	s_branch .LBB95_68
.LBB95_55:                              ;   in Loop: Header=BB95_37 Depth=1
	s_or_b32 exec_lo, exec_lo, s7
	s_waitcnt vmcnt(0) lgkmcnt(0)
	s_barrier
	buffer_gl0_inv
	s_and_saveexec_b32 s4, s2
	s_cbranch_execz .LBB95_57
; %bb.56:                               ;   in Loop: Header=BB95_37 Depth=1
	ds_load_b32 v2, v11 offset:5144
	s_waitcnt lgkmcnt(0)
	v_ashrrev_i32_e32 v3, 31, v2
	ds_store_b64 v11, v[2:3] offset:5120
.LBB95_57:                              ;   in Loop: Header=BB95_37 Depth=1
	s_or_b32 exec_lo, exec_lo, s4
	s_waitcnt lgkmcnt(0)
	s_mov_b32 s4, -1
	s_barrier
	s_mov_b64 s[64:65], 0
	s_and_b32 vcc_lo, exec_lo, s6
	s_cbranch_vccz .LBB95_68
.LBB95_58:                              ;   in Loop: Header=BB95_37 Depth=1
	v_mov_b32_e32 v6, 0
	s_and_saveexec_b32 s4, s0
	s_cbranch_execz .LBB95_60
; %bb.59:                               ;   in Loop: Header=BB95_37 Depth=1
	global_load_b32 v6, v[16:17], off
.LBB95_60:                              ;   in Loop: Header=BB95_37 Depth=1
	s_or_b32 exec_lo, exec_lo, s4
	s_and_saveexec_b32 s5, s0
	s_cbranch_execz .LBB95_65
; %bb.61:                               ;   in Loop: Header=BB95_37 Depth=1
	global_load_u16 v8, v11, s[56:57]
	s_mov_b32 s9, 0
	s_waitcnt vmcnt(0)
	v_readfirstlane_b32 s4, v8
	v_and_b32_e32 v8, 0xffff, v8
	s_delay_alu instid0(VALU_DEP_2) | instskip(NEXT) | instid1(SALU_CYCLE_1)
	s_and_b32 s4, 0xffff, s4
	v_add_nc_u32_e32 v7, s4, v0
	s_mul_i32 s7, s61, s4
	s_mul_hi_u32 s8, s60, s4
	s_lshl_b32 s6, s4, 2
	s_add_i32 s7, s8, s7
	v_mad_u64_u32 v[2:3], null, s60, v7, s[58:59]
	s_mul_i32 s8, s60, s4
	s_delay_alu instid0(VALU_DEP_1) | instskip(SKIP_1) | instid1(VALU_DEP_2)
	v_mad_u64_u32 v[4:5], null, s61, v7, v[3:4]
	v_mov_b32_e32 v7, v14
	v_mov_b32_e32 v3, v4
	v_dual_mov_b32 v5, v1 :: v_dual_mov_b32 v4, v0
	s_branch .LBB95_63
	.p2align	6
.LBB95_62:                              ;   in Loop: Header=BB95_63 Depth=2
	s_or_b32 exec_lo, exec_lo, s10
	s_delay_alu instid0(SALU_CYCLE_1)
	s_and_b32 s4, exec_lo, vcc_lo
	v_add_co_u32 v2, vcc_lo, v2, s8
	ds_store_b32 v7, v6
	s_waitcnt vmcnt(0)
	v_dual_mov_b32 v6, v9 :: v_dual_add_nc_u32 v7, s6, v7
	v_add_co_ci_u32_e32 v3, vcc_lo, s7, v3, vcc_lo
	s_or_b32 s9, s4, s9
	s_delay_alu instid0(SALU_CYCLE_1)
	s_and_not1_b32 exec_lo, exec_lo, s9
	s_cbranch_execz .LBB95_65
.LBB95_63:                              ;   Parent Loop BB95_37 Depth=1
                                        ; =>  This Inner Loop Header: Depth=2
	s_delay_alu instid0(VALU_DEP_1) | instskip(NEXT) | instid1(VALU_DEP_2)
	v_add_co_u32 v4, vcc_lo, v4, v8
	v_add_co_ci_u32_e32 v5, vcc_lo, 0, v5, vcc_lo
	v_mov_b32_e32 v9, 0
	s_mov_b32 s10, exec_lo
	s_delay_alu instid0(VALU_DEP_2)
	v_cmp_le_u64_e32 vcc_lo, s[24:25], v[4:5]
	v_cmpx_gt_u64_e64 s[24:25], v[4:5]
	s_cbranch_execz .LBB95_62
; %bb.64:                               ;   in Loop: Header=BB95_63 Depth=2
	global_load_b32 v9, v[2:3], off
	s_branch .LBB95_62
.LBB95_65:                              ;   in Loop: Header=BB95_37 Depth=1
	s_or_b32 exec_lo, exec_lo, s5
	s_waitcnt vmcnt(0) lgkmcnt(0)
	s_barrier
	buffer_gl0_inv
	s_and_saveexec_b32 s4, s2
	s_cbranch_execz .LBB95_67
; %bb.66:                               ;   in Loop: Header=BB95_37 Depth=1
	v_dual_mov_b32 v2, s24 :: v_dual_mov_b32 v3, s25
	ds_store_b64 v11, v[2:3] offset:5120
.LBB95_67:                              ;   in Loop: Header=BB95_37 Depth=1
	s_or_b32 exec_lo, exec_lo, s4
	s_mov_b32 s4, -1
	s_waitcnt lgkmcnt(0)
	s_barrier
                                        ; implicit-def: $sgpr64_sgpr65
.LBB95_68:                              ;   in Loop: Header=BB95_37 Depth=1
	s_and_b32 vcc_lo, exec_lo, s4
	s_cbranch_vccz .LBB95_70
; %bb.69:                               ;   in Loop: Header=BB95_37 Depth=1
	buffer_gl0_inv
	ds_load_b64 v[2:3], v11 offset:5120
	s_waitcnt lgkmcnt(0)
	v_readfirstlane_b32 s64, v2
.LBB95_70:                              ;   in Loop: Header=BB95_37 Depth=1
	s_delay_alu instid0(VALU_DEP_1)
	s_cmp_lt_i32 s64, 1
	s_cbranch_scc0 .LBB95_85
; %bb.71:                               ;   in Loop: Header=BB95_37 Depth=1
	global_load_u16 v2, v11, s[56:57]
	s_mov_b32 s5, s25
	s_waitcnt vmcnt(0)
	v_readfirstlane_b32 s4, v2
	s_delay_alu instid0(VALU_DEP_1)
	s_and_b32 s52, s4, 0xffff
	s_mov_b32 s4, s53
	s_lshl_b32 s54, s52, 2
	s_cmp_lg_u64 s[4:5], 0
	s_cbranch_scc0 .LBB95_105
; %bb.72:                               ;   in Loop: Header=BB95_37 Depth=1
	v_cvt_f32_u32_e32 v2, s54
	s_sub_u32 s6, 0, s54
	s_subb_u32 s7, 0, 0
	s_delay_alu instid0(VALU_DEP_1) | instskip(NEXT) | instid1(VALU_DEP_1)
	v_fmac_f32_e64 v2, 0, 0x4f800000
	v_rcp_f32_e32 v2, v2
	s_waitcnt_depctr 0xfff
	v_mul_f32_e32 v2, 0x5f7ffffc, v2
	s_delay_alu instid0(VALU_DEP_1) | instskip(NEXT) | instid1(VALU_DEP_1)
	v_mul_f32_e32 v3, 0x2f800000, v2
	v_trunc_f32_e32 v3, v3
	s_delay_alu instid0(VALU_DEP_1) | instskip(SKIP_1) | instid1(VALU_DEP_2)
	v_fmac_f32_e32 v2, 0xcf800000, v3
	v_cvt_u32_f32_e32 v3, v3
	v_cvt_u32_f32_e32 v2, v2
	s_delay_alu instid0(VALU_DEP_2) | instskip(NEXT) | instid1(VALU_DEP_2)
	v_readfirstlane_b32 s4, v3
	v_readfirstlane_b32 s5, v2
	s_delay_alu instid0(VALU_DEP_2) | instskip(NEXT) | instid1(VALU_DEP_1)
	s_mul_i32 s8, s6, s4
	s_mul_hi_u32 s10, s6, s5
	s_mul_i32 s9, s7, s5
	s_add_i32 s8, s10, s8
	s_mul_i32 s11, s6, s5
	s_add_i32 s8, s8, s9
	s_mul_hi_u32 s10, s5, s11
	s_mul_hi_u32 s12, s4, s11
	s_mul_i32 s9, s4, s11
	s_mul_hi_u32 s11, s5, s8
	s_mul_i32 s5, s5, s8
	s_mul_hi_u32 s13, s4, s8
	s_add_u32 s5, s10, s5
	s_addc_u32 s10, 0, s11
	s_add_u32 s5, s5, s9
	s_mul_i32 s8, s4, s8
	s_addc_u32 s5, s10, s12
	s_addc_u32 s9, s13, 0
	s_add_u32 s5, s5, s8
	s_addc_u32 s8, 0, s9
	v_add_co_u32 v2, s5, v2, s5
	s_delay_alu instid0(VALU_DEP_1) | instskip(SKIP_1) | instid1(VALU_DEP_1)
	s_cmp_lg_u32 s5, 0
	s_addc_u32 s4, s4, s8
	v_readfirstlane_b32 s5, v2
	s_mul_i32 s8, s6, s4
	s_delay_alu instid0(VALU_DEP_1)
	s_mul_hi_u32 s9, s6, s5
	s_mul_i32 s7, s7, s5
	s_add_i32 s8, s9, s8
	s_mul_i32 s6, s6, s5
	s_add_i32 s8, s8, s7
	s_mul_hi_u32 s9, s4, s6
	s_mul_i32 s10, s4, s6
	s_mul_hi_u32 s6, s5, s6
	s_mul_hi_u32 s11, s5, s8
	s_mul_i32 s5, s5, s8
	s_mul_hi_u32 s7, s4, s8
	s_add_u32 s5, s6, s5
	s_addc_u32 s6, 0, s11
	s_add_u32 s5, s5, s10
	s_mul_i32 s8, s4, s8
	s_addc_u32 s5, s6, s9
	s_addc_u32 s6, s7, 0
	s_add_u32 s5, s5, s8
	s_addc_u32 s6, 0, s6
	v_add_co_u32 v2, s5, v2, s5
	s_delay_alu instid0(VALU_DEP_1) | instskip(SKIP_1) | instid1(VALU_DEP_1)
	s_cmp_lg_u32 s5, 0
	s_addc_u32 s4, s4, s6
	v_readfirstlane_b32 s5, v2
	s_mul_i32 s7, s24, s4
	s_mul_hi_u32 s6, s24, s4
	s_mul_hi_u32 s8, s25, s4
	s_mul_i32 s4, s25, s4
	s_mul_hi_u32 s9, s24, s5
	s_mul_hi_u32 s10, s25, s5
	s_mul_i32 s5, s25, s5
	s_add_u32 s7, s9, s7
	s_addc_u32 s6, 0, s6
	s_add_u32 s5, s7, s5
	s_addc_u32 s5, s6, s10
	s_addc_u32 s6, s8, 0
	s_add_u32 s4, s5, s4
	s_addc_u32 s5, 0, s6
	s_mul_hi_u32 s6, s54, s4
	s_mul_i32 s4, s54, s4
	s_mul_i32 s5, s54, s5
	v_sub_co_u32 v2, s4, s24, s4
	s_add_i32 s6, s6, s5
	s_cmp_lg_u32 s4, 0
	s_delay_alu instid0(VALU_DEP_1) | instskip(SKIP_2) | instid1(VALU_DEP_1)
	v_sub_co_u32 v3, s4, v2, s54
	s_subb_u32 s5, s25, s6
	s_cmp_lg_u32 s4, 0
	v_cmp_le_u32_e32 vcc_lo, s54, v3
	v_sub_co_u32 v4, s4, v3, s54
	s_subb_u32 s6, s5, 0
	s_cmp_lg_u32 s4, 0
	v_cndmask_b32_e64 v5, 0, -1, vcc_lo
	s_subb_u32 s4, s6, 0
	s_cmp_eq_u32 s6, 0
	v_mov_b32_e32 v7, s4
	s_cselect_b32 vcc_lo, -1, 0
	s_cmp_eq_u32 s5, 0
	v_cndmask_b32_e32 v5, -1, v5, vcc_lo
	v_cmp_le_u32_e32 vcc_lo, s54, v2
	s_cselect_b32 s4, -1, 0
	v_cndmask_b32_e64 v6, 0, -1, vcc_lo
	s_delay_alu instid0(VALU_DEP_3) | instskip(NEXT) | instid1(VALU_DEP_2)
	v_cmp_ne_u32_e32 vcc_lo, 0, v5
	v_cndmask_b32_e64 v5, -1, v6, s4
	v_cndmask_b32_e32 v6, s6, v7, vcc_lo
	v_cndmask_b32_e32 v4, v3, v4, vcc_lo
	s_delay_alu instid0(VALU_DEP_3) | instskip(NEXT) | instid1(VALU_DEP_3)
	v_cmp_ne_u32_e32 vcc_lo, 0, v5
	v_cndmask_b32_e32 v3, s5, v6, vcc_lo
	s_delay_alu instid0(VALU_DEP_3)
	v_cndmask_b32_e32 v2, v2, v4, vcc_lo
	s_cbranch_execnz .LBB95_74
.LBB95_73:                              ;   in Loop: Header=BB95_37 Depth=1
	v_cvt_f32_u32_e32 v2, s54
	s_sub_i32 s4, 0, s54
	s_delay_alu instid0(VALU_DEP_1) | instskip(SKIP_2) | instid1(VALU_DEP_1)
	v_rcp_iflag_f32_e32 v2, v2
	s_waitcnt_depctr 0xfff
	v_mul_f32_e32 v2, 0x4f7ffffe, v2
	v_cvt_u32_f32_e32 v2, v2
	s_delay_alu instid0(VALU_DEP_1) | instskip(NEXT) | instid1(VALU_DEP_1)
	v_mul_lo_u32 v3, s4, v2
	v_mul_hi_u32 v3, v2, v3
	s_delay_alu instid0(VALU_DEP_1) | instskip(NEXT) | instid1(VALU_DEP_1)
	v_add_nc_u32_e32 v2, v2, v3
	v_mul_hi_u32 v2, s24, v2
	s_delay_alu instid0(VALU_DEP_1) | instskip(NEXT) | instid1(VALU_DEP_1)
	v_mul_lo_u32 v2, v2, s54
	v_sub_nc_u32_e32 v2, s24, v2
	s_delay_alu instid0(VALU_DEP_1) | instskip(SKIP_1) | instid1(VALU_DEP_2)
	v_subrev_nc_u32_e32 v3, s54, v2
	v_cmp_le_u32_e32 vcc_lo, s54, v2
	v_cndmask_b32_e32 v2, v2, v3, vcc_lo
	s_delay_alu instid0(VALU_DEP_1) | instskip(SKIP_1) | instid1(VALU_DEP_2)
	v_subrev_nc_u32_e32 v3, s54, v2
	v_cmp_le_u32_e32 vcc_lo, s54, v2
	v_cndmask_b32_e32 v10, v2, v3, vcc_lo
	s_delay_alu instid0(VALU_DEP_1)
	v_dual_mov_b32 v2, v10 :: v_dual_mov_b32 v3, v11
.LBB95_74:                              ;   in Loop: Header=BB95_37 Depth=1
	s_delay_alu instid0(VALU_DEP_1) | instskip(NEXT) | instid1(VALU_DEP_2)
	v_sub_co_u32 v29, vcc_lo, s24, v2
	v_sub_co_ci_u32_e32 v30, vcc_lo, s25, v3, vcc_lo
	v_mov_b32_e32 v2, 0
	v_mov_b32_e32 v3, 0
	s_mov_b64 s[66:67], 0
	s_mov_b32 s65, exec_lo
	s_delay_alu instid0(VALU_DEP_1)
	v_dual_mov_b32 v5, v3 :: v_dual_mov_b32 v4, v2
	v_dual_mov_b32 v7, v3 :: v_dual_mov_b32 v6, v2
	;; [unrolled: 1-line block ×3, first 2 shown]
	v_cmpx_gt_u64_e64 v[29:30], v[14:15]
	s_cbranch_execz .LBB95_78
; %bb.75:                               ;   in Loop: Header=BB95_37 Depth=1
	v_dual_mov_b32 v32, v25 :: v_dual_mov_b32 v31, v24
	v_dual_mov_b32 v34, v23 :: v_dual_mov_b32 v33, v22
	;; [unrolled: 1-line block ×5, first 2 shown]
	s_mul_i32 s4, s63, s52
	s_mul_hi_u32 s5, s62, s52
	s_and_b32 s98, s91, 0xfe
	s_add_i32 s99, s5, s4
	s_mul_i32 s100, s62, s52
	s_mov_b32 s101, 0
	s_mov_b64 s[68:69], 0
	s_mov_b64 s[70:71], 0
	;; [unrolled: 1-line block ×3, first 2 shown]
.LBB95_76:                              ;   Parent Loop BB95_37 Depth=1
                                        ; =>  This Inner Loop Header: Depth=2
	v_add_co_u32 v2, vcc_lo, v31, s48
	v_add_co_ci_u32_e32 v3, vcc_lo, s49, v32, vcc_lo
	v_add_co_u32 v4, vcc_lo, v33, s48
	v_add_co_ci_u32_e32 v5, vcc_lo, s49, v34, vcc_lo
	;; [unrolled: 2-line block ×4, first 2 shown]
	global_load_b32 v2, v[2:3], off
	global_load_b32 v3, v[4:5], off
	;; [unrolled: 1-line block ×4, first 2 shown]
	v_add_co_u32 v39, vcc_lo, v39, s54
	v_add_co_ci_u32_e32 v40, vcc_lo, 0, v40, vcc_lo
	v_add_co_u32 v37, vcc_lo, v37, s100
	v_add_co_ci_u32_e32 v38, vcc_lo, s99, v38, vcc_lo
	;; [unrolled: 2-line block ×5, first 2 shown]
	v_cmp_ge_u64_e32 vcc_lo, v[39:40], v[29:30]
	s_waitcnt vmcnt(3)
	v_xor_b32_e32 v2, 0x80000000, v2
	s_waitcnt vmcnt(2)
	v_xor_b32_e32 v3, 0x80000000, v3
	;; [unrolled: 2-line block ×4, first 2 shown]
	v_and_b32_e32 v6, s97, v2
	v_bfe_u32 v2, v2, s98, 2
	v_and_b32_e32 v7, s97, v3
	v_bfe_u32 v3, v3, s98, 2
	;; [unrolled: 2-line block ×3, first 2 shown]
	v_cmp_eq_u32_e64 s4, s96, v6
	v_cmp_eq_u32_e64 s8, 0, v2
	v_and_b32_e32 v9, s97, v5
	v_bfe_u32 v5, v5, s98, 2
	v_cmp_eq_u32_e64 s5, s96, v7
	v_cmp_eq_u32_e64 s9, 0, v3
	;; [unrolled: 1-line block ×4, first 2 shown]
	s_and_b32 s8, s4, s8
	v_cmp_eq_u32_e64 s7, s96, v9
	v_cmp_eq_u32_e64 s11, 0, v5
	;; [unrolled: 1-line block ×5, first 2 shown]
	v_cndmask_b32_e64 v2, 0, 1, s8
	s_and_b32 s8, s5, s9
	v_cmp_eq_u32_e64 s13, 1, v3
	v_cmp_eq_u32_e64 s17, 2, v3
	v_cmp_eq_u32_e64 s21, 3, v3
	v_cndmask_b32_e64 v3, 0, 1, s8
	s_and_b32 s8, s6, s10
	v_cmp_eq_u32_e64 s14, 1, v4
	v_cmp_eq_u32_e64 s18, 2, v4
	v_cmp_eq_u32_e64 s22, 3, v4
	;; [unrolled: 5-line block ×3, first 2 shown]
	v_cndmask_b32_e64 v5, 0, 1, s8
	v_cmp_ne_u32_e64 s8, 0, v2
	v_cmp_ne_u32_e64 s9, 0, v3
	;; [unrolled: 1-line block ×3, first 2 shown]
	s_delay_alu instid0(VALU_DEP_4) | instskip(NEXT) | instid1(VALU_DEP_4)
	v_cmp_ne_u32_e64 s11, 0, v5
	s_bcnt1_i32_b32 s8, s8
	s_delay_alu instid0(VALU_DEP_3) | instskip(NEXT) | instid1(VALU_DEP_2)
	s_bcnt1_i32_b32 s9, s9
	s_bcnt1_i32_b32 s10, s10
	s_add_i32 s8, s9, s8
	s_bcnt1_i32_b32 s11, s11
	s_add_i32 s8, s8, s10
	s_delay_alu instid0(SALU_CYCLE_1) | instskip(NEXT) | instid1(SALU_CYCLE_1)
	s_add_i32 s8, s8, s11
	s_add_u32 s72, s72, s8
	s_addc_u32 s73, s73, 0
	s_and_b32 s8, s4, s12
	s_delay_alu instid0(SALU_CYCLE_1) | instskip(SKIP_1) | instid1(SALU_CYCLE_1)
	v_cndmask_b32_e64 v2, 0, 1, s8
	s_and_b32 s8, s5, s13
	v_cndmask_b32_e64 v3, 0, 1, s8
	s_and_b32 s8, s6, s14
	s_delay_alu instid0(SALU_CYCLE_1) | instskip(SKIP_1) | instid1(VALU_DEP_2)
	v_cndmask_b32_e64 v4, 0, 1, s8
	s_and_b32 s8, s7, s15
	v_cmp_ne_u32_e64 s9, 0, v3
	v_cndmask_b32_e64 v5, 0, 1, s8
	v_cmp_ne_u32_e64 s8, 0, v2
	v_cmp_ne_u32_e64 s10, 0, v4
	s_delay_alu instid0(VALU_DEP_4) | instskip(NEXT) | instid1(VALU_DEP_3)
	s_bcnt1_i32_b32 s9, s9
	v_cmp_ne_u32_e64 s11, 0, v5
	s_delay_alu instid0(VALU_DEP_3) | instskip(NEXT) | instid1(VALU_DEP_2)
	s_bcnt1_i32_b32 s8, s8
	s_bcnt1_i32_b32 s10, s10
	s_add_i32 s8, s9, s8
	s_delay_alu instid0(VALU_DEP_1) | instskip(SKIP_1) | instid1(SALU_CYCLE_1)
	s_bcnt1_i32_b32 s11, s11
	s_add_i32 s8, s8, s10
	s_add_i32 s8, s8, s11
	s_delay_alu instid0(SALU_CYCLE_1) | instskip(SKIP_2) | instid1(SALU_CYCLE_1)
	s_add_u32 s70, s70, s8
	s_addc_u32 s71, s71, 0
	s_and_b32 s8, s4, s16
	v_cndmask_b32_e64 v2, 0, 1, s8
	s_and_b32 s8, s5, s17
	s_delay_alu instid0(SALU_CYCLE_1) | instskip(SKIP_1) | instid1(SALU_CYCLE_1)
	v_cndmask_b32_e64 v3, 0, 1, s8
	s_and_b32 s8, s6, s18
	v_cndmask_b32_e64 v4, 0, 1, s8
	s_and_b32 s8, s7, s19
	s_delay_alu instid0(VALU_DEP_2) | instskip(SKIP_3) | instid1(VALU_DEP_4)
	v_cmp_ne_u32_e64 s9, 0, v3
	v_cndmask_b32_e64 v5, 0, 1, s8
	v_cmp_ne_u32_e64 s8, 0, v2
	v_cmp_ne_u32_e64 s10, 0, v4
	s_bcnt1_i32_b32 s9, s9
	s_delay_alu instid0(VALU_DEP_3) | instskip(NEXT) | instid1(VALU_DEP_3)
	v_cmp_ne_u32_e64 s11, 0, v5
	s_bcnt1_i32_b32 s8, s8
	s_delay_alu instid0(VALU_DEP_2) | instskip(SKIP_1) | instid1(VALU_DEP_1)
	s_bcnt1_i32_b32 s10, s10
	s_add_i32 s8, s9, s8
	s_bcnt1_i32_b32 s11, s11
	s_add_i32 s8, s8, s10
	s_delay_alu instid0(SALU_CYCLE_1) | instskip(NEXT) | instid1(SALU_CYCLE_1)
	s_add_i32 s8, s8, s11
	s_add_u32 s68, s68, s8
	s_addc_u32 s69, s69, 0
	s_and_b32 s4, s4, s20
	v_dual_mov_b32 v6, s68 :: v_dual_mov_b32 v7, s69
	v_cndmask_b32_e64 v2, 0, 1, s4
	s_and_b32 s4, s5, s21
	s_delay_alu instid0(SALU_CYCLE_1) | instskip(SKIP_1) | instid1(SALU_CYCLE_1)
	v_cndmask_b32_e64 v3, 0, 1, s4
	s_and_b32 s4, s6, s22
	v_cndmask_b32_e64 v4, 0, 1, s4
	s_and_b32 s4, s7, s23
	s_delay_alu instid0(VALU_DEP_2)
	v_cmp_ne_u32_e64 s5, 0, v3
	v_cndmask_b32_e64 v5, 0, 1, s4
	v_cmp_ne_u32_e64 s4, 0, v2
	v_cmp_ne_u32_e64 s6, 0, v4
	v_mov_b32_e32 v2, s72
	s_bcnt1_i32_b32 s5, s5
	v_cmp_ne_u32_e64 s7, 0, v5
	s_bcnt1_i32_b32 s4, s4
	s_bcnt1_i32_b32 s6, s6
	s_add_i32 s4, s5, s4
	v_mov_b32_e32 v4, s70
	s_bcnt1_i32_b32 s5, s7
	s_add_i32 s4, s4, s6
	v_mov_b32_e32 v3, s73
	s_add_i32 s4, s4, s5
	v_mov_b32_e32 v5, s71
	s_add_u32 s66, s66, s4
	s_addc_u32 s67, s67, 0
	s_delay_alu instid0(SALU_CYCLE_1) | instskip(SKIP_1) | instid1(SALU_CYCLE_1)
	v_dual_mov_b32 v8, s66 :: v_dual_mov_b32 v9, s67
	s_or_b32 s101, vcc_lo, s101
	s_and_not1_b32 exec_lo, exec_lo, s101
	s_cbranch_execnz .LBB95_76
; %bb.77:                               ;   in Loop: Header=BB95_37 Depth=1
	s_or_b32 exec_lo, exec_lo, s101
.LBB95_78:                              ;   in Loop: Header=BB95_37 Depth=1
	s_delay_alu instid0(SALU_CYCLE_1) | instskip(SKIP_3) | instid1(VALU_DEP_2)
	s_or_b32 exec_lo, exec_lo, s65
	v_add_co_u32 v29, vcc_lo, v29, v0
	v_add_co_ci_u32_e32 v30, vcc_lo, 0, v30, vcc_lo
	v_mov_b32_e32 v27, 0
	v_cmp_gt_u64_e32 vcc_lo, s[24:25], v[29:30]
	s_and_saveexec_b32 s5, vcc_lo
	s_cbranch_execz .LBB95_80
; %bb.79:                               ;   in Loop: Header=BB95_37 Depth=1
	v_mul_lo_u32 v10, v30, s28
	v_mul_lo_u32 v27, v29, s29
	v_mad_u64_u32 v[31:32], null, v29, s28, 0
	s_delay_alu instid0(VALU_DEP_1) | instskip(NEXT) | instid1(VALU_DEP_1)
	v_add3_u32 v32, v32, v27, v10
	v_lshlrev_b64 v[31:32], 2, v[31:32]
	s_delay_alu instid0(VALU_DEP_1) | instskip(NEXT) | instid1(VALU_DEP_1)
	v_add_co_u32 v31, s4, s74, v31
	v_add_co_ci_u32_e64 v32, s4, s75, v32, s4
	global_load_b32 v27, v[31:32], off
.LBB95_80:                              ;   in Loop: Header=BB95_37 Depth=1
	s_or_b32 exec_lo, exec_lo, s5
	s_and_saveexec_b32 s7, vcc_lo
	s_cbranch_execz .LBB95_87
; %bb.81:                               ;   in Loop: Header=BB95_37 Depth=1
	s_and_b32 s9, s91, 0xfe
	s_mov_b32 s8, 0
	s_branch .LBB95_83
.LBB95_82:                              ;   in Loop: Header=BB95_83 Depth=2
	s_or_b32 exec_lo, exec_lo, s5
	s_waitcnt vmcnt(0)
	v_xor_b32_e32 v27, 0x80000000, v27
	s_and_b32 s6, exec_lo, vcc_lo
	s_delay_alu instid0(SALU_CYCLE_1) | instskip(NEXT) | instid1(VALU_DEP_1)
	s_or_b32 s8, s6, s8
	v_and_b32_e32 v31, s97, v27
	v_bfe_u32 v27, v27, s9, 2
	s_delay_alu instid0(VALU_DEP_2) | instskip(NEXT) | instid1(VALU_DEP_2)
	v_cmp_eq_u32_e64 s4, s96, v31
	v_cmp_eq_u32_e64 s5, 0, v27
	v_cmp_eq_u32_e32 vcc_lo, 1, v27
	v_cmp_eq_u32_e64 s6, 2, v27
	s_delay_alu instid0(VALU_DEP_3) | instskip(NEXT) | instid1(SALU_CYCLE_1)
	s_and_b32 s5, s4, s5
	v_cndmask_b32_e64 v31, 0, 1, s5
	s_and_b32 s5, s4, vcc_lo
	v_cmp_eq_u32_e32 vcc_lo, 3, v27
	v_cndmask_b32_e64 v32, 0, 1, s5
	s_and_b32 s5, s4, s6
	s_delay_alu instid0(SALU_CYCLE_1) | instskip(SKIP_1) | instid1(VALU_DEP_3)
	v_cndmask_b32_e64 v27, 0, 1, s5
	v_cmp_ne_u32_e64 s5, 0, v31
	v_cmp_ne_u32_e64 s6, 0, v32
	s_and_b32 s4, s4, vcc_lo
	s_delay_alu instid0(SALU_CYCLE_1) | instskip(NEXT) | instid1(VALU_DEP_3)
	v_cndmask_b32_e64 v31, 0, 1, s4
	s_bcnt1_i32_b32 s4, s5
	v_cmp_ne_u32_e32 vcc_lo, 0, v27
	v_add_co_u32 v2, s4, v2, s4
	s_bcnt1_i32_b32 s5, s6
	v_add_co_ci_u32_e64 v3, s4, 0, v3, s4
	v_add_co_u32 v4, s4, v4, s5
	s_delay_alu instid0(VALU_DEP_1) | instskip(SKIP_3) | instid1(VALU_DEP_1)
	v_add_co_ci_u32_e64 v5, s4, 0, v5, s4
	s_bcnt1_i32_b32 s4, vcc_lo
	v_cmp_ne_u32_e32 vcc_lo, 0, v31
	v_add_co_u32 v6, s4, v6, s4
	v_add_co_ci_u32_e64 v7, s4, 0, v7, s4
	s_bcnt1_i32_b32 s4, vcc_lo
	v_mov_b32_e32 v27, v10
	v_add_co_u32 v8, vcc_lo, v8, s4
	v_add_co_ci_u32_e32 v9, vcc_lo, 0, v9, vcc_lo
	s_and_not1_b32 exec_lo, exec_lo, s8
	s_cbranch_execz .LBB95_86
.LBB95_83:                              ;   Parent Loop BB95_37 Depth=1
                                        ; =>  This Inner Loop Header: Depth=2
	v_add_co_u32 v29, vcc_lo, v29, s52
	v_add_co_ci_u32_e32 v30, vcc_lo, 0, v30, vcc_lo
	v_mov_b32_e32 v10, 0
	s_mov_b32 s5, exec_lo
	s_delay_alu instid0(VALU_DEP_2)
	v_cmp_le_u64_e32 vcc_lo, s[24:25], v[29:30]
	v_cmpx_gt_u64_e64 s[24:25], v[29:30]
	s_cbranch_execz .LBB95_82
; %bb.84:                               ;   in Loop: Header=BB95_83 Depth=2
	v_mul_lo_u32 v10, v30, s28
	v_mul_lo_u32 v33, v29, s29
	v_mad_u64_u32 v[31:32], null, v29, s28, 0
	s_delay_alu instid0(VALU_DEP_1) | instskip(NEXT) | instid1(VALU_DEP_1)
	v_add3_u32 v32, v32, v33, v10
	v_lshlrev_b64 v[31:32], 2, v[31:32]
	s_delay_alu instid0(VALU_DEP_1) | instskip(NEXT) | instid1(VALU_DEP_1)
	v_add_co_u32 v31, s4, s74, v31
	v_add_co_ci_u32_e64 v32, s4, s75, v32, s4
	global_load_b32 v10, v[31:32], off
	s_branch .LBB95_82
.LBB95_85:                              ;   in Loop: Header=BB95_37 Depth=1
                                        ; implicit-def: $vgpr8_vgpr9
                                        ; implicit-def: $vgpr4_vgpr5
	s_cbranch_execnz .LBB95_88
	s_branch .LBB95_97
.LBB95_86:                              ;   in Loop: Header=BB95_37 Depth=1
	s_or_b32 exec_lo, exec_lo, s8
.LBB95_87:                              ;   in Loop: Header=BB95_37 Depth=1
	s_delay_alu instid0(SALU_CYCLE_1)
	s_or_b32 exec_lo, exec_lo, s7
	s_branch .LBB95_97
.LBB95_88:                              ;   in Loop: Header=BB95_37 Depth=1
	global_load_u16 v8, v11, s[56:57]
	s_mov_b64 s[66:67], 0
	s_mov_b32 s65, exec_lo
	s_waitcnt vmcnt(0)
	v_readfirstlane_b32 s4, v8
	v_and_b32_e32 v27, 0xffff, v8
	s_delay_alu instid0(VALU_DEP_2) | instskip(NEXT) | instid1(SALU_CYCLE_1)
	s_and_b32 s4, 0xffff, s4
	s_lshl_b32 s54, s4, 2
	s_delay_alu instid0(SALU_CYCLE_1) | instskip(SKIP_1) | instid1(VALU_DEP_1)
	v_cvt_f32_u32_e32 v2, s54
	s_sub_i32 s5, 0, s54
	v_rcp_iflag_f32_e32 v2, v2
	s_waitcnt_depctr 0xfff
	v_mul_f32_e32 v2, 0x4f7ffffe, v2
	s_delay_alu instid0(VALU_DEP_1) | instskip(NEXT) | instid1(VALU_DEP_1)
	v_cvt_u32_f32_e32 v2, v2
	v_readfirstlane_b32 s4, v2
	v_mov_b32_e32 v2, 0
	v_mov_b32_e32 v3, 0
	s_delay_alu instid0(VALU_DEP_3) | instskip(NEXT) | instid1(VALU_DEP_1)
	s_mul_i32 s5, s5, s4
	v_dual_mov_b32 v5, v3 :: v_dual_mov_b32 v4, v2
	s_mul_hi_u32 s5, s4, s5
	v_dual_mov_b32 v7, v3 :: v_dual_mov_b32 v6, v2
	s_add_i32 s4, s4, s5
	v_dual_mov_b32 v9, v3 :: v_dual_mov_b32 v8, v2
	s_mul_hi_u32 s4, s64, s4
	s_delay_alu instid0(SALU_CYCLE_1) | instskip(NEXT) | instid1(SALU_CYCLE_1)
	s_mul_i32 s4, s4, s54
	s_sub_i32 s4, s64, s4
	s_delay_alu instid0(SALU_CYCLE_1) | instskip(SKIP_2) | instid1(SALU_CYCLE_1)
	s_sub_i32 s5, s4, s54
	s_cmp_ge_u32 s4, s54
	s_cselect_b32 s4, s5, s4
	s_sub_i32 s5, s4, s54
	s_cmp_ge_u32 s4, s54
	s_cselect_b32 s4, s5, s4
	s_delay_alu instid0(SALU_CYCLE_1) | instskip(NEXT) | instid1(SALU_CYCLE_1)
	s_sub_i32 s52, s64, s4
	v_cmpx_gt_u32_e64 s52, v14
	s_cbranch_execz .LBB95_92
; %bb.89:                               ;   in Loop: Header=BB95_37 Depth=1
	v_dual_mov_b32 v31, v44 :: v_dual_lshlrev_b32 v10, 4, v27
	v_dual_mov_b32 v30, v15 :: v_dual_mov_b32 v29, v14
	s_and_b32 s98, s91, 0xfe
	s_mov_b32 s99, 0
	s_mov_b64 s[68:69], 0
	s_mov_b64 s[70:71], 0
	;; [unrolled: 1-line block ×3, first 2 shown]
.LBB95_90:                              ;   Parent Loop BB95_37 Depth=1
                                        ; =>  This Inner Loop Header: Depth=2
	ds_load_b128 v[2:5], v31
	v_add_co_u32 v29, vcc_lo, v29, s54
	v_add_co_ci_u32_e32 v30, vcc_lo, 0, v30, vcc_lo
	s_delay_alu instid0(VALU_DEP_1)
	v_cmp_le_u64_e32 vcc_lo, s[52:53], v[29:30]
	s_waitcnt lgkmcnt(0)
	v_xor_b32_e32 v2, 0x80000000, v2
	v_xor_b32_e32 v3, 0x80000000, v3
	;; [unrolled: 1-line block ×4, first 2 shown]
	s_delay_alu instid0(VALU_DEP_4)
	v_and_b32_e32 v6, s97, v2
	v_bfe_u32 v2, v2, s98, 2
	v_and_b32_e32 v7, s97, v3
	v_bfe_u32 v3, v3, s98, 2
	;; [unrolled: 2-line block ×3, first 2 shown]
	v_cmp_eq_u32_e64 s4, s96, v6
	v_cmp_eq_u32_e64 s8, 0, v2
	v_and_b32_e32 v9, s97, v5
	v_bfe_u32 v5, v5, s98, 2
	v_cmp_eq_u32_e64 s5, s96, v7
	v_cmp_eq_u32_e64 s9, 0, v3
	;; [unrolled: 1-line block ×4, first 2 shown]
	s_and_b32 s8, s4, s8
	v_cmp_eq_u32_e64 s7, s96, v9
	v_cmp_eq_u32_e64 s11, 0, v5
	;; [unrolled: 1-line block ×5, first 2 shown]
	v_cndmask_b32_e64 v2, 0, 1, s8
	s_and_b32 s8, s5, s9
	v_cmp_eq_u32_e64 s13, 1, v3
	v_cmp_eq_u32_e64 s17, 2, v3
	v_cmp_eq_u32_e64 s21, 3, v3
	v_cndmask_b32_e64 v3, 0, 1, s8
	s_and_b32 s8, s6, s10
	v_cmp_eq_u32_e64 s14, 1, v4
	v_cmp_eq_u32_e64 s18, 2, v4
	v_cmp_eq_u32_e64 s22, 3, v4
	;; [unrolled: 5-line block ×3, first 2 shown]
	v_cndmask_b32_e64 v5, 0, 1, s8
	v_cmp_ne_u32_e64 s8, 0, v2
	v_cmp_ne_u32_e64 s9, 0, v3
	;; [unrolled: 1-line block ×3, first 2 shown]
	s_delay_alu instid0(VALU_DEP_4) | instskip(NEXT) | instid1(VALU_DEP_4)
	v_cmp_ne_u32_e64 s11, 0, v5
	s_bcnt1_i32_b32 s8, s8
	s_delay_alu instid0(VALU_DEP_3) | instskip(NEXT) | instid1(VALU_DEP_2)
	s_bcnt1_i32_b32 s9, s9
	s_bcnt1_i32_b32 s10, s10
	s_add_i32 s8, s9, s8
	s_bcnt1_i32_b32 s11, s11
	s_add_i32 s8, s8, s10
	s_delay_alu instid0(SALU_CYCLE_1) | instskip(NEXT) | instid1(SALU_CYCLE_1)
	s_add_i32 s8, s8, s11
	s_add_u32 s72, s72, s8
	s_addc_u32 s73, s73, 0
	s_and_b32 s8, s4, s12
	v_add_nc_u32_e32 v31, v31, v10
	v_cndmask_b32_e64 v2, 0, 1, s8
	s_and_b32 s8, s5, s13
	s_delay_alu instid0(SALU_CYCLE_1) | instskip(SKIP_1) | instid1(SALU_CYCLE_1)
	v_cndmask_b32_e64 v3, 0, 1, s8
	s_and_b32 s8, s6, s14
	v_cndmask_b32_e64 v4, 0, 1, s8
	s_and_b32 s8, s7, s15
	s_delay_alu instid0(VALU_DEP_2) | instskip(SKIP_3) | instid1(VALU_DEP_4)
	v_cmp_ne_u32_e64 s9, 0, v3
	v_cndmask_b32_e64 v5, 0, 1, s8
	v_cmp_ne_u32_e64 s8, 0, v2
	v_cmp_ne_u32_e64 s10, 0, v4
	s_bcnt1_i32_b32 s9, s9
	s_delay_alu instid0(VALU_DEP_3) | instskip(NEXT) | instid1(VALU_DEP_3)
	v_cmp_ne_u32_e64 s11, 0, v5
	s_bcnt1_i32_b32 s8, s8
	s_delay_alu instid0(VALU_DEP_2) | instskip(SKIP_1) | instid1(VALU_DEP_1)
	s_bcnt1_i32_b32 s10, s10
	s_add_i32 s8, s9, s8
	s_bcnt1_i32_b32 s11, s11
	s_add_i32 s8, s8, s10
	s_delay_alu instid0(SALU_CYCLE_1) | instskip(NEXT) | instid1(SALU_CYCLE_1)
	s_add_i32 s8, s8, s11
	s_add_u32 s70, s70, s8
	s_addc_u32 s71, s71, 0
	s_and_b32 s8, s4, s16
	s_delay_alu instid0(SALU_CYCLE_1) | instskip(SKIP_1) | instid1(SALU_CYCLE_1)
	v_cndmask_b32_e64 v2, 0, 1, s8
	s_and_b32 s8, s5, s17
	v_cndmask_b32_e64 v3, 0, 1, s8
	s_and_b32 s8, s6, s18
	s_delay_alu instid0(SALU_CYCLE_1) | instskip(SKIP_1) | instid1(VALU_DEP_2)
	v_cndmask_b32_e64 v4, 0, 1, s8
	s_and_b32 s8, s7, s19
	v_cmp_ne_u32_e64 s9, 0, v3
	v_cndmask_b32_e64 v5, 0, 1, s8
	v_cmp_ne_u32_e64 s8, 0, v2
	v_cmp_ne_u32_e64 s10, 0, v4
	s_delay_alu instid0(VALU_DEP_4) | instskip(NEXT) | instid1(VALU_DEP_3)
	s_bcnt1_i32_b32 s9, s9
	v_cmp_ne_u32_e64 s11, 0, v5
	s_delay_alu instid0(VALU_DEP_3) | instskip(NEXT) | instid1(VALU_DEP_2)
	s_bcnt1_i32_b32 s8, s8
	s_bcnt1_i32_b32 s10, s10
	s_add_i32 s8, s9, s8
	s_delay_alu instid0(VALU_DEP_1) | instskip(SKIP_1) | instid1(SALU_CYCLE_1)
	s_bcnt1_i32_b32 s11, s11
	s_add_i32 s8, s8, s10
	s_add_i32 s8, s8, s11
	s_delay_alu instid0(SALU_CYCLE_1)
	s_add_u32 s68, s68, s8
	s_addc_u32 s69, s69, 0
	s_and_b32 s4, s4, s20
	v_mov_b32_e32 v6, s68
	v_cndmask_b32_e64 v2, 0, 1, s4
	s_and_b32 s4, s5, s21
	s_delay_alu instid0(SALU_CYCLE_1) | instskip(SKIP_1) | instid1(SALU_CYCLE_1)
	v_cndmask_b32_e64 v3, 0, 1, s4
	s_and_b32 s4, s6, s22
	v_cndmask_b32_e64 v4, 0, 1, s4
	s_and_b32 s4, s7, s23
	s_delay_alu instid0(VALU_DEP_2)
	v_cmp_ne_u32_e64 s5, 0, v3
	v_cndmask_b32_e64 v5, 0, 1, s4
	v_cmp_ne_u32_e64 s4, 0, v2
	v_mov_b32_e32 v2, s72
	v_cmp_ne_u32_e64 s6, 0, v4
	s_bcnt1_i32_b32 s5, s5
	v_cmp_ne_u32_e64 s7, 0, v5
	s_bcnt1_i32_b32 s4, s4
	v_mov_b32_e32 v4, s70
	s_bcnt1_i32_b32 s6, s6
	s_add_i32 s4, s5, s4
	s_bcnt1_i32_b32 s5, s7
	s_add_i32 s4, s4, s6
	v_mov_b32_e32 v3, s73
	s_add_i32 s4, s4, s5
	v_mov_b32_e32 v5, s71
	s_add_u32 s66, s66, s4
	s_addc_u32 s67, s67, 0
	v_dual_mov_b32 v7, s69 :: v_dual_mov_b32 v8, s66
	v_mov_b32_e32 v9, s67
	s_or_b32 s99, vcc_lo, s99
	s_delay_alu instid0(SALU_CYCLE_1)
	s_and_not1_b32 exec_lo, exec_lo, s99
	s_cbranch_execnz .LBB95_90
; %bb.91:                               ;   in Loop: Header=BB95_37 Depth=1
	s_or_b32 exec_lo, exec_lo, s99
.LBB95_92:                              ;   in Loop: Header=BB95_37 Depth=1
	s_delay_alu instid0(SALU_CYCLE_1) | instskip(SKIP_2) | instid1(VALU_DEP_1)
	s_or_b32 exec_lo, exec_lo, s65
	v_add_nc_u32_e32 v10, s52, v0
	s_mov_b32 s9, exec_lo
	v_cmpx_gt_u32_e64 s64, v10
	s_cbranch_execz .LBB95_96
; %bb.93:                               ;   in Loop: Header=BB95_37 Depth=1
	v_dual_mov_b32 v30, v11 :: v_dual_lshlrev_b32 v31, 2, v10
	v_mov_b32_e32 v29, v10
	s_mov_b32 s11, 0
	s_and_b32 s10, s64, 0x7fffffff
	s_and_b32 s13, s91, 0xfe
	s_mov_b32 s12, s11
.LBB95_94:                              ;   Parent Loop BB95_37 Depth=1
                                        ; =>  This Inner Loop Header: Depth=2
	ds_load_b32 v10, v31
	v_add_co_u32 v29, vcc_lo, v29, v27
	v_add_co_ci_u32_e32 v30, vcc_lo, 0, v30, vcc_lo
	v_add_nc_u32_e32 v31, s54, v31
	s_delay_alu instid0(VALU_DEP_2) | instskip(SKIP_2) | instid1(VALU_DEP_1)
	v_cmp_le_u64_e32 vcc_lo, s[10:11], v[29:30]
	s_waitcnt lgkmcnt(0)
	v_xor_b32_e32 v10, 0x80000000, v10
	v_and_b32_e32 v32, s97, v10
	v_bfe_u32 v10, v10, s13, 2
	s_delay_alu instid0(VALU_DEP_2) | instskip(NEXT) | instid1(VALU_DEP_2)
	v_cmp_eq_u32_e64 s4, s96, v32
	v_cmp_eq_u32_e64 s5, 0, v10
	;; [unrolled: 1-line block ×5, first 2 shown]
	s_delay_alu instid0(VALU_DEP_4) | instskip(NEXT) | instid1(SALU_CYCLE_1)
	s_and_b32 s5, s4, s5
	v_cndmask_b32_e64 v10, 0, 1, s5
	s_and_b32 s5, s4, s6
	s_delay_alu instid0(SALU_CYCLE_1)
	v_cndmask_b32_e64 v32, 0, 1, s5
	s_and_b32 s5, s4, s7
	s_and_b32 s4, s4, s8
	v_cndmask_b32_e64 v33, 0, 1, s5
	v_cndmask_b32_e64 v34, 0, 1, s4
	v_cmp_ne_u32_e64 s4, 0, v10
	v_cmp_ne_u32_e64 s5, 0, v32
	s_delay_alu instid0(VALU_DEP_4) | instskip(NEXT) | instid1(VALU_DEP_4)
	v_cmp_ne_u32_e64 s6, 0, v33
	v_cmp_ne_u32_e64 s7, 0, v34
	s_delay_alu instid0(VALU_DEP_4) | instskip(NEXT) | instid1(VALU_DEP_3)
	s_bcnt1_i32_b32 s4, s4
	s_bcnt1_i32_b32 s5, s5
	v_add_co_u32 v2, s4, v2, s4
	s_delay_alu instid0(VALU_DEP_1)
	v_add_co_ci_u32_e64 v3, s4, 0, v3, s4
	v_add_co_u32 v4, s4, v4, s5
	s_bcnt1_i32_b32 s6, s6
	v_add_co_ci_u32_e64 v5, s4, 0, v5, s4
	v_add_co_u32 v6, s4, v6, s6
	s_bcnt1_i32_b32 s7, s7
	v_add_co_ci_u32_e64 v7, s4, 0, v7, s4
	v_add_co_u32 v8, s4, v8, s7
	s_delay_alu instid0(VALU_DEP_1) | instskip(SKIP_1) | instid1(SALU_CYCLE_1)
	v_add_co_ci_u32_e64 v9, s4, 0, v9, s4
	s_or_b32 s12, vcc_lo, s12
	s_and_not1_b32 exec_lo, exec_lo, s12
	s_cbranch_execnz .LBB95_94
; %bb.95:                               ;   in Loop: Header=BB95_37 Depth=1
	s_or_b32 exec_lo, exec_lo, s12
.LBB95_96:                              ;   in Loop: Header=BB95_37 Depth=1
	s_delay_alu instid0(SALU_CYCLE_1)
	s_or_b32 exec_lo, exec_lo, s9
.LBB95_97:                              ;   in Loop: Header=BB95_37 Depth=1
	s_lshl_b32 s4, s94, 7
	s_and_saveexec_b32 s5, s1
	s_cbranch_execz .LBB95_99
; %bb.98:                               ;   in Loop: Header=BB95_37 Depth=1
	v_or_b32_e32 v10, s4, v43
	s_delay_alu instid0(VALU_DEP_1)
	v_lshlrev_b32_e32 v10, 3, v10
	ds_store_b128 v10, v[2:5] offset:3072
	ds_store_b128 v10, v[6:9] offset:3088
.LBB95_99:                              ;   in Loop: Header=BB95_37 Depth=1
	s_or_b32 exec_lo, exec_lo, s5
	s_waitcnt vmcnt(0) lgkmcnt(0)
	s_barrier
	buffer_gl0_inv
	s_and_saveexec_b32 s5, s76
	s_cbranch_execz .LBB95_110
; %bb.100:                              ;   in Loop: Header=BB95_37 Depth=1
	v_mov_b32_e32 v2, 0
	v_mov_b32_e32 v3, 0
	s_and_not1_b32 vcc_lo, exec_lo, s84
	s_cbranch_vccnz .LBB95_109
; %bb.101:                              ;   in Loop: Header=BB95_37 Depth=1
	v_mov_b32_e32 v2, 0
	v_mov_b32_e32 v3, 0
	s_and_not1_b32 vcc_lo, exec_lo, s82
	s_cbranch_vccnz .LBB95_106
; %bb.102:                              ;   in Loop: Header=BB95_37 Depth=1
	v_lshl_add_u32 v4, s94, 10, v46
	s_mov_b32 s6, 0
	s_set_inst_prefetch_distance 0x1
	.p2align	6
.LBB95_103:                             ;   Parent Loop BB95_37 Depth=1
                                        ; =>  This Inner Loop Header: Depth=2
	ds_load_2addr_b64 v[5:8], v4 offset1:4
	ds_load_2addr_b64 v[29:32], v4 offset0:8 offset1:12
	ds_load_2addr_b64 v[33:36], v4 offset0:16 offset1:20
	s_add_i32 s6, s6, 8
	s_delay_alu instid0(SALU_CYCLE_1) | instskip(SKIP_3) | instid1(VALU_DEP_2)
	s_cmp_eq_u32 s83, s6
	s_waitcnt lgkmcnt(2)
	v_add_co_u32 v2, vcc_lo, v5, v2
	v_add_co_ci_u32_e32 v3, vcc_lo, v6, v3, vcc_lo
	v_add_co_u32 v2, vcc_lo, v7, v2
	s_delay_alu instid0(VALU_DEP_2)
	v_add_co_ci_u32_e32 v3, vcc_lo, v8, v3, vcc_lo
	ds_load_2addr_b64 v[5:8], v4 offset0:24 offset1:28
	s_waitcnt lgkmcnt(2)
	v_add_co_u32 v2, vcc_lo, v29, v2
	v_add_co_ci_u32_e32 v3, vcc_lo, v30, v3, vcc_lo
	v_add_nc_u32_e32 v4, 0x100, v4
	s_delay_alu instid0(VALU_DEP_3) | instskip(NEXT) | instid1(VALU_DEP_3)
	v_add_co_u32 v2, vcc_lo, v31, v2
	v_add_co_ci_u32_e32 v3, vcc_lo, v32, v3, vcc_lo
	s_waitcnt lgkmcnt(1)
	s_delay_alu instid0(VALU_DEP_2) | instskip(NEXT) | instid1(VALU_DEP_2)
	v_add_co_u32 v2, vcc_lo, v33, v2
	v_add_co_ci_u32_e32 v3, vcc_lo, v34, v3, vcc_lo
	s_delay_alu instid0(VALU_DEP_2) | instskip(NEXT) | instid1(VALU_DEP_2)
	v_add_co_u32 v2, vcc_lo, v35, v2
	v_add_co_ci_u32_e32 v3, vcc_lo, v36, v3, vcc_lo
	s_waitcnt lgkmcnt(0)
	s_delay_alu instid0(VALU_DEP_2) | instskip(NEXT) | instid1(VALU_DEP_2)
	v_add_co_u32 v2, vcc_lo, v5, v2
	v_add_co_ci_u32_e32 v3, vcc_lo, v6, v3, vcc_lo
	s_delay_alu instid0(VALU_DEP_2) | instskip(NEXT) | instid1(VALU_DEP_2)
	v_add_co_u32 v2, vcc_lo, v7, v2
	v_add_co_ci_u32_e32 v3, vcc_lo, v8, v3, vcc_lo
	s_cbranch_scc0 .LBB95_103
; %bb.104:                              ;   in Loop: Header=BB95_37 Depth=1
	s_set_inst_prefetch_distance 0x2
	s_mov_b32 s6, s83
	s_and_not1_b32 vcc_lo, exec_lo, s85
	s_cbranch_vccz .LBB95_107
	s_branch .LBB95_109
.LBB95_105:                             ;   in Loop: Header=BB95_37 Depth=1
                                        ; implicit-def: $vgpr2_vgpr3
	s_branch .LBB95_73
.LBB95_106:                             ;   in Loop: Header=BB95_37 Depth=1
	s_mov_b32 s6, 0
	s_and_not1_b32 vcc_lo, exec_lo, s85
	s_cbranch_vccnz .LBB95_109
.LBB95_107:                             ;   in Loop: Header=BB95_37 Depth=1
	s_lshl_b32 s7, s94, 10
	s_lshl_b32 s6, s6, 5
	s_delay_alu instid0(SALU_CYCLE_1)
	v_add3_u32 v4, s7, s6, v46
	s_mov_b32 s6, s81
.LBB95_108:                             ;   Parent Loop BB95_37 Depth=1
                                        ; =>  This Inner Loop Header: Depth=2
	ds_load_b64 v[5:6], v4
	v_add_nc_u32_e32 v4, 32, v4
	s_add_i32 s6, s6, -1
	s_delay_alu instid0(SALU_CYCLE_1)
	s_cmp_lg_u32 s6, 0
	s_waitcnt lgkmcnt(0)
	v_add_co_u32 v2, vcc_lo, v5, v2
	v_add_co_ci_u32_e32 v3, vcc_lo, v6, v3, vcc_lo
	s_cbranch_scc1 .LBB95_108
.LBB95_109:                             ;   in Loop: Header=BB95_37 Depth=1
	v_add_lshl_u32 v4, s4, v41, 3
	ds_store_b64 v4, v[2:3] offset:3072
.LBB95_110:                             ;   in Loop: Header=BB95_37 Depth=1
	s_or_b32 exec_lo, exec_lo, s5
	s_lshl_b32 s4, s4, 3
	s_waitcnt lgkmcnt(0)
	v_mov_b32_e32 v6, s4
	s_barrier
	buffer_gl0_inv
	s_and_b32 s17, s91, 0xfe
	s_mov_b32 s19, -1
	ds_load_b128 v[2:5], v6 offset:3072
	ds_load_b128 v[6:9], v6 offset:3088
	s_lshl_b32 s16, 3, s17
	s_delay_alu instid0(SALU_CYCLE_1)
	s_not_b32 s18, s16
	s_waitcnt lgkmcnt(1)
	v_readfirstlane_b32 s13, v3
	v_readfirstlane_b32 s12, v2
	v_readfirstlane_b32 s10, v4
	v_readfirstlane_b32 s11, v5
	s_waitcnt lgkmcnt(0)
	v_readfirstlane_b32 s8, v6
	v_readfirstlane_b32 s9, v7
	s_cmp_eq_u64 s[12:13], 1
	v_readfirstlane_b32 s6, v8
	s_cselect_b32 s4, -1, 0
	s_cmp_eq_u64 s[46:47], 1
	v_readfirstlane_b32 s7, v9
	s_cselect_b32 s5, -1, 0
	s_delay_alu instid0(SALU_CYCLE_1) | instskip(NEXT) | instid1(SALU_CYCLE_1)
	s_and_b32 s20, s4, s5
	s_and_b32 vcc_lo, exec_lo, s20
	s_cbranch_vccz .LBB95_125
; %bb.111:                              ;   in Loop: Header=BB95_37 Depth=1
	ds_load_b64 v[2:3], v11 offset:5120
	s_waitcnt lgkmcnt(0)
	s_barrier
	buffer_gl0_inv
	v_readfirstlane_b32 s14, v2
	v_readfirstlane_b32 s15, v3
	s_and_saveexec_b32 s4, s3
	s_cbranch_execz .LBB95_113
; %bb.112:                              ;   in Loop: Header=BB95_37 Depth=1
	ds_store_b32 v42, v11
.LBB95_113:                             ;   in Loop: Header=BB95_37 Depth=1
	s_or_b32 exec_lo, exec_lo, s4
	s_and_b32 s96, s96, s18
	s_or_b32 s97, s97, s16
	s_cmp_eq_u64 s[14:15], 0
	s_waitcnt lgkmcnt(0)
	s_barrier
	buffer_gl0_inv
	s_cbranch_scc1 .LBB95_126
; %bb.114:                              ;   in Loop: Header=BB95_37 Depth=1
	s_add_u32 s21, s78, s14
	s_addc_u32 s5, s79, s15
	s_mov_b32 s4, s53
	s_delay_alu instid0(SALU_CYCLE_1)
	s_cmp_lg_u64 s[4:5], 0
	s_cbranch_scc0 .LBB95_171
; %bb.115:                              ;   in Loop: Header=BB95_37 Depth=1
	v_cvt_f32_u32_e32 v2, s33
	s_sub_u32 s23, 0, s33
	s_subb_u32 s52, 0, 0
	s_delay_alu instid0(VALU_DEP_1) | instskip(NEXT) | instid1(VALU_DEP_1)
	v_fmac_f32_e64 v2, 0, 0x4f800000
	v_rcp_f32_e32 v2, v2
	s_waitcnt_depctr 0xfff
	v_mul_f32_e32 v2, 0x5f7ffffc, v2
	s_delay_alu instid0(VALU_DEP_1) | instskip(NEXT) | instid1(VALU_DEP_1)
	v_mul_f32_e32 v3, 0x2f800000, v2
	v_trunc_f32_e32 v3, v3
	s_delay_alu instid0(VALU_DEP_1) | instskip(SKIP_1) | instid1(VALU_DEP_2)
	v_fmac_f32_e32 v2, 0xcf800000, v3
	v_cvt_u32_f32_e32 v3, v3
	v_cvt_u32_f32_e32 v2, v2
	s_delay_alu instid0(VALU_DEP_2) | instskip(NEXT) | instid1(VALU_DEP_2)
	v_readfirstlane_b32 s4, v3
	v_readfirstlane_b32 s22, v2
	s_delay_alu instid0(VALU_DEP_2) | instskip(NEXT) | instid1(VALU_DEP_1)
	s_mul_i32 s54, s23, s4
	s_mul_hi_u32 s65, s23, s22
	s_mul_i32 s64, s52, s22
	s_add_i32 s54, s65, s54
	s_mul_i32 s66, s23, s22
	s_add_i32 s54, s54, s64
	s_mul_hi_u32 s65, s22, s66
	s_mul_hi_u32 s67, s4, s66
	s_mul_i32 s64, s4, s66
	s_mul_hi_u32 s66, s22, s54
	s_mul_i32 s22, s22, s54
	s_mul_hi_u32 s68, s4, s54
	s_add_u32 s22, s65, s22
	s_addc_u32 s65, 0, s66
	s_add_u32 s22, s22, s64
	s_mul_i32 s54, s4, s54
	s_addc_u32 s22, s65, s67
	s_addc_u32 s64, s68, 0
	s_add_u32 s22, s22, s54
	s_addc_u32 s54, 0, s64
	v_add_co_u32 v2, s22, v2, s22
	s_delay_alu instid0(VALU_DEP_1) | instskip(SKIP_1) | instid1(VALU_DEP_1)
	s_cmp_lg_u32 s22, 0
	s_addc_u32 s4, s4, s54
	v_readfirstlane_b32 s22, v2
	s_mul_i32 s54, s23, s4
	s_delay_alu instid0(VALU_DEP_1)
	s_mul_hi_u32 s64, s23, s22
	s_mul_i32 s52, s52, s22
	s_add_i32 s54, s64, s54
	s_mul_i32 s23, s23, s22
	s_add_i32 s54, s54, s52
	s_mul_hi_u32 s64, s4, s23
	s_mul_i32 s65, s4, s23
	s_mul_hi_u32 s23, s22, s23
	s_mul_hi_u32 s66, s22, s54
	s_mul_i32 s22, s22, s54
	s_mul_hi_u32 s52, s4, s54
	s_add_u32 s22, s23, s22
	s_addc_u32 s23, 0, s66
	s_add_u32 s22, s22, s65
	s_mul_i32 s54, s4, s54
	s_addc_u32 s22, s23, s64
	s_addc_u32 s23, s52, 0
	s_add_u32 s22, s22, s54
	s_addc_u32 s23, 0, s23
	v_add_co_u32 v2, s22, v2, s22
	s_delay_alu instid0(VALU_DEP_1) | instskip(SKIP_1) | instid1(VALU_DEP_1)
	s_cmp_lg_u32 s22, 0
	s_addc_u32 s4, s4, s23
	v_readfirstlane_b32 s22, v2
	s_mul_i32 s52, s21, s4
	s_mul_hi_u32 s23, s21, s4
	s_mul_hi_u32 s54, s5, s4
	s_mul_i32 s4, s5, s4
	s_mul_hi_u32 s64, s21, s22
	s_mul_hi_u32 s65, s5, s22
	s_mul_i32 s22, s5, s22
	s_add_u32 s52, s64, s52
	s_addc_u32 s23, 0, s23
	s_add_u32 s22, s52, s22
	s_addc_u32 s22, s23, s65
	s_addc_u32 s23, s54, 0
	s_add_u32 s4, s22, s4
	s_addc_u32 s22, 0, s23
	s_mul_hi_u32 s23, s33, s4
	s_mul_i32 s4, s33, s4
	s_mul_i32 s22, s33, s22
	v_sub_co_u32 v2, s4, s21, s4
	s_add_i32 s23, s23, s22
	s_cmp_lg_u32 s4, 0
	s_delay_alu instid0(VALU_DEP_1) | instskip(SKIP_2) | instid1(VALU_DEP_1)
	v_sub_co_u32 v3, s4, v2, s33
	s_subb_u32 s22, s5, s23
	s_cmp_lg_u32 s4, 0
	v_cmp_le_u32_e32 vcc_lo, s33, v3
	v_sub_co_u32 v4, s4, v3, s33
	s_subb_u32 s23, s22, 0
	s_cmp_lg_u32 s4, 0
	v_cndmask_b32_e64 v5, 0, -1, vcc_lo
	s_subb_u32 s4, s23, 0
	s_cmp_eq_u32 s23, 0
	v_mov_b32_e32 v7, s4
	s_cselect_b32 vcc_lo, -1, 0
	s_cmp_eq_u32 s22, 0
	v_cndmask_b32_e32 v5, -1, v5, vcc_lo
	v_cmp_le_u32_e32 vcc_lo, s33, v2
	s_cselect_b32 s4, -1, 0
	v_cndmask_b32_e64 v6, 0, -1, vcc_lo
	s_delay_alu instid0(VALU_DEP_3) | instskip(NEXT) | instid1(VALU_DEP_2)
	v_cmp_ne_u32_e32 vcc_lo, 0, v5
	v_cndmask_b32_e64 v5, -1, v6, s4
	v_cndmask_b32_e32 v6, s23, v7, vcc_lo
	v_cndmask_b32_e32 v4, v3, v4, vcc_lo
	s_delay_alu instid0(VALU_DEP_3) | instskip(NEXT) | instid1(VALU_DEP_3)
	v_cmp_ne_u32_e32 vcc_lo, 0, v5
	v_cndmask_b32_e32 v3, s22, v6, vcc_lo
	s_delay_alu instid0(VALU_DEP_3)
	v_cndmask_b32_e32 v2, v2, v4, vcc_lo
	s_cbranch_execnz .LBB95_117
.LBB95_116:                             ;   in Loop: Header=BB95_37 Depth=1
	v_cvt_f32_u32_e32 v2, s33
	s_sub_i32 s4, 0, s33
	s_delay_alu instid0(VALU_DEP_1) | instskip(SKIP_2) | instid1(VALU_DEP_1)
	v_rcp_iflag_f32_e32 v2, v2
	s_waitcnt_depctr 0xfff
	v_mul_f32_e32 v2, 0x4f7ffffe, v2
	v_cvt_u32_f32_e32 v2, v2
	s_delay_alu instid0(VALU_DEP_1) | instskip(NEXT) | instid1(VALU_DEP_1)
	v_mul_lo_u32 v3, s4, v2
	v_mul_hi_u32 v3, v2, v3
	s_delay_alu instid0(VALU_DEP_1) | instskip(NEXT) | instid1(VALU_DEP_1)
	v_add_nc_u32_e32 v2, v2, v3
	v_mul_hi_u32 v2, s21, v2
	s_delay_alu instid0(VALU_DEP_1) | instskip(NEXT) | instid1(VALU_DEP_1)
	v_mul_lo_u32 v2, v2, s33
	v_sub_nc_u32_e32 v2, s21, v2
	s_delay_alu instid0(VALU_DEP_1) | instskip(SKIP_1) | instid1(VALU_DEP_2)
	v_subrev_nc_u32_e32 v3, s33, v2
	v_cmp_le_u32_e32 vcc_lo, s33, v2
	v_cndmask_b32_e32 v2, v2, v3, vcc_lo
	s_delay_alu instid0(VALU_DEP_1) | instskip(SKIP_1) | instid1(VALU_DEP_2)
	v_subrev_nc_u32_e32 v3, s33, v2
	v_cmp_le_u32_e32 vcc_lo, s33, v2
	v_cndmask_b32_e32 v10, v2, v3, vcc_lo
	s_delay_alu instid0(VALU_DEP_1)
	v_dual_mov_b32 v2, v10 :: v_dual_mov_b32 v3, v11
.LBB95_117:                             ;   in Loop: Header=BB95_37 Depth=1
	s_delay_alu instid0(VALU_DEP_1) | instskip(NEXT) | instid1(VALU_DEP_2)
	v_sub_co_u32 v2, vcc_lo, s21, v2
	v_sub_co_ci_u32_e32 v3, vcc_lo, s5, v3, vcc_lo
	s_mov_b32 s4, 0
	s_mov_b32 s5, exec_lo
                                        ; implicit-def: $vgpr28
	s_delay_alu instid0(VALU_DEP_1)
	v_cmpx_gt_u64_e64 v[2:3], v[0:1]
	s_cbranch_execz .LBB95_128
; %bb.118:                              ;   in Loop: Header=BB95_37 Depth=1
	v_dual_mov_b32 v6, v14 :: v_dual_mov_b32 v5, v1
	v_mov_b32_e32 v4, v0
                                        ; implicit-def: $sgpr21
	s_set_inst_prefetch_distance 0x1
	s_branch .LBB95_120
	.p2align	6
.LBB95_119:                             ;   in Loop: Header=BB95_120 Depth=2
	s_or_b32 exec_lo, exec_lo, s22
	s_waitcnt lgkmcnt(0)
	s_barrier
	buffer_gl0_inv
	ds_load_b64 v[27:28], v11 offset:3072
	v_add_co_u32 v4, vcc_lo, v4, s33
	v_add_co_ci_u32_e32 v5, vcc_lo, 0, v5, vcc_lo
	v_add_nc_u32_e32 v6, s86, v6
	s_waitcnt lgkmcnt(0)
	s_barrier
	s_delay_alu instid0(VALU_DEP_2) | instskip(SKIP_2) | instid1(VALU_DEP_1)
	v_cmp_ge_u64_e32 vcc_lo, v[4:5], v[2:3]
	buffer_gl0_inv
	v_readfirstlane_b32 s22, v27
	s_cmp_lg_u32 s22, 0
	s_cselect_b32 s22, -1, 0
	s_delay_alu instid0(SALU_CYCLE_1) | instskip(NEXT) | instid1(SALU_CYCLE_1)
	s_or_b32 s23, vcc_lo, s22
	s_and_b32 s23, exec_lo, s23
	s_delay_alu instid0(SALU_CYCLE_1) | instskip(SKIP_2) | instid1(SALU_CYCLE_1)
	s_or_b32 s4, s23, s4
	s_and_not1_b32 s21, s21, exec_lo
	s_and_b32 s22, s22, exec_lo
	s_or_b32 s21, s21, s22
	s_and_not1_b32 exec_lo, exec_lo, s4
	s_cbranch_execz .LBB95_127
.LBB95_120:                             ;   Parent Loop BB95_37 Depth=1
                                        ; =>  This Inner Loop Header: Depth=2
	s_delay_alu instid0(VALU_DEP_1)
	v_cmp_gt_u64_e32 vcc_lo, s[14:15], v[4:5]
	v_mov_b32_e32 v27, 0
	s_and_saveexec_b32 s22, vcc_lo
	s_cbranch_execz .LBB95_122
; %bb.121:                              ;   in Loop: Header=BB95_120 Depth=2
	ds_load_b32 v27, v6
.LBB95_122:                             ;   in Loop: Header=BB95_120 Depth=2
	s_or_b32 exec_lo, exec_lo, s22
	s_and_saveexec_b32 s22, vcc_lo
	s_cbranch_execz .LBB95_119
; %bb.123:                              ;   in Loop: Header=BB95_120 Depth=2
	s_waitcnt lgkmcnt(0)
	v_xor_b32_e32 v7, 0x80000000, v27
	s_delay_alu instid0(VALU_DEP_1) | instskip(NEXT) | instid1(VALU_DEP_1)
	v_and_b32_e32 v7, s97, v7
	v_cmp_eq_u32_e32 vcc_lo, s96, v7
	s_and_b32 exec_lo, exec_lo, vcc_lo
	s_cbranch_execz .LBB95_119
; %bb.124:                              ;   in Loop: Header=BB95_120 Depth=2
	ds_store_b64 v11, v[26:27] offset:3072
	s_branch .LBB95_119
.LBB95_125:                             ;   in Loop: Header=BB95_37 Depth=1
	s_mov_b32 s4, -1
                                        ; implicit-def: $sgpr5
                                        ; implicit-def: $sgpr15
                                        ; implicit-def: $sgpr14
	s_branch .LBB95_142
.LBB95_126:                             ;   in Loop: Header=BB95_37 Depth=1
	s_mov_b32 s5, -1
	s_mov_b32 s4, 0
                                        ; implicit-def: $sgpr14
                                        ; implicit-def: $vgpr28
	s_mov_b32 s15, s5
	s_cbranch_execnz .LBB95_129
	s_branch .LBB95_142
.LBB95_127:                             ;   in Loop: Header=BB95_37 Depth=1
	s_set_inst_prefetch_distance 0x2
	s_or_b32 exec_lo, exec_lo, s4
	s_delay_alu instid0(SALU_CYCLE_1)
	s_and_b32 s4, s21, exec_lo
.LBB95_128:                             ;   in Loop: Header=BB95_37 Depth=1
	s_or_b32 exec_lo, exec_lo, s5
	s_mov_b32 s14, -1
	s_mov_b32 s5, 0
	s_delay_alu instid0(SALU_CYCLE_1)
	s_mov_b32 s15, s5
	s_branch .LBB95_142
.LBB95_129:                             ;   in Loop: Header=BB95_37 Depth=1
	s_mov_b32 s54, s53
	s_delay_alu instid0(SALU_CYCLE_1)
	s_cmp_lg_u64 s[54:55], 0
	s_cbranch_scc0 .LBB95_172
; %bb.130:                              ;   in Loop: Header=BB95_37 Depth=1
	v_cvt_f32_u32_e32 v2, s33
	s_sub_u32 s14, 0, s33
	s_subb_u32 s15, 0, 0
	s_delay_alu instid0(VALU_DEP_1) | instskip(NEXT) | instid1(VALU_DEP_1)
	v_fmac_f32_e64 v2, 0, 0x4f800000
	v_rcp_f32_e32 v2, v2
	s_waitcnt_depctr 0xfff
	v_mul_f32_e32 v2, 0x5f7ffffc, v2
	s_delay_alu instid0(VALU_DEP_1) | instskip(NEXT) | instid1(VALU_DEP_1)
	v_mul_f32_e32 v3, 0x2f800000, v2
	v_trunc_f32_e32 v3, v3
	s_delay_alu instid0(VALU_DEP_1) | instskip(SKIP_1) | instid1(VALU_DEP_2)
	v_fmac_f32_e32 v2, 0xcf800000, v3
	v_cvt_u32_f32_e32 v3, v3
	v_cvt_u32_f32_e32 v2, v2
	s_delay_alu instid0(VALU_DEP_2) | instskip(NEXT) | instid1(VALU_DEP_2)
	v_readfirstlane_b32 s4, v3
	v_readfirstlane_b32 s5, v2
	s_delay_alu instid0(VALU_DEP_2) | instskip(NEXT) | instid1(VALU_DEP_1)
	s_mul_i32 s21, s14, s4
	s_mul_hi_u32 s23, s14, s5
	s_mul_i32 s22, s15, s5
	s_add_i32 s21, s23, s21
	s_mul_i32 s52, s14, s5
	s_add_i32 s21, s21, s22
	s_mul_hi_u32 s23, s5, s52
	s_mul_hi_u32 s54, s4, s52
	s_mul_i32 s22, s4, s52
	s_mul_hi_u32 s52, s5, s21
	s_mul_i32 s5, s5, s21
	s_mul_hi_u32 s64, s4, s21
	s_add_u32 s5, s23, s5
	s_addc_u32 s23, 0, s52
	s_add_u32 s5, s5, s22
	s_mul_i32 s21, s4, s21
	s_addc_u32 s5, s23, s54
	s_addc_u32 s22, s64, 0
	s_add_u32 s5, s5, s21
	s_addc_u32 s21, 0, s22
	v_add_co_u32 v2, s5, v2, s5
	s_delay_alu instid0(VALU_DEP_1) | instskip(SKIP_1) | instid1(VALU_DEP_1)
	s_cmp_lg_u32 s5, 0
	s_addc_u32 s4, s4, s21
	v_readfirstlane_b32 s5, v2
	s_mul_i32 s21, s14, s4
	s_delay_alu instid0(VALU_DEP_1)
	s_mul_hi_u32 s22, s14, s5
	s_mul_i32 s15, s15, s5
	s_add_i32 s21, s22, s21
	s_mul_i32 s14, s14, s5
	s_add_i32 s21, s21, s15
	s_mul_hi_u32 s22, s4, s14
	s_mul_i32 s23, s4, s14
	s_mul_hi_u32 s14, s5, s14
	s_mul_hi_u32 s52, s5, s21
	s_mul_i32 s5, s5, s21
	s_mul_hi_u32 s15, s4, s21
	s_add_u32 s5, s14, s5
	s_addc_u32 s14, 0, s52
	s_add_u32 s5, s5, s23
	s_mul_i32 s21, s4, s21
	s_addc_u32 s5, s14, s22
	s_addc_u32 s14, s15, 0
	s_add_u32 s5, s5, s21
	s_addc_u32 s14, 0, s14
	v_add_co_u32 v2, s5, v2, s5
	s_delay_alu instid0(VALU_DEP_1) | instskip(SKIP_1) | instid1(VALU_DEP_1)
	s_cmp_lg_u32 s5, 0
	s_addc_u32 s4, s4, s14
	v_readfirstlane_b32 s5, v2
	s_mul_i32 s15, s80, s4
	s_mul_hi_u32 s14, s80, s4
	s_mul_hi_u32 s21, s55, s4
	s_mul_i32 s4, s55, s4
	s_mul_hi_u32 s22, s80, s5
	s_mul_hi_u32 s23, s55, s5
	s_mul_i32 s5, s55, s5
	s_add_u32 s15, s22, s15
	s_addc_u32 s14, 0, s14
	s_add_u32 s5, s15, s5
	s_addc_u32 s5, s14, s23
	s_addc_u32 s14, s21, 0
	s_add_u32 s4, s5, s4
	s_addc_u32 s5, 0, s14
	s_mul_hi_u32 s14, s33, s4
	s_mul_i32 s4, s33, s4
	s_mul_i32 s5, s33, s5
	v_sub_co_u32 v2, s4, s80, s4
	s_add_i32 s14, s14, s5
	s_cmp_lg_u32 s4, 0
	s_delay_alu instid0(VALU_DEP_1) | instskip(SKIP_2) | instid1(VALU_DEP_1)
	v_sub_co_u32 v3, s4, v2, s33
	s_subb_u32 s5, s55, s14
	s_cmp_lg_u32 s4, 0
	v_cmp_le_u32_e32 vcc_lo, s33, v3
	v_sub_co_u32 v4, s4, v3, s33
	s_subb_u32 s14, s5, 0
	s_cmp_lg_u32 s4, 0
	v_cndmask_b32_e64 v5, 0, -1, vcc_lo
	s_subb_u32 s4, s14, 0
	s_cmp_eq_u32 s14, 0
	v_mov_b32_e32 v7, s4
	s_cselect_b32 vcc_lo, -1, 0
	s_cmp_eq_u32 s5, 0
	v_cndmask_b32_e32 v5, -1, v5, vcc_lo
	v_cmp_le_u32_e32 vcc_lo, s33, v2
	s_cselect_b32 s4, -1, 0
	v_cndmask_b32_e64 v6, 0, -1, vcc_lo
	s_delay_alu instid0(VALU_DEP_3) | instskip(NEXT) | instid1(VALU_DEP_2)
	v_cmp_ne_u32_e32 vcc_lo, 0, v5
	v_cndmask_b32_e64 v5, -1, v6, s4
	v_cndmask_b32_e32 v6, s14, v7, vcc_lo
	v_cndmask_b32_e32 v4, v3, v4, vcc_lo
	s_delay_alu instid0(VALU_DEP_3) | instskip(NEXT) | instid1(VALU_DEP_3)
	v_cmp_ne_u32_e32 vcc_lo, 0, v5
	v_cndmask_b32_e32 v3, s5, v6, vcc_lo
	s_delay_alu instid0(VALU_DEP_3)
	v_cndmask_b32_e32 v2, v2, v4, vcc_lo
	s_cbranch_execnz .LBB95_132
.LBB95_131:                             ;   in Loop: Header=BB95_37 Depth=1
	v_cvt_f32_u32_e32 v2, s33
	s_sub_i32 s4, 0, s33
	s_delay_alu instid0(VALU_DEP_1) | instskip(SKIP_2) | instid1(VALU_DEP_1)
	v_rcp_iflag_f32_e32 v2, v2
	s_waitcnt_depctr 0xfff
	v_mul_f32_e32 v2, 0x4f7ffffe, v2
	v_cvt_u32_f32_e32 v2, v2
	s_delay_alu instid0(VALU_DEP_1) | instskip(NEXT) | instid1(VALU_DEP_1)
	v_mul_lo_u32 v3, s4, v2
	v_mul_hi_u32 v3, v2, v3
	s_delay_alu instid0(VALU_DEP_1) | instskip(NEXT) | instid1(VALU_DEP_1)
	v_add_nc_u32_e32 v2, v2, v3
	v_mul_hi_u32 v2, s80, v2
	s_delay_alu instid0(VALU_DEP_1) | instskip(NEXT) | instid1(VALU_DEP_1)
	v_mul_lo_u32 v2, v2, s33
	v_sub_nc_u32_e32 v2, s80, v2
	s_delay_alu instid0(VALU_DEP_1) | instskip(SKIP_1) | instid1(VALU_DEP_2)
	v_subrev_nc_u32_e32 v3, s33, v2
	v_cmp_le_u32_e32 vcc_lo, s33, v2
	v_cndmask_b32_e32 v2, v2, v3, vcc_lo
	s_delay_alu instid0(VALU_DEP_1) | instskip(SKIP_1) | instid1(VALU_DEP_2)
	v_subrev_nc_u32_e32 v3, s33, v2
	v_cmp_le_u32_e32 vcc_lo, s33, v2
	v_cndmask_b32_e32 v10, v2, v3, vcc_lo
	s_delay_alu instid0(VALU_DEP_1)
	v_dual_mov_b32 v2, v10 :: v_dual_mov_b32 v3, v11
.LBB95_132:                             ;   in Loop: Header=BB95_37 Depth=1
	s_delay_alu instid0(VALU_DEP_1) | instskip(NEXT) | instid1(VALU_DEP_2)
	v_sub_co_u32 v2, vcc_lo, s80, v2
	v_sub_co_ci_u32_e32 v3, vcc_lo, s55, v3, vcc_lo
	s_mov_b32 s4, 0
	s_mov_b32 s5, exec_lo
                                        ; implicit-def: $vgpr28
	s_delay_alu instid0(VALU_DEP_1)
	v_cmpx_gt_u64_e64 v[2:3], v[0:1]
	s_cbranch_execz .LBB95_141
; %bb.133:                              ;   in Loop: Header=BB95_37 Depth=1
	v_dual_mov_b32 v4, v12 :: v_dual_mov_b32 v5, v13
	v_dual_mov_b32 v7, v1 :: v_dual_mov_b32 v6, v0
                                        ; implicit-def: $sgpr14
	s_set_inst_prefetch_distance 0x1
	s_branch .LBB95_135
	.p2align	6
.LBB95_134:                             ;   in Loop: Header=BB95_135 Depth=2
	s_or_b32 exec_lo, exec_lo, s15
	s_waitcnt vmcnt(0) lgkmcnt(0)
	s_barrier
	buffer_gl0_inv
	ds_load_b64 v[27:28], v11 offset:3072
	v_add_co_u32 v6, vcc_lo, v6, s33
	v_add_co_ci_u32_e32 v7, vcc_lo, 0, v7, vcc_lo
	s_waitcnt lgkmcnt(0)
	s_barrier
	buffer_gl0_inv
	v_cmp_ge_u64_e32 vcc_lo, v[6:7], v[2:3]
	v_readfirstlane_b32 s15, v27
	s_delay_alu instid0(VALU_DEP_1) | instskip(SKIP_1) | instid1(SALU_CYCLE_1)
	s_cmp_lg_u32 s15, 0
	s_cselect_b32 s15, -1, 0
	s_or_b32 s21, vcc_lo, s15
	v_add_co_u32 v4, vcc_lo, v4, s50
	s_and_b32 s21, exec_lo, s21
	v_add_co_ci_u32_e32 v5, vcc_lo, s51, v5, vcc_lo
	s_or_b32 s4, s21, s4
	s_and_not1_b32 s14, s14, exec_lo
	s_and_b32 s15, s15, exec_lo
	s_delay_alu instid0(SALU_CYCLE_1)
	s_or_b32 s14, s14, s15
	s_and_not1_b32 exec_lo, exec_lo, s4
	s_cbranch_execz .LBB95_140
.LBB95_135:                             ;   Parent Loop BB95_37 Depth=1
                                        ; =>  This Inner Loop Header: Depth=2
	s_delay_alu instid0(VALU_DEP_1)
	v_cmp_gt_u64_e32 vcc_lo, s[24:25], v[6:7]
	v_mov_b32_e32 v27, 0
	s_and_saveexec_b32 s15, vcc_lo
	s_cbranch_execz .LBB95_137
; %bb.136:                              ;   in Loop: Header=BB95_135 Depth=2
	global_load_b32 v27, v[4:5], off
.LBB95_137:                             ;   in Loop: Header=BB95_135 Depth=2
	s_or_b32 exec_lo, exec_lo, s15
	s_and_saveexec_b32 s15, vcc_lo
	s_cbranch_execz .LBB95_134
; %bb.138:                              ;   in Loop: Header=BB95_135 Depth=2
	s_waitcnt vmcnt(0)
	v_xor_b32_e32 v8, 0x80000000, v27
	s_delay_alu instid0(VALU_DEP_1) | instskip(NEXT) | instid1(VALU_DEP_1)
	v_and_b32_e32 v8, s97, v8
	v_cmp_eq_u32_e32 vcc_lo, s96, v8
	s_and_b32 exec_lo, exec_lo, vcc_lo
	s_cbranch_execz .LBB95_134
; %bb.139:                              ;   in Loop: Header=BB95_135 Depth=2
	ds_store_b64 v11, v[26:27] offset:3072
	s_branch .LBB95_134
.LBB95_140:                             ;   in Loop: Header=BB95_37 Depth=1
	s_set_inst_prefetch_distance 0x2
	s_or_b32 exec_lo, exec_lo, s4
	s_delay_alu instid0(SALU_CYCLE_1)
	s_and_b32 s4, s14, exec_lo
.LBB95_141:                             ;   in Loop: Header=BB95_37 Depth=1
	s_or_b32 exec_lo, exec_lo, s5
	s_mov_b32 s15, -1
	s_mov_b32 s5, 0
	s_mov_b32 s14, 0
.LBB95_142:                             ;   in Loop: Header=BB95_37 Depth=1
	s_and_not1_b32 s21, s92, exec_lo
	s_and_b32 s5, s5, exec_lo
	s_and_b32 s15, s15, exec_lo
	s_or_b32 s92, s21, s5
	s_and_not1_b32 s5, s95, exec_lo
	s_and_not1_b32 s21, s93, exec_lo
	s_and_b32 s14, s14, exec_lo
	s_or_b32 s95, s5, s15
	s_or_b32 s93, s21, s14
	s_and_saveexec_b32 s14, s4
	s_cbranch_execz .LBB95_36
; %bb.143:                              ;   in Loop: Header=BB95_37 Depth=1
	s_xor_b32 s4, s20, -1
	s_mov_b32 s52, 1
	s_and_not1_b32 vcc_lo, exec_lo, s4
	s_cbranch_vccnz .LBB95_154
; %bb.144:                              ;   in Loop: Header=BB95_37 Depth=1
	v_cmp_gt_u64_e64 s4, s[46:47], s[12:13]
                                        ; implicit-def: $sgpr52
                                        ; implicit-def: $sgpr5
                                        ; implicit-def: $sgpr15
	s_delay_alu instid0(VALU_DEP_1)
	s_and_b32 vcc_lo, exec_lo, s4
	s_mov_b32 s4, -1
	s_cbranch_vccnz .LBB95_150
; %bb.145:                              ;   in Loop: Header=BB95_37 Depth=1
	ds_load_b64 v[2:3], v11 offset:5120
	s_waitcnt lgkmcnt(0)
	v_cmp_ne_u64_e32 vcc_lo, 0, v[2:3]
	s_cbranch_vccnz .LBB95_149
; %bb.146:                              ;   in Loop: Header=BB95_37 Depth=1
	s_and_saveexec_b32 s4, s2
	s_cbranch_execz .LBB95_148
; %bb.147:                              ;   in Loop: Header=BB95_37 Depth=1
	v_dual_mov_b32 v2, s12 :: v_dual_mov_b32 v3, s13
	ds_store_b64 v11, v[2:3] offset:5128
.LBB95_148:                             ;   in Loop: Header=BB95_37 Depth=1
	s_or_b32 exec_lo, exec_lo, s4
	s_waitcnt lgkmcnt(0)
	s_barrier
	buffer_gl0_inv
.LBB95_149:                             ;   in Loop: Header=BB95_37 Depth=1
	s_and_b32 s5, s96, s18
	s_or_b32 s15, s97, s16
	s_mov_b32 s4, 0
	s_mov_b32 s52, 8
.LBB95_150:                             ;   in Loop: Header=BB95_37 Depth=1
	s_and_not1_b32 vcc_lo, exec_lo, s4
	s_cbranch_vccnz .LBB95_152
; %bb.151:                              ;   in Loop: Header=BB95_37 Depth=1
	s_sub_u32 s46, s46, s12
	s_subb_u32 s47, s47, s13
	s_mov_b32 s4, -1
	s_mov_b32 s52, 0
	s_mov_b32 s5, s96
	;; [unrolled: 1-line block ×3, first 2 shown]
.LBB95_152:                             ;   in Loop: Header=BB95_37 Depth=1
	s_delay_alu instid0(SALU_CYCLE_1)
	s_mov_b32 s97, s15
	s_mov_b32 s96, s5
	s_and_b32 vcc_lo, exec_lo, s4
	s_mov_b32 s15, -1
	s_cbranch_vccnz .LBB95_155
.LBB95_153:                             ;   in Loop: Header=BB95_37 Depth=1
	s_mov_b32 s5, -1
                                        ; implicit-def: $sgpr12
                                        ; implicit-def: $sgpr19
                                        ; implicit-def: $sgpr13
	s_delay_alu instid0(SALU_CYCLE_1) | instskip(NEXT) | instid1(SALU_CYCLE_1)
	s_and_saveexec_b32 s4, s5
	s_xor_b32 s4, exec_lo, s4
	s_cbranch_execz .LBB95_35
	s_branch .LBB95_301
.LBB95_154:                             ;   in Loop: Header=BB95_37 Depth=1
	s_mov_b64 s[46:47], 1
	s_mov_b32 s15, -1
	s_branch .LBB95_153
.LBB95_155:                             ;   in Loop: Header=BB95_37 Depth=1
	s_cmp_eq_u64 s[10:11], 1
	s_cselect_b32 s4, -1, 0
	s_cmp_eq_u64 s[46:47], 1
	s_cselect_b32 s5, -1, 0
	s_delay_alu instid0(SALU_CYCLE_1)
	s_and_b32 s21, s4, s5
	s_mov_b32 s4, -1
	s_and_b32 vcc_lo, exec_lo, s21
	s_cbranch_vccz .LBB95_170
; %bb.156:                              ;   in Loop: Header=BB95_37 Depth=1
	ds_load_b64 v[2:3], v11 offset:5120
	s_waitcnt lgkmcnt(0)
	s_barrier
	buffer_gl0_inv
	v_readfirstlane_b32 s12, v2
	v_readfirstlane_b32 s13, v3
	s_and_saveexec_b32 s4, s3
	s_cbranch_execz .LBB95_158
; %bb.157:                              ;   in Loop: Header=BB95_37 Depth=1
	ds_store_b32 v42, v11
.LBB95_158:                             ;   in Loop: Header=BB95_37 Depth=1
	s_or_b32 exec_lo, exec_lo, s4
	s_lshl_b32 s4, 1, s17
	s_and_b32 s5, s96, s18
	s_or_b32 s97, s97, s16
	s_or_b32 s96, s5, s4
	s_cmp_eq_u64 s[12:13], 0
	s_waitcnt lgkmcnt(0)
	s_barrier
	buffer_gl0_inv
	s_cbranch_scc1 .LBB95_173
; %bb.159:                              ;   in Loop: Header=BB95_37 Depth=1
	s_add_u32 s19, s78, s12
	s_addc_u32 s5, s79, s13
	s_mov_b32 s4, s53
	s_delay_alu instid0(SALU_CYCLE_1)
	s_cmp_lg_u64 s[4:5], 0
	s_cbranch_scc0 .LBB95_218
; %bb.160:                              ;   in Loop: Header=BB95_37 Depth=1
	v_cvt_f32_u32_e32 v2, s33
	s_sub_u32 s22, 0, s33
	s_subb_u32 s23, 0, 0
	s_delay_alu instid0(VALU_DEP_1) | instskip(NEXT) | instid1(VALU_DEP_1)
	v_fmac_f32_e64 v2, 0, 0x4f800000
	v_rcp_f32_e32 v2, v2
	s_waitcnt_depctr 0xfff
	v_mul_f32_e32 v2, 0x5f7ffffc, v2
	s_delay_alu instid0(VALU_DEP_1) | instskip(NEXT) | instid1(VALU_DEP_1)
	v_mul_f32_e32 v3, 0x2f800000, v2
	v_trunc_f32_e32 v3, v3
	s_delay_alu instid0(VALU_DEP_1) | instskip(SKIP_1) | instid1(VALU_DEP_2)
	v_fmac_f32_e32 v2, 0xcf800000, v3
	v_cvt_u32_f32_e32 v3, v3
	v_cvt_u32_f32_e32 v2, v2
	s_delay_alu instid0(VALU_DEP_2) | instskip(NEXT) | instid1(VALU_DEP_2)
	v_readfirstlane_b32 s4, v3
	v_readfirstlane_b32 s20, v2
	s_delay_alu instid0(VALU_DEP_2) | instskip(NEXT) | instid1(VALU_DEP_1)
	s_mul_i32 s52, s22, s4
	s_mul_hi_u32 s64, s22, s20
	s_mul_i32 s54, s23, s20
	s_add_i32 s52, s64, s52
	s_mul_i32 s65, s22, s20
	s_add_i32 s52, s52, s54
	s_mul_hi_u32 s64, s20, s65
	s_mul_hi_u32 s66, s4, s65
	s_mul_i32 s54, s4, s65
	s_mul_hi_u32 s65, s20, s52
	s_mul_i32 s20, s20, s52
	s_mul_hi_u32 s67, s4, s52
	s_add_u32 s20, s64, s20
	s_addc_u32 s64, 0, s65
	s_add_u32 s20, s20, s54
	s_mul_i32 s52, s4, s52
	s_addc_u32 s20, s64, s66
	s_addc_u32 s54, s67, 0
	s_add_u32 s20, s20, s52
	s_addc_u32 s52, 0, s54
	v_add_co_u32 v2, s20, v2, s20
	s_delay_alu instid0(VALU_DEP_1) | instskip(SKIP_1) | instid1(VALU_DEP_1)
	s_cmp_lg_u32 s20, 0
	s_addc_u32 s4, s4, s52
	v_readfirstlane_b32 s20, v2
	s_mul_i32 s52, s22, s4
	s_delay_alu instid0(VALU_DEP_1)
	s_mul_hi_u32 s54, s22, s20
	s_mul_i32 s23, s23, s20
	s_add_i32 s52, s54, s52
	s_mul_i32 s22, s22, s20
	s_add_i32 s52, s52, s23
	s_mul_hi_u32 s54, s4, s22
	s_mul_i32 s64, s4, s22
	s_mul_hi_u32 s22, s20, s22
	s_mul_hi_u32 s65, s20, s52
	s_mul_i32 s20, s20, s52
	s_mul_hi_u32 s23, s4, s52
	s_add_u32 s20, s22, s20
	s_addc_u32 s22, 0, s65
	s_add_u32 s20, s20, s64
	s_mul_i32 s52, s4, s52
	s_addc_u32 s20, s22, s54
	s_addc_u32 s22, s23, 0
	s_add_u32 s20, s20, s52
	s_addc_u32 s22, 0, s22
	v_add_co_u32 v2, s20, v2, s20
	s_delay_alu instid0(VALU_DEP_1) | instskip(SKIP_1) | instid1(VALU_DEP_1)
	s_cmp_lg_u32 s20, 0
	s_addc_u32 s4, s4, s22
	v_readfirstlane_b32 s20, v2
	s_mul_i32 s23, s19, s4
	s_mul_hi_u32 s22, s19, s4
	s_mul_hi_u32 s52, s5, s4
	s_mul_i32 s4, s5, s4
	s_mul_hi_u32 s54, s19, s20
	s_mul_hi_u32 s64, s5, s20
	s_mul_i32 s20, s5, s20
	s_add_u32 s23, s54, s23
	s_addc_u32 s22, 0, s22
	s_add_u32 s20, s23, s20
	s_addc_u32 s20, s22, s64
	s_addc_u32 s22, s52, 0
	s_add_u32 s4, s20, s4
	s_addc_u32 s20, 0, s22
	s_mul_hi_u32 s22, s33, s4
	s_mul_i32 s4, s33, s4
	s_mul_i32 s20, s33, s20
	v_sub_co_u32 v2, s4, s19, s4
	s_add_i32 s22, s22, s20
	s_cmp_lg_u32 s4, 0
	s_delay_alu instid0(VALU_DEP_1) | instskip(SKIP_2) | instid1(VALU_DEP_1)
	v_sub_co_u32 v3, s4, v2, s33
	s_subb_u32 s20, s5, s22
	s_cmp_lg_u32 s4, 0
	v_cmp_le_u32_e32 vcc_lo, s33, v3
	v_sub_co_u32 v4, s4, v3, s33
	s_subb_u32 s22, s20, 0
	s_cmp_lg_u32 s4, 0
	v_cndmask_b32_e64 v5, 0, -1, vcc_lo
	s_subb_u32 s4, s22, 0
	s_cmp_eq_u32 s22, 0
	v_mov_b32_e32 v7, s4
	s_cselect_b32 vcc_lo, -1, 0
	s_cmp_eq_u32 s20, 0
	v_cndmask_b32_e32 v5, -1, v5, vcc_lo
	v_cmp_le_u32_e32 vcc_lo, s33, v2
	s_cselect_b32 s4, -1, 0
	v_cndmask_b32_e64 v6, 0, -1, vcc_lo
	s_delay_alu instid0(VALU_DEP_3) | instskip(NEXT) | instid1(VALU_DEP_2)
	v_cmp_ne_u32_e32 vcc_lo, 0, v5
	v_cndmask_b32_e64 v5, -1, v6, s4
	v_cndmask_b32_e32 v6, s22, v7, vcc_lo
	v_cndmask_b32_e32 v4, v3, v4, vcc_lo
	s_delay_alu instid0(VALU_DEP_3) | instskip(NEXT) | instid1(VALU_DEP_3)
	v_cmp_ne_u32_e32 vcc_lo, 0, v5
	v_cndmask_b32_e32 v3, s20, v6, vcc_lo
	s_delay_alu instid0(VALU_DEP_3)
	v_cndmask_b32_e32 v2, v2, v4, vcc_lo
	s_cbranch_execnz .LBB95_162
.LBB95_161:                             ;   in Loop: Header=BB95_37 Depth=1
	v_cvt_f32_u32_e32 v2, s33
	s_sub_i32 s4, 0, s33
	s_delay_alu instid0(VALU_DEP_1) | instskip(SKIP_2) | instid1(VALU_DEP_1)
	v_rcp_iflag_f32_e32 v2, v2
	s_waitcnt_depctr 0xfff
	v_mul_f32_e32 v2, 0x4f7ffffe, v2
	v_cvt_u32_f32_e32 v2, v2
	s_delay_alu instid0(VALU_DEP_1) | instskip(NEXT) | instid1(VALU_DEP_1)
	v_mul_lo_u32 v3, s4, v2
	v_mul_hi_u32 v3, v2, v3
	s_delay_alu instid0(VALU_DEP_1) | instskip(NEXT) | instid1(VALU_DEP_1)
	v_add_nc_u32_e32 v2, v2, v3
	v_mul_hi_u32 v2, s19, v2
	s_delay_alu instid0(VALU_DEP_1) | instskip(NEXT) | instid1(VALU_DEP_1)
	v_mul_lo_u32 v2, v2, s33
	v_sub_nc_u32_e32 v2, s19, v2
	s_delay_alu instid0(VALU_DEP_1) | instskip(SKIP_1) | instid1(VALU_DEP_2)
	v_subrev_nc_u32_e32 v3, s33, v2
	v_cmp_le_u32_e32 vcc_lo, s33, v2
	v_cndmask_b32_e32 v2, v2, v3, vcc_lo
	s_delay_alu instid0(VALU_DEP_1) | instskip(SKIP_1) | instid1(VALU_DEP_2)
	v_subrev_nc_u32_e32 v3, s33, v2
	v_cmp_le_u32_e32 vcc_lo, s33, v2
	v_cndmask_b32_e32 v10, v2, v3, vcc_lo
	s_delay_alu instid0(VALU_DEP_1)
	v_dual_mov_b32 v2, v10 :: v_dual_mov_b32 v3, v11
.LBB95_162:                             ;   in Loop: Header=BB95_37 Depth=1
	s_delay_alu instid0(VALU_DEP_1) | instskip(NEXT) | instid1(VALU_DEP_2)
	v_sub_co_u32 v2, vcc_lo, s19, v2
	v_sub_co_ci_u32_e32 v3, vcc_lo, s5, v3, vcc_lo
	s_mov_b32 s4, 0
	s_mov_b32 s5, exec_lo
                                        ; implicit-def: $vgpr28
	s_delay_alu instid0(VALU_DEP_1)
	v_cmpx_gt_u64_e64 v[2:3], v[0:1]
	s_cbranch_execz .LBB95_175
; %bb.163:                              ;   in Loop: Header=BB95_37 Depth=1
	v_dual_mov_b32 v6, v14 :: v_dual_mov_b32 v5, v1
	v_mov_b32_e32 v4, v0
                                        ; implicit-def: $sgpr19
	s_set_inst_prefetch_distance 0x1
	s_branch .LBB95_165
	.p2align	6
.LBB95_164:                             ;   in Loop: Header=BB95_165 Depth=2
	s_or_b32 exec_lo, exec_lo, s20
	s_waitcnt lgkmcnt(0)
	s_barrier
	buffer_gl0_inv
	ds_load_b64 v[27:28], v11 offset:3072
	v_add_co_u32 v4, vcc_lo, v4, s33
	v_add_co_ci_u32_e32 v5, vcc_lo, 0, v5, vcc_lo
	v_add_nc_u32_e32 v6, s86, v6
	s_waitcnt lgkmcnt(0)
	s_barrier
	s_delay_alu instid0(VALU_DEP_2) | instskip(SKIP_2) | instid1(VALU_DEP_1)
	v_cmp_ge_u64_e32 vcc_lo, v[4:5], v[2:3]
	buffer_gl0_inv
	v_readfirstlane_b32 s20, v27
	s_cmp_lg_u32 s20, 0
	s_cselect_b32 s20, -1, 0
	s_delay_alu instid0(SALU_CYCLE_1) | instskip(NEXT) | instid1(SALU_CYCLE_1)
	s_or_b32 s22, vcc_lo, s20
	s_and_b32 s22, exec_lo, s22
	s_delay_alu instid0(SALU_CYCLE_1) | instskip(SKIP_2) | instid1(SALU_CYCLE_1)
	s_or_b32 s4, s22, s4
	s_and_not1_b32 s19, s19, exec_lo
	s_and_b32 s20, s20, exec_lo
	s_or_b32 s19, s19, s20
	s_and_not1_b32 exec_lo, exec_lo, s4
	s_cbranch_execz .LBB95_174
.LBB95_165:                             ;   Parent Loop BB95_37 Depth=1
                                        ; =>  This Inner Loop Header: Depth=2
	s_delay_alu instid0(VALU_DEP_1)
	v_cmp_gt_u64_e32 vcc_lo, s[12:13], v[4:5]
	v_mov_b32_e32 v27, 0
	s_and_saveexec_b32 s20, vcc_lo
	s_cbranch_execz .LBB95_167
; %bb.166:                              ;   in Loop: Header=BB95_165 Depth=2
	ds_load_b32 v27, v6
.LBB95_167:                             ;   in Loop: Header=BB95_165 Depth=2
	s_or_b32 exec_lo, exec_lo, s20
	s_and_saveexec_b32 s20, vcc_lo
	s_cbranch_execz .LBB95_164
; %bb.168:                              ;   in Loop: Header=BB95_165 Depth=2
	s_waitcnt lgkmcnt(0)
	v_xor_b32_e32 v7, 0x80000000, v27
	s_delay_alu instid0(VALU_DEP_1) | instskip(NEXT) | instid1(VALU_DEP_1)
	v_and_b32_e32 v7, s97, v7
	v_cmp_eq_u32_e32 vcc_lo, s96, v7
	s_and_b32 exec_lo, exec_lo, vcc_lo
	s_cbranch_execz .LBB95_164
; %bb.169:                              ;   in Loop: Header=BB95_165 Depth=2
	ds_store_b64 v11, v[26:27] offset:3072
	s_branch .LBB95_164
.LBB95_170:                             ;   in Loop: Header=BB95_37 Depth=1
                                        ; implicit-def: $sgpr13
                                        ; implicit-def: $sgpr19
                                        ; implicit-def: $sgpr12
	s_branch .LBB95_189
.LBB95_171:                             ;   in Loop: Header=BB95_37 Depth=1
                                        ; implicit-def: $vgpr2_vgpr3
	s_branch .LBB95_116
.LBB95_172:                             ;   in Loop: Header=BB95_37 Depth=1
                                        ; implicit-def: $vgpr2_vgpr3
	s_branch .LBB95_131
.LBB95_173:                             ;   in Loop: Header=BB95_37 Depth=1
	s_mov_b32 s13, -1
	s_mov_b32 s4, 0
                                        ; implicit-def: $sgpr12
                                        ; implicit-def: $vgpr28
	s_mov_b32 s19, s13
	s_cbranch_execnz .LBB95_176
	s_branch .LBB95_189
.LBB95_174:                             ;   in Loop: Header=BB95_37 Depth=1
	s_set_inst_prefetch_distance 0x2
	s_or_b32 exec_lo, exec_lo, s4
	s_delay_alu instid0(SALU_CYCLE_1)
	s_and_b32 s4, s19, exec_lo
.LBB95_175:                             ;   in Loop: Header=BB95_37 Depth=1
	s_or_b32 exec_lo, exec_lo, s5
	s_mov_b32 s12, -1
	s_mov_b32 s13, 0
	s_delay_alu instid0(SALU_CYCLE_1)
	s_mov_b32 s19, s13
	s_branch .LBB95_189
.LBB95_176:                             ;   in Loop: Header=BB95_37 Depth=1
	s_mov_b32 s54, s53
	s_delay_alu instid0(SALU_CYCLE_1)
	s_cmp_lg_u64 s[54:55], 0
	s_cbranch_scc0 .LBB95_219
; %bb.177:                              ;   in Loop: Header=BB95_37 Depth=1
	v_cvt_f32_u32_e32 v2, s33
	s_sub_u32 s12, 0, s33
	s_subb_u32 s13, 0, 0
	s_delay_alu instid0(VALU_DEP_1) | instskip(NEXT) | instid1(VALU_DEP_1)
	v_fmac_f32_e64 v2, 0, 0x4f800000
	v_rcp_f32_e32 v2, v2
	s_waitcnt_depctr 0xfff
	v_mul_f32_e32 v2, 0x5f7ffffc, v2
	s_delay_alu instid0(VALU_DEP_1) | instskip(NEXT) | instid1(VALU_DEP_1)
	v_mul_f32_e32 v3, 0x2f800000, v2
	v_trunc_f32_e32 v3, v3
	s_delay_alu instid0(VALU_DEP_1) | instskip(SKIP_1) | instid1(VALU_DEP_2)
	v_fmac_f32_e32 v2, 0xcf800000, v3
	v_cvt_u32_f32_e32 v3, v3
	v_cvt_u32_f32_e32 v2, v2
	s_delay_alu instid0(VALU_DEP_2) | instskip(NEXT) | instid1(VALU_DEP_2)
	v_readfirstlane_b32 s4, v3
	v_readfirstlane_b32 s5, v2
	s_delay_alu instid0(VALU_DEP_2) | instskip(NEXT) | instid1(VALU_DEP_1)
	s_mul_i32 s19, s12, s4
	s_mul_hi_u32 s22, s12, s5
	s_mul_i32 s20, s13, s5
	s_add_i32 s19, s22, s19
	s_mul_i32 s23, s12, s5
	s_add_i32 s19, s19, s20
	s_mul_hi_u32 s22, s5, s23
	s_mul_hi_u32 s52, s4, s23
	s_mul_i32 s20, s4, s23
	s_mul_hi_u32 s23, s5, s19
	s_mul_i32 s5, s5, s19
	s_mul_hi_u32 s54, s4, s19
	s_add_u32 s5, s22, s5
	s_addc_u32 s22, 0, s23
	s_add_u32 s5, s5, s20
	s_mul_i32 s19, s4, s19
	s_addc_u32 s5, s22, s52
	s_addc_u32 s20, s54, 0
	s_add_u32 s5, s5, s19
	s_addc_u32 s19, 0, s20
	v_add_co_u32 v2, s5, v2, s5
	s_delay_alu instid0(VALU_DEP_1) | instskip(SKIP_1) | instid1(VALU_DEP_1)
	s_cmp_lg_u32 s5, 0
	s_addc_u32 s4, s4, s19
	v_readfirstlane_b32 s5, v2
	s_mul_i32 s19, s12, s4
	s_delay_alu instid0(VALU_DEP_1)
	s_mul_hi_u32 s20, s12, s5
	s_mul_i32 s13, s13, s5
	s_add_i32 s19, s20, s19
	s_mul_i32 s12, s12, s5
	s_add_i32 s19, s19, s13
	s_mul_hi_u32 s20, s4, s12
	s_mul_i32 s22, s4, s12
	s_mul_hi_u32 s12, s5, s12
	s_mul_hi_u32 s23, s5, s19
	s_mul_i32 s5, s5, s19
	s_mul_hi_u32 s13, s4, s19
	s_add_u32 s5, s12, s5
	s_addc_u32 s12, 0, s23
	s_add_u32 s5, s5, s22
	s_mul_i32 s19, s4, s19
	s_addc_u32 s5, s12, s20
	s_addc_u32 s12, s13, 0
	s_add_u32 s5, s5, s19
	s_addc_u32 s12, 0, s12
	v_add_co_u32 v2, s5, v2, s5
	s_delay_alu instid0(VALU_DEP_1) | instskip(SKIP_1) | instid1(VALU_DEP_1)
	s_cmp_lg_u32 s5, 0
	s_addc_u32 s4, s4, s12
	v_readfirstlane_b32 s5, v2
	s_mul_i32 s13, s80, s4
	s_mul_hi_u32 s12, s80, s4
	s_mul_hi_u32 s19, s55, s4
	s_mul_i32 s4, s55, s4
	s_mul_hi_u32 s20, s80, s5
	s_mul_hi_u32 s22, s55, s5
	s_mul_i32 s5, s55, s5
	s_add_u32 s13, s20, s13
	s_addc_u32 s12, 0, s12
	s_add_u32 s5, s13, s5
	s_addc_u32 s5, s12, s22
	s_addc_u32 s12, s19, 0
	s_add_u32 s4, s5, s4
	s_addc_u32 s5, 0, s12
	s_mul_hi_u32 s12, s33, s4
	s_mul_i32 s4, s33, s4
	s_mul_i32 s5, s33, s5
	v_sub_co_u32 v2, s4, s80, s4
	s_add_i32 s12, s12, s5
	s_cmp_lg_u32 s4, 0
	s_delay_alu instid0(VALU_DEP_1) | instskip(SKIP_2) | instid1(VALU_DEP_1)
	v_sub_co_u32 v3, s4, v2, s33
	s_subb_u32 s5, s55, s12
	s_cmp_lg_u32 s4, 0
	v_cmp_le_u32_e32 vcc_lo, s33, v3
	v_sub_co_u32 v4, s4, v3, s33
	s_subb_u32 s12, s5, 0
	s_cmp_lg_u32 s4, 0
	v_cndmask_b32_e64 v5, 0, -1, vcc_lo
	s_subb_u32 s4, s12, 0
	s_cmp_eq_u32 s12, 0
	v_mov_b32_e32 v7, s4
	s_cselect_b32 vcc_lo, -1, 0
	s_cmp_eq_u32 s5, 0
	v_cndmask_b32_e32 v5, -1, v5, vcc_lo
	v_cmp_le_u32_e32 vcc_lo, s33, v2
	s_cselect_b32 s4, -1, 0
	v_cndmask_b32_e64 v6, 0, -1, vcc_lo
	s_delay_alu instid0(VALU_DEP_3) | instskip(NEXT) | instid1(VALU_DEP_2)
	v_cmp_ne_u32_e32 vcc_lo, 0, v5
	v_cndmask_b32_e64 v5, -1, v6, s4
	v_cndmask_b32_e32 v6, s12, v7, vcc_lo
	v_cndmask_b32_e32 v4, v3, v4, vcc_lo
	s_delay_alu instid0(VALU_DEP_3) | instskip(NEXT) | instid1(VALU_DEP_3)
	v_cmp_ne_u32_e32 vcc_lo, 0, v5
	v_cndmask_b32_e32 v3, s5, v6, vcc_lo
	s_delay_alu instid0(VALU_DEP_3)
	v_cndmask_b32_e32 v2, v2, v4, vcc_lo
	s_cbranch_execnz .LBB95_179
.LBB95_178:                             ;   in Loop: Header=BB95_37 Depth=1
	v_cvt_f32_u32_e32 v2, s33
	s_sub_i32 s4, 0, s33
	s_delay_alu instid0(VALU_DEP_1) | instskip(SKIP_2) | instid1(VALU_DEP_1)
	v_rcp_iflag_f32_e32 v2, v2
	s_waitcnt_depctr 0xfff
	v_mul_f32_e32 v2, 0x4f7ffffe, v2
	v_cvt_u32_f32_e32 v2, v2
	s_delay_alu instid0(VALU_DEP_1) | instskip(NEXT) | instid1(VALU_DEP_1)
	v_mul_lo_u32 v3, s4, v2
	v_mul_hi_u32 v3, v2, v3
	s_delay_alu instid0(VALU_DEP_1) | instskip(NEXT) | instid1(VALU_DEP_1)
	v_add_nc_u32_e32 v2, v2, v3
	v_mul_hi_u32 v2, s80, v2
	s_delay_alu instid0(VALU_DEP_1) | instskip(NEXT) | instid1(VALU_DEP_1)
	v_mul_lo_u32 v2, v2, s33
	v_sub_nc_u32_e32 v2, s80, v2
	s_delay_alu instid0(VALU_DEP_1) | instskip(SKIP_1) | instid1(VALU_DEP_2)
	v_subrev_nc_u32_e32 v3, s33, v2
	v_cmp_le_u32_e32 vcc_lo, s33, v2
	v_cndmask_b32_e32 v2, v2, v3, vcc_lo
	s_delay_alu instid0(VALU_DEP_1) | instskip(SKIP_1) | instid1(VALU_DEP_2)
	v_subrev_nc_u32_e32 v3, s33, v2
	v_cmp_le_u32_e32 vcc_lo, s33, v2
	v_cndmask_b32_e32 v10, v2, v3, vcc_lo
	s_delay_alu instid0(VALU_DEP_1)
	v_dual_mov_b32 v2, v10 :: v_dual_mov_b32 v3, v11
.LBB95_179:                             ;   in Loop: Header=BB95_37 Depth=1
	s_delay_alu instid0(VALU_DEP_1) | instskip(NEXT) | instid1(VALU_DEP_2)
	v_sub_co_u32 v2, vcc_lo, s80, v2
	v_sub_co_ci_u32_e32 v3, vcc_lo, s55, v3, vcc_lo
	s_mov_b32 s4, 0
	s_mov_b32 s5, exec_lo
                                        ; implicit-def: $vgpr28
	s_delay_alu instid0(VALU_DEP_1)
	v_cmpx_gt_u64_e64 v[2:3], v[0:1]
	s_cbranch_execz .LBB95_188
; %bb.180:                              ;   in Loop: Header=BB95_37 Depth=1
	v_dual_mov_b32 v4, v12 :: v_dual_mov_b32 v5, v13
	v_dual_mov_b32 v7, v1 :: v_dual_mov_b32 v6, v0
                                        ; implicit-def: $sgpr12
	s_set_inst_prefetch_distance 0x1
	s_branch .LBB95_182
	.p2align	6
.LBB95_181:                             ;   in Loop: Header=BB95_182 Depth=2
	s_or_b32 exec_lo, exec_lo, s13
	s_waitcnt vmcnt(0) lgkmcnt(0)
	s_barrier
	buffer_gl0_inv
	ds_load_b64 v[27:28], v11 offset:3072
	v_add_co_u32 v6, vcc_lo, v6, s33
	v_add_co_ci_u32_e32 v7, vcc_lo, 0, v7, vcc_lo
	s_waitcnt lgkmcnt(0)
	s_barrier
	buffer_gl0_inv
	v_cmp_ge_u64_e32 vcc_lo, v[6:7], v[2:3]
	v_readfirstlane_b32 s13, v27
	s_delay_alu instid0(VALU_DEP_1) | instskip(SKIP_1) | instid1(SALU_CYCLE_1)
	s_cmp_lg_u32 s13, 0
	s_cselect_b32 s13, -1, 0
	s_or_b32 s19, vcc_lo, s13
	v_add_co_u32 v4, vcc_lo, v4, s50
	s_and_b32 s19, exec_lo, s19
	v_add_co_ci_u32_e32 v5, vcc_lo, s51, v5, vcc_lo
	s_or_b32 s4, s19, s4
	s_and_not1_b32 s12, s12, exec_lo
	s_and_b32 s13, s13, exec_lo
	s_delay_alu instid0(SALU_CYCLE_1)
	s_or_b32 s12, s12, s13
	s_and_not1_b32 exec_lo, exec_lo, s4
	s_cbranch_execz .LBB95_187
.LBB95_182:                             ;   Parent Loop BB95_37 Depth=1
                                        ; =>  This Inner Loop Header: Depth=2
	s_delay_alu instid0(VALU_DEP_1)
	v_cmp_gt_u64_e32 vcc_lo, s[24:25], v[6:7]
	v_mov_b32_e32 v27, 0
	s_and_saveexec_b32 s13, vcc_lo
	s_cbranch_execz .LBB95_184
; %bb.183:                              ;   in Loop: Header=BB95_182 Depth=2
	global_load_b32 v27, v[4:5], off
.LBB95_184:                             ;   in Loop: Header=BB95_182 Depth=2
	s_or_b32 exec_lo, exec_lo, s13
	s_and_saveexec_b32 s13, vcc_lo
	s_cbranch_execz .LBB95_181
; %bb.185:                              ;   in Loop: Header=BB95_182 Depth=2
	s_waitcnt vmcnt(0)
	v_xor_b32_e32 v8, 0x80000000, v27
	s_delay_alu instid0(VALU_DEP_1) | instskip(NEXT) | instid1(VALU_DEP_1)
	v_and_b32_e32 v8, s97, v8
	v_cmp_eq_u32_e32 vcc_lo, s96, v8
	s_and_b32 exec_lo, exec_lo, vcc_lo
	s_cbranch_execz .LBB95_181
; %bb.186:                              ;   in Loop: Header=BB95_182 Depth=2
	ds_store_b64 v11, v[26:27] offset:3072
	s_branch .LBB95_181
.LBB95_187:                             ;   in Loop: Header=BB95_37 Depth=1
	s_set_inst_prefetch_distance 0x2
	s_or_b32 exec_lo, exec_lo, s4
	s_delay_alu instid0(SALU_CYCLE_1)
	s_and_b32 s4, s12, exec_lo
.LBB95_188:                             ;   in Loop: Header=BB95_37 Depth=1
	s_or_b32 exec_lo, exec_lo, s5
	s_mov_b32 s19, -1
	s_mov_b32 s13, 0
	s_mov_b32 s12, 0
.LBB95_189:                             ;   in Loop: Header=BB95_37 Depth=1
	s_mov_b32 s5, 0
                                        ; implicit-def: $sgpr52
	s_and_saveexec_b32 s20, s4
	s_cbranch_execz .LBB95_300
; %bb.190:                              ;   in Loop: Header=BB95_37 Depth=1
	s_xor_b32 s4, s21, -1
	s_mov_b32 s52, 1
	s_and_not1_b32 vcc_lo, exec_lo, s4
	s_cbranch_vccnz .LBB95_201
; %bb.191:                              ;   in Loop: Header=BB95_37 Depth=1
	v_cmp_gt_u64_e64 s4, s[46:47], s[10:11]
                                        ; implicit-def: $sgpr52
                                        ; implicit-def: $sgpr5
                                        ; implicit-def: $sgpr21
	s_delay_alu instid0(VALU_DEP_1)
	s_and_b32 vcc_lo, exec_lo, s4
	s_mov_b32 s4, -1
	s_cbranch_vccnz .LBB95_197
; %bb.192:                              ;   in Loop: Header=BB95_37 Depth=1
	ds_load_b64 v[2:3], v11 offset:5120
	s_waitcnt lgkmcnt(0)
	v_cmp_ne_u64_e32 vcc_lo, 0, v[2:3]
	s_cbranch_vccnz .LBB95_196
; %bb.193:                              ;   in Loop: Header=BB95_37 Depth=1
	s_and_saveexec_b32 s4, s2
	s_cbranch_execz .LBB95_195
; %bb.194:                              ;   in Loop: Header=BB95_37 Depth=1
	v_dual_mov_b32 v2, s10 :: v_dual_mov_b32 v3, s11
	ds_store_b64 v11, v[2:3] offset:5128
.LBB95_195:                             ;   in Loop: Header=BB95_37 Depth=1
	s_or_b32 exec_lo, exec_lo, s4
	s_waitcnt lgkmcnt(0)
	s_barrier
	buffer_gl0_inv
.LBB95_196:                             ;   in Loop: Header=BB95_37 Depth=1
	s_lshl_b32 s4, 1, s17
	s_and_b32 s5, s96, s18
	s_or_b32 s21, s97, s16
	s_or_b32 s5, s5, s4
	s_mov_b32 s4, 0
	s_mov_b32 s52, 8
.LBB95_197:                             ;   in Loop: Header=BB95_37 Depth=1
	s_and_not1_b32 vcc_lo, exec_lo, s4
	s_cbranch_vccnz .LBB95_199
; %bb.198:                              ;   in Loop: Header=BB95_37 Depth=1
	s_sub_u32 s46, s46, s10
	s_subb_u32 s47, s47, s11
	s_mov_b32 s4, -1
	s_mov_b32 s52, 0
	s_mov_b32 s5, s96
	;; [unrolled: 1-line block ×3, first 2 shown]
.LBB95_199:                             ;   in Loop: Header=BB95_37 Depth=1
	s_delay_alu instid0(SALU_CYCLE_1)
	s_mov_b32 s97, s21
	s_mov_b32 s96, s5
	s_and_not1_b32 vcc_lo, exec_lo, s4
	s_mov_b32 s5, -1
	s_cbranch_vccz .LBB95_202
.LBB95_200:                             ;   in Loop: Header=BB95_37 Depth=1
                                        ; implicit-def: $sgpr11
                                        ; implicit-def: $sgpr21
                                        ; implicit-def: $sgpr10
	s_branch .LBB95_299
.LBB95_201:                             ;   in Loop: Header=BB95_37 Depth=1
	s_mov_b64 s[46:47], 1
	s_mov_b32 s5, -1
	s_cbranch_execnz .LBB95_200
.LBB95_202:                             ;   in Loop: Header=BB95_37 Depth=1
	s_cmp_eq_u64 s[8:9], 1
	s_cselect_b32 s4, -1, 0
	s_cmp_eq_u64 s[46:47], 1
	s_cselect_b32 s5, -1, 0
	s_delay_alu instid0(SALU_CYCLE_1)
	s_and_b32 s23, s4, s5
	s_mov_b32 s4, -1
	s_and_b32 vcc_lo, exec_lo, s23
	s_cbranch_vccz .LBB95_217
; %bb.203:                              ;   in Loop: Header=BB95_37 Depth=1
	ds_load_b64 v[2:3], v11 offset:5120
	s_waitcnt lgkmcnt(0)
	s_barrier
	buffer_gl0_inv
	v_readfirstlane_b32 s10, v2
	v_readfirstlane_b32 s11, v3
	s_and_saveexec_b32 s4, s3
	s_cbranch_execz .LBB95_205
; %bb.204:                              ;   in Loop: Header=BB95_37 Depth=1
	ds_store_b32 v42, v11
.LBB95_205:                             ;   in Loop: Header=BB95_37 Depth=1
	s_or_b32 exec_lo, exec_lo, s4
	s_lshl_b32 s4, 2, s17
	s_and_b32 s5, s96, s18
	s_or_b32 s97, s97, s16
	s_or_b32 s96, s5, s4
	s_cmp_eq_u64 s[10:11], 0
	s_waitcnt lgkmcnt(0)
	s_barrier
	buffer_gl0_inv
	s_cbranch_scc1 .LBB95_220
; %bb.206:                              ;   in Loop: Header=BB95_37 Depth=1
	s_add_u32 s21, s78, s10
	s_addc_u32 s5, s79, s11
	s_mov_b32 s4, s53
	s_delay_alu instid0(SALU_CYCLE_1)
	s_cmp_lg_u64 s[4:5], 0
	s_cbranch_scc0 .LBB95_265
; %bb.207:                              ;   in Loop: Header=BB95_37 Depth=1
	v_cvt_f32_u32_e32 v2, s33
	s_sub_u32 s52, 0, s33
	s_subb_u32 s54, 0, 0
	s_delay_alu instid0(VALU_DEP_1) | instskip(NEXT) | instid1(VALU_DEP_1)
	v_fmac_f32_e64 v2, 0, 0x4f800000
	v_rcp_f32_e32 v2, v2
	s_waitcnt_depctr 0xfff
	v_mul_f32_e32 v2, 0x5f7ffffc, v2
	s_delay_alu instid0(VALU_DEP_1) | instskip(NEXT) | instid1(VALU_DEP_1)
	v_mul_f32_e32 v3, 0x2f800000, v2
	v_trunc_f32_e32 v3, v3
	s_delay_alu instid0(VALU_DEP_1) | instskip(SKIP_1) | instid1(VALU_DEP_2)
	v_fmac_f32_e32 v2, 0xcf800000, v3
	v_cvt_u32_f32_e32 v3, v3
	v_cvt_u32_f32_e32 v2, v2
	s_delay_alu instid0(VALU_DEP_2) | instskip(NEXT) | instid1(VALU_DEP_2)
	v_readfirstlane_b32 s4, v3
	v_readfirstlane_b32 s22, v2
	s_delay_alu instid0(VALU_DEP_2) | instskip(NEXT) | instid1(VALU_DEP_1)
	s_mul_i32 s64, s52, s4
	s_mul_hi_u32 s66, s52, s22
	s_mul_i32 s65, s54, s22
	s_add_i32 s64, s66, s64
	s_mul_i32 s67, s52, s22
	s_add_i32 s64, s64, s65
	s_mul_hi_u32 s66, s22, s67
	s_mul_hi_u32 s68, s4, s67
	s_mul_i32 s65, s4, s67
	s_mul_hi_u32 s67, s22, s64
	s_mul_i32 s22, s22, s64
	s_mul_hi_u32 s69, s4, s64
	s_add_u32 s22, s66, s22
	s_addc_u32 s66, 0, s67
	s_add_u32 s22, s22, s65
	s_mul_i32 s64, s4, s64
	s_addc_u32 s22, s66, s68
	s_addc_u32 s65, s69, 0
	s_add_u32 s22, s22, s64
	s_addc_u32 s64, 0, s65
	v_add_co_u32 v2, s22, v2, s22
	s_delay_alu instid0(VALU_DEP_1) | instskip(SKIP_1) | instid1(VALU_DEP_1)
	s_cmp_lg_u32 s22, 0
	s_addc_u32 s4, s4, s64
	v_readfirstlane_b32 s22, v2
	s_mul_i32 s64, s52, s4
	s_delay_alu instid0(VALU_DEP_1)
	s_mul_hi_u32 s65, s52, s22
	s_mul_i32 s54, s54, s22
	s_add_i32 s64, s65, s64
	s_mul_i32 s52, s52, s22
	s_add_i32 s64, s64, s54
	s_mul_hi_u32 s65, s4, s52
	s_mul_i32 s66, s4, s52
	s_mul_hi_u32 s52, s22, s52
	s_mul_hi_u32 s67, s22, s64
	s_mul_i32 s22, s22, s64
	s_mul_hi_u32 s54, s4, s64
	s_add_u32 s22, s52, s22
	s_addc_u32 s52, 0, s67
	s_add_u32 s22, s22, s66
	s_mul_i32 s64, s4, s64
	s_addc_u32 s22, s52, s65
	s_addc_u32 s52, s54, 0
	s_add_u32 s22, s22, s64
	s_addc_u32 s52, 0, s52
	v_add_co_u32 v2, s22, v2, s22
	s_delay_alu instid0(VALU_DEP_1) | instskip(SKIP_1) | instid1(VALU_DEP_1)
	s_cmp_lg_u32 s22, 0
	s_addc_u32 s4, s4, s52
	v_readfirstlane_b32 s22, v2
	s_mul_i32 s54, s21, s4
	s_mul_hi_u32 s52, s21, s4
	s_mul_hi_u32 s64, s5, s4
	s_mul_i32 s4, s5, s4
	s_mul_hi_u32 s65, s21, s22
	s_mul_hi_u32 s66, s5, s22
	s_mul_i32 s22, s5, s22
	s_add_u32 s54, s65, s54
	s_addc_u32 s52, 0, s52
	s_add_u32 s22, s54, s22
	s_addc_u32 s22, s52, s66
	s_addc_u32 s52, s64, 0
	s_add_u32 s4, s22, s4
	s_addc_u32 s22, 0, s52
	s_mul_hi_u32 s52, s33, s4
	s_mul_i32 s4, s33, s4
	s_mul_i32 s22, s33, s22
	v_sub_co_u32 v2, s4, s21, s4
	s_add_i32 s52, s52, s22
	s_cmp_lg_u32 s4, 0
	s_delay_alu instid0(VALU_DEP_1) | instskip(SKIP_2) | instid1(VALU_DEP_1)
	v_sub_co_u32 v3, s4, v2, s33
	s_subb_u32 s22, s5, s52
	s_cmp_lg_u32 s4, 0
	v_cmp_le_u32_e32 vcc_lo, s33, v3
	v_sub_co_u32 v4, s4, v3, s33
	s_subb_u32 s52, s22, 0
	s_cmp_lg_u32 s4, 0
	v_cndmask_b32_e64 v5, 0, -1, vcc_lo
	s_subb_u32 s4, s52, 0
	s_cmp_eq_u32 s52, 0
	v_mov_b32_e32 v7, s4
	s_cselect_b32 vcc_lo, -1, 0
	s_cmp_eq_u32 s22, 0
	v_cndmask_b32_e32 v5, -1, v5, vcc_lo
	v_cmp_le_u32_e32 vcc_lo, s33, v2
	s_cselect_b32 s4, -1, 0
	v_cndmask_b32_e64 v6, 0, -1, vcc_lo
	s_delay_alu instid0(VALU_DEP_3) | instskip(NEXT) | instid1(VALU_DEP_2)
	v_cmp_ne_u32_e32 vcc_lo, 0, v5
	v_cndmask_b32_e64 v5, -1, v6, s4
	v_cndmask_b32_e32 v6, s52, v7, vcc_lo
	v_cndmask_b32_e32 v4, v3, v4, vcc_lo
	s_delay_alu instid0(VALU_DEP_3) | instskip(NEXT) | instid1(VALU_DEP_3)
	v_cmp_ne_u32_e32 vcc_lo, 0, v5
	v_cndmask_b32_e32 v3, s22, v6, vcc_lo
	s_delay_alu instid0(VALU_DEP_3)
	v_cndmask_b32_e32 v2, v2, v4, vcc_lo
	s_cbranch_execnz .LBB95_209
.LBB95_208:                             ;   in Loop: Header=BB95_37 Depth=1
	v_cvt_f32_u32_e32 v2, s33
	s_sub_i32 s4, 0, s33
	s_delay_alu instid0(VALU_DEP_1) | instskip(SKIP_2) | instid1(VALU_DEP_1)
	v_rcp_iflag_f32_e32 v2, v2
	s_waitcnt_depctr 0xfff
	v_mul_f32_e32 v2, 0x4f7ffffe, v2
	v_cvt_u32_f32_e32 v2, v2
	s_delay_alu instid0(VALU_DEP_1) | instskip(NEXT) | instid1(VALU_DEP_1)
	v_mul_lo_u32 v3, s4, v2
	v_mul_hi_u32 v3, v2, v3
	s_delay_alu instid0(VALU_DEP_1) | instskip(NEXT) | instid1(VALU_DEP_1)
	v_add_nc_u32_e32 v2, v2, v3
	v_mul_hi_u32 v2, s21, v2
	s_delay_alu instid0(VALU_DEP_1) | instskip(NEXT) | instid1(VALU_DEP_1)
	v_mul_lo_u32 v2, v2, s33
	v_sub_nc_u32_e32 v2, s21, v2
	s_delay_alu instid0(VALU_DEP_1) | instskip(SKIP_1) | instid1(VALU_DEP_2)
	v_subrev_nc_u32_e32 v3, s33, v2
	v_cmp_le_u32_e32 vcc_lo, s33, v2
	v_cndmask_b32_e32 v2, v2, v3, vcc_lo
	s_delay_alu instid0(VALU_DEP_1) | instskip(SKIP_1) | instid1(VALU_DEP_2)
	v_subrev_nc_u32_e32 v3, s33, v2
	v_cmp_le_u32_e32 vcc_lo, s33, v2
	v_cndmask_b32_e32 v10, v2, v3, vcc_lo
	s_delay_alu instid0(VALU_DEP_1)
	v_dual_mov_b32 v2, v10 :: v_dual_mov_b32 v3, v11
.LBB95_209:                             ;   in Loop: Header=BB95_37 Depth=1
	s_delay_alu instid0(VALU_DEP_1) | instskip(NEXT) | instid1(VALU_DEP_2)
	v_sub_co_u32 v2, vcc_lo, s21, v2
	v_sub_co_ci_u32_e32 v3, vcc_lo, s5, v3, vcc_lo
	s_mov_b32 s4, 0
	s_mov_b32 s5, exec_lo
                                        ; implicit-def: $vgpr28
	s_delay_alu instid0(VALU_DEP_1)
	v_cmpx_gt_u64_e64 v[2:3], v[0:1]
	s_cbranch_execz .LBB95_222
; %bb.210:                              ;   in Loop: Header=BB95_37 Depth=1
	v_dual_mov_b32 v6, v14 :: v_dual_mov_b32 v5, v1
	v_mov_b32_e32 v4, v0
                                        ; implicit-def: $sgpr21
	s_set_inst_prefetch_distance 0x1
	s_branch .LBB95_212
	.p2align	6
.LBB95_211:                             ;   in Loop: Header=BB95_212 Depth=2
	s_or_b32 exec_lo, exec_lo, s22
	s_waitcnt lgkmcnt(0)
	s_barrier
	buffer_gl0_inv
	ds_load_b64 v[27:28], v11 offset:3072
	v_add_co_u32 v4, vcc_lo, v4, s33
	v_add_co_ci_u32_e32 v5, vcc_lo, 0, v5, vcc_lo
	v_add_nc_u32_e32 v6, s86, v6
	s_waitcnt lgkmcnt(0)
	s_barrier
	s_delay_alu instid0(VALU_DEP_2) | instskip(SKIP_2) | instid1(VALU_DEP_1)
	v_cmp_ge_u64_e32 vcc_lo, v[4:5], v[2:3]
	buffer_gl0_inv
	v_readfirstlane_b32 s22, v27
	s_cmp_lg_u32 s22, 0
	s_cselect_b32 s22, -1, 0
	s_delay_alu instid0(SALU_CYCLE_1) | instskip(NEXT) | instid1(SALU_CYCLE_1)
	s_or_b32 s52, vcc_lo, s22
	s_and_b32 s52, exec_lo, s52
	s_delay_alu instid0(SALU_CYCLE_1) | instskip(SKIP_2) | instid1(SALU_CYCLE_1)
	s_or_b32 s4, s52, s4
	s_and_not1_b32 s21, s21, exec_lo
	s_and_b32 s22, s22, exec_lo
	s_or_b32 s21, s21, s22
	s_and_not1_b32 exec_lo, exec_lo, s4
	s_cbranch_execz .LBB95_221
.LBB95_212:                             ;   Parent Loop BB95_37 Depth=1
                                        ; =>  This Inner Loop Header: Depth=2
	s_delay_alu instid0(VALU_DEP_1)
	v_cmp_gt_u64_e32 vcc_lo, s[10:11], v[4:5]
	v_mov_b32_e32 v27, 0
	s_and_saveexec_b32 s22, vcc_lo
	s_cbranch_execz .LBB95_214
; %bb.213:                              ;   in Loop: Header=BB95_212 Depth=2
	ds_load_b32 v27, v6
.LBB95_214:                             ;   in Loop: Header=BB95_212 Depth=2
	s_or_b32 exec_lo, exec_lo, s22
	s_and_saveexec_b32 s22, vcc_lo
	s_cbranch_execz .LBB95_211
; %bb.215:                              ;   in Loop: Header=BB95_212 Depth=2
	s_waitcnt lgkmcnt(0)
	v_xor_b32_e32 v7, 0x80000000, v27
	s_delay_alu instid0(VALU_DEP_1) | instskip(NEXT) | instid1(VALU_DEP_1)
	v_and_b32_e32 v7, s97, v7
	v_cmp_eq_u32_e32 vcc_lo, s96, v7
	s_and_b32 exec_lo, exec_lo, vcc_lo
	s_cbranch_execz .LBB95_211
; %bb.216:                              ;   in Loop: Header=BB95_212 Depth=2
	ds_store_b64 v11, v[26:27] offset:3072
	s_branch .LBB95_211
.LBB95_217:                             ;   in Loop: Header=BB95_37 Depth=1
                                        ; implicit-def: $sgpr10
                                        ; implicit-def: $sgpr21
                                        ; implicit-def: $sgpr11
	s_branch .LBB95_236
.LBB95_218:                             ;   in Loop: Header=BB95_37 Depth=1
                                        ; implicit-def: $vgpr2_vgpr3
	s_branch .LBB95_161
.LBB95_219:                             ;   in Loop: Header=BB95_37 Depth=1
                                        ; implicit-def: $vgpr2_vgpr3
	s_branch .LBB95_178
.LBB95_220:                             ;   in Loop: Header=BB95_37 Depth=1
	s_mov_b32 s10, -1
	s_mov_b32 s4, 0
                                        ; implicit-def: $sgpr11
                                        ; implicit-def: $vgpr28
	s_mov_b32 s21, s10
	s_cbranch_execnz .LBB95_223
	s_branch .LBB95_236
.LBB95_221:                             ;   in Loop: Header=BB95_37 Depth=1
	s_set_inst_prefetch_distance 0x2
	s_or_b32 exec_lo, exec_lo, s4
	s_delay_alu instid0(SALU_CYCLE_1)
	s_and_b32 s4, s21, exec_lo
.LBB95_222:                             ;   in Loop: Header=BB95_37 Depth=1
	s_or_b32 exec_lo, exec_lo, s5
	s_mov_b32 s11, -1
	s_mov_b32 s10, 0
	s_delay_alu instid0(SALU_CYCLE_1)
	s_mov_b32 s21, s10
	s_branch .LBB95_236
.LBB95_223:                             ;   in Loop: Header=BB95_37 Depth=1
	s_mov_b32 s54, s53
	s_delay_alu instid0(SALU_CYCLE_1)
	s_cmp_lg_u64 s[54:55], 0
	s_cbranch_scc0 .LBB95_266
; %bb.224:                              ;   in Loop: Header=BB95_37 Depth=1
	v_cvt_f32_u32_e32 v2, s33
	s_sub_u32 s10, 0, s33
	s_subb_u32 s11, 0, 0
	s_delay_alu instid0(VALU_DEP_1) | instskip(NEXT) | instid1(VALU_DEP_1)
	v_fmac_f32_e64 v2, 0, 0x4f800000
	v_rcp_f32_e32 v2, v2
	s_waitcnt_depctr 0xfff
	v_mul_f32_e32 v2, 0x5f7ffffc, v2
	s_delay_alu instid0(VALU_DEP_1) | instskip(NEXT) | instid1(VALU_DEP_1)
	v_mul_f32_e32 v3, 0x2f800000, v2
	v_trunc_f32_e32 v3, v3
	s_delay_alu instid0(VALU_DEP_1) | instskip(SKIP_1) | instid1(VALU_DEP_2)
	v_fmac_f32_e32 v2, 0xcf800000, v3
	v_cvt_u32_f32_e32 v3, v3
	v_cvt_u32_f32_e32 v2, v2
	s_delay_alu instid0(VALU_DEP_2) | instskip(NEXT) | instid1(VALU_DEP_2)
	v_readfirstlane_b32 s4, v3
	v_readfirstlane_b32 s5, v2
	s_delay_alu instid0(VALU_DEP_2) | instskip(NEXT) | instid1(VALU_DEP_1)
	s_mul_i32 s21, s10, s4
	s_mul_hi_u32 s52, s10, s5
	s_mul_i32 s22, s11, s5
	s_add_i32 s21, s52, s21
	s_mul_i32 s54, s10, s5
	s_add_i32 s21, s21, s22
	s_mul_hi_u32 s52, s5, s54
	s_mul_hi_u32 s64, s4, s54
	s_mul_i32 s22, s4, s54
	s_mul_hi_u32 s54, s5, s21
	s_mul_i32 s5, s5, s21
	s_mul_hi_u32 s65, s4, s21
	s_add_u32 s5, s52, s5
	s_addc_u32 s52, 0, s54
	s_add_u32 s5, s5, s22
	s_mul_i32 s21, s4, s21
	s_addc_u32 s5, s52, s64
	s_addc_u32 s22, s65, 0
	s_add_u32 s5, s5, s21
	s_addc_u32 s21, 0, s22
	v_add_co_u32 v2, s5, v2, s5
	s_delay_alu instid0(VALU_DEP_1) | instskip(SKIP_1) | instid1(VALU_DEP_1)
	s_cmp_lg_u32 s5, 0
	s_addc_u32 s4, s4, s21
	v_readfirstlane_b32 s5, v2
	s_mul_i32 s21, s10, s4
	s_delay_alu instid0(VALU_DEP_1)
	s_mul_hi_u32 s22, s10, s5
	s_mul_i32 s11, s11, s5
	s_add_i32 s21, s22, s21
	s_mul_i32 s10, s10, s5
	s_add_i32 s21, s21, s11
	s_mul_hi_u32 s22, s4, s10
	s_mul_i32 s52, s4, s10
	s_mul_hi_u32 s10, s5, s10
	s_mul_hi_u32 s54, s5, s21
	s_mul_i32 s5, s5, s21
	s_mul_hi_u32 s11, s4, s21
	s_add_u32 s5, s10, s5
	s_addc_u32 s10, 0, s54
	s_add_u32 s5, s5, s52
	s_mul_i32 s21, s4, s21
	s_addc_u32 s5, s10, s22
	s_addc_u32 s10, s11, 0
	s_add_u32 s5, s5, s21
	s_addc_u32 s10, 0, s10
	v_add_co_u32 v2, s5, v2, s5
	s_delay_alu instid0(VALU_DEP_1) | instskip(SKIP_1) | instid1(VALU_DEP_1)
	s_cmp_lg_u32 s5, 0
	s_addc_u32 s4, s4, s10
	v_readfirstlane_b32 s5, v2
	s_mul_i32 s11, s80, s4
	s_mul_hi_u32 s10, s80, s4
	s_mul_hi_u32 s21, s55, s4
	s_mul_i32 s4, s55, s4
	s_mul_hi_u32 s22, s80, s5
	s_mul_hi_u32 s52, s55, s5
	s_mul_i32 s5, s55, s5
	s_add_u32 s11, s22, s11
	s_addc_u32 s10, 0, s10
	s_add_u32 s5, s11, s5
	s_addc_u32 s5, s10, s52
	s_addc_u32 s10, s21, 0
	s_add_u32 s4, s5, s4
	s_addc_u32 s5, 0, s10
	s_mul_hi_u32 s10, s33, s4
	s_mul_i32 s4, s33, s4
	s_mul_i32 s5, s33, s5
	v_sub_co_u32 v2, s4, s80, s4
	s_add_i32 s10, s10, s5
	s_cmp_lg_u32 s4, 0
	s_delay_alu instid0(VALU_DEP_1) | instskip(SKIP_2) | instid1(VALU_DEP_1)
	v_sub_co_u32 v3, s4, v2, s33
	s_subb_u32 s5, s55, s10
	s_cmp_lg_u32 s4, 0
	v_cmp_le_u32_e32 vcc_lo, s33, v3
	v_sub_co_u32 v4, s4, v3, s33
	s_subb_u32 s10, s5, 0
	s_cmp_lg_u32 s4, 0
	v_cndmask_b32_e64 v5, 0, -1, vcc_lo
	s_subb_u32 s4, s10, 0
	s_cmp_eq_u32 s10, 0
	v_mov_b32_e32 v7, s4
	s_cselect_b32 vcc_lo, -1, 0
	s_cmp_eq_u32 s5, 0
	v_cndmask_b32_e32 v5, -1, v5, vcc_lo
	v_cmp_le_u32_e32 vcc_lo, s33, v2
	s_cselect_b32 s4, -1, 0
	v_cndmask_b32_e64 v6, 0, -1, vcc_lo
	s_delay_alu instid0(VALU_DEP_3) | instskip(NEXT) | instid1(VALU_DEP_2)
	v_cmp_ne_u32_e32 vcc_lo, 0, v5
	v_cndmask_b32_e64 v5, -1, v6, s4
	v_cndmask_b32_e32 v6, s10, v7, vcc_lo
	v_cndmask_b32_e32 v4, v3, v4, vcc_lo
	s_delay_alu instid0(VALU_DEP_3) | instskip(NEXT) | instid1(VALU_DEP_3)
	v_cmp_ne_u32_e32 vcc_lo, 0, v5
	v_cndmask_b32_e32 v3, s5, v6, vcc_lo
	s_delay_alu instid0(VALU_DEP_3)
	v_cndmask_b32_e32 v2, v2, v4, vcc_lo
	s_cbranch_execnz .LBB95_226
.LBB95_225:                             ;   in Loop: Header=BB95_37 Depth=1
	v_cvt_f32_u32_e32 v2, s33
	s_sub_i32 s4, 0, s33
	s_delay_alu instid0(VALU_DEP_1) | instskip(SKIP_2) | instid1(VALU_DEP_1)
	v_rcp_iflag_f32_e32 v2, v2
	s_waitcnt_depctr 0xfff
	v_mul_f32_e32 v2, 0x4f7ffffe, v2
	v_cvt_u32_f32_e32 v2, v2
	s_delay_alu instid0(VALU_DEP_1) | instskip(NEXT) | instid1(VALU_DEP_1)
	v_mul_lo_u32 v3, s4, v2
	v_mul_hi_u32 v3, v2, v3
	s_delay_alu instid0(VALU_DEP_1) | instskip(NEXT) | instid1(VALU_DEP_1)
	v_add_nc_u32_e32 v2, v2, v3
	v_mul_hi_u32 v2, s80, v2
	s_delay_alu instid0(VALU_DEP_1) | instskip(NEXT) | instid1(VALU_DEP_1)
	v_mul_lo_u32 v2, v2, s33
	v_sub_nc_u32_e32 v2, s80, v2
	s_delay_alu instid0(VALU_DEP_1) | instskip(SKIP_1) | instid1(VALU_DEP_2)
	v_subrev_nc_u32_e32 v3, s33, v2
	v_cmp_le_u32_e32 vcc_lo, s33, v2
	v_cndmask_b32_e32 v2, v2, v3, vcc_lo
	s_delay_alu instid0(VALU_DEP_1) | instskip(SKIP_1) | instid1(VALU_DEP_2)
	v_subrev_nc_u32_e32 v3, s33, v2
	v_cmp_le_u32_e32 vcc_lo, s33, v2
	v_cndmask_b32_e32 v10, v2, v3, vcc_lo
	s_delay_alu instid0(VALU_DEP_1)
	v_dual_mov_b32 v2, v10 :: v_dual_mov_b32 v3, v11
.LBB95_226:                             ;   in Loop: Header=BB95_37 Depth=1
	s_delay_alu instid0(VALU_DEP_1) | instskip(NEXT) | instid1(VALU_DEP_2)
	v_sub_co_u32 v2, vcc_lo, s80, v2
	v_sub_co_ci_u32_e32 v3, vcc_lo, s55, v3, vcc_lo
	s_mov_b32 s4, 0
	s_mov_b32 s5, exec_lo
                                        ; implicit-def: $vgpr28
	s_delay_alu instid0(VALU_DEP_1)
	v_cmpx_gt_u64_e64 v[2:3], v[0:1]
	s_cbranch_execz .LBB95_235
; %bb.227:                              ;   in Loop: Header=BB95_37 Depth=1
	v_dual_mov_b32 v4, v12 :: v_dual_mov_b32 v5, v13
	v_dual_mov_b32 v7, v1 :: v_dual_mov_b32 v6, v0
                                        ; implicit-def: $sgpr10
	s_set_inst_prefetch_distance 0x1
	s_branch .LBB95_229
	.p2align	6
.LBB95_228:                             ;   in Loop: Header=BB95_229 Depth=2
	s_or_b32 exec_lo, exec_lo, s11
	s_waitcnt vmcnt(0) lgkmcnt(0)
	s_barrier
	buffer_gl0_inv
	ds_load_b64 v[27:28], v11 offset:3072
	v_add_co_u32 v6, vcc_lo, v6, s33
	v_add_co_ci_u32_e32 v7, vcc_lo, 0, v7, vcc_lo
	s_waitcnt lgkmcnt(0)
	s_barrier
	buffer_gl0_inv
	v_cmp_ge_u64_e32 vcc_lo, v[6:7], v[2:3]
	v_readfirstlane_b32 s11, v27
	s_delay_alu instid0(VALU_DEP_1) | instskip(SKIP_1) | instid1(SALU_CYCLE_1)
	s_cmp_lg_u32 s11, 0
	s_cselect_b32 s11, -1, 0
	s_or_b32 s21, vcc_lo, s11
	v_add_co_u32 v4, vcc_lo, v4, s50
	s_and_b32 s21, exec_lo, s21
	v_add_co_ci_u32_e32 v5, vcc_lo, s51, v5, vcc_lo
	s_or_b32 s4, s21, s4
	s_and_not1_b32 s10, s10, exec_lo
	s_and_b32 s11, s11, exec_lo
	s_delay_alu instid0(SALU_CYCLE_1)
	s_or_b32 s10, s10, s11
	s_and_not1_b32 exec_lo, exec_lo, s4
	s_cbranch_execz .LBB95_234
.LBB95_229:                             ;   Parent Loop BB95_37 Depth=1
                                        ; =>  This Inner Loop Header: Depth=2
	s_delay_alu instid0(VALU_DEP_1)
	v_cmp_gt_u64_e32 vcc_lo, s[24:25], v[6:7]
	v_mov_b32_e32 v27, 0
	s_and_saveexec_b32 s11, vcc_lo
	s_cbranch_execz .LBB95_231
; %bb.230:                              ;   in Loop: Header=BB95_229 Depth=2
	global_load_b32 v27, v[4:5], off
.LBB95_231:                             ;   in Loop: Header=BB95_229 Depth=2
	s_or_b32 exec_lo, exec_lo, s11
	s_and_saveexec_b32 s11, vcc_lo
	s_cbranch_execz .LBB95_228
; %bb.232:                              ;   in Loop: Header=BB95_229 Depth=2
	s_waitcnt vmcnt(0)
	v_xor_b32_e32 v8, 0x80000000, v27
	s_delay_alu instid0(VALU_DEP_1) | instskip(NEXT) | instid1(VALU_DEP_1)
	v_and_b32_e32 v8, s97, v8
	v_cmp_eq_u32_e32 vcc_lo, s96, v8
	s_and_b32 exec_lo, exec_lo, vcc_lo
	s_cbranch_execz .LBB95_228
; %bb.233:                              ;   in Loop: Header=BB95_229 Depth=2
	ds_store_b64 v11, v[26:27] offset:3072
	s_branch .LBB95_228
.LBB95_234:                             ;   in Loop: Header=BB95_37 Depth=1
	s_set_inst_prefetch_distance 0x2
	s_or_b32 exec_lo, exec_lo, s4
	s_delay_alu instid0(SALU_CYCLE_1)
	s_and_b32 s4, s10, exec_lo
.LBB95_235:                             ;   in Loop: Header=BB95_37 Depth=1
	s_or_b32 exec_lo, exec_lo, s5
	s_mov_b32 s21, -1
	s_mov_b32 s10, 0
	s_mov_b32 s11, 0
.LBB95_236:                             ;   in Loop: Header=BB95_37 Depth=1
	s_mov_b32 s5, 0
                                        ; implicit-def: $sgpr52
	s_and_saveexec_b32 s22, s4
	s_cbranch_execz .LBB95_298
; %bb.237:                              ;   in Loop: Header=BB95_37 Depth=1
	s_xor_b32 s4, s23, -1
	s_mov_b32 s52, 1
	s_and_not1_b32 vcc_lo, exec_lo, s4
	s_cbranch_vccnz .LBB95_248
; %bb.238:                              ;   in Loop: Header=BB95_37 Depth=1
	v_cmp_gt_u64_e64 s4, s[46:47], s[8:9]
                                        ; implicit-def: $sgpr52
                                        ; implicit-def: $sgpr5
                                        ; implicit-def: $sgpr23
	s_delay_alu instid0(VALU_DEP_1)
	s_and_b32 vcc_lo, exec_lo, s4
	s_mov_b32 s4, -1
	s_cbranch_vccnz .LBB95_244
; %bb.239:                              ;   in Loop: Header=BB95_37 Depth=1
	ds_load_b64 v[2:3], v11 offset:5120
	s_waitcnt lgkmcnt(0)
	v_cmp_ne_u64_e32 vcc_lo, 0, v[2:3]
	s_cbranch_vccnz .LBB95_243
; %bb.240:                              ;   in Loop: Header=BB95_37 Depth=1
	s_and_saveexec_b32 s4, s2
	s_cbranch_execz .LBB95_242
; %bb.241:                              ;   in Loop: Header=BB95_37 Depth=1
	v_dual_mov_b32 v2, s8 :: v_dual_mov_b32 v3, s9
	ds_store_b64 v11, v[2:3] offset:5128
.LBB95_242:                             ;   in Loop: Header=BB95_37 Depth=1
	s_or_b32 exec_lo, exec_lo, s4
	s_waitcnt lgkmcnt(0)
	s_barrier
	buffer_gl0_inv
.LBB95_243:                             ;   in Loop: Header=BB95_37 Depth=1
	s_lshl_b32 s4, 2, s17
	s_and_b32 s5, s96, s18
	s_or_b32 s23, s97, s16
	s_or_b32 s5, s5, s4
	s_mov_b32 s4, 0
	s_mov_b32 s52, 8
.LBB95_244:                             ;   in Loop: Header=BB95_37 Depth=1
	s_and_not1_b32 vcc_lo, exec_lo, s4
	s_cbranch_vccnz .LBB95_246
; %bb.245:                              ;   in Loop: Header=BB95_37 Depth=1
	s_sub_u32 s46, s46, s8
	s_subb_u32 s47, s47, s9
	s_mov_b32 s4, -1
	s_mov_b32 s52, 0
	s_mov_b32 s5, s96
	;; [unrolled: 1-line block ×3, first 2 shown]
.LBB95_246:                             ;   in Loop: Header=BB95_37 Depth=1
	s_delay_alu instid0(SALU_CYCLE_1)
	s_mov_b32 s97, s23
	s_mov_b32 s96, s5
	s_and_not1_b32 vcc_lo, exec_lo, s4
	s_mov_b32 s64, -1
	s_cbranch_vccz .LBB95_249
.LBB95_247:                             ;   in Loop: Header=BB95_37 Depth=1
                                        ; implicit-def: $sgpr8
                                        ; implicit-def: $sgpr18
                                        ; implicit-def: $sgpr9
	s_branch .LBB95_297
.LBB95_248:                             ;   in Loop: Header=BB95_37 Depth=1
	s_mov_b64 s[46:47], 1
	s_mov_b32 s64, -1
	s_cbranch_execnz .LBB95_247
.LBB95_249:                             ;   in Loop: Header=BB95_37 Depth=1
	s_cmp_eq_u64 s[6:7], 1
	s_mov_b32 s23, -1
	s_cselect_b32 s4, -1, 0
	s_cmp_eq_u64 s[46:47], 1
	s_cselect_b32 s5, -1, 0
	s_delay_alu instid0(SALU_CYCLE_1) | instskip(NEXT) | instid1(SALU_CYCLE_1)
	s_and_b32 s17, s4, s5
	s_and_b32 vcc_lo, exec_lo, s17
	s_cbranch_vccz .LBB95_264
; %bb.250:                              ;   in Loop: Header=BB95_37 Depth=1
	ds_load_b64 v[2:3], v11 offset:5120
	s_waitcnt lgkmcnt(0)
	s_barrier
	buffer_gl0_inv
	v_readfirstlane_b32 s8, v2
	v_readfirstlane_b32 s9, v3
	s_and_saveexec_b32 s4, s3
	s_cbranch_execz .LBB95_252
; %bb.251:                              ;   in Loop: Header=BB95_37 Depth=1
	ds_store_b32 v42, v11
.LBB95_252:                             ;   in Loop: Header=BB95_37 Depth=1
	s_or_b32 exec_lo, exec_lo, s4
	s_or_b32 s96, s96, s16
	s_or_b32 s97, s97, s16
	s_cmp_eq_u64 s[8:9], 0
	s_waitcnt lgkmcnt(0)
	s_barrier
	buffer_gl0_inv
	s_cbranch_scc1 .LBB95_267
; %bb.253:                              ;   in Loop: Header=BB95_37 Depth=1
	s_add_u32 s18, s78, s8
	s_addc_u32 s5, s79, s9
	s_mov_b32 s4, s53
	s_delay_alu instid0(SALU_CYCLE_1)
	s_cmp_lg_u64 s[4:5], 0
	s_cbranch_scc0 .LBB95_303
; %bb.254:                              ;   in Loop: Header=BB95_37 Depth=1
	v_cvt_f32_u32_e32 v2, s33
	s_sub_u32 s52, 0, s33
	s_subb_u32 s54, 0, 0
	s_delay_alu instid0(VALU_DEP_1) | instskip(NEXT) | instid1(VALU_DEP_1)
	v_fmac_f32_e64 v2, 0, 0x4f800000
	v_rcp_f32_e32 v2, v2
	s_waitcnt_depctr 0xfff
	v_mul_f32_e32 v2, 0x5f7ffffc, v2
	s_delay_alu instid0(VALU_DEP_1) | instskip(NEXT) | instid1(VALU_DEP_1)
	v_mul_f32_e32 v3, 0x2f800000, v2
	v_trunc_f32_e32 v3, v3
	s_delay_alu instid0(VALU_DEP_1) | instskip(SKIP_1) | instid1(VALU_DEP_2)
	v_fmac_f32_e32 v2, 0xcf800000, v3
	v_cvt_u32_f32_e32 v3, v3
	v_cvt_u32_f32_e32 v2, v2
	s_delay_alu instid0(VALU_DEP_2) | instskip(NEXT) | instid1(VALU_DEP_2)
	v_readfirstlane_b32 s4, v3
	v_readfirstlane_b32 s23, v2
	s_delay_alu instid0(VALU_DEP_2) | instskip(NEXT) | instid1(VALU_DEP_1)
	s_mul_i32 s64, s52, s4
	s_mul_hi_u32 s66, s52, s23
	s_mul_i32 s65, s54, s23
	s_add_i32 s64, s66, s64
	s_mul_i32 s67, s52, s23
	s_add_i32 s64, s64, s65
	s_mul_hi_u32 s66, s23, s67
	s_mul_hi_u32 s68, s4, s67
	s_mul_i32 s65, s4, s67
	s_mul_hi_u32 s67, s23, s64
	s_mul_i32 s23, s23, s64
	s_mul_hi_u32 s69, s4, s64
	s_add_u32 s23, s66, s23
	s_addc_u32 s66, 0, s67
	s_add_u32 s23, s23, s65
	s_mul_i32 s64, s4, s64
	s_addc_u32 s23, s66, s68
	s_addc_u32 s65, s69, 0
	s_add_u32 s23, s23, s64
	s_addc_u32 s64, 0, s65
	v_add_co_u32 v2, s23, v2, s23
	s_delay_alu instid0(VALU_DEP_1) | instskip(SKIP_1) | instid1(VALU_DEP_1)
	s_cmp_lg_u32 s23, 0
	s_addc_u32 s4, s4, s64
	v_readfirstlane_b32 s23, v2
	s_mul_i32 s64, s52, s4
	s_delay_alu instid0(VALU_DEP_1)
	s_mul_hi_u32 s65, s52, s23
	s_mul_i32 s54, s54, s23
	s_add_i32 s64, s65, s64
	s_mul_i32 s52, s52, s23
	s_add_i32 s64, s64, s54
	s_mul_hi_u32 s65, s4, s52
	s_mul_i32 s66, s4, s52
	s_mul_hi_u32 s52, s23, s52
	s_mul_hi_u32 s67, s23, s64
	s_mul_i32 s23, s23, s64
	s_mul_hi_u32 s54, s4, s64
	s_add_u32 s23, s52, s23
	s_addc_u32 s52, 0, s67
	s_add_u32 s23, s23, s66
	s_mul_i32 s64, s4, s64
	s_addc_u32 s23, s52, s65
	s_addc_u32 s52, s54, 0
	s_add_u32 s23, s23, s64
	s_addc_u32 s52, 0, s52
	v_add_co_u32 v2, s23, v2, s23
	s_delay_alu instid0(VALU_DEP_1) | instskip(SKIP_1) | instid1(VALU_DEP_1)
	s_cmp_lg_u32 s23, 0
	s_addc_u32 s4, s4, s52
	v_readfirstlane_b32 s23, v2
	s_mul_i32 s54, s18, s4
	s_mul_hi_u32 s52, s18, s4
	s_mul_hi_u32 s64, s5, s4
	s_mul_i32 s4, s5, s4
	s_mul_hi_u32 s65, s18, s23
	s_mul_hi_u32 s66, s5, s23
	s_mul_i32 s23, s5, s23
	s_add_u32 s54, s65, s54
	s_addc_u32 s52, 0, s52
	s_add_u32 s23, s54, s23
	s_addc_u32 s23, s52, s66
	s_addc_u32 s52, s64, 0
	s_add_u32 s4, s23, s4
	s_addc_u32 s23, 0, s52
	s_mul_hi_u32 s52, s33, s4
	s_mul_i32 s4, s33, s4
	s_mul_i32 s23, s33, s23
	v_sub_co_u32 v2, s4, s18, s4
	s_add_i32 s52, s52, s23
	s_cmp_lg_u32 s4, 0
	s_delay_alu instid0(VALU_DEP_1) | instskip(SKIP_2) | instid1(VALU_DEP_1)
	v_sub_co_u32 v3, s4, v2, s33
	s_subb_u32 s23, s5, s52
	s_cmp_lg_u32 s4, 0
	v_cmp_le_u32_e32 vcc_lo, s33, v3
	v_sub_co_u32 v4, s4, v3, s33
	s_subb_u32 s52, s23, 0
	s_cmp_lg_u32 s4, 0
	v_cndmask_b32_e64 v5, 0, -1, vcc_lo
	s_subb_u32 s4, s52, 0
	s_cmp_eq_u32 s52, 0
	v_mov_b32_e32 v7, s4
	s_cselect_b32 vcc_lo, -1, 0
	s_cmp_eq_u32 s23, 0
	v_cndmask_b32_e32 v5, -1, v5, vcc_lo
	v_cmp_le_u32_e32 vcc_lo, s33, v2
	s_cselect_b32 s4, -1, 0
	v_cndmask_b32_e64 v6, 0, -1, vcc_lo
	s_delay_alu instid0(VALU_DEP_3) | instskip(NEXT) | instid1(VALU_DEP_2)
	v_cmp_ne_u32_e32 vcc_lo, 0, v5
	v_cndmask_b32_e64 v5, -1, v6, s4
	v_cndmask_b32_e32 v6, s52, v7, vcc_lo
	v_cndmask_b32_e32 v4, v3, v4, vcc_lo
	s_delay_alu instid0(VALU_DEP_3) | instskip(NEXT) | instid1(VALU_DEP_3)
	v_cmp_ne_u32_e32 vcc_lo, 0, v5
	v_cndmask_b32_e32 v3, s23, v6, vcc_lo
	s_delay_alu instid0(VALU_DEP_3)
	v_cndmask_b32_e32 v2, v2, v4, vcc_lo
	s_cbranch_execnz .LBB95_256
.LBB95_255:                             ;   in Loop: Header=BB95_37 Depth=1
	v_cvt_f32_u32_e32 v2, s33
	s_sub_i32 s4, 0, s33
	s_delay_alu instid0(VALU_DEP_1) | instskip(SKIP_2) | instid1(VALU_DEP_1)
	v_rcp_iflag_f32_e32 v2, v2
	s_waitcnt_depctr 0xfff
	v_mul_f32_e32 v2, 0x4f7ffffe, v2
	v_cvt_u32_f32_e32 v2, v2
	s_delay_alu instid0(VALU_DEP_1) | instskip(NEXT) | instid1(VALU_DEP_1)
	v_mul_lo_u32 v3, s4, v2
	v_mul_hi_u32 v3, v2, v3
	s_delay_alu instid0(VALU_DEP_1) | instskip(NEXT) | instid1(VALU_DEP_1)
	v_add_nc_u32_e32 v2, v2, v3
	v_mul_hi_u32 v2, s18, v2
	s_delay_alu instid0(VALU_DEP_1) | instskip(NEXT) | instid1(VALU_DEP_1)
	v_mul_lo_u32 v2, v2, s33
	v_sub_nc_u32_e32 v2, s18, v2
	s_delay_alu instid0(VALU_DEP_1) | instskip(SKIP_1) | instid1(VALU_DEP_2)
	v_subrev_nc_u32_e32 v3, s33, v2
	v_cmp_le_u32_e32 vcc_lo, s33, v2
	v_cndmask_b32_e32 v2, v2, v3, vcc_lo
	s_delay_alu instid0(VALU_DEP_1) | instskip(SKIP_1) | instid1(VALU_DEP_2)
	v_subrev_nc_u32_e32 v3, s33, v2
	v_cmp_le_u32_e32 vcc_lo, s33, v2
	v_cndmask_b32_e32 v10, v2, v3, vcc_lo
	s_delay_alu instid0(VALU_DEP_1)
	v_dual_mov_b32 v2, v10 :: v_dual_mov_b32 v3, v11
.LBB95_256:                             ;   in Loop: Header=BB95_37 Depth=1
	s_delay_alu instid0(VALU_DEP_1) | instskip(NEXT) | instid1(VALU_DEP_2)
	v_sub_co_u32 v2, vcc_lo, s18, v2
	v_sub_co_ci_u32_e32 v3, vcc_lo, s5, v3, vcc_lo
	s_mov_b32 s23, 0
	s_mov_b32 s4, exec_lo
                                        ; implicit-def: $vgpr28
	s_delay_alu instid0(VALU_DEP_1)
	v_cmpx_gt_u64_e64 v[2:3], v[0:1]
	s_cbranch_execz .LBB95_269
; %bb.257:                              ;   in Loop: Header=BB95_37 Depth=1
	v_dual_mov_b32 v6, v14 :: v_dual_mov_b32 v5, v1
	v_mov_b32_e32 v4, v0
	s_mov_b32 s5, 0
                                        ; implicit-def: $sgpr18
	s_set_inst_prefetch_distance 0x1
	s_branch .LBB95_259
	.p2align	6
.LBB95_258:                             ;   in Loop: Header=BB95_259 Depth=2
	s_or_b32 exec_lo, exec_lo, s23
	s_waitcnt lgkmcnt(0)
	s_barrier
	buffer_gl0_inv
	ds_load_b64 v[27:28], v11 offset:3072
	v_add_co_u32 v4, vcc_lo, v4, s33
	v_add_co_ci_u32_e32 v5, vcc_lo, 0, v5, vcc_lo
	v_add_nc_u32_e32 v6, s86, v6
	s_waitcnt lgkmcnt(0)
	s_barrier
	s_delay_alu instid0(VALU_DEP_2) | instskip(SKIP_2) | instid1(VALU_DEP_1)
	v_cmp_ge_u64_e32 vcc_lo, v[4:5], v[2:3]
	buffer_gl0_inv
	v_readfirstlane_b32 s23, v27
	s_cmp_lg_u32 s23, 0
	s_cselect_b32 s23, -1, 0
	s_delay_alu instid0(SALU_CYCLE_1) | instskip(NEXT) | instid1(SALU_CYCLE_1)
	s_or_b32 s52, vcc_lo, s23
	s_and_b32 s52, exec_lo, s52
	s_delay_alu instid0(SALU_CYCLE_1) | instskip(SKIP_2) | instid1(SALU_CYCLE_1)
	s_or_b32 s5, s52, s5
	s_and_not1_b32 s18, s18, exec_lo
	s_and_b32 s23, s23, exec_lo
	s_or_b32 s18, s18, s23
	s_and_not1_b32 exec_lo, exec_lo, s5
	s_cbranch_execz .LBB95_268
.LBB95_259:                             ;   Parent Loop BB95_37 Depth=1
                                        ; =>  This Inner Loop Header: Depth=2
	s_delay_alu instid0(VALU_DEP_1)
	v_cmp_gt_u64_e32 vcc_lo, s[8:9], v[4:5]
	v_mov_b32_e32 v27, 0
	s_and_saveexec_b32 s23, vcc_lo
	s_cbranch_execz .LBB95_261
; %bb.260:                              ;   in Loop: Header=BB95_259 Depth=2
	ds_load_b32 v27, v6
.LBB95_261:                             ;   in Loop: Header=BB95_259 Depth=2
	s_or_b32 exec_lo, exec_lo, s23
	s_and_saveexec_b32 s23, vcc_lo
	s_cbranch_execz .LBB95_258
; %bb.262:                              ;   in Loop: Header=BB95_259 Depth=2
	s_waitcnt lgkmcnt(0)
	v_xor_b32_e32 v7, 0x80000000, v27
	s_delay_alu instid0(VALU_DEP_1) | instskip(NEXT) | instid1(VALU_DEP_1)
	v_and_b32_e32 v7, s97, v7
	v_cmp_eq_u32_e32 vcc_lo, s96, v7
	s_and_b32 exec_lo, exec_lo, vcc_lo
	s_cbranch_execz .LBB95_258
; %bb.263:                              ;   in Loop: Header=BB95_259 Depth=2
	ds_store_b64 v11, v[26:27] offset:3072
	s_branch .LBB95_258
.LBB95_264:                             ;   in Loop: Header=BB95_37 Depth=1
                                        ; implicit-def: $sgpr8
                                        ; implicit-def: $sgpr18
                                        ; implicit-def: $sgpr9
	s_branch .LBB95_283
.LBB95_265:                             ;   in Loop: Header=BB95_37 Depth=1
                                        ; implicit-def: $vgpr2_vgpr3
	s_branch .LBB95_208
.LBB95_266:                             ;   in Loop: Header=BB95_37 Depth=1
                                        ; implicit-def: $vgpr2_vgpr3
	s_branch .LBB95_225
.LBB95_267:                             ;   in Loop: Header=BB95_37 Depth=1
	s_mov_b32 s8, -1
	s_mov_b32 s23, 0
                                        ; implicit-def: $sgpr9
                                        ; implicit-def: $vgpr28
	s_mov_b32 s18, s8
	s_cbranch_execnz .LBB95_270
	s_branch .LBB95_283
.LBB95_268:                             ;   in Loop: Header=BB95_37 Depth=1
	s_set_inst_prefetch_distance 0x2
	s_or_b32 exec_lo, exec_lo, s5
	s_delay_alu instid0(SALU_CYCLE_1)
	s_and_b32 s23, s18, exec_lo
.LBB95_269:                             ;   in Loop: Header=BB95_37 Depth=1
	s_or_b32 exec_lo, exec_lo, s4
	s_mov_b32 s9, -1
	s_mov_b32 s8, 0
	s_delay_alu instid0(SALU_CYCLE_1)
	s_mov_b32 s18, s8
	s_branch .LBB95_283
.LBB95_270:                             ;   in Loop: Header=BB95_37 Depth=1
	s_mov_b32 s54, s53
	s_delay_alu instid0(SALU_CYCLE_1)
	s_cmp_lg_u64 s[54:55], 0
	s_cbranch_scc0 .LBB95_304
; %bb.271:                              ;   in Loop: Header=BB95_37 Depth=1
	v_cvt_f32_u32_e32 v2, s33
	s_sub_u32 s8, 0, s33
	s_subb_u32 s9, 0, 0
	s_delay_alu instid0(VALU_DEP_1) | instskip(NEXT) | instid1(VALU_DEP_1)
	v_fmac_f32_e64 v2, 0, 0x4f800000
	v_rcp_f32_e32 v2, v2
	s_waitcnt_depctr 0xfff
	v_mul_f32_e32 v2, 0x5f7ffffc, v2
	s_delay_alu instid0(VALU_DEP_1) | instskip(NEXT) | instid1(VALU_DEP_1)
	v_mul_f32_e32 v3, 0x2f800000, v2
	v_trunc_f32_e32 v3, v3
	s_delay_alu instid0(VALU_DEP_1) | instskip(SKIP_1) | instid1(VALU_DEP_2)
	v_fmac_f32_e32 v2, 0xcf800000, v3
	v_cvt_u32_f32_e32 v3, v3
	v_cvt_u32_f32_e32 v2, v2
	s_delay_alu instid0(VALU_DEP_2) | instskip(NEXT) | instid1(VALU_DEP_2)
	v_readfirstlane_b32 s4, v3
	v_readfirstlane_b32 s5, v2
	s_delay_alu instid0(VALU_DEP_2) | instskip(NEXT) | instid1(VALU_DEP_1)
	s_mul_i32 s18, s8, s4
	s_mul_hi_u32 s52, s8, s5
	s_mul_i32 s23, s9, s5
	s_add_i32 s18, s52, s18
	s_mul_i32 s54, s8, s5
	s_add_i32 s18, s18, s23
	s_mul_hi_u32 s52, s5, s54
	s_mul_hi_u32 s64, s4, s54
	s_mul_i32 s23, s4, s54
	s_mul_hi_u32 s54, s5, s18
	s_mul_i32 s5, s5, s18
	s_mul_hi_u32 s65, s4, s18
	s_add_u32 s5, s52, s5
	s_addc_u32 s52, 0, s54
	s_add_u32 s5, s5, s23
	s_mul_i32 s18, s4, s18
	s_addc_u32 s5, s52, s64
	s_addc_u32 s23, s65, 0
	s_add_u32 s5, s5, s18
	s_addc_u32 s18, 0, s23
	v_add_co_u32 v2, s5, v2, s5
	s_delay_alu instid0(VALU_DEP_1) | instskip(SKIP_1) | instid1(VALU_DEP_1)
	s_cmp_lg_u32 s5, 0
	s_addc_u32 s4, s4, s18
	v_readfirstlane_b32 s5, v2
	s_mul_i32 s18, s8, s4
	s_delay_alu instid0(VALU_DEP_1)
	s_mul_hi_u32 s23, s8, s5
	s_mul_i32 s9, s9, s5
	s_add_i32 s18, s23, s18
	s_mul_i32 s8, s8, s5
	s_add_i32 s18, s18, s9
	s_mul_hi_u32 s23, s4, s8
	s_mul_i32 s52, s4, s8
	s_mul_hi_u32 s8, s5, s8
	s_mul_hi_u32 s54, s5, s18
	s_mul_i32 s5, s5, s18
	s_mul_hi_u32 s9, s4, s18
	s_add_u32 s5, s8, s5
	s_addc_u32 s8, 0, s54
	s_add_u32 s5, s5, s52
	s_mul_i32 s18, s4, s18
	s_addc_u32 s5, s8, s23
	s_addc_u32 s8, s9, 0
	s_add_u32 s5, s5, s18
	s_addc_u32 s8, 0, s8
	v_add_co_u32 v2, s5, v2, s5
	s_delay_alu instid0(VALU_DEP_1) | instskip(SKIP_1) | instid1(VALU_DEP_1)
	s_cmp_lg_u32 s5, 0
	s_addc_u32 s4, s4, s8
	v_readfirstlane_b32 s5, v2
	s_mul_i32 s9, s80, s4
	s_mul_hi_u32 s8, s80, s4
	s_mul_hi_u32 s18, s55, s4
	s_mul_i32 s4, s55, s4
	s_mul_hi_u32 s23, s80, s5
	s_mul_hi_u32 s52, s55, s5
	s_mul_i32 s5, s55, s5
	s_add_u32 s9, s23, s9
	s_addc_u32 s8, 0, s8
	s_add_u32 s5, s9, s5
	s_addc_u32 s5, s8, s52
	s_addc_u32 s8, s18, 0
	s_add_u32 s4, s5, s4
	s_addc_u32 s5, 0, s8
	s_mul_hi_u32 s8, s33, s4
	s_mul_i32 s4, s33, s4
	s_mul_i32 s5, s33, s5
	v_sub_co_u32 v2, s4, s80, s4
	s_add_i32 s8, s8, s5
	s_cmp_lg_u32 s4, 0
	s_delay_alu instid0(VALU_DEP_1) | instskip(SKIP_2) | instid1(VALU_DEP_1)
	v_sub_co_u32 v3, s4, v2, s33
	s_subb_u32 s5, s55, s8
	s_cmp_lg_u32 s4, 0
	v_cmp_le_u32_e32 vcc_lo, s33, v3
	v_sub_co_u32 v4, s4, v3, s33
	s_subb_u32 s8, s5, 0
	s_cmp_lg_u32 s4, 0
	v_cndmask_b32_e64 v5, 0, -1, vcc_lo
	s_subb_u32 s4, s8, 0
	s_cmp_eq_u32 s8, 0
	v_mov_b32_e32 v7, s4
	s_cselect_b32 vcc_lo, -1, 0
	s_cmp_eq_u32 s5, 0
	v_cndmask_b32_e32 v5, -1, v5, vcc_lo
	v_cmp_le_u32_e32 vcc_lo, s33, v2
	s_cselect_b32 s4, -1, 0
	v_cndmask_b32_e64 v6, 0, -1, vcc_lo
	s_delay_alu instid0(VALU_DEP_3) | instskip(NEXT) | instid1(VALU_DEP_2)
	v_cmp_ne_u32_e32 vcc_lo, 0, v5
	v_cndmask_b32_e64 v5, -1, v6, s4
	v_cndmask_b32_e32 v6, s8, v7, vcc_lo
	v_cndmask_b32_e32 v4, v3, v4, vcc_lo
	s_delay_alu instid0(VALU_DEP_3) | instskip(NEXT) | instid1(VALU_DEP_3)
	v_cmp_ne_u32_e32 vcc_lo, 0, v5
	v_cndmask_b32_e32 v3, s5, v6, vcc_lo
	s_delay_alu instid0(VALU_DEP_3)
	v_cndmask_b32_e32 v2, v2, v4, vcc_lo
	s_cbranch_execnz .LBB95_273
.LBB95_272:                             ;   in Loop: Header=BB95_37 Depth=1
	v_cvt_f32_u32_e32 v2, s33
	s_sub_i32 s4, 0, s33
	s_delay_alu instid0(VALU_DEP_1) | instskip(SKIP_2) | instid1(VALU_DEP_1)
	v_rcp_iflag_f32_e32 v2, v2
	s_waitcnt_depctr 0xfff
	v_mul_f32_e32 v2, 0x4f7ffffe, v2
	v_cvt_u32_f32_e32 v2, v2
	s_delay_alu instid0(VALU_DEP_1) | instskip(NEXT) | instid1(VALU_DEP_1)
	v_mul_lo_u32 v3, s4, v2
	v_mul_hi_u32 v3, v2, v3
	s_delay_alu instid0(VALU_DEP_1) | instskip(NEXT) | instid1(VALU_DEP_1)
	v_add_nc_u32_e32 v2, v2, v3
	v_mul_hi_u32 v2, s80, v2
	s_delay_alu instid0(VALU_DEP_1) | instskip(NEXT) | instid1(VALU_DEP_1)
	v_mul_lo_u32 v2, v2, s33
	v_sub_nc_u32_e32 v2, s80, v2
	s_delay_alu instid0(VALU_DEP_1) | instskip(SKIP_1) | instid1(VALU_DEP_2)
	v_subrev_nc_u32_e32 v3, s33, v2
	v_cmp_le_u32_e32 vcc_lo, s33, v2
	v_cndmask_b32_e32 v2, v2, v3, vcc_lo
	s_delay_alu instid0(VALU_DEP_1) | instskip(SKIP_1) | instid1(VALU_DEP_2)
	v_subrev_nc_u32_e32 v3, s33, v2
	v_cmp_le_u32_e32 vcc_lo, s33, v2
	v_cndmask_b32_e32 v10, v2, v3, vcc_lo
	s_delay_alu instid0(VALU_DEP_1)
	v_dual_mov_b32 v2, v10 :: v_dual_mov_b32 v3, v11
.LBB95_273:                             ;   in Loop: Header=BB95_37 Depth=1
	s_delay_alu instid0(VALU_DEP_1) | instskip(NEXT) | instid1(VALU_DEP_2)
	v_sub_co_u32 v2, vcc_lo, s80, v2
	v_sub_co_ci_u32_e32 v3, vcc_lo, s55, v3, vcc_lo
	s_mov_b32 s23, 0
	s_mov_b32 s4, exec_lo
                                        ; implicit-def: $vgpr28
	s_delay_alu instid0(VALU_DEP_1)
	v_cmpx_gt_u64_e64 v[2:3], v[0:1]
	s_cbranch_execz .LBB95_282
; %bb.274:                              ;   in Loop: Header=BB95_37 Depth=1
	v_dual_mov_b32 v4, v12 :: v_dual_mov_b32 v5, v13
	v_dual_mov_b32 v7, v1 :: v_dual_mov_b32 v6, v0
	s_mov_b32 s5, 0
                                        ; implicit-def: $sgpr8
	s_set_inst_prefetch_distance 0x1
	s_branch .LBB95_276
	.p2align	6
.LBB95_275:                             ;   in Loop: Header=BB95_276 Depth=2
	s_or_b32 exec_lo, exec_lo, s9
	s_waitcnt vmcnt(0) lgkmcnt(0)
	s_barrier
	buffer_gl0_inv
	ds_load_b64 v[27:28], v11 offset:3072
	v_add_co_u32 v6, vcc_lo, v6, s33
	v_add_co_ci_u32_e32 v7, vcc_lo, 0, v7, vcc_lo
	s_waitcnt lgkmcnt(0)
	s_barrier
	buffer_gl0_inv
	v_cmp_ge_u64_e32 vcc_lo, v[6:7], v[2:3]
	v_readfirstlane_b32 s9, v27
	s_delay_alu instid0(VALU_DEP_1) | instskip(SKIP_1) | instid1(SALU_CYCLE_1)
	s_cmp_lg_u32 s9, 0
	s_cselect_b32 s9, -1, 0
	s_or_b32 s18, vcc_lo, s9
	v_add_co_u32 v4, vcc_lo, v4, s50
	s_and_b32 s18, exec_lo, s18
	v_add_co_ci_u32_e32 v5, vcc_lo, s51, v5, vcc_lo
	s_or_b32 s5, s18, s5
	s_and_not1_b32 s8, s8, exec_lo
	s_and_b32 s9, s9, exec_lo
	s_delay_alu instid0(SALU_CYCLE_1)
	s_or_b32 s8, s8, s9
	s_and_not1_b32 exec_lo, exec_lo, s5
	s_cbranch_execz .LBB95_281
.LBB95_276:                             ;   Parent Loop BB95_37 Depth=1
                                        ; =>  This Inner Loop Header: Depth=2
	s_delay_alu instid0(VALU_DEP_1)
	v_cmp_gt_u64_e32 vcc_lo, s[24:25], v[6:7]
	v_mov_b32_e32 v27, 0
	s_and_saveexec_b32 s9, vcc_lo
	s_cbranch_execz .LBB95_278
; %bb.277:                              ;   in Loop: Header=BB95_276 Depth=2
	global_load_b32 v27, v[4:5], off
.LBB95_278:                             ;   in Loop: Header=BB95_276 Depth=2
	s_or_b32 exec_lo, exec_lo, s9
	s_and_saveexec_b32 s9, vcc_lo
	s_cbranch_execz .LBB95_275
; %bb.279:                              ;   in Loop: Header=BB95_276 Depth=2
	s_waitcnt vmcnt(0)
	v_xor_b32_e32 v8, 0x80000000, v27
	s_delay_alu instid0(VALU_DEP_1) | instskip(NEXT) | instid1(VALU_DEP_1)
	v_and_b32_e32 v8, s97, v8
	v_cmp_eq_u32_e32 vcc_lo, s96, v8
	s_and_b32 exec_lo, exec_lo, vcc_lo
	s_cbranch_execz .LBB95_275
; %bb.280:                              ;   in Loop: Header=BB95_276 Depth=2
	ds_store_b64 v11, v[26:27] offset:3072
	s_branch .LBB95_275
.LBB95_281:                             ;   in Loop: Header=BB95_37 Depth=1
	s_set_inst_prefetch_distance 0x2
	s_or_b32 exec_lo, exec_lo, s5
	s_delay_alu instid0(SALU_CYCLE_1)
	s_and_b32 s23, s8, exec_lo
.LBB95_282:                             ;   in Loop: Header=BB95_37 Depth=1
	s_or_b32 exec_lo, exec_lo, s4
	s_mov_b32 s18, -1
	s_mov_b32 s8, 0
	s_mov_b32 s9, 0
.LBB95_283:                             ;   in Loop: Header=BB95_37 Depth=1
	s_mov_b32 s64, 0
                                        ; implicit-def: $sgpr52
                                        ; implicit-def: $sgpr4_sgpr5
	s_and_saveexec_b32 s54, s23
	s_cbranch_execz .LBB95_296
; %bb.284:                              ;   in Loop: Header=BB95_37 Depth=1
	s_xor_b32 s17, s17, -1
	s_mov_b64 s[4:5], 1
	s_and_not1_b32 vcc_lo, exec_lo, s17
	s_mov_b32 s52, 1
	s_cbranch_vccnz .LBB95_295
; %bb.285:                              ;   in Loop: Header=BB95_37 Depth=1
	v_cmp_gt_u64_e64 s4, s[46:47], s[6:7]
	s_delay_alu instid0(VALU_DEP_1)
	s_and_b32 vcc_lo, exec_lo, s4
	s_cbranch_vccnz .LBB95_291
; %bb.286:                              ;   in Loop: Header=BB95_37 Depth=1
	ds_load_b64 v[2:3], v11 offset:5120
	s_waitcnt lgkmcnt(0)
	v_cmp_ne_u64_e32 vcc_lo, 0, v[2:3]
	s_cbranch_vccnz .LBB95_290
; %bb.287:                              ;   in Loop: Header=BB95_37 Depth=1
	s_and_saveexec_b32 s4, s2
	s_cbranch_execz .LBB95_289
; %bb.288:                              ;   in Loop: Header=BB95_37 Depth=1
	v_dual_mov_b32 v2, s6 :: v_dual_mov_b32 v3, s7
	ds_store_b64 v11, v[2:3] offset:5128
.LBB95_289:                             ;   in Loop: Header=BB95_37 Depth=1
	s_or_b32 exec_lo, exec_lo, s4
	s_waitcnt lgkmcnt(0)
	s_barrier
	buffer_gl0_inv
.LBB95_290:                             ;   in Loop: Header=BB95_37 Depth=1
	s_or_b32 s17, s96, s16
	s_or_b32 s16, s97, s16
	s_mov_b32 s4, 0
	s_mov_b32 s52, 8
	s_branch .LBB95_292
.LBB95_291:                             ;   in Loop: Header=BB95_37 Depth=1
	s_mov_b32 s4, -1
                                        ; implicit-def: $sgpr52
                                        ; implicit-def: $sgpr17
                                        ; implicit-def: $sgpr16
.LBB95_292:                             ;   in Loop: Header=BB95_37 Depth=1
	s_delay_alu instid0(SALU_CYCLE_1)
	s_and_not1_b32 vcc_lo, exec_lo, s4
	s_cbranch_vccnz .LBB95_294
; %bb.293:                              ;   in Loop: Header=BB95_37 Depth=1
	s_sub_u32 s46, s46, s6
	s_subb_u32 s47, s47, s7
	s_mov_b32 s52, 8
	s_mov_b32 s17, s96
	;; [unrolled: 1-line block ×3, first 2 shown]
.LBB95_294:                             ;   in Loop: Header=BB95_37 Depth=1
	s_mov_b64 s[4:5], s[46:47]
	s_mov_b32 s96, s17
	s_mov_b32 s97, s16
.LBB95_295:                             ;   in Loop: Header=BB95_37 Depth=1
	s_mov_b32 s64, exec_lo
.LBB95_296:                             ;   in Loop: Header=BB95_37 Depth=1
	s_or_b32 exec_lo, exec_lo, s54
	s_mov_b64 s[46:47], s[4:5]
.LBB95_297:                             ;   in Loop: Header=BB95_37 Depth=1
	s_and_not1_b32 s4, s10, exec_lo
	s_and_b32 s5, s8, exec_lo
	s_and_not1_b32 s6, s11, exec_lo
	s_or_b32 s10, s4, s5
	s_and_not1_b32 s4, s21, exec_lo
	s_and_b32 s5, s18, exec_lo
	s_and_b32 s7, s9, exec_lo
	s_or_b32 s21, s4, s5
	s_or_b32 s11, s6, s7
	s_and_b32 s5, s64, exec_lo
.LBB95_298:                             ;   in Loop: Header=BB95_37 Depth=1
	s_or_b32 exec_lo, exec_lo, s22
.LBB95_299:                             ;   in Loop: Header=BB95_37 Depth=1
	s_delay_alu instid0(SALU_CYCLE_1)
	s_and_not1_b32 s4, s13, exec_lo
	s_and_b32 s6, s10, exec_lo
	s_and_not1_b32 s7, s12, exec_lo
	s_or_b32 s13, s4, s6
	s_and_not1_b32 s4, s19, exec_lo
	s_and_b32 s6, s21, exec_lo
	s_and_b32 s8, s11, exec_lo
	s_or_b32 s19, s4, s6
	s_or_b32 s12, s7, s8
	s_and_b32 s5, s5, exec_lo
.LBB95_300:                             ;   in Loop: Header=BB95_37 Depth=1
	s_or_b32 exec_lo, exec_lo, s20
	s_and_saveexec_b32 s4, s5
	s_delay_alu instid0(SALU_CYCLE_1)
	s_xor_b32 s4, exec_lo, s4
	s_cbranch_execz .LBB95_35
.LBB95_301:                             ;   in Loop: Header=BB95_37 Depth=1
	s_and_b32 s5, s52, -9
	s_delay_alu instid0(SALU_CYCLE_1)
	s_cmp_eq_u32 s5, 0
	s_cbranch_scc1 .LBB95_33
; %bb.302:                              ;   in Loop: Header=BB95_37 Depth=1
	s_mov_b32 s5, -1
	s_mov_b32 s6, -1
                                        ; implicit-def: $sgpr97
                                        ; implicit-def: $sgpr46_sgpr47
                                        ; implicit-def: $sgpr91
                                        ; implicit-def: $sgpr94
	s_branch .LBB95_34
.LBB95_303:                             ;   in Loop: Header=BB95_37 Depth=1
                                        ; implicit-def: $vgpr2_vgpr3
	s_branch .LBB95_255
.LBB95_304:                             ;   in Loop: Header=BB95_37 Depth=1
                                        ; implicit-def: $vgpr2_vgpr3
	s_branch .LBB95_272
.LBB95_305:
	s_or_b32 exec_lo, exec_lo, s87
	s_xor_b32 s4, s90, -1
	s_xor_b32 s1, s88, -1
	;; [unrolled: 1-line block ×3, first 2 shown]
	s_mov_b32 s2, 0
	s_and_saveexec_b32 s5, s1
	s_delay_alu instid0(SALU_CYCLE_1)
	s_xor_b32 s1, exec_lo, s5
	s_cbranch_execz .LBB95_319
; %bb.306:
	s_and_saveexec_b32 s2, s4
	s_delay_alu instid0(SALU_CYCLE_1)
	s_xor_b32 s2, exec_lo, s2
	s_cbranch_execz .LBB95_317
; %bb.307:
	s_and_saveexec_b32 s4, s3
	s_delay_alu instid0(SALU_CYCLE_1)
	s_xor_b32 s3, exec_lo, s4
; %bb.308:
	v_xor_b32_e32 v28, 0x80000000, v2
; %bb.309:
	s_or_b32 exec_lo, exec_lo, s3
	s_mul_i32 s3, s36, s35
	s_mul_hi_u32 s4, s36, s34
	s_mul_i32 s5, s37, s34
	s_add_i32 s3, s4, s3
	s_mul_i32 s4, s36, s34
	s_add_i32 s5, s3, s5
	v_mov_b32_e32 v2, 0
	s_lshl_b64 s[4:5], s[4:5], 2
	s_delay_alu instid0(SALU_CYCLE_1) | instskip(SKIP_2) | instid1(SALU_CYCLE_1)
	s_add_u32 s3, s44, s4
	s_addc_u32 s6, s45, s5
	s_lshl_b64 s[4:5], s[26:27], 2
	s_add_u32 s4, s3, s4
	s_addc_u32 s5, s6, s5
	global_store_b32 v2, v28, s[4:5]
	s_and_saveexec_b32 s3, s0
	s_cbranch_execz .LBB95_316
; %bb.310:
	s_mov_b32 s4, 0
                                        ; implicit-def: $sgpr5
                                        ; implicit-def: $sgpr7
                                        ; implicit-def: $sgpr6
	s_set_inst_prefetch_distance 0x1
	s_branch .LBB95_312
	.p2align	6
.LBB95_311:                             ;   in Loop: Header=BB95_312 Depth=1
	s_or_b32 exec_lo, exec_lo, s8
	s_delay_alu instid0(SALU_CYCLE_1) | instskip(NEXT) | instid1(SALU_CYCLE_1)
	s_and_b32 s0, exec_lo, s7
	s_or_b32 s4, s0, s4
	s_and_not1_b32 s0, s5, exec_lo
	s_and_b32 s5, s6, exec_lo
	s_delay_alu instid0(SALU_CYCLE_1)
	s_or_b32 s5, s0, s5
	s_and_not1_b32 exec_lo, exec_lo, s4
	s_cbranch_execz .LBB95_314
.LBB95_312:                             ; =>This Inner Loop Header: Depth=1
	global_load_b32 v4, v[12:13], off
	v_dual_mov_b32 v3, v1 :: v_dual_mov_b32 v2, v0
	s_or_b32 s6, s6, exec_lo
	s_or_b32 s7, s7, exec_lo
	s_mov_b32 s8, exec_lo
                                        ; implicit-def: $vgpr0_vgpr1
	s_waitcnt vmcnt(0)
	v_cmpx_ne_u32_e64 v4, v28
	s_cbranch_execz .LBB95_311
; %bb.313:                              ;   in Loop: Header=BB95_312 Depth=1
	v_add_co_u32 v0, vcc_lo, v2, s33
	v_add_co_ci_u32_e32 v1, vcc_lo, 0, v3, vcc_lo
	v_add_co_u32 v12, s0, v12, s50
	s_delay_alu instid0(VALU_DEP_1) | instskip(NEXT) | instid1(VALU_DEP_3)
	v_add_co_ci_u32_e64 v13, s0, s51, v13, s0
	v_cmp_le_u64_e32 vcc_lo, s[24:25], v[0:1]
	s_and_not1_b32 s0, s7, exec_lo
	s_and_not1_b32 s6, s6, exec_lo
	s_and_b32 s7, vcc_lo, exec_lo
	s_delay_alu instid0(SALU_CYCLE_1)
	s_or_b32 s7, s0, s7
	s_branch .LBB95_311
.LBB95_314:
	s_set_inst_prefetch_distance 0x2
	s_or_b32 exec_lo, exec_lo, s4
	s_and_saveexec_b32 s0, s5
	s_delay_alu instid0(SALU_CYCLE_1)
	s_xor_b32 s0, exec_lo, s0
	s_cbranch_execz .LBB95_316
; %bb.315:
	s_mul_i32 s0, s40, s39
	s_mul_hi_u32 s4, s40, s38
	s_mul_i32 s5, s41, s38
	s_add_i32 s0, s4, s0
	s_mul_i32 s4, s40, s38
	s_add_i32 s5, s0, s5
	v_mov_b32_e32 v0, 0
	s_lshl_b64 s[4:5], s[4:5], 3
	s_delay_alu instid0(SALU_CYCLE_1) | instskip(SKIP_2) | instid1(SALU_CYCLE_1)
	s_add_u32 s0, s42, s4
	s_addc_u32 s6, s43, s5
	s_lshl_b64 s[4:5], s[30:31], 3
	s_add_u32 s4, s0, s4
	s_addc_u32 s5, s6, s5
	global_store_b64 v0, v[2:3], s[4:5]
.LBB95_316:
	s_or_b32 exec_lo, exec_lo, s3
.LBB95_317:
	s_or_saveexec_b32 s0, s2
	s_mov_b32 s2, 0
	s_xor_b32 exec_lo, exec_lo, s0
	s_cbranch_execnz .LBB95_325
.LBB95_318:
	s_or_b32 exec_lo, exec_lo, s0
	s_delay_alu instid0(SALU_CYCLE_1)
	s_and_b32 s2, s2, exec_lo
.LBB95_319:
	s_and_not1_saveexec_b32 s0, s1
	s_cbranch_execnz .LBB95_323
; %bb.320:
	s_or_b32 exec_lo, exec_lo, s0
	s_and_saveexec_b32 s0, s2
.LBB95_321:
	; divergent unreachable
.LBB95_322:
	s_nop 0
	s_sendmsg sendmsg(MSG_DEALLOC_VGPRS)
	s_endpgm
.LBB95_323:
	s_cbranch_execnz .LBB95_327
; %bb.324:
	s_or_b32 s2, s2, exec_lo
	s_or_b32 exec_lo, exec_lo, s0
	s_and_saveexec_b32 s0, s2
	s_cbranch_execnz .LBB95_321
	s_branch .LBB95_322
.LBB95_325:
	s_cbranch_execnz .LBB95_329
; %bb.326:
	s_mov_b32 s2, exec_lo
	s_branch .LBB95_318
.LBB95_327:
	s_trap 2
	s_sendmsg_rtn_b32 s0, sendmsg(MSG_RTN_GET_DOORBELL)
	s_mov_b32 ttmp2, m0
	s_waitcnt lgkmcnt(0)
	s_and_b32 s0, s0, 0x3ff
	s_delay_alu instid0(SALU_CYCLE_1) | instskip(NEXT) | instid1(SALU_CYCLE_1)
	s_bitset1_b32 s0, 10
	s_mov_b32 m0, s0
	s_sendmsg sendmsg(MSG_INTERRUPT)
	s_mov_b32 m0, ttmp2
.LBB95_328:                             ; =>This Inner Loop Header: Depth=1
	s_sethalt 5
	s_branch .LBB95_328
.LBB95_329:
	s_trap 2
	s_sendmsg_rtn_b32 s0, sendmsg(MSG_RTN_GET_DOORBELL)
	s_mov_b32 ttmp2, m0
	s_waitcnt lgkmcnt(0)
	s_and_b32 s0, s0, 0x3ff
	s_delay_alu instid0(SALU_CYCLE_1) | instskip(NEXT) | instid1(SALU_CYCLE_1)
	s_bitset1_b32 s0, 10
	s_mov_b32 m0, s0
	s_sendmsg sendmsg(MSG_INTERRUPT)
	s_mov_b32 m0, ttmp2
.LBB95_330:                             ; =>This Inner Loop Header: Depth=1
	s_sethalt 5
	s_branch .LBB95_330
	.section	.rodata,"a",@progbits
	.p2align	6, 0x0
	.amdhsa_kernel _ZN2at6native12_GLOBAL__N_112gatherMedianIimLin1EEEvNS_4cuda6detail10TensorInfoIT_T0_EENS5_IlS7_EENS5_IKS6_S7_EES7_S7_S7_b
		.amdhsa_group_segment_fixed_size 5152
		.amdhsa_private_segment_fixed_size 0
		.amdhsa_kernarg_size 1536
		.amdhsa_user_sgpr_count 13
		.amdhsa_user_sgpr_dispatch_ptr 0
		.amdhsa_user_sgpr_queue_ptr 0
		.amdhsa_user_sgpr_kernarg_segment_ptr 1
		.amdhsa_user_sgpr_dispatch_id 0
		.amdhsa_user_sgpr_private_segment_size 0
		.amdhsa_wavefront_size32 1
		.amdhsa_uses_dynamic_stack 0
		.amdhsa_enable_private_segment 0
		.amdhsa_system_sgpr_workgroup_id_x 1
		.amdhsa_system_sgpr_workgroup_id_y 1
		.amdhsa_system_sgpr_workgroup_id_z 1
		.amdhsa_system_sgpr_workgroup_info 0
		.amdhsa_system_vgpr_workitem_id 0
		.amdhsa_next_free_vgpr 47
		.amdhsa_next_free_sgpr 102
		.amdhsa_reserve_vcc 1
		.amdhsa_float_round_mode_32 0
		.amdhsa_float_round_mode_16_64 0
		.amdhsa_float_denorm_mode_32 3
		.amdhsa_float_denorm_mode_16_64 3
		.amdhsa_dx10_clamp 1
		.amdhsa_ieee_mode 1
		.amdhsa_fp16_overflow 0
		.amdhsa_workgroup_processor_mode 1
		.amdhsa_memory_ordered 1
		.amdhsa_forward_progress 0
		.amdhsa_shared_vgpr_count 0
		.amdhsa_exception_fp_ieee_invalid_op 0
		.amdhsa_exception_fp_denorm_src 0
		.amdhsa_exception_fp_ieee_div_zero 0
		.amdhsa_exception_fp_ieee_overflow 0
		.amdhsa_exception_fp_ieee_underflow 0
		.amdhsa_exception_fp_ieee_inexact 0
		.amdhsa_exception_int_div_zero 0
	.end_amdhsa_kernel
	.section	.text._ZN2at6native12_GLOBAL__N_112gatherMedianIimLin1EEEvNS_4cuda6detail10TensorInfoIT_T0_EENS5_IlS7_EENS5_IKS6_S7_EES7_S7_S7_b,"axG",@progbits,_ZN2at6native12_GLOBAL__N_112gatherMedianIimLin1EEEvNS_4cuda6detail10TensorInfoIT_T0_EENS5_IlS7_EENS5_IKS6_S7_EES7_S7_S7_b,comdat
.Lfunc_end95:
	.size	_ZN2at6native12_GLOBAL__N_112gatherMedianIimLin1EEEvNS_4cuda6detail10TensorInfoIT_T0_EENS5_IlS7_EENS5_IKS6_S7_EES7_S7_S7_b, .Lfunc_end95-_ZN2at6native12_GLOBAL__N_112gatherMedianIimLin1EEEvNS_4cuda6detail10TensorInfoIT_T0_EENS5_IlS7_EENS5_IKS6_S7_EES7_S7_S7_b
                                        ; -- End function
	.section	.AMDGPU.csdata,"",@progbits
; Kernel info:
; codeLenInByte = 19176
; NumSgprs: 104
; NumVgprs: 47
; ScratchSize: 0
; MemoryBound: 0
; FloatMode: 240
; IeeeMode: 1
; LDSByteSize: 5152 bytes/workgroup (compile time only)
; SGPRBlocks: 12
; VGPRBlocks: 5
; NumSGPRsForWavesPerEU: 104
; NumVGPRsForWavesPerEU: 47
; Occupancy: 16
; WaveLimiterHint : 1
; COMPUTE_PGM_RSRC2:SCRATCH_EN: 0
; COMPUTE_PGM_RSRC2:USER_SGPR: 13
; COMPUTE_PGM_RSRC2:TRAP_HANDLER: 0
; COMPUTE_PGM_RSRC2:TGID_X_EN: 1
; COMPUTE_PGM_RSRC2:TGID_Y_EN: 1
; COMPUTE_PGM_RSRC2:TGID_Z_EN: 1
; COMPUTE_PGM_RSRC2:TIDIG_COMP_CNT: 0
	.section	.text._ZN2at6native12_GLOBAL__N_112gatherMedianIljLi1EEEvNS_4cuda6detail10TensorInfoIT_T0_EENS5_IlS7_EENS5_IKS6_S7_EES7_S7_S7_b,"axG",@progbits,_ZN2at6native12_GLOBAL__N_112gatherMedianIljLi1EEEvNS_4cuda6detail10TensorInfoIT_T0_EENS5_IlS7_EENS5_IKS6_S7_EES7_S7_S7_b,comdat
	.globl	_ZN2at6native12_GLOBAL__N_112gatherMedianIljLi1EEEvNS_4cuda6detail10TensorInfoIT_T0_EENS5_IlS7_EENS5_IKS6_S7_EES7_S7_S7_b ; -- Begin function _ZN2at6native12_GLOBAL__N_112gatherMedianIljLi1EEEvNS_4cuda6detail10TensorInfoIT_T0_EENS5_IlS7_EENS5_IKS6_S7_EES7_S7_S7_b
	.p2align	8
	.type	_ZN2at6native12_GLOBAL__N_112gatherMedianIljLi1EEEvNS_4cuda6detail10TensorInfoIT_T0_EENS5_IlS7_EENS5_IKS6_S7_EES7_S7_S7_b,@function
_ZN2at6native12_GLOBAL__N_112gatherMedianIljLi1EEEvNS_4cuda6detail10TensorInfoIT_T0_EENS5_IlS7_EENS5_IKS6_S7_EES7_S7_S7_b: ; @_ZN2at6native12_GLOBAL__N_112gatherMedianIljLi1EEEvNS_4cuda6detail10TensorInfoIT_T0_EENS5_IlS7_EENS5_IKS6_S7_EES7_S7_S7_b
; %bb.0:
	s_clause 0x1
	s_load_b64 s[6:7], s[0:1], 0x298
	s_load_b128 s[28:31], s[0:1], 0x288
	s_add_u32 s4, s0, 0x298
	s_addc_u32 s5, s1, 0
	s_waitcnt lgkmcnt(0)
	s_mul_i32 s2, s7, s15
	s_delay_alu instid0(SALU_CYCLE_1) | instskip(NEXT) | instid1(SALU_CYCLE_1)
	s_add_i32 s2, s2, s14
	s_mul_i32 s33, s2, s6
	s_delay_alu instid0(SALU_CYCLE_1) | instskip(NEXT) | instid1(SALU_CYCLE_1)
	s_add_i32 s33, s33, s13
	s_cmp_ge_u32 s33, s29
	s_cbranch_scc1 .LBB96_262
; %bb.1:
	v_cmp_eq_u32_e64 s2, 0, v0
	s_delay_alu instid0(VALU_DEP_1)
	s_and_saveexec_b32 s3, s2
	s_cbranch_execz .LBB96_3
; %bb.2:
	v_mov_b32_e32 v1, 0
	s_delay_alu instid0(VALU_DEP_1)
	v_mov_b32_e32 v2, v1
	ds_store_b64 v1, v[1:2] offset:4096
.LBB96_3:
	s_or_b32 exec_lo, exec_lo, s3
	v_mov_b32_e32 v1, 0
	s_waitcnt lgkmcnt(0)
	s_barrier
	buffer_gl0_inv
	s_barrier
	buffer_gl0_inv
	ds_load_b64 v[1:2], v1 offset:4096
	s_load_b64 s[8:9], s[0:1], 0x1b0
	s_bitcmp1_b32 s31, 0
	s_mov_b32 s72, s28
	s_cselect_b32 s3, -1, 0
	s_waitcnt lgkmcnt(0)
	v_cmp_gt_i64_e32 vcc_lo, 1, v[1:2]
	s_or_b32 s3, s3, vcc_lo
	s_delay_alu instid0(SALU_CYCLE_1)
	s_and_not1_b32 vcc_lo, exec_lo, s3
	s_cbranch_vccnz .LBB96_5
; %bb.4:
	v_not_b32_e32 v1, v1
	v_not_b32_e32 v2, v2
	s_delay_alu instid0(VALU_DEP_2) | instskip(NEXT) | instid1(VALU_DEP_2)
	v_add_co_u32 v1, vcc_lo, v1, s28
	v_add_co_ci_u32_e32 v2, vcc_lo, 0, v2, vcc_lo
	s_delay_alu instid0(VALU_DEP_1) | instskip(NEXT) | instid1(VALU_DEP_1)
	v_lshrrev_b32_e32 v3, 31, v2
	v_add_co_u32 v1, vcc_lo, v1, v3
	v_add_co_ci_u32_e32 v2, vcc_lo, 0, v2, vcc_lo
	s_delay_alu instid0(VALU_DEP_1) | instskip(NEXT) | instid1(VALU_DEP_1)
	v_alignbit_b32 v1, v2, v1, 1
	v_readfirstlane_b32 s3, v1
	s_delay_alu instid0(VALU_DEP_1)
	s_add_i32 s72, s3, 1
.LBB96_5:
	s_clause 0x2
	s_load_b32 s3, s[0:1], 0x21c
	s_load_b64 s[34:35], s[0:1], 0xd8
	s_load_b64 s[36:37], s[0:1], 0x0
	s_and_saveexec_b32 s7, s2
	s_cbranch_execz .LBB96_7
; %bb.6:
	v_dual_mov_b32 v1, 0 :: v_dual_mov_b32 v2, s28
	ds_store_b32 v1, v1 offset:4112
	ds_store_b64 v1, v[1:2] offset:4104
.LBB96_7:
	s_or_b32 exec_lo, exec_lo, s7
	s_waitcnt lgkmcnt(0)
	s_barrier
	buffer_gl0_inv
	s_load_b32 s7, s[4:5], 0xc
	s_mul_i32 s26, s3, s33
	s_mov_b32 s27, 0
	v_mbcnt_lo_u32_b32 v22, -1, 0
	s_lshl_b64 s[10:11], s[26:27], 3
	v_cmp_gt_u32_e32 vcc_lo, 32, v0
	s_add_u32 s31, s8, s10
	s_addc_u32 s44, s9, s11
	v_cmp_gt_i32_e64 s3, 4, v22
	s_clause 0x1
	s_load_b32 s29, s[0:1], 0x144
	s_load_b32 s46, s[0:1], 0x6c
	v_dual_mov_b32 v12, 0 :: v_dual_lshlrev_b32 v23, 2, v0
	v_mul_lo_u32 v10, v0, s30
	s_and_b32 s48, vcc_lo, s3
	v_cmp_gt_u32_e64 s0, s28, v0
	s_delay_alu instid0(VALU_DEP_3)
	v_mad_u64_u32 v[17:18], null, s30, v23, s[30:31]
	v_lshlrev_b32_e32 v33, 5, v0
	v_lshl_or_b32 v34, v22, 2, 0xc00
	s_mov_b32 s66, 62
	s_waitcnt lgkmcnt(0)
	s_and_b32 s45, s7, 0xffff
	s_bfe_u32 s1, s7, 0xb0005
	s_lshl_b32 s47, s45, 2
	s_add_i32 s50, s45, -1
	v_cvt_f32_u32_e32 v1, s47
	s_add_i32 s7, s50, s28
	s_cmpk_gt_u32 s28, 0x180
	v_cvt_f32_u32_e32 v2, s45
	s_cselect_b32 s51, -1, 0
	v_rcp_iflag_f32_e32 v1, v1
	s_cmp_gt_u32 s45, 31
	v_lshlrev_b32_e32 v31, 2, v10
	s_cselect_b32 s52, -1, 0
	s_cmp_lt_u32 s13, s6
	v_rcp_iflag_f32_e32 v2, v2
	s_cselect_b32 s3, 12, 18
	v_lshlrev_b32_e32 v24, 3, v0
	s_add_u32 s38, s4, s3
	s_addc_u32 s39, s5, 0
	s_waitcnt_depctr 0xfff
	v_mul_f32_e32 v1, 0x4f7ffffe, v1
	s_add_i32 s3, s1, -1
	s_bfe_u32 s53, s45, 0x30005
	s_cmp_gt_u32 s3, 6
	v_add_nc_u32_e32 v25, 0xc00, v24
	v_cvt_u32_f32_e32 v1, v1
	s_cselect_b32 s54, -1, 0
	s_and_b32 s55, s1, 0x7f8
	s_cmp_lg_u32 s53, 0
	v_mov_b32_e32 v4, 0
	v_readfirstlane_b32 s3, v1
	s_cselect_b32 s56, -1, 0
	s_sub_i32 s4, 0, s47
	v_mul_f32_e32 v1, 0x4f7ffffe, v2
	v_lshrrev_b32_e32 v2, 3, v0
	s_mul_i32 s4, s4, s3
	v_mov_b32_e32 v11, v12
	s_mul_hi_u32 s4, s3, s4
	v_cvt_u32_f32_e32 v1, v1
	v_and_b32_e32 v26, 0x7c, v2
	s_add_i32 s57, s3, s4
	v_cmp_gt_u32_e64 s1, 2, v0
	s_mul_hi_u32 s3, s28, s57
	v_mov_b32_e32 v5, 0
	s_mul_i32 s4, s3, s47
	v_cmp_eq_u32_e64 s3, 0, v22
	s_sub_i32 s4, s28, s4
	s_mul_i32 s49, s30, s45
	s_sub_i32 s5, s4, s47
	s_cmp_ge_u32 s4, s47
	s_mov_b64 s[40:41], 0
	s_cselect_b32 s4, s5, s4
	v_readfirstlane_b32 s5, v1
	s_sub_i32 s6, s4, s47
	s_cmp_ge_u32 s4, s47
	v_lshlrev_b64 v[1:2], v22, -1
	s_cselect_b32 s8, s6, s4
	v_lshlrev_b64 v[2:3], 3, v[10:11]
	s_sub_i32 s58, s28, s8
	s_sub_i32 s4, 0, s45
	v_add_nc_u32_e32 v27, s58, v0
	s_mul_i32 s4, s4, s5
	v_not_b32_e32 v28, v1
	s_mul_hi_u32 s4, s5, s4
	v_add_co_u32 v13, vcc_lo, s31, v2
	v_mul_lo_u32 v11, v27, s30
	s_add_i32 s59, s5, s4
	v_add_co_ci_u32_e32 v14, vcc_lo, s44, v3, vcc_lo
	s_mul_hi_u32 s4, s7, s59
	v_or_b32_e32 v3, 3, v23
	s_mul_i32 s4, s4, s45
	s_mov_b32 s70, s27
	s_delay_alu instid0(VALU_DEP_3)
	v_lshlrev_b64 v[1:2], 3, v[11:12]
	s_sub_i32 s4, s7, s4
	v_mul_lo_u32 v30, s30, v3
	s_sub_i32 s5, s4, s45
	s_cmp_ge_u32 s4, s45
	s_mov_b64 s[42:43], 0
	v_add_co_u32 v15, vcc_lo, s31, v1
	v_add3_u32 v1, s45, s28, v0
	s_cselect_b32 s5, s5, s4
	v_add_co_ci_u32_e32 v16, vcc_lo, s44, v2, vcc_lo
	v_or_b32_e32 v2, 2, v23
	s_delay_alu instid0(VALU_DEP_3)
	v_subrev_nc_u32_e32 v1, s8, v1
	s_sub_i32 s6, s5, s45
	s_cmp_ge_u32 s5, s45
	v_cmp_gt_u32_e64 s4, s58, v23
	s_cselect_b32 s6, s6, s5
	v_mul_lo_u32 v29, s30, v2
	v_mul_lo_u32 v32, s30, v1
	s_sub_i32 s60, s7, s6
	v_cmp_gt_u32_e64 s5, s28, v27
	v_cmp_gt_u32_e64 s6, s60, v0
	v_mov_b32_e32 v1, 1
	s_lshl_b32 s61, s49, 2
	s_lshl_b32 s62, s45, 5
	;; [unrolled: 1-line block ×3, first 2 shown]
                                        ; implicit-def: $sgpr64
                                        ; implicit-def: $sgpr67
                                        ; implicit-def: $sgpr65
                                        ; implicit-def: $sgpr69
                                        ; implicit-def: $sgpr71
                                        ; implicit-def: $sgpr68
	s_branch .LBB96_12
.LBB96_8:                               ;   in Loop: Header=BB96_12 Depth=1
	s_xor_b32 s70, s70, 1
	s_add_i32 s10, s66, -2
	s_cmp_eq_u32 s66, 0
	s_mov_b32 s7, 0
	s_cselect_b32 s9, -1, 0
	s_mov_b32 s66, s10
.LBB96_9:                               ;   in Loop: Header=BB96_12 Depth=1
	s_and_not1_b32 s10, s21, exec_lo
	s_and_b32 s7, s7, exec_lo
	s_and_not1_b32 s23, s23, exec_lo
	s_or_b32 s21, s10, s7
	s_and_not1_b32 s20, s20, exec_lo
	s_or_not1_b32 s18, s9, exec_lo
	s_mov_b32 s72, s26
.LBB96_10:                              ;   in Loop: Header=BB96_12 Depth=1
	s_or_b32 exec_lo, exec_lo, s8
	s_delay_alu instid0(SALU_CYCLE_1)
	s_and_not1_b32 s7, s68, exec_lo
	s_and_b32 s8, s21, exec_lo
	s_and_not1_b32 s9, s69, exec_lo
	s_or_b32 s68, s7, s8
	s_and_not1_b32 s7, s71, exec_lo
	s_and_b32 s8, s23, exec_lo
	s_and_b32 s10, s20, exec_lo
	s_or_b32 s71, s7, s8
	s_or_b32 s69, s9, s10
	s_or_not1_b32 s12, s18, exec_lo
.LBB96_11:                              ;   in Loop: Header=BB96_12 Depth=1
	s_or_b32 exec_lo, exec_lo, s17
	s_delay_alu instid0(SALU_CYCLE_1)
	s_and_b32 s7, exec_lo, s12
	v_dual_mov_b32 v2, s40 :: v_dual_mov_b32 v3, s41
	s_or_b32 s27, s7, s27
	s_and_not1_b32 s7, s65, exec_lo
	s_and_b32 s8, s68, exec_lo
	s_and_not1_b32 s9, s64, exec_lo
	s_or_b32 s65, s7, s8
	s_and_not1_b32 s7, s67, exec_lo
	s_and_b32 s8, s71, exec_lo
	s_and_b32 s10, s69, exec_lo
	s_or_b32 s67, s7, s8
	s_or_b32 s64, s9, s10
	s_and_not1_b32 exec_lo, exec_lo, s27
	s_cbranch_execz .LBB96_245
.LBB96_12:                              ; =>This Loop Header: Depth=1
                                        ;     Child Loop BB96_20 Depth 2
                                        ;     Child Loop BB96_35 Depth 2
	;; [unrolled: 1-line block ×16, first 2 shown]
	ds_load_b64 v[2:3], v12 offset:4104
	s_waitcnt lgkmcnt(0)
	v_readfirstlane_b32 s73, v2
	s_delay_alu instid0(VALU_DEP_1)
	s_cmp_lg_u32 s73, 0
	s_cbranch_scc1 .LBB96_42
; %bb.13:                               ;   in Loop: Header=BB96_12 Depth=1
	s_and_b32 vcc_lo, exec_lo, s51
	s_cbranch_vccz .LBB96_28
; %bb.14:                               ;   in Loop: Header=BB96_12 Depth=1
	v_cmp_gt_u32_e32 vcc_lo, 0x181, v3
	s_mov_b32 s73, 0
	s_mov_b32 s7, 0
	s_cbranch_vccz .LBB96_29
; %bb.15:                               ;   in Loop: Header=BB96_12 Depth=1
	v_mov_b32_e32 v2, 0
	v_mov_b32_e32 v3, 0
	s_and_saveexec_b32 s7, s0
	s_cbranch_execz .LBB96_17
; %bb.16:                               ;   in Loop: Header=BB96_12 Depth=1
	global_load_b64 v[2:3], v[13:14], off
.LBB96_17:                              ;   in Loop: Header=BB96_12 Depth=1
	s_or_b32 exec_lo, exec_lo, s7
	s_and_saveexec_b32 s9, s0
	s_cbranch_execz .LBB96_130
; %bb.18:                               ;   in Loop: Header=BB96_12 Depth=1
	global_load_u16 v8, v12, s[38:39]
	v_mov_b32_e32 v18, v0
	s_mov_b32 s10, 0
	s_waitcnt vmcnt(0)
	v_add_nc_u32_e32 v6, v0, v8
	v_mul_lo_u32 v9, s30, v8
	s_delay_alu instid0(VALU_DEP_2)
	v_mul_lo_u32 v11, s30, v6
	s_branch .LBB96_20
.LBB96_19:                              ;   in Loop: Header=BB96_20 Depth=2
	s_or_b32 exec_lo, exec_lo, s8
	s_waitcnt vmcnt(0)
	v_dual_mov_b32 v2, v6 :: v_dual_add_nc_u32 v11, v11, v9
	v_mov_b32_e32 v3, v7
	s_and_not1_b32 exec_lo, exec_lo, s10
	s_cbranch_execz .LBB96_130
.LBB96_20:                              ;   Parent Loop BB96_12 Depth=1
                                        ; =>  This Inner Loop Header: Depth=2
	v_add_nc_u32_e32 v18, v18, v8
	v_mov_b32_e32 v6, 0
	v_mov_b32_e32 v7, 0
	s_mov_b32 s8, exec_lo
	s_delay_alu instid0(VALU_DEP_3)
	v_cmp_le_u32_e32 vcc_lo, s28, v18
	v_cmpx_gt_u32_e64 s28, v18
	s_cbranch_execz .LBB96_22
; %bb.21:                               ;   in Loop: Header=BB96_20 Depth=2
	v_lshlrev_b64 v[6:7], 3, v[11:12]
	s_delay_alu instid0(VALU_DEP_1) | instskip(NEXT) | instid1(VALU_DEP_1)
	v_add_co_u32 v6, s7, s31, v6
	v_add_co_ci_u32_e64 v7, s7, s44, v7, s7
	global_load_b64 v[6:7], v[6:7], off
.LBB96_22:                              ;   in Loop: Header=BB96_20 Depth=2
	s_or_b32 exec_lo, exec_lo, s8
	s_waitcnt lgkmcnt(0)
	v_xor_b32_e32 v19, 0x80000000, v3
	s_delay_alu instid0(VALU_DEP_1) | instskip(SKIP_1) | instid1(VALU_DEP_1)
	v_and_b32_e32 v20, s43, v19
	v_and_b32_e32 v19, s42, v2
	v_cmp_eq_u64_e64 s7, s[40:41], v[19:20]
	v_mov_b32_e32 v19, 0
	s_delay_alu instid0(VALU_DEP_2) | instskip(SKIP_1) | instid1(SALU_CYCLE_1)
	s_cmp_lg_u32 s7, 0
	s_cselect_b32 s8, -1, 0
	s_and_b32 s8, s3, s8
	s_delay_alu instid0(SALU_CYCLE_1)
	s_and_saveexec_b32 s11, s8
	s_cbranch_execz .LBB96_26
; %bb.23:                               ;   in Loop: Header=BB96_20 Depth=2
	s_mov_b32 s14, exec_lo
	s_bcnt1_i32_b32 s12, s7
	v_mbcnt_lo_u32_b32 v19, s14, 0
	s_mov_b32 s13, exec_lo
                                        ; implicit-def: $vgpr20
	s_delay_alu instid0(VALU_DEP_1)
	v_cmpx_eq_u32_e32 0, v19
	s_cbranch_execz .LBB96_25
; %bb.24:                               ;   in Loop: Header=BB96_20 Depth=2
	s_bcnt1_i32_b32 s8, s14
	s_delay_alu instid0(SALU_CYCLE_1) | instskip(NEXT) | instid1(SALU_CYCLE_1)
	s_mul_i32 s8, s12, s8
	v_mov_b32_e32 v20, s8
	ds_add_rtn_u32 v20, v12, v20 offset:4112
.LBB96_25:                              ;   in Loop: Header=BB96_20 Depth=2
	s_or_b32 exec_lo, exec_lo, s13
	s_waitcnt lgkmcnt(0)
	v_readfirstlane_b32 s8, v20
	s_delay_alu instid0(VALU_DEP_1)
	v_mad_u32_u24 v19, s12, v19, s8
.LBB96_26:                              ;   in Loop: Header=BB96_20 Depth=2
	s_or_b32 exec_lo, exec_lo, s11
	ds_bpermute_b32 v19, v12, v19
	s_and_b32 s8, exec_lo, vcc_lo
	s_delay_alu instid0(SALU_CYCLE_1)
	s_or_b32 s10, s8, s10
	s_and_saveexec_b32 s8, s7
	s_cbranch_execz .LBB96_19
; %bb.27:                               ;   in Loop: Header=BB96_20 Depth=2
	v_and_b32_e32 v20, s7, v28
	s_delay_alu instid0(VALU_DEP_1) | instskip(NEXT) | instid1(VALU_DEP_1)
	v_bcnt_u32_b32 v20, v20, 0
	v_lshlrev_b32_e32 v20, 3, v20
	s_waitcnt lgkmcnt(0)
	s_delay_alu instid0(VALU_DEP_1)
	v_lshl_add_u32 v19, v19, 3, v20
	ds_store_b64 v19, v[2:3]
	s_branch .LBB96_19
.LBB96_28:                              ;   in Loop: Header=BB96_12 Depth=1
	s_mov_b32 s73, -1
	s_mov_b32 s7, 0
.LBB96_29:                              ;   in Loop: Header=BB96_12 Depth=1
	s_and_b32 vcc_lo, exec_lo, s73
	s_cbranch_vccz .LBB96_40
.LBB96_30:                              ;   in Loop: Header=BB96_12 Depth=1
	v_mov_b32_e32 v2, 0
	v_mov_b32_e32 v3, 0
	s_and_saveexec_b32 s7, s0
	s_cbranch_execz .LBB96_32
; %bb.31:                               ;   in Loop: Header=BB96_12 Depth=1
	global_load_b64 v[2:3], v[13:14], off
.LBB96_32:                              ;   in Loop: Header=BB96_12 Depth=1
	s_or_b32 exec_lo, exec_lo, s7
	s_and_saveexec_b32 s8, s0
	s_cbranch_execz .LBB96_37
; %bb.33:                               ;   in Loop: Header=BB96_12 Depth=1
	global_load_u16 v8, v12, s[38:39]
	v_mov_b32_e32 v20, v0
	s_mov_b32 s9, 0
	v_mov_b32_e32 v19, v24
	s_waitcnt vmcnt(0)
	v_add_nc_u32_e32 v6, v0, v8
	v_mul_lo_u32 v9, s30, v8
	v_lshlrev_b32_e32 v18, 3, v8
	s_delay_alu instid0(VALU_DEP_3)
	v_mul_lo_u32 v11, s30, v6
	s_set_inst_prefetch_distance 0x1
	s_branch .LBB96_35
	.p2align	6
.LBB96_34:                              ;   in Loop: Header=BB96_35 Depth=2
	s_or_b32 exec_lo, exec_lo, s10
	ds_store_b64 v19, v[2:3]
	s_waitcnt vmcnt(0)
	v_dual_mov_b32 v2, v6 :: v_dual_add_nc_u32 v19, v19, v18
	v_add_nc_u32_e32 v11, v11, v9
	v_mov_b32_e32 v3, v7
	s_and_b32 s7, exec_lo, vcc_lo
	s_delay_alu instid0(SALU_CYCLE_1) | instskip(NEXT) | instid1(SALU_CYCLE_1)
	s_or_b32 s9, s7, s9
	s_and_not1_b32 exec_lo, exec_lo, s9
	s_cbranch_execz .LBB96_37
.LBB96_35:                              ;   Parent Loop BB96_12 Depth=1
                                        ; =>  This Inner Loop Header: Depth=2
	v_add_nc_u32_e32 v20, v20, v8
	v_mov_b32_e32 v6, 0
	v_mov_b32_e32 v7, 0
	s_mov_b32 s10, exec_lo
	s_delay_alu instid0(VALU_DEP_3)
	v_cmp_le_u32_e32 vcc_lo, s28, v20
	v_cmpx_gt_u32_e64 s28, v20
	s_cbranch_execz .LBB96_34
; %bb.36:                               ;   in Loop: Header=BB96_35 Depth=2
	v_lshlrev_b64 v[6:7], 3, v[11:12]
	s_delay_alu instid0(VALU_DEP_1) | instskip(NEXT) | instid1(VALU_DEP_1)
	v_add_co_u32 v6, s7, s31, v6
	v_add_co_ci_u32_e64 v7, s7, s44, v7, s7
	global_load_b64 v[6:7], v[6:7], off
	s_branch .LBB96_34
.LBB96_37:                              ;   in Loop: Header=BB96_12 Depth=1
	s_set_inst_prefetch_distance 0x2
	s_or_b32 exec_lo, exec_lo, s8
	s_waitcnt vmcnt(0) lgkmcnt(0)
	s_barrier
	buffer_gl0_inv
	s_and_saveexec_b32 s7, s2
	s_cbranch_execz .LBB96_39
; %bb.38:                               ;   in Loop: Header=BB96_12 Depth=1
	v_mov_b32_e32 v2, s28
	ds_store_b32 v12, v2 offset:4104
.LBB96_39:                              ;   in Loop: Header=BB96_12 Depth=1
	s_or_b32 exec_lo, exec_lo, s7
	s_mov_b32 s7, -1
	s_waitcnt lgkmcnt(0)
	s_barrier
                                        ; implicit-def: $sgpr73
.LBB96_40:                              ;   in Loop: Header=BB96_12 Depth=1
	s_and_b32 vcc_lo, exec_lo, s7
	s_cbranch_vccz .LBB96_42
; %bb.41:                               ;   in Loop: Header=BB96_12 Depth=1
	buffer_gl0_inv
	ds_load_b32 v2, v12 offset:4104
	s_waitcnt lgkmcnt(0)
	v_readfirstlane_b32 s73, v2
.LBB96_42:                              ;   in Loop: Header=BB96_12 Depth=1
	s_delay_alu instid0(VALU_DEP_1)
	s_cmp_lt_i32 s73, 1
	s_cbranch_scc0 .LBB96_54
; %bb.43:                               ;   in Loop: Header=BB96_12 Depth=1
	v_dual_mov_b32 v6, 0 :: v_dual_mov_b32 v7, 0
	v_dual_mov_b32 v8, 0 :: v_dual_mov_b32 v9, 0
	s_mov_b32 s22, 0
	s_and_saveexec_b32 s21, s4
	s_cbranch_execz .LBB96_47
; %bb.44:                               ;   in Loop: Header=BB96_12 Depth=1
	v_mov_b32_e32 v2, v23
	s_and_b32 s23, s66, 0xfe
	s_mov_b32 s24, 0
	s_mov_b32 s25, 0
	;; [unrolled: 1-line block ×5, first 2 shown]
.LBB96_45:                              ;   Parent Loop BB96_12 Depth=1
                                        ; =>  This Inner Loop Header: Depth=2
	v_dual_mov_b32 v36, v12 :: v_dual_add_nc_u32 v11, s24, v31
	v_mov_b32_e32 v38, v12
	v_mov_b32_e32 v40, v12
	s_delay_alu instid0(VALU_DEP_3) | instskip(SKIP_1) | instid1(VALU_DEP_1)
	v_lshlrev_b64 v[6:7], 3, v[11:12]
	v_add_nc_u32_e32 v11, s24, v17
	v_lshlrev_b64 v[8:9], 3, v[11:12]
	v_add_nc_u32_e32 v11, s24, v29
	s_delay_alu instid0(VALU_DEP_4) | instskip(SKIP_1) | instid1(VALU_DEP_3)
	v_add_co_u32 v6, vcc_lo, s31, v6
	v_add_co_ci_u32_e32 v7, vcc_lo, s44, v7, vcc_lo
	v_lshlrev_b64 v[18:19], 3, v[11:12]
	v_add_co_u32 v8, vcc_lo, s31, v8
	global_load_b64 v[6:7], v[6:7], off
	v_add_nc_u32_e32 v11, s24, v30
	v_add_co_ci_u32_e32 v9, vcc_lo, s44, v9, vcc_lo
	v_add_co_u32 v18, vcc_lo, s31, v18
	v_add_co_ci_u32_e32 v19, vcc_lo, s44, v19, vcc_lo
	s_delay_alu instid0(VALU_DEP_4)
	v_lshlrev_b64 v[20:21], 3, v[11:12]
	s_clause 0x1
	global_load_b64 v[8:9], v[8:9], off
	global_load_b64 v[18:19], v[18:19], off
	s_add_i32 s24, s24, s61
	v_add_co_u32 v20, vcc_lo, s31, v20
	v_add_co_ci_u32_e32 v21, vcc_lo, s44, v21, vcc_lo
	global_load_b64 v[20:21], v[20:21], off
	s_waitcnt vmcnt(3)
	v_xor_b32_e32 v7, 0x80000000, v7
	v_and_b32_e32 v41, s42, v6
	s_delay_alu instid0(VALU_DEP_2)
	v_and_b32_e32 v42, s43, v7
	v_lshrrev_b64 v[6:7], s23, v[6:7]
	s_waitcnt vmcnt(2)
	v_xor_b32_e32 v9, 0x80000000, v9
	s_waitcnt vmcnt(1)
	v_xor_b32_e32 v19, 0x80000000, v19
	v_cmp_eq_u64_e64 s7, s[40:41], v[41:42]
	v_and_b32_e32 v11, 3, v6
	v_and_b32_e32 v43, s42, v8
	v_lshrrev_b64 v[41:42], s23, v[8:9]
	v_and_b32_e32 v7, s42, v18
	v_and_b32_e32 v8, s43, v19
	v_cmp_eq_u64_e64 s9, 0, v[11:12]
	v_lshrrev_b64 v[18:19], s23, v[18:19]
	v_and_b32_e32 v44, s43, v9
	v_and_b32_e32 v35, 3, v41
	v_cmp_eq_u64_e64 s10, 1, v[11:12]
	s_waitcnt vmcnt(0)
	v_xor_b32_e32 v21, 0x80000000, v21
	v_cmp_eq_u64_e64 s11, 2, v[11:12]
	v_cmp_eq_u64_e64 s12, 3, v[11:12]
	s_and_b32 s9, s7, s9
	v_cmp_eq_u64_e64 s8, s[40:41], v[43:44]
	v_and_b32_e32 v37, 3, v18
	v_cmp_eq_u64_e64 s14, 0, v[35:36]
	v_cmp_eq_u64_e64 s15, 1, v[35:36]
	;; [unrolled: 1-line block ×3, first 2 shown]
	v_lshrrev_b64 v[8:9], s23, v[20:21]
	v_cndmask_b32_e64 v3, 0, 1, s9
	s_and_b32 s9, s7, s10
	v_and_b32_e32 v6, s42, v20
	v_and_b32_e32 v7, s43, v21
	v_cmp_eq_u64_e64 s16, 2, v[35:36]
	v_cndmask_b32_e64 v9, 0, 1, s9
	s_and_b32 s9, s7, s11
	v_cmp_eq_u64_e64 s17, 3, v[35:36]
	s_and_b32 s7, s7, s12
	v_cndmask_b32_e64 v11, 0, 1, s9
	v_cmp_eq_u64_e64 s9, 0, v[37:38]
	v_cndmask_b32_e64 v18, 0, 1, s7
	s_and_b32 s14, s8, s14
	s_and_b32 s15, s8, s15
	v_and_b32_e32 v39, 3, v8
	v_cmp_eq_u64_e64 s10, 1, v[37:38]
	v_cmp_eq_u64_e64 s7, s[40:41], v[6:7]
	v_cmp_ne_u32_e64 s18, 0, v3
	v_cndmask_b32_e64 v3, 0, 1, s14
	v_cndmask_b32_e64 v6, 0, 1, s15
	s_and_b32 s16, s8, s16
	v_cmp_eq_u64_e64 s11, 2, v[37:38]
	s_and_b32 s8, s8, s17
	v_cndmask_b32_e64 v7, 0, 1, s16
	v_cmp_ne_u32_e64 s16, 0, v18
	s_and_b32 s9, s13, s9
	v_cmp_eq_u64_e64 s12, 3, v[37:38]
	v_cndmask_b32_e64 v8, 0, 1, s8
	v_cmp_eq_u64_e64 s8, 0, v[39:40]
	v_cmp_eq_u64_e64 s17, 1, v[39:40]
	s_bcnt1_i32_b32 s76, s18
	v_cmp_ne_u32_e64 s18, 0, v3
	v_cndmask_b32_e64 v3, 0, 1, s9
	v_cmp_ne_u32_e64 s9, 0, v6
	s_and_b32 s10, s13, s10
	s_and_b32 s11, s13, s11
	v_cndmask_b32_e64 v6, 0, 1, s10
	s_bcnt1_i32_b32 s16, s16
	v_cmp_eq_u64_e64 s19, 2, v[39:40]
	v_cmp_eq_u64_e64 s20, 3, v[39:40]
	v_cmp_ne_u32_e64 s10, 0, v7
	v_cndmask_b32_e64 v7, 0, 1, s11
	v_cmp_ne_u32_e64 s11, 0, v8
	s_and_b32 s12, s13, s12
	s_add_i32 s16, s16, s25
	s_and_b32 s8, s7, s8
	s_bcnt1_i32_b32 s25, s9
	s_and_b32 s9, s7, s17
	v_cmp_ne_u32_e64 s14, 0, v9
	v_cndmask_b32_e64 v8, 0, 1, s12
	v_cmp_ne_u32_e64 s12, 0, v3
	v_cndmask_b32_e64 v3, 0, 1, s8
	v_cmp_ne_u32_e64 s8, 0, v6
	v_cndmask_b32_e64 v6, 0, 1, s9
	v_cmp_ne_u32_e64 s15, 0, v11
	s_bcnt1_i32_b32 s17, s10
	s_and_b32 s10, s7, s19
	s_bcnt1_i32_b32 s11, s11
	s_and_b32 s7, s7, s20
	s_bcnt1_i32_b32 s14, s14
	v_cmp_ne_u32_e64 s9, 0, v7
	v_cndmask_b32_e64 v7, 0, 1, s10
	v_cmp_ne_u32_e64 s10, 0, v8
	v_cndmask_b32_e64 v8, 0, 1, s7
	s_add_i32 s11, s16, s11
	s_bcnt1_i32_b32 s16, s8
	v_cmp_ne_u32_e64 s8, 0, v6
	s_bcnt1_i32_b32 s15, s15
	s_add_i32 s13, s76, s75
	s_add_i32 s14, s14, s74
	s_bcnt1_i32_b32 s18, s18
	s_add_i32 s15, s15, s26
	s_add_i32 s13, s13, s18
	;; [unrolled: 1-line block ×3, first 2 shown]
	s_bcnt1_i32_b32 s12, s12
	s_add_i32 s15, s15, s17
	v_cmp_ne_u32_e64 s7, 0, v3
	s_bcnt1_i32_b32 s17, s9
	v_cmp_ne_u32_e64 s9, 0, v7
	s_bcnt1_i32_b32 s18, s10
	v_cmp_ne_u32_e64 s10, 0, v8
	s_add_i32 s12, s13, s12
	s_add_i32 s13, s14, s16
	s_bcnt1_i32_b32 s8, s8
	s_add_i32 s14, s15, s17
	s_add_i32 s74, s13, s8
	s_delay_alu instid0(SALU_CYCLE_1)
	v_dual_mov_b32 v7, s74 :: v_dual_add_nc_u32 v2, s47, v2
	s_add_i32 s11, s11, s18
	s_bcnt1_i32_b32 s7, s7
	s_bcnt1_i32_b32 s9, s9
	s_bcnt1_i32_b32 s10, s10
	v_cmp_le_u32_e32 vcc_lo, s58, v2
	s_add_i32 s75, s12, s7
	s_add_i32 s26, s14, s9
	;; [unrolled: 1-line block ×3, first 2 shown]
	v_mov_b32_e32 v6, s75
	v_dual_mov_b32 v8, s26 :: v_dual_mov_b32 v9, s25
	s_or_b32 s22, vcc_lo, s22
	s_delay_alu instid0(SALU_CYCLE_1)
	s_and_not1_b32 exec_lo, exec_lo, s22
	s_cbranch_execnz .LBB96_45
; %bb.46:                               ;   in Loop: Header=BB96_12 Depth=1
	s_or_b32 exec_lo, exec_lo, s22
.LBB96_47:                              ;   in Loop: Header=BB96_12 Depth=1
	s_delay_alu instid0(SALU_CYCLE_1)
	s_or_b32 exec_lo, exec_lo, s21
	v_mov_b32_e32 v18, 0
	v_mov_b32_e32 v19, 0
	s_and_saveexec_b32 s7, s5
	s_cbranch_execz .LBB96_49
; %bb.48:                               ;   in Loop: Header=BB96_12 Depth=1
	global_load_b64 v[18:19], v[15:16], off
.LBB96_49:                              ;   in Loop: Header=BB96_12 Depth=1
	s_or_b32 exec_lo, exec_lo, s7
	s_and_saveexec_b32 s11, s5
	s_cbranch_execz .LBB96_56
; %bb.50:                               ;   in Loop: Header=BB96_12 Depth=1
	v_dual_mov_b32 v2, v32 :: v_dual_mov_b32 v35, v27
	s_and_b32 s13, s66, 0xfe
	s_mov_b32 s12, 0
	s_branch .LBB96_52
.LBB96_51:                              ;   in Loop: Header=BB96_52 Depth=2
	s_or_b32 exec_lo, exec_lo, s8
	s_waitcnt vmcnt(0)
	v_xor_b32_e32 v19, 0x80000000, v19
	s_and_b32 s9, exec_lo, vcc_lo
	v_add_nc_u32_e32 v2, s49, v2
	s_or_b32 s12, s9, s12
	s_delay_alu instid0(VALU_DEP_2) | instskip(SKIP_2) | instid1(VALU_DEP_3)
	v_lshrrev_b64 v[36:37], s13, v[18:19]
	v_and_b32_e32 v18, s42, v18
	v_and_b32_e32 v19, s43, v19
	;; [unrolled: 1-line block ×3, first 2 shown]
	s_delay_alu instid0(VALU_DEP_2) | instskip(NEXT) | instid1(VALU_DEP_2)
	v_cmp_eq_u64_e64 s7, s[40:41], v[18:19]
	v_cmp_eq_u64_e64 s8, 0, v[11:12]
	v_cmp_eq_u64_e32 vcc_lo, 1, v[11:12]
	v_cmp_eq_u64_e64 s9, 2, v[11:12]
	v_cmp_eq_u64_e64 s10, 3, v[11:12]
	s_delay_alu instid0(VALU_DEP_4) | instskip(NEXT) | instid1(SALU_CYCLE_1)
	s_and_b32 s8, s7, s8
	v_cndmask_b32_e64 v3, 0, 1, s8
	s_and_b32 s8, s7, vcc_lo
	s_delay_alu instid0(SALU_CYCLE_1)
	v_cndmask_b32_e64 v11, 0, 1, s8
	s_and_b32 s8, s7, s9
	s_and_b32 s7, s7, s10
	v_cndmask_b32_e64 v18, 0, 1, s8
	v_cndmask_b32_e64 v19, 0, 1, s7
	v_cmp_ne_u32_e32 vcc_lo, 0, v3
	v_cmp_ne_u32_e64 s7, 0, v11
	s_delay_alu instid0(VALU_DEP_4) | instskip(NEXT) | instid1(VALU_DEP_4)
	v_cmp_ne_u32_e64 s8, 0, v18
	v_cmp_ne_u32_e64 s9, 0, v19
	v_mov_b32_e32 v18, v20
	s_bcnt1_i32_b32 s10, vcc_lo
	s_bcnt1_i32_b32 s7, s7
	s_bcnt1_i32_b32 s8, s8
	;; [unrolled: 1-line block ×3, first 2 shown]
	v_add_nc_u32_e32 v6, s10, v6
	v_add_nc_u32_e32 v7, s7, v7
	;; [unrolled: 1-line block ×4, first 2 shown]
	v_mov_b32_e32 v19, v21
	s_and_not1_b32 exec_lo, exec_lo, s12
	s_cbranch_execz .LBB96_55
.LBB96_52:                              ;   Parent Loop BB96_12 Depth=1
                                        ; =>  This Inner Loop Header: Depth=2
	s_delay_alu instid0(VALU_DEP_1) | instskip(SKIP_2) | instid1(VALU_DEP_2)
	v_dual_mov_b32 v20, 0 :: v_dual_add_nc_u32 v35, s45, v35
	v_mov_b32_e32 v21, 0
	s_mov_b32 s8, exec_lo
	v_cmp_le_u32_e32 vcc_lo, s28, v35
	v_cmpx_gt_u32_e64 s28, v35
	s_cbranch_execz .LBB96_51
; %bb.53:                               ;   in Loop: Header=BB96_52 Depth=2
	v_mov_b32_e32 v3, v12
	s_delay_alu instid0(VALU_DEP_1) | instskip(NEXT) | instid1(VALU_DEP_1)
	v_lshlrev_b64 v[20:21], 3, v[2:3]
	v_add_co_u32 v20, s7, s31, v20
	s_delay_alu instid0(VALU_DEP_1)
	v_add_co_ci_u32_e64 v21, s7, s44, v21, s7
	global_load_b64 v[20:21], v[20:21], off
	s_branch .LBB96_51
.LBB96_54:                              ;   in Loop: Header=BB96_12 Depth=1
                                        ; implicit-def: $vgpr9
	s_cbranch_execnz .LBB96_57
	s_branch .LBB96_66
.LBB96_55:                              ;   in Loop: Header=BB96_12 Depth=1
	s_or_b32 exec_lo, exec_lo, s12
.LBB96_56:                              ;   in Loop: Header=BB96_12 Depth=1
	s_delay_alu instid0(SALU_CYCLE_1)
	s_or_b32 exec_lo, exec_lo, s11
	s_branch .LBB96_66
.LBB96_57:                              ;   in Loop: Header=BB96_12 Depth=1
	s_mul_hi_u32 s7, s73, s57
	v_dual_mov_b32 v6, 0 :: v_dual_mov_b32 v7, 0
	s_mul_i32 s7, s7, s47
	v_dual_mov_b32 v8, 0 :: v_dual_mov_b32 v9, 0
	s_sub_i32 s7, s73, s7
	s_mov_b32 s76, 0
	s_sub_i32 s8, s7, s47
	s_cmp_ge_u32 s7, s47
	s_mov_b32 s75, exec_lo
	s_cselect_b32 s7, s8, s7
	s_delay_alu instid0(SALU_CYCLE_1) | instskip(SKIP_2) | instid1(SALU_CYCLE_1)
	s_sub_i32 s8, s7, s47
	s_cmp_ge_u32 s7, s47
	s_cselect_b32 s7, s8, s7
	s_sub_i32 s74, s73, s7
	s_delay_alu instid0(SALU_CYCLE_1)
	v_cmpx_gt_u32_e64 s74, v23
	s_cbranch_execz .LBB96_61
; %bb.58:                               ;   in Loop: Header=BB96_12 Depth=1
	v_dual_mov_b32 v2, v33 :: v_dual_mov_b32 v3, v23
	s_and_b32 s77, s66, 0xfe
	s_mov_b32 s78, 0
	s_mov_b32 s79, 0
	;; [unrolled: 1-line block ×4, first 2 shown]
.LBB96_59:                              ;   Parent Loop BB96_12 Depth=1
                                        ; =>  This Inner Loop Header: Depth=2
	ds_load_b128 v[6:9], v2
	s_waitcnt vmcnt(0)
	ds_load_b128 v[18:21], v2 offset:16
	v_mov_b32_e32 v38, v12
	v_dual_mov_b32 v40, v12 :: v_dual_add_nc_u32 v3, s47, v3
	v_mov_b32_e32 v36, v12
	s_delay_alu instid0(VALU_DEP_2)
	v_cmp_le_u32_e32 vcc_lo, s74, v3
	s_waitcnt lgkmcnt(1)
	v_xor_b32_e32 v7, 0x80000000, v7
	v_xor_b32_e32 v9, 0x80000000, v9
	s_waitcnt lgkmcnt(0)
	v_xor_b32_e32 v19, 0x80000000, v19
	v_and_b32_e32 v41, s42, v6
	v_xor_b32_e32 v21, 0x80000000, v21
	v_and_b32_e32 v42, s43, v7
	v_lshrrev_b64 v[6:7], s77, v[6:7]
	v_and_b32_e32 v43, s42, v8
	v_lshrrev_b64 v[7:8], s77, v[8:9]
	;; [unrolled: 2-line block ×3, first 2 shown]
	v_and_b32_e32 v45, s42, v18
	v_and_b32_e32 v46, s43, v19
	v_lshrrev_b64 v[18:19], s77, v[20:21]
	v_and_b32_e32 v11, 3, v6
	v_and_b32_e32 v35, 3, v7
	;; [unrolled: 1-line block ×3, first 2 shown]
	v_cmp_eq_u64_e64 s7, s[40:41], v[41:42]
	v_and_b32_e32 v47, s42, v20
	v_cmp_eq_u64_e64 s11, 0, v[11:12]
	v_and_b32_e32 v48, s43, v21
	v_and_b32_e32 v39, 3, v18
	v_cmp_eq_u64_e64 s8, s[40:41], v[43:44]
	v_cmp_eq_u64_e64 s12, 0, v[35:36]
	;; [unrolled: 1-line block ×6, first 2 shown]
	s_and_b32 s11, s7, s11
	v_cmp_eq_u64_e64 s15, 1, v[11:12]
	v_cndmask_b32_e64 v6, 0, 1, s11
	s_and_b32 s11, s8, s12
	v_cmp_eq_u64_e64 s16, 1, v[35:36]
	v_cndmask_b32_e64 v7, 0, 1, s11
	s_and_b32 s11, s9, s13
	v_cmp_eq_u64_e64 s17, 1, v[37:38]
	v_cndmask_b32_e64 v8, 0, 1, s11
	s_and_b32 s11, s10, s14
	v_cmp_eq_u64_e64 s18, 1, v[39:40]
	v_cndmask_b32_e64 v9, 0, 1, s11
	s_and_b32 s11, s7, s15
	v_cmp_eq_u64_e64 s19, 2, v[11:12]
	v_cmp_eq_u64_e64 s23, 3, v[11:12]
	v_cndmask_b32_e64 v11, 0, 1, s11
	s_and_b32 s11, s8, s16
	v_cmp_eq_u64_e64 s20, 2, v[35:36]
	v_cmp_eq_u64_e64 s24, 3, v[35:36]
	v_cndmask_b32_e64 v18, 0, 1, s11
	;; [unrolled: 4-line block ×4, first 2 shown]
	s_and_b32 s11, s7, s19
	s_and_b32 s7, s7, s23
	v_cndmask_b32_e64 v21, 0, 1, s11
	s_and_b32 s11, s8, s20
	v_cndmask_b32_e64 v38, 0, 1, s7
	;; [unrolled: 2-line block ×7, first 2 shown]
	v_cndmask_b32_e64 v41, 0, 1, s7
	v_cmp_ne_u32_e64 s7, 0, v6
	v_cmp_ne_u32_e64 s11, 0, v11
	;; [unrolled: 1-line block ×12, first 2 shown]
	s_bcnt1_i32_b32 s7, s7
	s_bcnt1_i32_b32 s11, s11
	;; [unrolled: 1-line block ×4, first 2 shown]
	v_cmp_ne_u32_e64 s10, 0, v9
	v_cmp_ne_u32_e64 s14, 0, v20
	v_cmp_ne_u32_e64 s18, 0, v37
	v_cmp_ne_u32_e64 s22, 0, v41
	s_bcnt1_i32_b32 s8, s8
	s_bcnt1_i32_b32 s12, s12
	s_bcnt1_i32_b32 s16, s16
	s_bcnt1_i32_b32 s20, s20
	s_add_i32 s7, s7, s81
	s_add_i32 s11, s11, s80
	s_add_i32 s15, s15, s79
	s_add_i32 s19, s19, s78
	s_bcnt1_i32_b32 s9, s9
	s_bcnt1_i32_b32 s13, s13
	s_bcnt1_i32_b32 s17, s17
	s_bcnt1_i32_b32 s21, s21
	s_add_i32 s7, s7, s8
	s_add_i32 s8, s11, s12
	s_add_i32 s11, s15, s16
	s_add_i32 s12, s19, s20
	;; [unrolled: 8-line block ×3, first 2 shown]
	s_add_i32 s81, s7, s10
	s_add_i32 s80, s8, s14
	;; [unrolled: 1-line block ×4, first 2 shown]
	v_mov_b32_e32 v8, s79
	v_dual_mov_b32 v7, s80 :: v_dual_add_nc_u32 v2, s62, v2
	v_dual_mov_b32 v6, s81 :: v_dual_mov_b32 v9, s78
	s_or_b32 s76, vcc_lo, s76
	s_delay_alu instid0(SALU_CYCLE_1)
	s_and_not1_b32 exec_lo, exec_lo, s76
	s_cbranch_execnz .LBB96_59
; %bb.60:                               ;   in Loop: Header=BB96_12 Depth=1
	s_or_b32 exec_lo, exec_lo, s76
.LBB96_61:                              ;   in Loop: Header=BB96_12 Depth=1
	s_delay_alu instid0(SALU_CYCLE_1) | instskip(SKIP_2) | instid1(VALU_DEP_1)
	s_or_b32 exec_lo, exec_lo, s75
	v_add_nc_u32_e32 v2, s74, v0
	s_mov_b32 s12, exec_lo
	v_cmpx_gt_u32_e64 s73, v2
	s_cbranch_execz .LBB96_65
; %bb.62:                               ;   in Loop: Header=BB96_12 Depth=1
	v_lshlrev_b32_e32 v3, 3, v2
	s_and_b32 s14, s66, 0xfe
	s_mov_b32 s13, 0
.LBB96_63:                              ;   Parent Loop BB96_12 Depth=1
                                        ; =>  This Inner Loop Header: Depth=2
	s_waitcnt vmcnt(0)
	ds_load_b64 v[18:19], v3
	v_add_nc_u32_e32 v2, s45, v2
	v_add_nc_u32_e32 v3, s63, v3
	s_delay_alu instid0(VALU_DEP_2) | instskip(SKIP_3) | instid1(VALU_DEP_2)
	v_cmp_le_u32_e32 vcc_lo, s73, v2
	s_waitcnt lgkmcnt(0)
	v_xor_b32_e32 v19, 0x80000000, v19
	v_and_b32_e32 v20, s42, v18
	v_and_b32_e32 v21, s43, v19
	v_lshrrev_b64 v[18:19], s14, v[18:19]
	s_delay_alu instid0(VALU_DEP_2) | instskip(NEXT) | instid1(VALU_DEP_2)
	v_cmp_eq_u64_e64 s7, s[40:41], v[20:21]
	v_and_b32_e32 v11, 3, v18
	s_delay_alu instid0(VALU_DEP_1) | instskip(SKIP_3) | instid1(VALU_DEP_4)
	v_cmp_eq_u64_e64 s8, 0, v[11:12]
	v_cmp_eq_u64_e64 s9, 1, v[11:12]
	;; [unrolled: 1-line block ×4, first 2 shown]
	s_and_b32 s8, s7, s8
	s_delay_alu instid0(SALU_CYCLE_1) | instskip(NEXT) | instid1(VALU_DEP_4)
	v_cndmask_b32_e64 v11, 0, 1, s8
	s_and_b32 s8, s7, s9
	s_delay_alu instid0(SALU_CYCLE_1)
	v_cndmask_b32_e64 v18, 0, 1, s8
	s_and_b32 s8, s7, s10
	s_and_b32 s7, s7, s11
	v_cndmask_b32_e64 v19, 0, 1, s8
	v_cndmask_b32_e64 v20, 0, 1, s7
	v_cmp_ne_u32_e64 s7, 0, v11
	v_cmp_ne_u32_e64 s8, 0, v18
	s_delay_alu instid0(VALU_DEP_4) | instskip(NEXT) | instid1(VALU_DEP_4)
	v_cmp_ne_u32_e64 s9, 0, v19
	v_cmp_ne_u32_e64 s10, 0, v20
	s_delay_alu instid0(VALU_DEP_4) | instskip(NEXT) | instid1(VALU_DEP_3)
	s_bcnt1_i32_b32 s7, s7
	s_bcnt1_i32_b32 s8, s8
	v_add_nc_u32_e32 v6, s7, v6
	s_bcnt1_i32_b32 s9, s9
	s_bcnt1_i32_b32 s10, s10
	v_add_nc_u32_e32 v7, s8, v7
	v_add_nc_u32_e32 v8, s9, v8
	;; [unrolled: 1-line block ×3, first 2 shown]
	s_or_b32 s13, vcc_lo, s13
	s_delay_alu instid0(SALU_CYCLE_1)
	s_and_not1_b32 exec_lo, exec_lo, s13
	s_cbranch_execnz .LBB96_63
; %bb.64:                               ;   in Loop: Header=BB96_12 Depth=1
	s_or_b32 exec_lo, exec_lo, s13
.LBB96_65:                              ;   in Loop: Header=BB96_12 Depth=1
	s_delay_alu instid0(SALU_CYCLE_1)
	s_or_b32 exec_lo, exec_lo, s12
.LBB96_66:                              ;   in Loop: Header=BB96_12 Depth=1
	s_lshl_b32 s7, s70, 7
	s_and_saveexec_b32 s8, s3
	s_cbranch_execz .LBB96_68
; %bb.67:                               ;   in Loop: Header=BB96_12 Depth=1
	v_or_b32_e32 v2, s7, v26
	s_delay_alu instid0(VALU_DEP_1)
	v_lshlrev_b32_e32 v2, 2, v2
	ds_store_b128 v2, v[6:9] offset:3072
.LBB96_68:                              ;   in Loop: Header=BB96_12 Depth=1
	s_or_b32 exec_lo, exec_lo, s8
	s_waitcnt vmcnt(0) lgkmcnt(0)
	s_barrier
	buffer_gl0_inv
	s_and_saveexec_b32 s8, s48
	s_cbranch_execz .LBB96_78
; %bb.69:                               ;   in Loop: Header=BB96_12 Depth=1
	v_mov_b32_e32 v2, 0
	s_and_not1_b32 vcc_lo, exec_lo, s52
	s_cbranch_vccnz .LBB96_77
; %bb.70:                               ;   in Loop: Header=BB96_12 Depth=1
	v_mov_b32_e32 v2, 0
	s_and_not1_b32 vcc_lo, exec_lo, s54
	s_mov_b32 s9, 0
	s_cbranch_vccnz .LBB96_74
; %bb.71:                               ;   in Loop: Header=BB96_12 Depth=1
	v_lshl_add_u32 v3, s70, 9, v34
	v_mov_b32_e32 v2, 0
	.p2align	6
.LBB96_72:                              ;   Parent Loop BB96_12 Depth=1
                                        ; =>  This Inner Loop Header: Depth=2
	ds_load_2addr_b32 v[6:7], v3 offset1:4
	ds_load_2addr_b32 v[8:9], v3 offset0:8 offset1:12
	ds_load_2addr_b32 v[18:19], v3 offset0:16 offset1:20
	;; [unrolled: 1-line block ×3, first 2 shown]
	v_add_nc_u32_e32 v3, 0x80, v3
	s_add_i32 s9, s9, 8
	s_delay_alu instid0(SALU_CYCLE_1) | instskip(SKIP_3) | instid1(VALU_DEP_1)
	s_cmp_eq_u32 s55, s9
	s_waitcnt lgkmcnt(3)
	v_add3_u32 v2, v6, v2, v7
	s_waitcnt lgkmcnt(2)
	v_add3_u32 v2, v8, v2, v9
	s_waitcnt lgkmcnt(1)
	s_delay_alu instid0(VALU_DEP_1) | instskip(SKIP_1) | instid1(VALU_DEP_1)
	v_add3_u32 v2, v18, v2, v19
	s_waitcnt lgkmcnt(0)
	v_add3_u32 v2, v20, v2, v21
	s_cbranch_scc0 .LBB96_72
; %bb.73:                               ;   in Loop: Header=BB96_12 Depth=1
	s_mov_b32 s9, s55
.LBB96_74:                              ;   in Loop: Header=BB96_12 Depth=1
	s_and_not1_b32 vcc_lo, exec_lo, s56
	s_cbranch_vccnz .LBB96_77
; %bb.75:                               ;   in Loop: Header=BB96_12 Depth=1
	s_lshl_b32 s10, s70, 9
	s_lshl_b32 s9, s9, 4
	s_delay_alu instid0(SALU_CYCLE_1)
	v_add3_u32 v3, s10, s9, v34
	s_mov_b32 s9, s53
.LBB96_76:                              ;   Parent Loop BB96_12 Depth=1
                                        ; =>  This Inner Loop Header: Depth=2
	ds_load_b32 v6, v3
	v_add_nc_u32_e32 v3, 16, v3
	s_add_i32 s9, s9, -1
	s_delay_alu instid0(SALU_CYCLE_1)
	s_cmp_lg_u32 s9, 0
	s_waitcnt lgkmcnt(0)
	v_add_nc_u32_e32 v2, v6, v2
	s_cbranch_scc1 .LBB96_76
.LBB96_77:                              ;   in Loop: Header=BB96_12 Depth=1
	v_add_lshl_u32 v3, s7, v22, 2
	ds_store_b32 v3, v2 offset:3072
.LBB96_78:                              ;   in Loop: Header=BB96_12 Depth=1
	s_or_b32 exec_lo, exec_lo, s8
	s_lshl_b32 s7, s7, 2
	s_waitcnt lgkmcnt(0)
	v_mov_b32_e32 v2, s7
	s_barrier
	buffer_gl0_inv
	s_and_b32 s22, s66, 0xfe
	s_delay_alu instid0(SALU_CYCLE_1)
	s_lshl_b64 s[8:9], 3, s22
	ds_load_b128 v[6:9], v2 offset:3072
	s_not_b64 s[10:11], s[8:9]
	s_waitcnt lgkmcnt(0)
	v_readfirstlane_b32 s18, v6
	v_readfirstlane_b32 s25, v7
	;; [unrolled: 1-line block ×4, first 2 shown]
	s_delay_alu instid0(VALU_DEP_4) | instskip(SKIP_3) | instid1(SALU_CYCLE_1)
	s_cmp_eq_u32 s18, 1
	s_cselect_b32 s7, -1, 0
	s_cmp_eq_u32 s72, 1
	s_cselect_b32 s12, -1, 0
	s_and_b32 s13, s7, s12
	s_mov_b32 s12, -1
	s_and_b32 vcc_lo, exec_lo, s13
	s_cbranch_vccz .LBB96_90
; %bb.79:                               ;   in Loop: Header=BB96_12 Depth=1
	ds_load_b32 v2, v12 offset:4104
	s_waitcnt lgkmcnt(0)
	s_barrier
	buffer_gl0_inv
	v_readfirstlane_b32 s14, v2
	s_and_saveexec_b32 s7, s1
	s_cbranch_execz .LBB96_81
; %bb.80:                               ;   in Loop: Header=BB96_12 Depth=1
	v_mov_b32_e32 v11, v12
	ds_store_b64 v25, v[11:12]
.LBB96_81:                              ;   in Loop: Header=BB96_12 Depth=1
	s_or_b32 exec_lo, exec_lo, s7
	s_and_b64 s[40:41], s[40:41], s[10:11]
	s_or_b64 s[42:43], s[42:43], s[8:9]
	s_cmp_eq_u32 s14, 0
	s_waitcnt lgkmcnt(0)
	s_barrier
	buffer_gl0_inv
	s_cbranch_scc1 .LBB96_91
; %bb.82:                               ;   in Loop: Header=BB96_12 Depth=1
	s_add_i32 s7, s14, s50
                                        ; implicit-def: $vgpr4_vgpr5
	s_delay_alu instid0(SALU_CYCLE_1) | instskip(NEXT) | instid1(SALU_CYCLE_1)
	s_mul_hi_u32 s15, s7, s59
	s_mul_i32 s15, s15, s45
	s_delay_alu instid0(SALU_CYCLE_1) | instskip(NEXT) | instid1(SALU_CYCLE_1)
	s_sub_i32 s15, s7, s15
	s_sub_i32 s17, s15, s45
	s_cmp_ge_u32 s15, s45
	s_cselect_b32 s15, s17, s15
	s_delay_alu instid0(SALU_CYCLE_1) | instskip(SKIP_2) | instid1(SALU_CYCLE_1)
	s_sub_i32 s17, s15, s45
	s_cmp_ge_u32 s15, s45
	s_cselect_b32 s15, s17, s15
	s_sub_i32 s17, s7, s15
	s_mov_b32 s7, 0
	s_mov_b32 s15, exec_lo
	v_cmpx_gt_u32_e64 s17, v0
	s_cbranch_execz .LBB96_93
; %bb.83:                               ;   in Loop: Header=BB96_12 Depth=1
	v_mov_b32_e32 v6, v24
	v_mov_b32_e32 v7, v0
	s_mov_b32 s20, 0
                                        ; implicit-def: $sgpr7
	s_set_inst_prefetch_distance 0x1
	s_branch .LBB96_85
	.p2align	6
.LBB96_84:                              ;   in Loop: Header=BB96_85 Depth=2
	s_or_b32 exec_lo, exec_lo, s21
	s_waitcnt lgkmcnt(0)
	s_barrier
	buffer_gl0_inv
	ds_load_b128 v[2:5], v12 offset:3072
	v_add_nc_u32_e32 v7, s45, v7
	v_add_nc_u32_e32 v6, s63, v6
	s_waitcnt lgkmcnt(0)
	s_barrier
	buffer_gl0_inv
	v_cmp_le_u32_e32 vcc_lo, s17, v7
	v_readfirstlane_b32 s75, v3
	v_readfirstlane_b32 s74, v2
	s_delay_alu instid0(VALU_DEP_1) | instskip(SKIP_1) | instid1(SALU_CYCLE_1)
	s_cmp_lg_u64 s[74:75], 0
	s_cselect_b32 s21, -1, 0
	s_or_b32 s23, vcc_lo, s21
	s_delay_alu instid0(SALU_CYCLE_1) | instskip(NEXT) | instid1(SALU_CYCLE_1)
	s_and_b32 s23, exec_lo, s23
	s_or_b32 s20, s23, s20
	s_and_not1_b32 s7, s7, exec_lo
	s_and_b32 s21, s21, exec_lo
	s_delay_alu instid0(SALU_CYCLE_1)
	s_or_b32 s7, s7, s21
	s_and_not1_b32 exec_lo, exec_lo, s20
	s_cbranch_execz .LBB96_92
.LBB96_85:                              ;   Parent Loop BB96_12 Depth=1
                                        ; =>  This Inner Loop Header: Depth=2
	v_mov_b32_e32 v3, 0
	v_mov_b32_e32 v4, 0
	v_cmp_gt_u32_e32 vcc_lo, s14, v7
	s_and_saveexec_b32 s21, vcc_lo
	s_cbranch_execz .LBB96_87
; %bb.86:                               ;   in Loop: Header=BB96_85 Depth=2
	ds_load_b64 v[3:4], v6
.LBB96_87:                              ;   in Loop: Header=BB96_85 Depth=2
	s_or_b32 exec_lo, exec_lo, s21
	s_and_saveexec_b32 s21, vcc_lo
	s_cbranch_execz .LBB96_84
; %bb.88:                               ;   in Loop: Header=BB96_85 Depth=2
	s_waitcnt lgkmcnt(0)
	v_xor_b32_e32 v2, 0x80000000, v4
	v_and_b32_e32 v8, s42, v3
	s_delay_alu instid0(VALU_DEP_2) | instskip(NEXT) | instid1(VALU_DEP_1)
	v_and_b32_e32 v9, s43, v2
	v_cmp_eq_u64_e32 vcc_lo, s[40:41], v[8:9]
	s_and_b32 exec_lo, exec_lo, vcc_lo
	s_cbranch_execz .LBB96_84
; %bb.89:                               ;   in Loop: Header=BB96_85 Depth=2
	v_mov_b32_e32 v2, v12
	ds_store_b128 v12, v[1:4] offset:3072
	s_branch .LBB96_84
.LBB96_90:                              ;   in Loop: Header=BB96_12 Depth=1
	s_mov_b32 s7, -1
                                        ; implicit-def: $sgpr14
                                        ; implicit-def: $sgpr17
                                        ; implicit-def: $sgpr15
	s_branch .LBB96_104
.LBB96_91:                              ;   in Loop: Header=BB96_12 Depth=1
	s_mov_b32 s14, -1
	s_mov_b32 s7, 0
                                        ; implicit-def: $sgpr15
                                        ; implicit-def: $vgpr4_vgpr5
	s_mov_b32 s17, s14
	s_cbranch_execnz .LBB96_94
	s_branch .LBB96_104
.LBB96_92:                              ;   in Loop: Header=BB96_12 Depth=1
	s_set_inst_prefetch_distance 0x2
	s_or_b32 exec_lo, exec_lo, s20
	s_delay_alu instid0(SALU_CYCLE_1)
	s_and_b32 s7, s7, exec_lo
.LBB96_93:                              ;   in Loop: Header=BB96_12 Depth=1
	s_or_b32 exec_lo, exec_lo, s15
	s_mov_b32 s15, -1
	s_mov_b32 s14, 0
	s_delay_alu instid0(SALU_CYCLE_1)
	s_mov_b32 s17, s14
	s_branch .LBB96_104
.LBB96_94:                              ;   in Loop: Header=BB96_12 Depth=1
	s_mov_b32 s7, 0
                                        ; implicit-def: $vgpr4_vgpr5
	s_and_saveexec_b32 s14, s6
	s_cbranch_execz .LBB96_103
; %bb.95:                               ;   in Loop: Header=BB96_12 Depth=1
	v_dual_mov_b32 v11, v10 :: v_dual_mov_b32 v6, v0
	s_mov_b32 s17, 0
                                        ; implicit-def: $sgpr15
	s_set_inst_prefetch_distance 0x1
	s_branch .LBB96_97
	.p2align	6
.LBB96_96:                              ;   in Loop: Header=BB96_97 Depth=2
	s_or_b32 exec_lo, exec_lo, s7
	s_waitcnt vmcnt(0) lgkmcnt(0)
	s_barrier
	buffer_gl0_inv
	ds_load_b128 v[2:5], v12 offset:3072
	v_add_nc_u32_e32 v6, s45, v6
	v_add_nc_u32_e32 v11, s49, v11
	s_waitcnt lgkmcnt(0)
	s_barrier
	buffer_gl0_inv
	v_cmp_le_u32_e32 vcc_lo, s60, v6
	v_readfirstlane_b32 s21, v3
	v_readfirstlane_b32 s20, v2
	s_delay_alu instid0(VALU_DEP_1) | instskip(SKIP_1) | instid1(SALU_CYCLE_1)
	s_cmp_lg_u64 s[20:21], 0
	s_cselect_b32 s7, -1, 0
	s_or_b32 s20, vcc_lo, s7
	s_delay_alu instid0(SALU_CYCLE_1) | instskip(NEXT) | instid1(SALU_CYCLE_1)
	s_and_b32 s20, exec_lo, s20
	s_or_b32 s17, s20, s17
	s_and_not1_b32 s15, s15, exec_lo
	s_and_b32 s7, s7, exec_lo
	s_delay_alu instid0(SALU_CYCLE_1)
	s_or_b32 s15, s15, s7
	s_and_not1_b32 exec_lo, exec_lo, s17
	s_cbranch_execz .LBB96_102
.LBB96_97:                              ;   Parent Loop BB96_12 Depth=1
                                        ; =>  This Inner Loop Header: Depth=2
	v_mov_b32_e32 v3, 0
	v_mov_b32_e32 v4, 0
	v_cmp_gt_u32_e32 vcc_lo, s28, v6
	s_and_saveexec_b32 s20, vcc_lo
	s_cbranch_execz .LBB96_99
; %bb.98:                               ;   in Loop: Header=BB96_97 Depth=2
	v_lshlrev_b64 v[2:3], 3, v[11:12]
	s_delay_alu instid0(VALU_DEP_1) | instskip(NEXT) | instid1(VALU_DEP_1)
	v_add_co_u32 v2, s7, s31, v2
	v_add_co_ci_u32_e64 v3, s7, s44, v3, s7
	global_load_b64 v[3:4], v[2:3], off
.LBB96_99:                              ;   in Loop: Header=BB96_97 Depth=2
	s_or_b32 exec_lo, exec_lo, s20
	s_and_saveexec_b32 s7, vcc_lo
	s_cbranch_execz .LBB96_96
; %bb.100:                              ;   in Loop: Header=BB96_97 Depth=2
	s_waitcnt vmcnt(0)
	v_xor_b32_e32 v2, 0x80000000, v4
	v_and_b32_e32 v7, s42, v3
	s_delay_alu instid0(VALU_DEP_2) | instskip(NEXT) | instid1(VALU_DEP_1)
	v_and_b32_e32 v8, s43, v2
	v_cmp_eq_u64_e32 vcc_lo, s[40:41], v[7:8]
	s_and_b32 exec_lo, exec_lo, vcc_lo
	s_cbranch_execz .LBB96_96
; %bb.101:                              ;   in Loop: Header=BB96_97 Depth=2
	v_mov_b32_e32 v2, v12
	ds_store_b128 v12, v[1:4] offset:3072
	s_branch .LBB96_96
.LBB96_102:                             ;   in Loop: Header=BB96_12 Depth=1
	s_set_inst_prefetch_distance 0x2
	s_or_b32 exec_lo, exec_lo, s17
	s_delay_alu instid0(SALU_CYCLE_1)
	s_and_b32 s7, s15, exec_lo
.LBB96_103:                             ;   in Loop: Header=BB96_12 Depth=1
	s_or_b32 exec_lo, exec_lo, s14
	s_mov_b32 s17, -1
	s_mov_b32 s14, 0
	s_mov_b32 s15, 0
.LBB96_104:                             ;   in Loop: Header=BB96_12 Depth=1
	s_and_not1_b32 s20, s68, exec_lo
	s_and_b32 s14, s14, exec_lo
	s_and_b32 s17, s17, exec_lo
	s_or_b32 s68, s20, s14
	s_and_not1_b32 s14, s71, exec_lo
	s_and_not1_b32 s20, s69, exec_lo
	s_and_b32 s15, s15, exec_lo
	s_or_b32 s71, s14, s17
	s_or_b32 s69, s20, s15
	s_and_saveexec_b32 s17, s7
	s_cbranch_execz .LBB96_11
; %bb.105:                              ;   in Loop: Header=BB96_12 Depth=1
	s_xor_b32 s7, s13, -1
	s_mov_b32 s20, 0
	s_and_not1_b32 vcc_lo, exec_lo, s7
	s_mov_b32 s26, 1
	s_cbranch_vccnz .LBB96_116
; %bb.106:                              ;   in Loop: Header=BB96_12 Depth=1
	s_cmp_gt_u32 s72, s18
	s_mov_b32 s20, -1
                                        ; implicit-def: $sgpr7
                                        ; implicit-def: $sgpr12_sgpr13
                                        ; implicit-def: $sgpr14_sgpr15
	s_cbranch_scc1 .LBB96_112
; %bb.107:                              ;   in Loop: Header=BB96_12 Depth=1
	ds_load_b32 v2, v12 offset:4104
	s_waitcnt lgkmcnt(0)
	v_cmp_ne_u32_e32 vcc_lo, 0, v2
	s_cbranch_vccnz .LBB96_111
; %bb.108:                              ;   in Loop: Header=BB96_12 Depth=1
	s_and_saveexec_b32 s7, s2
	s_cbranch_execz .LBB96_110
; %bb.109:                              ;   in Loop: Header=BB96_12 Depth=1
	v_mov_b32_e32 v2, s18
	ds_store_b32 v12, v2 offset:4108
.LBB96_110:                             ;   in Loop: Header=BB96_12 Depth=1
	s_or_b32 exec_lo, exec_lo, s7
	s_waitcnt lgkmcnt(0)
	s_barrier
	buffer_gl0_inv
.LBB96_111:                             ;   in Loop: Header=BB96_12 Depth=1
	s_and_b64 s[12:13], s[40:41], s[10:11]
	s_or_b64 s[14:15], s[42:43], s[8:9]
	s_mov_b32 s20, 0
	s_mov_b32 s7, 8
.LBB96_112:                             ;   in Loop: Header=BB96_12 Depth=1
	s_and_not1_b32 vcc_lo, exec_lo, s20
	s_cbranch_vccnz .LBB96_114
; %bb.113:                              ;   in Loop: Header=BB96_12 Depth=1
	s_sub_i32 s72, s72, s18
	s_mov_b32 s20, -1
	s_mov_b32 s7, 0
	s_mov_b64 s[12:13], s[40:41]
	s_mov_b64 s[14:15], s[42:43]
.LBB96_114:                             ;   in Loop: Header=BB96_12 Depth=1
	s_delay_alu instid0(SALU_CYCLE_1)
	s_mov_b64 s[42:43], s[14:15]
	s_mov_b64 s[40:41], s[12:13]
	s_mov_b32 s26, s72
	s_and_b32 vcc_lo, exec_lo, s20
	s_mov_b32 s18, -1
	s_cbranch_vccnz .LBB96_117
.LBB96_115:                             ;   in Loop: Header=BB96_12 Depth=1
	s_mov_b32 s14, -1
                                        ; implicit-def: $sgpr20
                                        ; implicit-def: $sgpr23
                                        ; implicit-def: $sgpr21
                                        ; implicit-def: $sgpr72
	s_delay_alu instid0(SALU_CYCLE_1) | instskip(NEXT) | instid1(SALU_CYCLE_1)
	s_and_saveexec_b32 s8, s14
	s_xor_b32 s8, exec_lo, s8
	s_cbranch_execz .LBB96_10
	s_branch .LBB96_243
.LBB96_116:                             ;   in Loop: Header=BB96_12 Depth=1
	s_mov_b32 s7, 1
	s_and_b32 vcc_lo, exec_lo, s20
	s_mov_b32 s18, -1
	s_cbranch_vccz .LBB96_115
.LBB96_117:                             ;   in Loop: Header=BB96_12 Depth=1
	s_cmp_eq_u32 s25, 1
	s_mov_b32 s13, -1
	s_cselect_b32 s7, -1, 0
	s_cmp_eq_u32 s26, 1
	s_cselect_b32 s12, -1, 0
	s_delay_alu instid0(SALU_CYCLE_1) | instskip(NEXT) | instid1(SALU_CYCLE_1)
	s_and_b32 s12, s7, s12
	s_and_b32 vcc_lo, exec_lo, s12
	s_cbranch_vccz .LBB96_129
; %bb.118:                              ;   in Loop: Header=BB96_12 Depth=1
	ds_load_b32 v2, v12 offset:4104
	s_waitcnt lgkmcnt(0)
	s_barrier
	buffer_gl0_inv
	v_readfirstlane_b32 s7, v2
	s_and_saveexec_b32 s13, s1
	s_cbranch_execz .LBB96_120
; %bb.119:                              ;   in Loop: Header=BB96_12 Depth=1
	v_mov_b32_e32 v11, v12
	ds_store_b64 v25, v[11:12]
.LBB96_120:                             ;   in Loop: Header=BB96_12 Depth=1
	s_or_b32 exec_lo, exec_lo, s13
	s_lshl_b64 s[14:15], 1, s22
	s_and_b64 s[20:21], s[40:41], s[10:11]
	s_or_b64 s[42:43], s[42:43], s[8:9]
	s_or_b64 s[40:41], s[20:21], s[14:15]
	s_cmp_eq_u32 s7, 0
	s_waitcnt lgkmcnt(0)
	s_barrier
	buffer_gl0_inv
	s_cbranch_scc1 .LBB96_133
; %bb.121:                              ;   in Loop: Header=BB96_12 Depth=1
	s_add_i32 s13, s7, s50
                                        ; implicit-def: $vgpr4_vgpr5
	s_delay_alu instid0(SALU_CYCLE_1) | instskip(NEXT) | instid1(SALU_CYCLE_1)
	s_mul_hi_u32 s14, s13, s59
	s_mul_i32 s14, s14, s45
	s_delay_alu instid0(SALU_CYCLE_1) | instskip(NEXT) | instid1(SALU_CYCLE_1)
	s_sub_i32 s14, s13, s14
	s_sub_i32 s15, s14, s45
	s_cmp_ge_u32 s14, s45
	s_cselect_b32 s14, s15, s14
	s_delay_alu instid0(SALU_CYCLE_1) | instskip(SKIP_2) | instid1(SALU_CYCLE_1)
	s_sub_i32 s15, s14, s45
	s_cmp_ge_u32 s14, s45
	s_cselect_b32 s14, s15, s14
	s_sub_i32 s15, s13, s14
	s_mov_b32 s13, 0
	s_mov_b32 s14, exec_lo
	v_cmpx_gt_u32_e64 s15, v0
	s_cbranch_execz .LBB96_135
; %bb.122:                              ;   in Loop: Header=BB96_12 Depth=1
	v_mov_b32_e32 v6, v24
	v_mov_b32_e32 v7, v0
	s_mov_b32 s20, 0
                                        ; implicit-def: $sgpr13
	s_set_inst_prefetch_distance 0x1
	s_branch .LBB96_124
	.p2align	6
.LBB96_123:                             ;   in Loop: Header=BB96_124 Depth=2
	s_or_b32 exec_lo, exec_lo, s21
	s_waitcnt lgkmcnt(0)
	s_barrier
	buffer_gl0_inv
	ds_load_b128 v[2:5], v12 offset:3072
	v_add_nc_u32_e32 v7, s45, v7
	v_add_nc_u32_e32 v6, s63, v6
	s_waitcnt lgkmcnt(0)
	s_barrier
	buffer_gl0_inv
	v_cmp_le_u32_e32 vcc_lo, s15, v7
	v_readfirstlane_b32 s73, v3
	v_readfirstlane_b32 s72, v2
	s_delay_alu instid0(VALU_DEP_1) | instskip(SKIP_1) | instid1(SALU_CYCLE_1)
	s_cmp_lg_u64 s[72:73], 0
	s_cselect_b32 s21, -1, 0
	s_or_b32 s23, vcc_lo, s21
	s_delay_alu instid0(SALU_CYCLE_1) | instskip(NEXT) | instid1(SALU_CYCLE_1)
	s_and_b32 s23, exec_lo, s23
	s_or_b32 s20, s23, s20
	s_and_not1_b32 s13, s13, exec_lo
	s_and_b32 s21, s21, exec_lo
	s_delay_alu instid0(SALU_CYCLE_1)
	s_or_b32 s13, s13, s21
	s_and_not1_b32 exec_lo, exec_lo, s20
	s_cbranch_execz .LBB96_134
.LBB96_124:                             ;   Parent Loop BB96_12 Depth=1
                                        ; =>  This Inner Loop Header: Depth=2
	v_mov_b32_e32 v3, 0
	v_mov_b32_e32 v4, 0
	v_cmp_gt_u32_e32 vcc_lo, s7, v7
	s_and_saveexec_b32 s21, vcc_lo
	s_cbranch_execz .LBB96_126
; %bb.125:                              ;   in Loop: Header=BB96_124 Depth=2
	ds_load_b64 v[3:4], v6
.LBB96_126:                             ;   in Loop: Header=BB96_124 Depth=2
	s_or_b32 exec_lo, exec_lo, s21
	s_and_saveexec_b32 s21, vcc_lo
	s_cbranch_execz .LBB96_123
; %bb.127:                              ;   in Loop: Header=BB96_124 Depth=2
	s_waitcnt lgkmcnt(0)
	v_xor_b32_e32 v2, 0x80000000, v4
	v_and_b32_e32 v8, s42, v3
	s_delay_alu instid0(VALU_DEP_2) | instskip(NEXT) | instid1(VALU_DEP_1)
	v_and_b32_e32 v9, s43, v2
	v_cmp_eq_u64_e32 vcc_lo, s[40:41], v[8:9]
	s_and_b32 exec_lo, exec_lo, vcc_lo
	s_cbranch_execz .LBB96_123
; %bb.128:                              ;   in Loop: Header=BB96_124 Depth=2
	v_mov_b32_e32 v2, v12
	ds_store_b128 v12, v[1:4] offset:3072
	s_branch .LBB96_123
.LBB96_129:                             ;   in Loop: Header=BB96_12 Depth=1
                                        ; implicit-def: $sgpr21
                                        ; implicit-def: $sgpr23
                                        ; implicit-def: $sgpr20
	s_branch .LBB96_146
.LBB96_130:                             ;   in Loop: Header=BB96_12 Depth=1
	s_or_b32 exec_lo, exec_lo, s9
	s_waitcnt vmcnt(0) lgkmcnt(0)
	s_barrier
	buffer_gl0_inv
	s_and_saveexec_b32 s7, s2
	s_cbranch_execz .LBB96_132
; %bb.131:                              ;   in Loop: Header=BB96_12 Depth=1
	ds_load_b32 v2, v12 offset:4112
	s_waitcnt lgkmcnt(0)
	ds_store_b32 v12, v2 offset:4104
.LBB96_132:                             ;   in Loop: Header=BB96_12 Depth=1
	s_or_b32 exec_lo, exec_lo, s7
	s_waitcnt lgkmcnt(0)
	s_mov_b32 s7, -1
	s_barrier
	s_and_b32 vcc_lo, exec_lo, s73
	s_cbranch_vccnz .LBB96_30
	s_branch .LBB96_40
.LBB96_133:                             ;   in Loop: Header=BB96_12 Depth=1
	s_mov_b32 s21, -1
	s_mov_b32 s13, 0
                                        ; implicit-def: $sgpr20
                                        ; implicit-def: $vgpr4_vgpr5
	s_mov_b32 s23, s21
	s_cbranch_execnz .LBB96_136
	s_branch .LBB96_146
.LBB96_134:                             ;   in Loop: Header=BB96_12 Depth=1
	s_set_inst_prefetch_distance 0x2
	s_or_b32 exec_lo, exec_lo, s20
	s_delay_alu instid0(SALU_CYCLE_1)
	s_and_b32 s13, s13, exec_lo
.LBB96_135:                             ;   in Loop: Header=BB96_12 Depth=1
	s_or_b32 exec_lo, exec_lo, s14
	s_mov_b32 s20, -1
	s_mov_b32 s21, 0
	s_delay_alu instid0(SALU_CYCLE_1)
	s_mov_b32 s23, s21
	s_branch .LBB96_146
.LBB96_136:                             ;   in Loop: Header=BB96_12 Depth=1
	s_mov_b32 s13, 0
                                        ; implicit-def: $vgpr4_vgpr5
	s_and_saveexec_b32 s14, s6
	s_cbranch_execz .LBB96_145
; %bb.137:                              ;   in Loop: Header=BB96_12 Depth=1
	v_dual_mov_b32 v11, v10 :: v_dual_mov_b32 v6, v0
	s_mov_b32 s15, 0
                                        ; implicit-def: $sgpr13
	s_set_inst_prefetch_distance 0x1
	s_branch .LBB96_139
	.p2align	6
.LBB96_138:                             ;   in Loop: Header=BB96_139 Depth=2
	s_or_b32 exec_lo, exec_lo, s7
	s_waitcnt vmcnt(0) lgkmcnt(0)
	s_barrier
	buffer_gl0_inv
	ds_load_b128 v[2:5], v12 offset:3072
	v_add_nc_u32_e32 v6, s45, v6
	v_add_nc_u32_e32 v11, s49, v11
	s_waitcnt lgkmcnt(0)
	s_barrier
	buffer_gl0_inv
	v_cmp_le_u32_e32 vcc_lo, s60, v6
	v_readfirstlane_b32 s21, v3
	v_readfirstlane_b32 s20, v2
	s_delay_alu instid0(VALU_DEP_1) | instskip(SKIP_1) | instid1(SALU_CYCLE_1)
	s_cmp_lg_u64 s[20:21], 0
	s_cselect_b32 s7, -1, 0
	s_or_b32 s20, vcc_lo, s7
	s_delay_alu instid0(SALU_CYCLE_1) | instskip(NEXT) | instid1(SALU_CYCLE_1)
	s_and_b32 s20, exec_lo, s20
	s_or_b32 s15, s20, s15
	s_and_not1_b32 s13, s13, exec_lo
	s_and_b32 s7, s7, exec_lo
	s_delay_alu instid0(SALU_CYCLE_1)
	s_or_b32 s13, s13, s7
	s_and_not1_b32 exec_lo, exec_lo, s15
	s_cbranch_execz .LBB96_144
.LBB96_139:                             ;   Parent Loop BB96_12 Depth=1
                                        ; =>  This Inner Loop Header: Depth=2
	v_mov_b32_e32 v3, 0
	v_mov_b32_e32 v4, 0
	v_cmp_gt_u32_e32 vcc_lo, s28, v6
	s_and_saveexec_b32 s20, vcc_lo
	s_cbranch_execz .LBB96_141
; %bb.140:                              ;   in Loop: Header=BB96_139 Depth=2
	v_lshlrev_b64 v[2:3], 3, v[11:12]
	s_delay_alu instid0(VALU_DEP_1) | instskip(NEXT) | instid1(VALU_DEP_1)
	v_add_co_u32 v2, s7, s31, v2
	v_add_co_ci_u32_e64 v3, s7, s44, v3, s7
	global_load_b64 v[3:4], v[2:3], off
.LBB96_141:                             ;   in Loop: Header=BB96_139 Depth=2
	s_or_b32 exec_lo, exec_lo, s20
	s_and_saveexec_b32 s7, vcc_lo
	s_cbranch_execz .LBB96_138
; %bb.142:                              ;   in Loop: Header=BB96_139 Depth=2
	s_waitcnt vmcnt(0)
	v_xor_b32_e32 v2, 0x80000000, v4
	v_and_b32_e32 v7, s42, v3
	s_delay_alu instid0(VALU_DEP_2) | instskip(NEXT) | instid1(VALU_DEP_1)
	v_and_b32_e32 v8, s43, v2
	v_cmp_eq_u64_e32 vcc_lo, s[40:41], v[7:8]
	s_and_b32 exec_lo, exec_lo, vcc_lo
	s_cbranch_execz .LBB96_138
; %bb.143:                              ;   in Loop: Header=BB96_139 Depth=2
	v_mov_b32_e32 v2, v12
	ds_store_b128 v12, v[1:4] offset:3072
	s_branch .LBB96_138
.LBB96_144:                             ;   in Loop: Header=BB96_12 Depth=1
	s_set_inst_prefetch_distance 0x2
	s_or_b32 exec_lo, exec_lo, s15
	s_delay_alu instid0(SALU_CYCLE_1)
	s_and_b32 s13, s13, exec_lo
.LBB96_145:                             ;   in Loop: Header=BB96_12 Depth=1
	s_or_b32 exec_lo, exec_lo, s14
	s_mov_b32 s23, -1
	s_mov_b32 s21, 0
	s_mov_b32 s20, 0
.LBB96_146:                             ;   in Loop: Header=BB96_12 Depth=1
	s_mov_b32 s14, 0
                                        ; implicit-def: $sgpr7
	s_and_saveexec_b32 s24, s13
	s_cbranch_execz .LBB96_242
; %bb.147:                              ;   in Loop: Header=BB96_12 Depth=1
	s_xor_b32 s7, s12, -1
	s_mov_b32 s72, 0
	s_and_not1_b32 vcc_lo, exec_lo, s7
	s_mov_b32 s74, 1
	s_cbranch_vccnz .LBB96_158
; %bb.148:                              ;   in Loop: Header=BB96_12 Depth=1
	s_cmp_gt_u32 s26, s25
	s_mov_b32 s72, -1
                                        ; implicit-def: $sgpr7
                                        ; implicit-def: $sgpr12_sgpr13
                                        ; implicit-def: $sgpr14_sgpr15
	s_cbranch_scc1 .LBB96_154
; %bb.149:                              ;   in Loop: Header=BB96_12 Depth=1
	ds_load_b32 v2, v12 offset:4104
	s_waitcnt lgkmcnt(0)
	v_cmp_ne_u32_e32 vcc_lo, 0, v2
	s_cbranch_vccnz .LBB96_153
; %bb.150:                              ;   in Loop: Header=BB96_12 Depth=1
	s_and_saveexec_b32 s7, s2
	s_cbranch_execz .LBB96_152
; %bb.151:                              ;   in Loop: Header=BB96_12 Depth=1
	v_mov_b32_e32 v2, s25
	ds_store_b32 v12, v2 offset:4108
.LBB96_152:                             ;   in Loop: Header=BB96_12 Depth=1
	s_or_b32 exec_lo, exec_lo, s7
	s_waitcnt lgkmcnt(0)
	s_barrier
	buffer_gl0_inv
.LBB96_153:                             ;   in Loop: Header=BB96_12 Depth=1
	s_lshl_b64 s[12:13], 1, s22
	s_and_b64 s[14:15], s[40:41], s[10:11]
	s_mov_b32 s72, 0
	s_or_b64 s[12:13], s[14:15], s[12:13]
	s_or_b64 s[14:15], s[42:43], s[8:9]
	s_mov_b32 s7, 8
.LBB96_154:                             ;   in Loop: Header=BB96_12 Depth=1
	s_and_not1_b32 vcc_lo, exec_lo, s72
	s_cbranch_vccnz .LBB96_156
; %bb.155:                              ;   in Loop: Header=BB96_12 Depth=1
	s_sub_i32 s26, s26, s25
	s_mov_b32 s72, -1
	s_mov_b32 s7, 0
	s_mov_b64 s[12:13], s[40:41]
	s_mov_b64 s[14:15], s[42:43]
.LBB96_156:                             ;   in Loop: Header=BB96_12 Depth=1
	s_delay_alu instid0(SALU_CYCLE_1)
	s_mov_b64 s[42:43], s[14:15]
	s_mov_b64 s[40:41], s[12:13]
	s_mov_b32 s74, s26
	s_and_not1_b32 vcc_lo, exec_lo, s72
	s_mov_b32 s14, -1
	s_cbranch_vccz .LBB96_159
.LBB96_157:                             ;   in Loop: Header=BB96_12 Depth=1
                                        ; implicit-def: $sgpr26
                                        ; implicit-def: $sgpr72
                                        ; implicit-def: $sgpr25
	s_branch .LBB96_241
.LBB96_158:                             ;   in Loop: Header=BB96_12 Depth=1
	s_mov_b32 s7, 1
	s_and_not1_b32 vcc_lo, exec_lo, s72
	s_mov_b32 s14, -1
	s_cbranch_vccnz .LBB96_157
.LBB96_159:                             ;   in Loop: Header=BB96_12 Depth=1
	s_cmp_eq_u32 s19, 1
	s_mov_b32 s13, -1
	s_cselect_b32 s7, -1, 0
	s_cmp_eq_u32 s74, 1
	s_cselect_b32 s12, -1, 0
	s_delay_alu instid0(SALU_CYCLE_1) | instskip(NEXT) | instid1(SALU_CYCLE_1)
	s_and_b32 s12, s7, s12
	s_and_b32 vcc_lo, exec_lo, s12
	s_cbranch_vccz .LBB96_171
; %bb.160:                              ;   in Loop: Header=BB96_12 Depth=1
	ds_load_b32 v2, v12 offset:4104
	s_waitcnt lgkmcnt(0)
	s_barrier
	buffer_gl0_inv
	v_readfirstlane_b32 s7, v2
	s_and_saveexec_b32 s13, s1
	s_cbranch_execz .LBB96_162
; %bb.161:                              ;   in Loop: Header=BB96_12 Depth=1
	v_mov_b32_e32 v11, v12
	ds_store_b64 v25, v[11:12]
.LBB96_162:                             ;   in Loop: Header=BB96_12 Depth=1
	s_or_b32 exec_lo, exec_lo, s13
	s_lshl_b64 s[14:15], 2, s22
	s_and_b64 s[40:41], s[40:41], s[10:11]
	s_or_b64 s[42:43], s[42:43], s[8:9]
	s_or_b64 s[40:41], s[40:41], s[14:15]
	s_cmp_eq_u32 s7, 0
	s_waitcnt lgkmcnt(0)
	s_barrier
	buffer_gl0_inv
	s_cbranch_scc1 .LBB96_172
; %bb.163:                              ;   in Loop: Header=BB96_12 Depth=1
	s_add_i32 s13, s7, s50
                                        ; implicit-def: $vgpr4_vgpr5
	s_delay_alu instid0(SALU_CYCLE_1) | instskip(NEXT) | instid1(SALU_CYCLE_1)
	s_mul_hi_u32 s14, s13, s59
	s_mul_i32 s14, s14, s45
	s_delay_alu instid0(SALU_CYCLE_1) | instskip(NEXT) | instid1(SALU_CYCLE_1)
	s_sub_i32 s14, s13, s14
	s_sub_i32 s15, s14, s45
	s_cmp_ge_u32 s14, s45
	s_cselect_b32 s14, s15, s14
	s_delay_alu instid0(SALU_CYCLE_1) | instskip(SKIP_2) | instid1(SALU_CYCLE_1)
	s_sub_i32 s15, s14, s45
	s_cmp_ge_u32 s14, s45
	s_cselect_b32 s14, s15, s14
	s_sub_i32 s15, s13, s14
	s_mov_b32 s13, 0
	s_mov_b32 s14, exec_lo
	v_cmpx_gt_u32_e64 s15, v0
	s_cbranch_execz .LBB96_174
; %bb.164:                              ;   in Loop: Header=BB96_12 Depth=1
	v_mov_b32_e32 v6, v24
	v_mov_b32_e32 v7, v0
	s_mov_b32 s25, 0
                                        ; implicit-def: $sgpr13
	s_set_inst_prefetch_distance 0x1
	s_branch .LBB96_166
	.p2align	6
.LBB96_165:                             ;   in Loop: Header=BB96_166 Depth=2
	s_or_b32 exec_lo, exec_lo, s26
	s_waitcnt lgkmcnt(0)
	s_barrier
	buffer_gl0_inv
	ds_load_b128 v[2:5], v12 offset:3072
	v_add_nc_u32_e32 v7, s45, v7
	v_add_nc_u32_e32 v6, s63, v6
	s_waitcnt lgkmcnt(0)
	s_barrier
	buffer_gl0_inv
	v_cmp_le_u32_e32 vcc_lo, s15, v7
	v_readfirstlane_b32 s73, v3
	v_readfirstlane_b32 s72, v2
	s_delay_alu instid0(VALU_DEP_1) | instskip(SKIP_1) | instid1(SALU_CYCLE_1)
	s_cmp_lg_u64 s[72:73], 0
	s_cselect_b32 s26, -1, 0
	s_or_b32 s72, vcc_lo, s26
	s_delay_alu instid0(SALU_CYCLE_1) | instskip(NEXT) | instid1(SALU_CYCLE_1)
	s_and_b32 s72, exec_lo, s72
	s_or_b32 s25, s72, s25
	s_and_not1_b32 s13, s13, exec_lo
	s_and_b32 s26, s26, exec_lo
	s_delay_alu instid0(SALU_CYCLE_1)
	s_or_b32 s13, s13, s26
	s_and_not1_b32 exec_lo, exec_lo, s25
	s_cbranch_execz .LBB96_173
.LBB96_166:                             ;   Parent Loop BB96_12 Depth=1
                                        ; =>  This Inner Loop Header: Depth=2
	v_mov_b32_e32 v3, 0
	v_mov_b32_e32 v4, 0
	v_cmp_gt_u32_e32 vcc_lo, s7, v7
	s_and_saveexec_b32 s26, vcc_lo
	s_cbranch_execz .LBB96_168
; %bb.167:                              ;   in Loop: Header=BB96_166 Depth=2
	ds_load_b64 v[3:4], v6
.LBB96_168:                             ;   in Loop: Header=BB96_166 Depth=2
	s_or_b32 exec_lo, exec_lo, s26
	s_and_saveexec_b32 s26, vcc_lo
	s_cbranch_execz .LBB96_165
; %bb.169:                              ;   in Loop: Header=BB96_166 Depth=2
	s_waitcnt lgkmcnt(0)
	v_xor_b32_e32 v2, 0x80000000, v4
	v_and_b32_e32 v8, s42, v3
	s_delay_alu instid0(VALU_DEP_2) | instskip(NEXT) | instid1(VALU_DEP_1)
	v_and_b32_e32 v9, s43, v2
	v_cmp_eq_u64_e32 vcc_lo, s[40:41], v[8:9]
	s_and_b32 exec_lo, exec_lo, vcc_lo
	s_cbranch_execz .LBB96_165
; %bb.170:                              ;   in Loop: Header=BB96_166 Depth=2
	v_mov_b32_e32 v2, v12
	ds_store_b128 v12, v[1:4] offset:3072
	s_branch .LBB96_165
.LBB96_171:                             ;   in Loop: Header=BB96_12 Depth=1
                                        ; implicit-def: $sgpr25
                                        ; implicit-def: $sgpr72
                                        ; implicit-def: $sgpr26
	s_branch .LBB96_185
.LBB96_172:                             ;   in Loop: Header=BB96_12 Depth=1
	s_mov_b32 s25, -1
	s_mov_b32 s13, 0
                                        ; implicit-def: $sgpr26
                                        ; implicit-def: $vgpr4_vgpr5
	s_mov_b32 s72, s25
	s_cbranch_execnz .LBB96_175
	s_branch .LBB96_185
.LBB96_173:                             ;   in Loop: Header=BB96_12 Depth=1
	s_set_inst_prefetch_distance 0x2
	s_or_b32 exec_lo, exec_lo, s25
	s_delay_alu instid0(SALU_CYCLE_1)
	s_and_b32 s13, s13, exec_lo
.LBB96_174:                             ;   in Loop: Header=BB96_12 Depth=1
	s_or_b32 exec_lo, exec_lo, s14
	s_mov_b32 s26, -1
	s_mov_b32 s25, 0
	s_delay_alu instid0(SALU_CYCLE_1)
	s_mov_b32 s72, s25
	s_branch .LBB96_185
.LBB96_175:                             ;   in Loop: Header=BB96_12 Depth=1
	s_mov_b32 s13, 0
                                        ; implicit-def: $vgpr4_vgpr5
	s_and_saveexec_b32 s14, s6
	s_cbranch_execz .LBB96_184
; %bb.176:                              ;   in Loop: Header=BB96_12 Depth=1
	v_dual_mov_b32 v11, v10 :: v_dual_mov_b32 v6, v0
	s_mov_b32 s15, 0
                                        ; implicit-def: $sgpr13
	s_set_inst_prefetch_distance 0x1
	s_branch .LBB96_178
	.p2align	6
.LBB96_177:                             ;   in Loop: Header=BB96_178 Depth=2
	s_or_b32 exec_lo, exec_lo, s7
	s_waitcnt vmcnt(0) lgkmcnt(0)
	s_barrier
	buffer_gl0_inv
	ds_load_b128 v[2:5], v12 offset:3072
	v_add_nc_u32_e32 v6, s45, v6
	v_add_nc_u32_e32 v11, s49, v11
	s_waitcnt lgkmcnt(0)
	s_barrier
	buffer_gl0_inv
	v_cmp_le_u32_e32 vcc_lo, s60, v6
	v_readfirstlane_b32 s73, v3
	v_readfirstlane_b32 s72, v2
	s_delay_alu instid0(VALU_DEP_1) | instskip(SKIP_1) | instid1(SALU_CYCLE_1)
	s_cmp_lg_u64 s[72:73], 0
	s_cselect_b32 s7, -1, 0
	s_or_b32 s25, vcc_lo, s7
	s_delay_alu instid0(SALU_CYCLE_1) | instskip(NEXT) | instid1(SALU_CYCLE_1)
	s_and_b32 s25, exec_lo, s25
	s_or_b32 s15, s25, s15
	s_and_not1_b32 s13, s13, exec_lo
	s_and_b32 s7, s7, exec_lo
	s_delay_alu instid0(SALU_CYCLE_1)
	s_or_b32 s13, s13, s7
	s_and_not1_b32 exec_lo, exec_lo, s15
	s_cbranch_execz .LBB96_183
.LBB96_178:                             ;   Parent Loop BB96_12 Depth=1
                                        ; =>  This Inner Loop Header: Depth=2
	v_mov_b32_e32 v3, 0
	v_mov_b32_e32 v4, 0
	v_cmp_gt_u32_e32 vcc_lo, s28, v6
	s_and_saveexec_b32 s25, vcc_lo
	s_cbranch_execz .LBB96_180
; %bb.179:                              ;   in Loop: Header=BB96_178 Depth=2
	v_lshlrev_b64 v[2:3], 3, v[11:12]
	s_delay_alu instid0(VALU_DEP_1) | instskip(NEXT) | instid1(VALU_DEP_1)
	v_add_co_u32 v2, s7, s31, v2
	v_add_co_ci_u32_e64 v3, s7, s44, v3, s7
	global_load_b64 v[3:4], v[2:3], off
.LBB96_180:                             ;   in Loop: Header=BB96_178 Depth=2
	s_or_b32 exec_lo, exec_lo, s25
	s_and_saveexec_b32 s7, vcc_lo
	s_cbranch_execz .LBB96_177
; %bb.181:                              ;   in Loop: Header=BB96_178 Depth=2
	s_waitcnt vmcnt(0)
	v_xor_b32_e32 v2, 0x80000000, v4
	v_and_b32_e32 v7, s42, v3
	s_delay_alu instid0(VALU_DEP_2) | instskip(NEXT) | instid1(VALU_DEP_1)
	v_and_b32_e32 v8, s43, v2
	v_cmp_eq_u64_e32 vcc_lo, s[40:41], v[7:8]
	s_and_b32 exec_lo, exec_lo, vcc_lo
	s_cbranch_execz .LBB96_177
; %bb.182:                              ;   in Loop: Header=BB96_178 Depth=2
	v_mov_b32_e32 v2, v12
	ds_store_b128 v12, v[1:4] offset:3072
	s_branch .LBB96_177
.LBB96_183:                             ;   in Loop: Header=BB96_12 Depth=1
	s_set_inst_prefetch_distance 0x2
	s_or_b32 exec_lo, exec_lo, s15
	s_delay_alu instid0(SALU_CYCLE_1)
	s_and_b32 s13, s13, exec_lo
.LBB96_184:                             ;   in Loop: Header=BB96_12 Depth=1
	s_or_b32 exec_lo, exec_lo, s14
	s_mov_b32 s72, -1
	s_mov_b32 s25, 0
	s_mov_b32 s26, 0
.LBB96_185:                             ;   in Loop: Header=BB96_12 Depth=1
	s_mov_b32 s14, 0
                                        ; implicit-def: $sgpr7
	s_and_saveexec_b32 s73, s13
	s_cbranch_execz .LBB96_240
; %bb.186:                              ;   in Loop: Header=BB96_12 Depth=1
	s_xor_b32 s7, s12, -1
	s_mov_b32 s75, 0
	s_and_not1_b32 vcc_lo, exec_lo, s7
	s_mov_b32 s12, 1
	s_cbranch_vccnz .LBB96_197
; %bb.187:                              ;   in Loop: Header=BB96_12 Depth=1
	s_cmp_gt_u32 s74, s19
	s_mov_b32 s75, -1
                                        ; implicit-def: $sgpr7
                                        ; implicit-def: $sgpr12_sgpr13
                                        ; implicit-def: $sgpr14_sgpr15
	s_cbranch_scc1 .LBB96_193
; %bb.188:                              ;   in Loop: Header=BB96_12 Depth=1
	ds_load_b32 v2, v12 offset:4104
	s_waitcnt lgkmcnt(0)
	v_cmp_ne_u32_e32 vcc_lo, 0, v2
	s_cbranch_vccnz .LBB96_192
; %bb.189:                              ;   in Loop: Header=BB96_12 Depth=1
	s_and_saveexec_b32 s7, s2
	s_cbranch_execz .LBB96_191
; %bb.190:                              ;   in Loop: Header=BB96_12 Depth=1
	v_mov_b32_e32 v2, s19
	ds_store_b32 v12, v2 offset:4108
.LBB96_191:                             ;   in Loop: Header=BB96_12 Depth=1
	s_or_b32 exec_lo, exec_lo, s7
	s_waitcnt lgkmcnt(0)
	s_barrier
	buffer_gl0_inv
.LBB96_192:                             ;   in Loop: Header=BB96_12 Depth=1
	s_lshl_b64 s[12:13], 2, s22
	s_and_b64 s[10:11], s[40:41], s[10:11]
	s_or_b64 s[14:15], s[42:43], s[8:9]
	s_or_b64 s[12:13], s[10:11], s[12:13]
	s_mov_b32 s75, 0
	s_mov_b32 s7, 8
.LBB96_193:                             ;   in Loop: Header=BB96_12 Depth=1
	s_and_not1_b32 vcc_lo, exec_lo, s75
	s_cbranch_vccnz .LBB96_195
; %bb.194:                              ;   in Loop: Header=BB96_12 Depth=1
	s_sub_i32 s74, s74, s19
	s_mov_b32 s75, -1
	s_mov_b32 s7, 0
	s_mov_b64 s[12:13], s[40:41]
	s_mov_b64 s[14:15], s[42:43]
.LBB96_195:                             ;   in Loop: Header=BB96_12 Depth=1
	s_delay_alu instid0(SALU_CYCLE_1)
	s_mov_b64 s[42:43], s[14:15]
	s_mov_b64 s[40:41], s[12:13]
	s_mov_b32 s12, s74
	s_and_not1_b32 vcc_lo, exec_lo, s75
	s_mov_b32 s22, -1
	s_cbranch_vccz .LBB96_198
.LBB96_196:                             ;   in Loop: Header=BB96_12 Depth=1
                                        ; implicit-def: $sgpr13
                                        ; implicit-def: $sgpr15
                                        ; implicit-def: $sgpr14
	s_branch .LBB96_239
.LBB96_197:                             ;   in Loop: Header=BB96_12 Depth=1
	s_mov_b32 s7, 1
	s_and_not1_b32 vcc_lo, exec_lo, s75
	s_mov_b32 s22, -1
	s_cbranch_vccnz .LBB96_196
.LBB96_198:                             ;   in Loop: Header=BB96_12 Depth=1
	s_cmp_eq_u32 s16, 1
	s_mov_b32 s11, -1
	s_cselect_b32 s7, -1, 0
	s_cmp_eq_u32 s12, 1
	s_cselect_b32 s10, -1, 0
	s_delay_alu instid0(SALU_CYCLE_1) | instskip(NEXT) | instid1(SALU_CYCLE_1)
	s_and_b32 s10, s7, s10
	s_and_b32 vcc_lo, exec_lo, s10
	s_cbranch_vccz .LBB96_210
; %bb.199:                              ;   in Loop: Header=BB96_12 Depth=1
	ds_load_b32 v2, v12 offset:4104
	s_waitcnt lgkmcnt(0)
	s_barrier
	buffer_gl0_inv
	v_readfirstlane_b32 s7, v2
	s_and_saveexec_b32 s11, s1
	s_cbranch_execz .LBB96_201
; %bb.200:                              ;   in Loop: Header=BB96_12 Depth=1
	v_mov_b32_e32 v11, v12
	ds_store_b64 v25, v[11:12]
.LBB96_201:                             ;   in Loop: Header=BB96_12 Depth=1
	s_or_b32 exec_lo, exec_lo, s11
	s_or_b64 s[40:41], s[40:41], s[8:9]
	s_or_b64 s[42:43], s[42:43], s[8:9]
	s_cmp_eq_u32 s7, 0
	s_waitcnt lgkmcnt(0)
	s_barrier
	buffer_gl0_inv
	s_cbranch_scc1 .LBB96_211
; %bb.202:                              ;   in Loop: Header=BB96_12 Depth=1
	s_add_i32 s11, s7, s50
                                        ; implicit-def: $vgpr4_vgpr5
	s_delay_alu instid0(SALU_CYCLE_1) | instskip(NEXT) | instid1(SALU_CYCLE_1)
	s_mul_hi_u32 s13, s11, s59
	s_mul_i32 s13, s13, s45
	s_delay_alu instid0(SALU_CYCLE_1) | instskip(NEXT) | instid1(SALU_CYCLE_1)
	s_sub_i32 s13, s11, s13
	s_sub_i32 s14, s13, s45
	s_cmp_ge_u32 s13, s45
	s_cselect_b32 s13, s14, s13
	s_delay_alu instid0(SALU_CYCLE_1) | instskip(SKIP_2) | instid1(SALU_CYCLE_1)
	s_sub_i32 s14, s13, s45
	s_cmp_ge_u32 s13, s45
	s_cselect_b32 s13, s14, s13
	s_sub_i32 s14, s11, s13
	s_mov_b32 s11, 0
	s_mov_b32 s13, exec_lo
	v_cmpx_gt_u32_e64 s14, v0
	s_cbranch_execz .LBB96_213
; %bb.203:                              ;   in Loop: Header=BB96_12 Depth=1
	v_mov_b32_e32 v6, v24
	v_mov_b32_e32 v7, v0
	s_mov_b32 s15, 0
                                        ; implicit-def: $sgpr11
	s_set_inst_prefetch_distance 0x1
	s_branch .LBB96_205
	.p2align	6
.LBB96_204:                             ;   in Loop: Header=BB96_205 Depth=2
	s_or_b32 exec_lo, exec_lo, s19
	s_waitcnt lgkmcnt(0)
	s_barrier
	buffer_gl0_inv
	ds_load_b128 v[2:5], v12 offset:3072
	v_add_nc_u32_e32 v7, s45, v7
	v_add_nc_u32_e32 v6, s63, v6
	s_waitcnt lgkmcnt(0)
	s_barrier
	buffer_gl0_inv
	v_cmp_le_u32_e32 vcc_lo, s14, v7
	v_readfirstlane_b32 s75, v3
	v_readfirstlane_b32 s74, v2
	s_delay_alu instid0(VALU_DEP_1) | instskip(SKIP_1) | instid1(SALU_CYCLE_1)
	s_cmp_lg_u64 s[74:75], 0
	s_cselect_b32 s19, -1, 0
	s_or_b32 s22, vcc_lo, s19
	s_delay_alu instid0(SALU_CYCLE_1) | instskip(NEXT) | instid1(SALU_CYCLE_1)
	s_and_b32 s22, exec_lo, s22
	s_or_b32 s15, s22, s15
	s_and_not1_b32 s11, s11, exec_lo
	s_and_b32 s19, s19, exec_lo
	s_delay_alu instid0(SALU_CYCLE_1)
	s_or_b32 s11, s11, s19
	s_and_not1_b32 exec_lo, exec_lo, s15
	s_cbranch_execz .LBB96_212
.LBB96_205:                             ;   Parent Loop BB96_12 Depth=1
                                        ; =>  This Inner Loop Header: Depth=2
	v_mov_b32_e32 v3, 0
	v_mov_b32_e32 v4, 0
	v_cmp_gt_u32_e32 vcc_lo, s7, v7
	s_and_saveexec_b32 s19, vcc_lo
	s_cbranch_execz .LBB96_207
; %bb.206:                              ;   in Loop: Header=BB96_205 Depth=2
	ds_load_b64 v[3:4], v6
.LBB96_207:                             ;   in Loop: Header=BB96_205 Depth=2
	s_or_b32 exec_lo, exec_lo, s19
	s_and_saveexec_b32 s19, vcc_lo
	s_cbranch_execz .LBB96_204
; %bb.208:                              ;   in Loop: Header=BB96_205 Depth=2
	s_waitcnt lgkmcnt(0)
	v_xor_b32_e32 v2, 0x80000000, v4
	v_and_b32_e32 v8, s42, v3
	s_delay_alu instid0(VALU_DEP_2) | instskip(NEXT) | instid1(VALU_DEP_1)
	v_and_b32_e32 v9, s43, v2
	v_cmp_eq_u64_e32 vcc_lo, s[40:41], v[8:9]
	s_and_b32 exec_lo, exec_lo, vcc_lo
	s_cbranch_execz .LBB96_204
; %bb.209:                              ;   in Loop: Header=BB96_205 Depth=2
	v_mov_b32_e32 v2, v12
	ds_store_b128 v12, v[1:4] offset:3072
	s_branch .LBB96_204
.LBB96_210:                             ;   in Loop: Header=BB96_12 Depth=1
                                        ; implicit-def: $sgpr13
                                        ; implicit-def: $sgpr15
                                        ; implicit-def: $sgpr14
	s_branch .LBB96_224
.LBB96_211:                             ;   in Loop: Header=BB96_12 Depth=1
	s_mov_b32 s13, -1
	s_mov_b32 s11, 0
                                        ; implicit-def: $sgpr14
                                        ; implicit-def: $vgpr4_vgpr5
	s_mov_b32 s15, s13
	s_cbranch_execnz .LBB96_214
	s_branch .LBB96_224
.LBB96_212:                             ;   in Loop: Header=BB96_12 Depth=1
	s_set_inst_prefetch_distance 0x2
	s_or_b32 exec_lo, exec_lo, s15
	s_delay_alu instid0(SALU_CYCLE_1)
	s_and_b32 s11, s11, exec_lo
.LBB96_213:                             ;   in Loop: Header=BB96_12 Depth=1
	s_or_b32 exec_lo, exec_lo, s13
	s_mov_b32 s14, -1
	s_mov_b32 s13, 0
	s_delay_alu instid0(SALU_CYCLE_1)
	s_mov_b32 s15, s13
	s_branch .LBB96_224
.LBB96_214:                             ;   in Loop: Header=BB96_12 Depth=1
	s_mov_b32 s11, 0
                                        ; implicit-def: $vgpr4_vgpr5
	s_and_saveexec_b32 s13, s6
	s_cbranch_execz .LBB96_223
; %bb.215:                              ;   in Loop: Header=BB96_12 Depth=1
	v_dual_mov_b32 v11, v10 :: v_dual_mov_b32 v6, v0
	s_mov_b32 s14, 0
                                        ; implicit-def: $sgpr11
	s_set_inst_prefetch_distance 0x1
	s_branch .LBB96_217
	.p2align	6
.LBB96_216:                             ;   in Loop: Header=BB96_217 Depth=2
	s_or_b32 exec_lo, exec_lo, s7
	s_waitcnt vmcnt(0) lgkmcnt(0)
	s_barrier
	buffer_gl0_inv
	ds_load_b128 v[2:5], v12 offset:3072
	v_add_nc_u32_e32 v6, s45, v6
	v_add_nc_u32_e32 v11, s49, v11
	s_waitcnt lgkmcnt(0)
	s_barrier
	buffer_gl0_inv
	v_cmp_le_u32_e32 vcc_lo, s60, v6
	v_readfirstlane_b32 s75, v3
	v_readfirstlane_b32 s74, v2
	s_delay_alu instid0(VALU_DEP_1) | instskip(SKIP_1) | instid1(SALU_CYCLE_1)
	s_cmp_lg_u64 s[74:75], 0
	s_cselect_b32 s7, -1, 0
	s_or_b32 s15, vcc_lo, s7
	s_delay_alu instid0(SALU_CYCLE_1) | instskip(NEXT) | instid1(SALU_CYCLE_1)
	s_and_b32 s15, exec_lo, s15
	s_or_b32 s14, s15, s14
	s_and_not1_b32 s11, s11, exec_lo
	s_and_b32 s7, s7, exec_lo
	s_delay_alu instid0(SALU_CYCLE_1)
	s_or_b32 s11, s11, s7
	s_and_not1_b32 exec_lo, exec_lo, s14
	s_cbranch_execz .LBB96_222
.LBB96_217:                             ;   Parent Loop BB96_12 Depth=1
                                        ; =>  This Inner Loop Header: Depth=2
	v_mov_b32_e32 v3, 0
	v_mov_b32_e32 v4, 0
	v_cmp_gt_u32_e32 vcc_lo, s28, v6
	s_and_saveexec_b32 s15, vcc_lo
	s_cbranch_execz .LBB96_219
; %bb.218:                              ;   in Loop: Header=BB96_217 Depth=2
	v_lshlrev_b64 v[2:3], 3, v[11:12]
	s_delay_alu instid0(VALU_DEP_1) | instskip(NEXT) | instid1(VALU_DEP_1)
	v_add_co_u32 v2, s7, s31, v2
	v_add_co_ci_u32_e64 v3, s7, s44, v3, s7
	global_load_b64 v[3:4], v[2:3], off
.LBB96_219:                             ;   in Loop: Header=BB96_217 Depth=2
	s_or_b32 exec_lo, exec_lo, s15
	s_and_saveexec_b32 s7, vcc_lo
	s_cbranch_execz .LBB96_216
; %bb.220:                              ;   in Loop: Header=BB96_217 Depth=2
	s_waitcnt vmcnt(0)
	v_xor_b32_e32 v2, 0x80000000, v4
	v_and_b32_e32 v7, s42, v3
	s_delay_alu instid0(VALU_DEP_2) | instskip(NEXT) | instid1(VALU_DEP_1)
	v_and_b32_e32 v8, s43, v2
	v_cmp_eq_u64_e32 vcc_lo, s[40:41], v[7:8]
	s_and_b32 exec_lo, exec_lo, vcc_lo
	s_cbranch_execz .LBB96_216
; %bb.221:                              ;   in Loop: Header=BB96_217 Depth=2
	v_mov_b32_e32 v2, v12
	ds_store_b128 v12, v[1:4] offset:3072
	s_branch .LBB96_216
.LBB96_222:                             ;   in Loop: Header=BB96_12 Depth=1
	s_set_inst_prefetch_distance 0x2
	s_or_b32 exec_lo, exec_lo, s14
	s_delay_alu instid0(SALU_CYCLE_1)
	s_and_b32 s11, s11, exec_lo
.LBB96_223:                             ;   in Loop: Header=BB96_12 Depth=1
	s_or_b32 exec_lo, exec_lo, s13
	s_mov_b32 s15, -1
	s_mov_b32 s13, 0
	s_mov_b32 s14, 0
.LBB96_224:                             ;   in Loop: Header=BB96_12 Depth=1
	s_mov_b32 s22, 0
                                        ; implicit-def: $sgpr7
	s_and_saveexec_b32 s19, s11
	s_cbranch_execz .LBB96_238
; %bb.225:                              ;   in Loop: Header=BB96_12 Depth=1
	s_xor_b32 s7, s10, -1
	s_delay_alu instid0(SALU_CYCLE_1)
	s_and_not1_b32 vcc_lo, exec_lo, s7
	s_mov_b32 s7, 1
	s_cbranch_vccnz .LBB96_232
; %bb.226:                              ;   in Loop: Header=BB96_12 Depth=1
	s_cmp_gt_u32 s12, s16
	s_cbranch_scc1 .LBB96_233
; %bb.227:                              ;   in Loop: Header=BB96_12 Depth=1
	ds_load_b32 v2, v12 offset:4104
	s_waitcnt lgkmcnt(0)
	v_cmp_ne_u32_e32 vcc_lo, 0, v2
	s_cbranch_vccnz .LBB96_231
; %bb.228:                              ;   in Loop: Header=BB96_12 Depth=1
	s_and_saveexec_b32 s7, s2
	s_cbranch_execz .LBB96_230
; %bb.229:                              ;   in Loop: Header=BB96_12 Depth=1
	v_mov_b32_e32 v2, s16
	ds_store_b32 v12, v2 offset:4108
.LBB96_230:                             ;   in Loop: Header=BB96_12 Depth=1
	s_or_b32 exec_lo, exec_lo, s7
	s_waitcnt lgkmcnt(0)
	s_barrier
	buffer_gl0_inv
.LBB96_231:                             ;   in Loop: Header=BB96_12 Depth=1
	s_or_b64 s[10:11], s[40:41], s[8:9]
	s_or_b64 s[8:9], s[42:43], s[8:9]
	s_mov_b32 s7, 8
	s_branch .LBB96_234
.LBB96_232:                             ;   in Loop: Header=BB96_12 Depth=1
	s_mov_b32 s12, 1
	s_branch .LBB96_237
.LBB96_233:                             ;   in Loop: Header=BB96_12 Depth=1
	s_mov_b32 s22, -1
                                        ; implicit-def: $sgpr7
                                        ; implicit-def: $sgpr10_sgpr11
                                        ; implicit-def: $sgpr8_sgpr9
.LBB96_234:                             ;   in Loop: Header=BB96_12 Depth=1
	s_delay_alu instid0(SALU_CYCLE_1)
	s_and_not1_b32 vcc_lo, exec_lo, s22
	s_cbranch_vccnz .LBB96_236
; %bb.235:                              ;   in Loop: Header=BB96_12 Depth=1
	s_sub_i32 s12, s12, s16
	s_mov_b32 s7, 8
	s_mov_b64 s[10:11], s[40:41]
	s_mov_b64 s[8:9], s[42:43]
.LBB96_236:                             ;   in Loop: Header=BB96_12 Depth=1
	s_mov_b64 s[40:41], s[10:11]
	s_mov_b64 s[42:43], s[8:9]
.LBB96_237:                             ;   in Loop: Header=BB96_12 Depth=1
	s_mov_b32 s22, exec_lo
.LBB96_238:                             ;   in Loop: Header=BB96_12 Depth=1
	s_or_b32 exec_lo, exec_lo, s19
.LBB96_239:                             ;   in Loop: Header=BB96_12 Depth=1
	s_delay_alu instid0(SALU_CYCLE_1)
	s_and_not1_b32 s8, s25, exec_lo
	s_and_b32 s9, s13, exec_lo
	s_and_not1_b32 s10, s26, exec_lo
	s_or_b32 s25, s8, s9
	s_and_not1_b32 s8, s72, exec_lo
	s_and_b32 s9, s15, exec_lo
	s_and_b32 s11, s14, exec_lo
	s_or_b32 s72, s8, s9
	s_or_b32 s26, s10, s11
	s_and_b32 s14, s22, exec_lo
	s_mov_b32 s74, s12
.LBB96_240:                             ;   in Loop: Header=BB96_12 Depth=1
	s_or_b32 exec_lo, exec_lo, s73
.LBB96_241:                             ;   in Loop: Header=BB96_12 Depth=1
	s_delay_alu instid0(SALU_CYCLE_1)
	s_and_not1_b32 s8, s21, exec_lo
	s_and_b32 s9, s25, exec_lo
	s_and_not1_b32 s10, s20, exec_lo
	s_or_b32 s21, s8, s9
	s_and_not1_b32 s8, s23, exec_lo
	s_and_b32 s9, s72, exec_lo
	s_and_b32 s11, s26, exec_lo
	s_or_b32 s23, s8, s9
	s_or_b32 s20, s10, s11
	s_and_b32 s14, s14, exec_lo
	s_mov_b32 s26, s74
.LBB96_242:                             ;   in Loop: Header=BB96_12 Depth=1
	s_or_b32 exec_lo, exec_lo, s24
                                        ; implicit-def: $sgpr72
	s_and_saveexec_b32 s8, s14
	s_delay_alu instid0(SALU_CYCLE_1)
	s_xor_b32 s8, exec_lo, s8
	s_cbranch_execz .LBB96_10
.LBB96_243:                             ;   in Loop: Header=BB96_12 Depth=1
	s_and_b32 s7, s7, -9
	s_delay_alu instid0(SALU_CYCLE_1)
	s_cmp_eq_u32 s7, 0
	s_cbranch_scc1 .LBB96_8
; %bb.244:                              ;   in Loop: Header=BB96_12 Depth=1
	s_mov_b32 s7, -1
	s_mov_b32 s9, -1
                                        ; implicit-def: $sgpr42_sgpr43
                                        ; implicit-def: $sgpr26
                                        ; implicit-def: $sgpr66
                                        ; implicit-def: $sgpr70
	s_branch .LBB96_9
.LBB96_245:
	s_or_b32 exec_lo, exec_lo, s27
	s_xor_b32 s4, s67, -1
	s_xor_b32 s1, s64, -1
	;; [unrolled: 1-line block ×3, first 2 shown]
	s_mov_b32 s2, 0
	s_and_saveexec_b32 s5, s1
	s_delay_alu instid0(SALU_CYCLE_1)
	s_xor_b32 s1, exec_lo, s5
	s_cbranch_execz .LBB96_259
; %bb.246:
	s_and_saveexec_b32 s2, s4
	s_delay_alu instid0(SALU_CYCLE_1)
	s_xor_b32 s4, exec_lo, s2
	s_cbranch_execz .LBB96_257
; %bb.247:
	s_and_saveexec_b32 s2, s3
	s_delay_alu instid0(SALU_CYCLE_1)
	s_xor_b32 s2, exec_lo, s2
; %bb.248:
	v_xor_b32_e32 v3, 0x80000000, v3
	s_delay_alu instid0(VALU_DEP_1)
	v_dual_mov_b32 v5, v3 :: v_dual_mov_b32 v4, v2
; %bb.249:
	s_or_b32 exec_lo, exec_lo, s2
	s_mul_i32 s2, s46, s33
	s_mov_b32 s3, 0
	v_mov_b32_e32 v11, 0
	s_lshl_b64 s[6:7], s[2:3], 3
	s_delay_alu instid0(SALU_CYCLE_1)
	s_add_u32 s6, s36, s6
	s_addc_u32 s7, s37, s7
	global_store_b64 v11, v[4:5], s[6:7]
	s_and_saveexec_b32 s2, s0
	s_cbranch_execz .LBB96_256
; %bb.250:
                                        ; implicit-def: $sgpr0
                                        ; implicit-def: $sgpr6
                                        ; implicit-def: $sgpr5
	s_set_inst_prefetch_distance 0x1
	s_branch .LBB96_252
	.p2align	6
.LBB96_251:                             ;   in Loop: Header=BB96_252 Depth=1
	s_or_b32 exec_lo, exec_lo, s7
	s_delay_alu instid0(SALU_CYCLE_1) | instskip(NEXT) | instid1(SALU_CYCLE_1)
	s_and_b32 s7, exec_lo, s6
	s_or_b32 s3, s7, s3
	s_and_not1_b32 s0, s0, exec_lo
	s_and_b32 s7, s5, exec_lo
	s_delay_alu instid0(SALU_CYCLE_1)
	s_or_b32 s0, s0, s7
	s_and_not1_b32 exec_lo, exec_lo, s3
	s_cbranch_execz .LBB96_254
.LBB96_252:                             ; =>This Inner Loop Header: Depth=1
	v_lshlrev_b64 v[1:2], 3, v[10:11]
	s_or_b32 s5, s5, exec_lo
	s_or_b32 s6, s6, exec_lo
	s_delay_alu instid0(VALU_DEP_1) | instskip(NEXT) | instid1(VALU_DEP_2)
	v_add_co_u32 v1, vcc_lo, s31, v1
	v_add_co_ci_u32_e32 v2, vcc_lo, s44, v2, vcc_lo
	global_load_b64 v[1:2], v[1:2], off
	s_waitcnt vmcnt(0)
	v_cmp_ne_u64_e32 vcc_lo, v[1:2], v[4:5]
	v_mov_b32_e32 v1, v0
                                        ; implicit-def: $vgpr0
	s_and_saveexec_b32 s7, vcc_lo
	s_cbranch_execz .LBB96_251
; %bb.253:                              ;   in Loop: Header=BB96_252 Depth=1
	s_delay_alu instid0(VALU_DEP_1) | instskip(SKIP_3) | instid1(VALU_DEP_2)
	v_add_nc_u32_e32 v0, s45, v1
	s_and_not1_b32 s6, s6, exec_lo
	v_add_nc_u32_e32 v10, s49, v10
	s_and_not1_b32 s5, s5, exec_lo
	v_cmp_le_u32_e32 vcc_lo, s28, v0
	s_and_b32 s8, vcc_lo, exec_lo
	s_delay_alu instid0(SALU_CYCLE_1)
	s_or_b32 s6, s6, s8
	s_branch .LBB96_251
.LBB96_254:
	s_set_inst_prefetch_distance 0x2
	s_or_b32 exec_lo, exec_lo, s3
	s_and_saveexec_b32 s3, s0
	s_delay_alu instid0(SALU_CYCLE_1)
	s_xor_b32 s3, exec_lo, s3
	s_cbranch_execz .LBB96_256
; %bb.255:
	s_mul_i32 s6, s29, s33
	s_mov_b32 s7, 0
	v_mov_b32_e32 v2, 0
	s_lshl_b64 s[6:7], s[6:7], 3
	s_delay_alu instid0(SALU_CYCLE_1)
	s_add_u32 s6, s34, s6
	s_addc_u32 s7, s35, s7
	global_store_b64 v2, v[1:2], s[6:7]
.LBB96_256:
	s_or_b32 exec_lo, exec_lo, s2
.LBB96_257:
	s_or_saveexec_b32 s0, s4
	s_mov_b32 s2, 0
	s_xor_b32 exec_lo, exec_lo, s0
	s_cbranch_execnz .LBB96_265
.LBB96_258:
	s_or_b32 exec_lo, exec_lo, s0
	s_delay_alu instid0(SALU_CYCLE_1)
	s_and_b32 s2, s2, exec_lo
.LBB96_259:
	s_and_not1_saveexec_b32 s0, s1
	s_cbranch_execnz .LBB96_263
; %bb.260:
	s_or_b32 exec_lo, exec_lo, s0
	s_and_saveexec_b32 s0, s2
.LBB96_261:
	; divergent unreachable
.LBB96_262:
	s_nop 0
	s_sendmsg sendmsg(MSG_DEALLOC_VGPRS)
	s_endpgm
.LBB96_263:
	s_cbranch_execnz .LBB96_267
; %bb.264:
	s_or_b32 s2, s2, exec_lo
	s_or_b32 exec_lo, exec_lo, s0
	s_and_saveexec_b32 s0, s2
	s_cbranch_execnz .LBB96_261
	s_branch .LBB96_262
.LBB96_265:
	s_cbranch_execnz .LBB96_269
; %bb.266:
	s_mov_b32 s2, exec_lo
	s_branch .LBB96_258
.LBB96_267:
	s_trap 2
	s_sendmsg_rtn_b32 s0, sendmsg(MSG_RTN_GET_DOORBELL)
	s_mov_b32 ttmp2, m0
	s_waitcnt lgkmcnt(0)
	s_and_b32 s0, s0, 0x3ff
	s_delay_alu instid0(SALU_CYCLE_1) | instskip(NEXT) | instid1(SALU_CYCLE_1)
	s_bitset1_b32 s0, 10
	s_mov_b32 m0, s0
	s_sendmsg sendmsg(MSG_INTERRUPT)
	s_mov_b32 m0, ttmp2
.LBB96_268:                             ; =>This Inner Loop Header: Depth=1
	s_sethalt 5
	s_branch .LBB96_268
.LBB96_269:
	s_trap 2
	s_sendmsg_rtn_b32 s0, sendmsg(MSG_RTN_GET_DOORBELL)
	s_mov_b32 ttmp2, m0
	s_waitcnt lgkmcnt(0)
	s_and_b32 s0, s0, 0x3ff
	s_delay_alu instid0(SALU_CYCLE_1) | instskip(NEXT) | instid1(SALU_CYCLE_1)
	s_bitset1_b32 s0, 10
	s_mov_b32 m0, s0
	s_sendmsg sendmsg(MSG_INTERRUPT)
	s_mov_b32 m0, ttmp2
.LBB96_270:                             ; =>This Inner Loop Header: Depth=1
	s_sethalt 5
	s_branch .LBB96_270
	.section	.rodata,"a",@progbits
	.p2align	6, 0x0
	.amdhsa_kernel _ZN2at6native12_GLOBAL__N_112gatherMedianIljLi1EEEvNS_4cuda6detail10TensorInfoIT_T0_EENS5_IlS7_EENS5_IKS6_S7_EES7_S7_S7_b
		.amdhsa_group_segment_fixed_size 4120
		.amdhsa_private_segment_fixed_size 0
		.amdhsa_kernarg_size 920
		.amdhsa_user_sgpr_count 13
		.amdhsa_user_sgpr_dispatch_ptr 0
		.amdhsa_user_sgpr_queue_ptr 0
		.amdhsa_user_sgpr_kernarg_segment_ptr 1
		.amdhsa_user_sgpr_dispatch_id 0
		.amdhsa_user_sgpr_private_segment_size 0
		.amdhsa_wavefront_size32 1
		.amdhsa_uses_dynamic_stack 0
		.amdhsa_enable_private_segment 0
		.amdhsa_system_sgpr_workgroup_id_x 1
		.amdhsa_system_sgpr_workgroup_id_y 1
		.amdhsa_system_sgpr_workgroup_id_z 1
		.amdhsa_system_sgpr_workgroup_info 0
		.amdhsa_system_vgpr_workitem_id 0
		.amdhsa_next_free_vgpr 49
		.amdhsa_next_free_sgpr 82
		.amdhsa_reserve_vcc 1
		.amdhsa_float_round_mode_32 0
		.amdhsa_float_round_mode_16_64 0
		.amdhsa_float_denorm_mode_32 3
		.amdhsa_float_denorm_mode_16_64 3
		.amdhsa_dx10_clamp 1
		.amdhsa_ieee_mode 1
		.amdhsa_fp16_overflow 0
		.amdhsa_workgroup_processor_mode 1
		.amdhsa_memory_ordered 1
		.amdhsa_forward_progress 0
		.amdhsa_shared_vgpr_count 0
		.amdhsa_exception_fp_ieee_invalid_op 0
		.amdhsa_exception_fp_denorm_src 0
		.amdhsa_exception_fp_ieee_div_zero 0
		.amdhsa_exception_fp_ieee_overflow 0
		.amdhsa_exception_fp_ieee_underflow 0
		.amdhsa_exception_fp_ieee_inexact 0
		.amdhsa_exception_int_div_zero 0
	.end_amdhsa_kernel
	.section	.text._ZN2at6native12_GLOBAL__N_112gatherMedianIljLi1EEEvNS_4cuda6detail10TensorInfoIT_T0_EENS5_IlS7_EENS5_IKS6_S7_EES7_S7_S7_b,"axG",@progbits,_ZN2at6native12_GLOBAL__N_112gatherMedianIljLi1EEEvNS_4cuda6detail10TensorInfoIT_T0_EENS5_IlS7_EENS5_IKS6_S7_EES7_S7_S7_b,comdat
.Lfunc_end96:
	.size	_ZN2at6native12_GLOBAL__N_112gatherMedianIljLi1EEEvNS_4cuda6detail10TensorInfoIT_T0_EENS5_IlS7_EENS5_IKS6_S7_EES7_S7_S7_b, .Lfunc_end96-_ZN2at6native12_GLOBAL__N_112gatherMedianIljLi1EEEvNS_4cuda6detail10TensorInfoIT_T0_EENS5_IlS7_EENS5_IKS6_S7_EES7_S7_S7_b
                                        ; -- End function
	.section	.AMDGPU.csdata,"",@progbits
; Kernel info:
; codeLenInByte = 9732
; NumSgprs: 84
; NumVgprs: 49
; ScratchSize: 0
; MemoryBound: 0
; FloatMode: 240
; IeeeMode: 1
; LDSByteSize: 4120 bytes/workgroup (compile time only)
; SGPRBlocks: 10
; VGPRBlocks: 6
; NumSGPRsForWavesPerEU: 84
; NumVGPRsForWavesPerEU: 49
; Occupancy: 16
; WaveLimiterHint : 1
; COMPUTE_PGM_RSRC2:SCRATCH_EN: 0
; COMPUTE_PGM_RSRC2:USER_SGPR: 13
; COMPUTE_PGM_RSRC2:TRAP_HANDLER: 0
; COMPUTE_PGM_RSRC2:TGID_X_EN: 1
; COMPUTE_PGM_RSRC2:TGID_Y_EN: 1
; COMPUTE_PGM_RSRC2:TGID_Z_EN: 1
; COMPUTE_PGM_RSRC2:TIDIG_COMP_CNT: 0
	.section	.text._ZN2at6native12_GLOBAL__N_112gatherMedianIljLi2EEEvNS_4cuda6detail10TensorInfoIT_T0_EENS5_IlS7_EENS5_IKS6_S7_EES7_S7_S7_b,"axG",@progbits,_ZN2at6native12_GLOBAL__N_112gatherMedianIljLi2EEEvNS_4cuda6detail10TensorInfoIT_T0_EENS5_IlS7_EENS5_IKS6_S7_EES7_S7_S7_b,comdat
	.globl	_ZN2at6native12_GLOBAL__N_112gatherMedianIljLi2EEEvNS_4cuda6detail10TensorInfoIT_T0_EENS5_IlS7_EENS5_IKS6_S7_EES7_S7_S7_b ; -- Begin function _ZN2at6native12_GLOBAL__N_112gatherMedianIljLi2EEEvNS_4cuda6detail10TensorInfoIT_T0_EENS5_IlS7_EENS5_IKS6_S7_EES7_S7_S7_b
	.p2align	8
	.type	_ZN2at6native12_GLOBAL__N_112gatherMedianIljLi2EEEvNS_4cuda6detail10TensorInfoIT_T0_EENS5_IlS7_EENS5_IKS6_S7_EES7_S7_S7_b,@function
_ZN2at6native12_GLOBAL__N_112gatherMedianIljLi2EEEvNS_4cuda6detail10TensorInfoIT_T0_EENS5_IlS7_EENS5_IKS6_S7_EES7_S7_S7_b: ; @_ZN2at6native12_GLOBAL__N_112gatherMedianIljLi2EEEvNS_4cuda6detail10TensorInfoIT_T0_EENS5_IlS7_EENS5_IKS6_S7_EES7_S7_S7_b
; %bb.0:
	s_clause 0x1
	s_load_b64 s[6:7], s[0:1], 0x298
	s_load_b128 s[28:31], s[0:1], 0x288
	s_add_u32 s4, s0, 0x298
	s_addc_u32 s5, s1, 0
	s_waitcnt lgkmcnt(0)
	s_mul_i32 s2, s7, s15
	s_delay_alu instid0(SALU_CYCLE_1) | instskip(NEXT) | instid1(SALU_CYCLE_1)
	s_add_i32 s2, s2, s14
	s_mul_i32 s33, s2, s6
	s_delay_alu instid0(SALU_CYCLE_1) | instskip(NEXT) | instid1(SALU_CYCLE_1)
	s_add_i32 s33, s33, s13
	s_cmp_ge_u32 s33, s29
	s_cbranch_scc1 .LBB97_262
; %bb.1:
	s_clause 0x2
	s_load_b32 s48, s[0:1], 0xc
	s_load_b32 s29, s[0:1], 0xe4
	;; [unrolled: 1-line block ×3, first 2 shown]
	v_cmp_eq_u32_e64 s2, 0, v0
	s_waitcnt lgkmcnt(0)
	v_cvt_f32_u32_e32 v1, s48
	v_cvt_f32_u32_e32 v2, s29
	;; [unrolled: 1-line block ×3, first 2 shown]
	s_sub_i32 s11, 0, s3
	s_sub_i32 s9, 0, s48
	v_rcp_iflag_f32_e32 v1, v1
	v_rcp_iflag_f32_e32 v2, v2
	;; [unrolled: 1-line block ×3, first 2 shown]
	s_sub_i32 s10, 0, s29
	s_waitcnt_depctr 0xfff
	v_dual_mul_f32 v1, 0x4f7ffffe, v1 :: v_dual_mul_f32 v2, 0x4f7ffffe, v2
	v_mul_f32_e32 v3, 0x4f7ffffe, v3
	s_delay_alu instid0(VALU_DEP_2) | instskip(NEXT) | instid1(VALU_DEP_3)
	v_cvt_u32_f32_e32 v1, v1
	v_cvt_u32_f32_e32 v2, v2
	s_delay_alu instid0(VALU_DEP_3) | instskip(NEXT) | instid1(VALU_DEP_3)
	v_cvt_u32_f32_e32 v3, v3
	v_readfirstlane_b32 s8, v1
	s_delay_alu instid0(VALU_DEP_3) | instskip(NEXT) | instid1(VALU_DEP_3)
	v_readfirstlane_b32 s7, v2
	v_readfirstlane_b32 s12, v3
	s_delay_alu instid0(VALU_DEP_3) | instskip(NEXT) | instid1(VALU_DEP_2)
	s_mul_i32 s9, s9, s8
	s_mul_i32 s10, s10, s7
	s_delay_alu instid0(VALU_DEP_1)
	s_mul_i32 s11, s11, s12
	s_mul_hi_u32 s9, s8, s9
	s_mul_hi_u32 s11, s12, s11
	;; [unrolled: 1-line block ×3, first 2 shown]
	s_add_i32 s12, s12, s11
	s_and_saveexec_b32 s10, s2
	s_cbranch_execz .LBB97_3
; %bb.2:
	v_mov_b32_e32 v1, 0
	s_delay_alu instid0(VALU_DEP_1)
	v_mov_b32_e32 v2, v1
	ds_store_b64 v1, v[1:2] offset:4096
.LBB97_3:
	s_or_b32 exec_lo, exec_lo, s10
	v_mov_b32_e32 v1, 0
	s_waitcnt lgkmcnt(0)
	s_barrier
	buffer_gl0_inv
	s_barrier
	buffer_gl0_inv
	ds_load_b64 v[1:2], v1 offset:4096
	s_add_i32 s15, s8, s9
	s_clause 0x1
	s_load_b64 s[10:11], s[0:1], 0x21c
	s_load_b64 s[8:9], s[0:1], 0x1b0
	s_add_i32 s14, s7, s14
	s_bitcmp1_b32 s31, 0
	s_mov_b32 s78, s28
	s_cselect_b32 s7, -1, 0
	s_waitcnt lgkmcnt(0)
	v_cmp_gt_i64_e32 vcc_lo, 1, v[1:2]
	s_or_b32 s16, s7, vcc_lo
	s_mul_hi_u32 s7, s33, s12
	s_and_not1_b32 vcc_lo, exec_lo, s16
	s_cbranch_vccnz .LBB97_5
; %bb.4:
	v_not_b32_e32 v1, v1
	v_not_b32_e32 v2, v2
	s_delay_alu instid0(VALU_DEP_2) | instskip(NEXT) | instid1(VALU_DEP_2)
	v_add_co_u32 v1, vcc_lo, v1, s28
	v_add_co_ci_u32_e32 v2, vcc_lo, 0, v2, vcc_lo
	s_delay_alu instid0(VALU_DEP_1) | instskip(NEXT) | instid1(VALU_DEP_1)
	v_lshrrev_b32_e32 v3, 31, v2
	v_add_co_u32 v1, vcc_lo, v1, v3
	v_add_co_ci_u32_e32 v2, vcc_lo, 0, v2, vcc_lo
	s_delay_alu instid0(VALU_DEP_1) | instskip(NEXT) | instid1(VALU_DEP_1)
	v_alignbit_b32 v1, v2, v1, 1
	v_readfirstlane_b32 s12, v1
	s_delay_alu instid0(VALU_DEP_1)
	s_add_i32 s78, s12, 1
.LBB97_5:
	s_clause 0x3
	s_load_b64 s[36:37], s[0:1], 0x144
	s_load_b64 s[34:35], s[0:1], 0xd8
	;; [unrolled: 1-line block ×4, first 2 shown]
	s_mul_hi_u32 s52, s33, s15
	s_mul_hi_u32 s31, s33, s14
	s_and_saveexec_b32 s0, s2
	s_cbranch_execz .LBB97_7
; %bb.6:
	v_dual_mov_b32 v1, 0 :: v_dual_mov_b32 v2, s28
	ds_store_b32 v1, v1 offset:4112
	ds_store_b64 v1, v[1:2] offset:4104
.LBB97_7:
	s_or_b32 exec_lo, exec_lo, s0
	s_mul_i32 s0, s7, s3
	s_add_i32 s1, s7, 1
	s_sub_i32 s0, s33, s0
	s_waitcnt lgkmcnt(0)
	s_sub_i32 s12, s0, s3
	s_cmp_ge_u32 s0, s3
	s_barrier
	buffer_gl0_inv
	s_load_b32 s14, s[4:5], 0xc
	s_cselect_b32 s1, s1, s7
	s_cselect_b32 s0, s12, s0
	s_add_i32 s7, s1, 1
	s_cmp_ge_u32 s0, s3
	s_mov_b32 s27, 0
	s_cselect_b32 s0, s7, s1
	v_mbcnt_lo_u32_b32 v22, -1, 0
	s_mul_i32 s1, s0, s3
	s_mul_i32 s0, s0, s10
	s_sub_i32 s1, s33, s1
	v_cmp_gt_u32_e32 vcc_lo, 32, v0
	s_mul_i32 s1, s1, s11
	v_dual_mov_b32 v12, 0 :: v_dual_lshlrev_b32 v23, 2, v0
	s_add_i32 s26, s0, s1
	v_mul_lo_u32 v10, v0, s30
	s_lshl_b64 s[0:1], s[26:27], 3
	v_lshlrev_b64 v[3:4], v22, -1
	s_add_u32 s49, s8, s0
	s_addc_u32 s50, s9, s1
	s_waitcnt lgkmcnt(0)
	s_and_b32 s51, s14, 0xffff
	v_cmp_gt_i32_e64 s0, 4, v22
	s_lshl_b32 s53, s51, 2
	s_add_i32 s55, s51, -1
	v_cvt_f32_u32_e32 v1, s53
	s_bfe_u32 s1, s14, 0xb0005
	s_and_b32 s56, vcc_lo, s0
	s_add_i32 s7, s55, s28
	s_cmpk_gt_u32 s28, 0x180
	v_rcp_iflag_f32_e32 v1, v1
	s_cselect_b32 s57, -1, 0
	s_cmp_gt_u32 s51, 31
	v_cvt_f32_u32_e32 v2, s51
	s_cselect_b32 s58, -1, 0
	s_cmp_lt_u32 s13, s6
	v_lshlrev_b32_e32 v24, 3, v0
	s_cselect_b32 s3, 12, 18
	v_rcp_iflag_f32_e32 v2, v2
	s_add_u32 s42, s4, s3
	s_waitcnt_depctr 0xfff
	v_mul_f32_e32 v1, 0x4f7ffffe, v1
	s_addc_u32 s43, s5, 0
	s_add_i32 s3, s1, -1
	s_bfe_u32 s59, s51, 0x30005
	s_cmp_gt_u32 s3, 6
	v_cvt_u32_f32_e32 v1, v1
	s_cselect_b32 s60, -1, 0
	s_and_b32 s61, s1, 0x7f8
	s_cmp_lg_u32 s59, 0
	v_mov_b32_e32 v11, v12
	v_readfirstlane_b32 s3, v1
	s_cselect_b32 s62, -1, 0
	s_sub_i32 s4, 0, s53
	v_not_b32_e32 v28, v3
	v_or_b32_e32 v3, 3, v23
	s_mul_i32 s4, s4, s3
	v_lshrrev_b32_e32 v5, 3, v0
	s_mul_hi_u32 s4, s3, s4
	v_mad_u64_u32 v[17:18], null, s30, v23, s[30:31]
	s_add_i32 s63, s3, s4
	v_mul_lo_u32 v30, s30, v3
	s_mul_hi_u32 s4, s28, s63
	v_add_nc_u32_e32 v25, 0xc00, v24
	s_mul_i32 s4, s4, s53
	v_dual_mov_b32 v4, 0 :: v_dual_and_b32 v27, 0x7c, v5
	s_sub_i32 s4, s28, s4
	v_cmp_gt_u32_e64 s0, s28, v0
	s_sub_i32 s5, s4, s53
	s_cmp_ge_u32 s4, s53
	v_cmp_gt_u32_e64 s1, 2, v0
	s_cselect_b32 s4, s5, s4
	v_cmp_eq_u32_e64 s3, 0, v22
	s_sub_i32 s6, s4, s53
	s_cmp_ge_u32 s4, s53
	v_lshlrev_b32_e32 v31, 2, v10
	s_cselect_b32 s8, s6, s4
	s_sub_i32 s4, 0, s51
	s_sub_i32 s64, s28, s8
	s_delay_alu instid0(SALU_CYCLE_1) | instskip(SKIP_3) | instid1(VALU_DEP_4)
	v_dual_mul_f32 v1, 0x4f7ffffe, v2 :: v_dual_add_nc_u32 v26, s64, v0
	v_lshlrev_b32_e32 v33, 5, v0
	v_lshl_or_b32 v34, v22, 2, 0xc00
	v_mov_b32_e32 v5, 0
	v_cvt_u32_f32_e32 v1, v1
	s_mul_i32 s54, s30, s51
	s_mov_b32 s72, 62
	s_mov_b64 s[44:45], 0
	s_mov_b32 s76, s27
	v_readfirstlane_b32 s5, v1
	v_lshlrev_b64 v[1:2], 3, v[10:11]
	v_mul_lo_u32 v11, v26, s30
	s_mov_b64 s[46:47], 0
                                        ; implicit-def: $sgpr70
                                        ; implicit-def: $sgpr73
                                        ; implicit-def: $sgpr71
                                        ; implicit-def: $sgpr75
                                        ; implicit-def: $sgpr77
                                        ; implicit-def: $sgpr74
	s_delay_alu instid0(VALU_DEP_3) | instskip(NEXT) | instid1(SALU_CYCLE_1)
	s_mul_i32 s4, s4, s5
	s_mul_hi_u32 s4, s5, s4
	s_delay_alu instid0(VALU_DEP_2) | instskip(SKIP_2) | instid1(VALU_DEP_3)
	v_add_co_u32 v13, vcc_lo, s49, v1
	s_add_i32 s65, s5, s4
	v_add_co_ci_u32_e32 v14, vcc_lo, s50, v2, vcc_lo
	v_lshlrev_b64 v[1:2], 3, v[11:12]
	s_mul_hi_u32 s4, s7, s65
	s_delay_alu instid0(SALU_CYCLE_1) | instskip(NEXT) | instid1(SALU_CYCLE_1)
	s_mul_i32 s4, s4, s51
	s_sub_i32 s4, s7, s4
	s_delay_alu instid0(VALU_DEP_1)
	v_add_co_u32 v15, vcc_lo, s49, v1
	v_add3_u32 v1, s51, s28, v0
	s_sub_i32 s5, s4, s51
	s_cmp_ge_u32 s4, s51
	v_add_co_ci_u32_e32 v16, vcc_lo, s50, v2, vcc_lo
	s_cselect_b32 s5, s5, s4
	v_or_b32_e32 v2, 2, v23
	v_subrev_nc_u32_e32 v1, s8, v1
	s_sub_i32 s6, s5, s51
	s_cmp_ge_u32 s5, s51
	v_cmp_gt_u32_e64 s4, s64, v23
	s_cselect_b32 s6, s6, s5
	v_mul_lo_u32 v29, s30, v2
	v_mul_lo_u32 v32, s30, v1
	s_sub_i32 s66, s7, s6
	v_cmp_gt_u32_e64 s5, s28, v26
	v_cmp_gt_u32_e64 s6, s66, v0
	v_mov_b32_e32 v1, 1
	s_lshl_b32 s67, s54, 2
	s_lshl_b32 s68, s51, 5
	;; [unrolled: 1-line block ×3, first 2 shown]
	s_branch .LBB97_12
.LBB97_8:                               ;   in Loop: Header=BB97_12 Depth=1
	s_xor_b32 s76, s76, 1
	s_add_i32 s10, s72, -2
	s_cmp_eq_u32 s72, 0
	s_mov_b32 s7, 0
	s_cselect_b32 s9, -1, 0
	s_mov_b32 s72, s10
.LBB97_9:                               ;   in Loop: Header=BB97_12 Depth=1
	s_and_not1_b32 s10, s21, exec_lo
	s_and_b32 s7, s7, exec_lo
	s_and_not1_b32 s23, s23, exec_lo
	s_or_b32 s21, s10, s7
	s_and_not1_b32 s20, s20, exec_lo
	s_or_not1_b32 s18, s9, exec_lo
	s_mov_b32 s78, s26
.LBB97_10:                              ;   in Loop: Header=BB97_12 Depth=1
	s_or_b32 exec_lo, exec_lo, s8
	s_delay_alu instid0(SALU_CYCLE_1)
	s_and_not1_b32 s7, s74, exec_lo
	s_and_b32 s8, s21, exec_lo
	s_and_not1_b32 s9, s75, exec_lo
	s_or_b32 s74, s7, s8
	s_and_not1_b32 s7, s77, exec_lo
	s_and_b32 s8, s23, exec_lo
	s_and_b32 s10, s20, exec_lo
	s_or_b32 s77, s7, s8
	s_or_b32 s75, s9, s10
	s_or_not1_b32 s12, s18, exec_lo
.LBB97_11:                              ;   in Loop: Header=BB97_12 Depth=1
	s_or_b32 exec_lo, exec_lo, s17
	s_delay_alu instid0(SALU_CYCLE_1)
	s_and_b32 s7, exec_lo, s12
	v_dual_mov_b32 v2, s44 :: v_dual_mov_b32 v3, s45
	s_or_b32 s27, s7, s27
	s_and_not1_b32 s7, s71, exec_lo
	s_and_b32 s8, s74, exec_lo
	s_and_not1_b32 s9, s70, exec_lo
	s_or_b32 s71, s7, s8
	s_and_not1_b32 s7, s73, exec_lo
	s_and_b32 s8, s77, exec_lo
	s_and_b32 s10, s75, exec_lo
	s_or_b32 s73, s7, s8
	s_or_b32 s70, s9, s10
	s_and_not1_b32 exec_lo, exec_lo, s27
	s_cbranch_execz .LBB97_245
.LBB97_12:                              ; =>This Loop Header: Depth=1
                                        ;     Child Loop BB97_20 Depth 2
                                        ;     Child Loop BB97_35 Depth 2
	;; [unrolled: 1-line block ×16, first 2 shown]
	ds_load_b64 v[2:3], v12 offset:4104
	s_waitcnt lgkmcnt(0)
	v_readfirstlane_b32 s79, v2
	s_delay_alu instid0(VALU_DEP_1)
	s_cmp_lg_u32 s79, 0
	s_cbranch_scc1 .LBB97_42
; %bb.13:                               ;   in Loop: Header=BB97_12 Depth=1
	s_and_b32 vcc_lo, exec_lo, s57
	s_cbranch_vccz .LBB97_28
; %bb.14:                               ;   in Loop: Header=BB97_12 Depth=1
	v_cmp_gt_u32_e32 vcc_lo, 0x181, v3
	s_mov_b32 s79, 0
	s_mov_b32 s7, 0
	s_cbranch_vccz .LBB97_29
; %bb.15:                               ;   in Loop: Header=BB97_12 Depth=1
	v_mov_b32_e32 v2, 0
	v_mov_b32_e32 v3, 0
	s_and_saveexec_b32 s7, s0
	s_cbranch_execz .LBB97_17
; %bb.16:                               ;   in Loop: Header=BB97_12 Depth=1
	global_load_b64 v[2:3], v[13:14], off
.LBB97_17:                              ;   in Loop: Header=BB97_12 Depth=1
	s_or_b32 exec_lo, exec_lo, s7
	s_and_saveexec_b32 s9, s0
	s_cbranch_execz .LBB97_130
; %bb.18:                               ;   in Loop: Header=BB97_12 Depth=1
	global_load_u16 v8, v12, s[42:43]
	v_mov_b32_e32 v18, v0
	s_mov_b32 s10, 0
	s_waitcnt vmcnt(0)
	v_add_nc_u32_e32 v6, v0, v8
	v_mul_lo_u32 v9, s30, v8
	s_delay_alu instid0(VALU_DEP_2)
	v_mul_lo_u32 v11, s30, v6
	s_branch .LBB97_20
.LBB97_19:                              ;   in Loop: Header=BB97_20 Depth=2
	s_or_b32 exec_lo, exec_lo, s8
	s_waitcnt vmcnt(0)
	v_dual_mov_b32 v2, v6 :: v_dual_add_nc_u32 v11, v11, v9
	v_mov_b32_e32 v3, v7
	s_and_not1_b32 exec_lo, exec_lo, s10
	s_cbranch_execz .LBB97_130
.LBB97_20:                              ;   Parent Loop BB97_12 Depth=1
                                        ; =>  This Inner Loop Header: Depth=2
	v_add_nc_u32_e32 v18, v18, v8
	v_mov_b32_e32 v6, 0
	v_mov_b32_e32 v7, 0
	s_mov_b32 s8, exec_lo
	s_delay_alu instid0(VALU_DEP_3)
	v_cmp_le_u32_e32 vcc_lo, s28, v18
	v_cmpx_gt_u32_e64 s28, v18
	s_cbranch_execz .LBB97_22
; %bb.21:                               ;   in Loop: Header=BB97_20 Depth=2
	v_lshlrev_b64 v[6:7], 3, v[11:12]
	s_delay_alu instid0(VALU_DEP_1) | instskip(NEXT) | instid1(VALU_DEP_1)
	v_add_co_u32 v6, s7, s49, v6
	v_add_co_ci_u32_e64 v7, s7, s50, v7, s7
	global_load_b64 v[6:7], v[6:7], off
.LBB97_22:                              ;   in Loop: Header=BB97_20 Depth=2
	s_or_b32 exec_lo, exec_lo, s8
	s_waitcnt lgkmcnt(0)
	v_xor_b32_e32 v19, 0x80000000, v3
	s_delay_alu instid0(VALU_DEP_1) | instskip(SKIP_1) | instid1(VALU_DEP_1)
	v_and_b32_e32 v20, s47, v19
	v_and_b32_e32 v19, s46, v2
	v_cmp_eq_u64_e64 s7, s[44:45], v[19:20]
	v_mov_b32_e32 v19, 0
	s_delay_alu instid0(VALU_DEP_2) | instskip(SKIP_1) | instid1(SALU_CYCLE_1)
	s_cmp_lg_u32 s7, 0
	s_cselect_b32 s8, -1, 0
	s_and_b32 s8, s3, s8
	s_delay_alu instid0(SALU_CYCLE_1)
	s_and_saveexec_b32 s11, s8
	s_cbranch_execz .LBB97_26
; %bb.23:                               ;   in Loop: Header=BB97_20 Depth=2
	s_mov_b32 s14, exec_lo
	s_bcnt1_i32_b32 s12, s7
	v_mbcnt_lo_u32_b32 v19, s14, 0
	s_mov_b32 s13, exec_lo
                                        ; implicit-def: $vgpr20
	s_delay_alu instid0(VALU_DEP_1)
	v_cmpx_eq_u32_e32 0, v19
	s_cbranch_execz .LBB97_25
; %bb.24:                               ;   in Loop: Header=BB97_20 Depth=2
	s_bcnt1_i32_b32 s8, s14
	s_delay_alu instid0(SALU_CYCLE_1) | instskip(NEXT) | instid1(SALU_CYCLE_1)
	s_mul_i32 s8, s12, s8
	v_mov_b32_e32 v20, s8
	ds_add_rtn_u32 v20, v12, v20 offset:4112
.LBB97_25:                              ;   in Loop: Header=BB97_20 Depth=2
	s_or_b32 exec_lo, exec_lo, s13
	s_waitcnt lgkmcnt(0)
	v_readfirstlane_b32 s8, v20
	s_delay_alu instid0(VALU_DEP_1)
	v_mad_u32_u24 v19, s12, v19, s8
.LBB97_26:                              ;   in Loop: Header=BB97_20 Depth=2
	s_or_b32 exec_lo, exec_lo, s11
	ds_bpermute_b32 v19, v12, v19
	s_and_b32 s8, exec_lo, vcc_lo
	s_delay_alu instid0(SALU_CYCLE_1)
	s_or_b32 s10, s8, s10
	s_and_saveexec_b32 s8, s7
	s_cbranch_execz .LBB97_19
; %bb.27:                               ;   in Loop: Header=BB97_20 Depth=2
	v_and_b32_e32 v20, s7, v28
	s_delay_alu instid0(VALU_DEP_1) | instskip(NEXT) | instid1(VALU_DEP_1)
	v_bcnt_u32_b32 v20, v20, 0
	v_lshlrev_b32_e32 v20, 3, v20
	s_waitcnt lgkmcnt(0)
	s_delay_alu instid0(VALU_DEP_1)
	v_lshl_add_u32 v19, v19, 3, v20
	ds_store_b64 v19, v[2:3]
	s_branch .LBB97_19
.LBB97_28:                              ;   in Loop: Header=BB97_12 Depth=1
	s_mov_b32 s79, -1
	s_mov_b32 s7, 0
.LBB97_29:                              ;   in Loop: Header=BB97_12 Depth=1
	s_and_b32 vcc_lo, exec_lo, s79
	s_cbranch_vccz .LBB97_40
.LBB97_30:                              ;   in Loop: Header=BB97_12 Depth=1
	v_mov_b32_e32 v2, 0
	v_mov_b32_e32 v3, 0
	s_and_saveexec_b32 s7, s0
	s_cbranch_execz .LBB97_32
; %bb.31:                               ;   in Loop: Header=BB97_12 Depth=1
	global_load_b64 v[2:3], v[13:14], off
.LBB97_32:                              ;   in Loop: Header=BB97_12 Depth=1
	s_or_b32 exec_lo, exec_lo, s7
	s_and_saveexec_b32 s8, s0
	s_cbranch_execz .LBB97_37
; %bb.33:                               ;   in Loop: Header=BB97_12 Depth=1
	global_load_u16 v8, v12, s[42:43]
	v_mov_b32_e32 v20, v0
	s_mov_b32 s9, 0
	v_mov_b32_e32 v19, v24
	s_waitcnt vmcnt(0)
	v_add_nc_u32_e32 v6, v0, v8
	v_mul_lo_u32 v9, s30, v8
	v_lshlrev_b32_e32 v18, 3, v8
	s_delay_alu instid0(VALU_DEP_3)
	v_mul_lo_u32 v11, s30, v6
	s_set_inst_prefetch_distance 0x1
	s_branch .LBB97_35
	.p2align	6
.LBB97_34:                              ;   in Loop: Header=BB97_35 Depth=2
	s_or_b32 exec_lo, exec_lo, s10
	ds_store_b64 v19, v[2:3]
	s_waitcnt vmcnt(0)
	v_dual_mov_b32 v2, v6 :: v_dual_add_nc_u32 v19, v19, v18
	v_add_nc_u32_e32 v11, v11, v9
	v_mov_b32_e32 v3, v7
	s_and_b32 s7, exec_lo, vcc_lo
	s_delay_alu instid0(SALU_CYCLE_1) | instskip(NEXT) | instid1(SALU_CYCLE_1)
	s_or_b32 s9, s7, s9
	s_and_not1_b32 exec_lo, exec_lo, s9
	s_cbranch_execz .LBB97_37
.LBB97_35:                              ;   Parent Loop BB97_12 Depth=1
                                        ; =>  This Inner Loop Header: Depth=2
	v_add_nc_u32_e32 v20, v20, v8
	v_mov_b32_e32 v6, 0
	v_mov_b32_e32 v7, 0
	s_mov_b32 s10, exec_lo
	s_delay_alu instid0(VALU_DEP_3)
	v_cmp_le_u32_e32 vcc_lo, s28, v20
	v_cmpx_gt_u32_e64 s28, v20
	s_cbranch_execz .LBB97_34
; %bb.36:                               ;   in Loop: Header=BB97_35 Depth=2
	v_lshlrev_b64 v[6:7], 3, v[11:12]
	s_delay_alu instid0(VALU_DEP_1) | instskip(NEXT) | instid1(VALU_DEP_1)
	v_add_co_u32 v6, s7, s49, v6
	v_add_co_ci_u32_e64 v7, s7, s50, v7, s7
	global_load_b64 v[6:7], v[6:7], off
	s_branch .LBB97_34
.LBB97_37:                              ;   in Loop: Header=BB97_12 Depth=1
	s_set_inst_prefetch_distance 0x2
	s_or_b32 exec_lo, exec_lo, s8
	s_waitcnt vmcnt(0) lgkmcnt(0)
	s_barrier
	buffer_gl0_inv
	s_and_saveexec_b32 s7, s2
	s_cbranch_execz .LBB97_39
; %bb.38:                               ;   in Loop: Header=BB97_12 Depth=1
	v_mov_b32_e32 v2, s28
	ds_store_b32 v12, v2 offset:4104
.LBB97_39:                              ;   in Loop: Header=BB97_12 Depth=1
	s_or_b32 exec_lo, exec_lo, s7
	s_mov_b32 s7, -1
	s_waitcnt lgkmcnt(0)
	s_barrier
                                        ; implicit-def: $sgpr79
.LBB97_40:                              ;   in Loop: Header=BB97_12 Depth=1
	s_and_b32 vcc_lo, exec_lo, s7
	s_cbranch_vccz .LBB97_42
; %bb.41:                               ;   in Loop: Header=BB97_12 Depth=1
	buffer_gl0_inv
	ds_load_b32 v2, v12 offset:4104
	s_waitcnt lgkmcnt(0)
	v_readfirstlane_b32 s79, v2
.LBB97_42:                              ;   in Loop: Header=BB97_12 Depth=1
	s_delay_alu instid0(VALU_DEP_1)
	s_cmp_lt_i32 s79, 1
	s_cbranch_scc0 .LBB97_54
; %bb.43:                               ;   in Loop: Header=BB97_12 Depth=1
	v_dual_mov_b32 v6, 0 :: v_dual_mov_b32 v7, 0
	v_dual_mov_b32 v8, 0 :: v_dual_mov_b32 v9, 0
	s_mov_b32 s22, 0
	s_and_saveexec_b32 s21, s4
	s_cbranch_execz .LBB97_47
; %bb.44:                               ;   in Loop: Header=BB97_12 Depth=1
	v_mov_b32_e32 v2, v23
	s_and_b32 s23, s72, 0xfe
	s_mov_b32 s24, 0
	s_mov_b32 s25, 0
	;; [unrolled: 1-line block ×5, first 2 shown]
.LBB97_45:                              ;   Parent Loop BB97_12 Depth=1
                                        ; =>  This Inner Loop Header: Depth=2
	v_dual_mov_b32 v36, v12 :: v_dual_add_nc_u32 v11, s24, v31
	v_mov_b32_e32 v38, v12
	v_mov_b32_e32 v40, v12
	s_delay_alu instid0(VALU_DEP_3) | instskip(SKIP_1) | instid1(VALU_DEP_1)
	v_lshlrev_b64 v[6:7], 3, v[11:12]
	v_add_nc_u32_e32 v11, s24, v17
	v_lshlrev_b64 v[8:9], 3, v[11:12]
	v_add_nc_u32_e32 v11, s24, v29
	s_delay_alu instid0(VALU_DEP_4) | instskip(SKIP_1) | instid1(VALU_DEP_3)
	v_add_co_u32 v6, vcc_lo, s49, v6
	v_add_co_ci_u32_e32 v7, vcc_lo, s50, v7, vcc_lo
	v_lshlrev_b64 v[18:19], 3, v[11:12]
	v_add_co_u32 v8, vcc_lo, s49, v8
	global_load_b64 v[6:7], v[6:7], off
	v_add_nc_u32_e32 v11, s24, v30
	v_add_co_ci_u32_e32 v9, vcc_lo, s50, v9, vcc_lo
	v_add_co_u32 v18, vcc_lo, s49, v18
	v_add_co_ci_u32_e32 v19, vcc_lo, s50, v19, vcc_lo
	s_delay_alu instid0(VALU_DEP_4)
	v_lshlrev_b64 v[20:21], 3, v[11:12]
	s_clause 0x1
	global_load_b64 v[8:9], v[8:9], off
	global_load_b64 v[18:19], v[18:19], off
	s_add_i32 s24, s24, s67
	v_add_co_u32 v20, vcc_lo, s49, v20
	v_add_co_ci_u32_e32 v21, vcc_lo, s50, v21, vcc_lo
	global_load_b64 v[20:21], v[20:21], off
	s_waitcnt vmcnt(3)
	v_xor_b32_e32 v7, 0x80000000, v7
	v_and_b32_e32 v41, s46, v6
	s_delay_alu instid0(VALU_DEP_2)
	v_and_b32_e32 v42, s47, v7
	v_lshrrev_b64 v[6:7], s23, v[6:7]
	s_waitcnt vmcnt(2)
	v_xor_b32_e32 v9, 0x80000000, v9
	s_waitcnt vmcnt(1)
	v_xor_b32_e32 v19, 0x80000000, v19
	v_cmp_eq_u64_e64 s7, s[44:45], v[41:42]
	v_and_b32_e32 v11, 3, v6
	v_and_b32_e32 v43, s46, v8
	v_lshrrev_b64 v[41:42], s23, v[8:9]
	v_and_b32_e32 v7, s46, v18
	v_and_b32_e32 v8, s47, v19
	v_cmp_eq_u64_e64 s9, 0, v[11:12]
	v_lshrrev_b64 v[18:19], s23, v[18:19]
	v_and_b32_e32 v44, s47, v9
	v_and_b32_e32 v35, 3, v41
	v_cmp_eq_u64_e64 s10, 1, v[11:12]
	s_waitcnt vmcnt(0)
	v_xor_b32_e32 v21, 0x80000000, v21
	v_cmp_eq_u64_e64 s11, 2, v[11:12]
	v_cmp_eq_u64_e64 s12, 3, v[11:12]
	s_and_b32 s9, s7, s9
	v_cmp_eq_u64_e64 s8, s[44:45], v[43:44]
	v_and_b32_e32 v37, 3, v18
	v_cmp_eq_u64_e64 s14, 0, v[35:36]
	v_cmp_eq_u64_e64 s15, 1, v[35:36]
	;; [unrolled: 1-line block ×3, first 2 shown]
	v_lshrrev_b64 v[8:9], s23, v[20:21]
	v_cndmask_b32_e64 v3, 0, 1, s9
	s_and_b32 s9, s7, s10
	v_and_b32_e32 v6, s46, v20
	v_and_b32_e32 v7, s47, v21
	v_cmp_eq_u64_e64 s16, 2, v[35:36]
	v_cndmask_b32_e64 v9, 0, 1, s9
	s_and_b32 s9, s7, s11
	v_cmp_eq_u64_e64 s17, 3, v[35:36]
	s_and_b32 s7, s7, s12
	v_cndmask_b32_e64 v11, 0, 1, s9
	v_cmp_eq_u64_e64 s9, 0, v[37:38]
	v_cndmask_b32_e64 v18, 0, 1, s7
	s_and_b32 s14, s8, s14
	s_and_b32 s15, s8, s15
	v_and_b32_e32 v39, 3, v8
	v_cmp_eq_u64_e64 s10, 1, v[37:38]
	v_cmp_eq_u64_e64 s7, s[44:45], v[6:7]
	v_cmp_ne_u32_e64 s18, 0, v3
	v_cndmask_b32_e64 v3, 0, 1, s14
	v_cndmask_b32_e64 v6, 0, 1, s15
	s_and_b32 s16, s8, s16
	v_cmp_eq_u64_e64 s11, 2, v[37:38]
	s_and_b32 s8, s8, s17
	v_cndmask_b32_e64 v7, 0, 1, s16
	v_cmp_ne_u32_e64 s16, 0, v18
	s_and_b32 s9, s13, s9
	v_cmp_eq_u64_e64 s12, 3, v[37:38]
	v_cndmask_b32_e64 v8, 0, 1, s8
	v_cmp_eq_u64_e64 s8, 0, v[39:40]
	v_cmp_eq_u64_e64 s17, 1, v[39:40]
	s_bcnt1_i32_b32 s82, s18
	v_cmp_ne_u32_e64 s18, 0, v3
	v_cndmask_b32_e64 v3, 0, 1, s9
	v_cmp_ne_u32_e64 s9, 0, v6
	s_and_b32 s10, s13, s10
	s_and_b32 s11, s13, s11
	v_cndmask_b32_e64 v6, 0, 1, s10
	s_bcnt1_i32_b32 s16, s16
	v_cmp_eq_u64_e64 s19, 2, v[39:40]
	v_cmp_eq_u64_e64 s20, 3, v[39:40]
	v_cmp_ne_u32_e64 s10, 0, v7
	v_cndmask_b32_e64 v7, 0, 1, s11
	v_cmp_ne_u32_e64 s11, 0, v8
	s_and_b32 s12, s13, s12
	s_add_i32 s16, s16, s25
	s_and_b32 s8, s7, s8
	s_bcnt1_i32_b32 s25, s9
	s_and_b32 s9, s7, s17
	v_cmp_ne_u32_e64 s14, 0, v9
	v_cndmask_b32_e64 v8, 0, 1, s12
	v_cmp_ne_u32_e64 s12, 0, v3
	v_cndmask_b32_e64 v3, 0, 1, s8
	;; [unrolled: 2-line block ×3, first 2 shown]
	v_cmp_ne_u32_e64 s15, 0, v11
	s_bcnt1_i32_b32 s17, s10
	s_and_b32 s10, s7, s19
	s_bcnt1_i32_b32 s11, s11
	s_and_b32 s7, s7, s20
	s_bcnt1_i32_b32 s14, s14
	v_cmp_ne_u32_e64 s9, 0, v7
	v_cndmask_b32_e64 v7, 0, 1, s10
	v_cmp_ne_u32_e64 s10, 0, v8
	v_cndmask_b32_e64 v8, 0, 1, s7
	s_add_i32 s11, s16, s11
	s_bcnt1_i32_b32 s16, s8
	v_cmp_ne_u32_e64 s8, 0, v6
	s_bcnt1_i32_b32 s15, s15
	s_add_i32 s13, s82, s81
	s_add_i32 s14, s14, s80
	s_bcnt1_i32_b32 s18, s18
	s_add_i32 s15, s15, s26
	s_add_i32 s13, s13, s18
	;; [unrolled: 1-line block ×3, first 2 shown]
	s_bcnt1_i32_b32 s12, s12
	s_add_i32 s15, s15, s17
	v_cmp_ne_u32_e64 s7, 0, v3
	s_bcnt1_i32_b32 s17, s9
	v_cmp_ne_u32_e64 s9, 0, v7
	s_bcnt1_i32_b32 s18, s10
	v_cmp_ne_u32_e64 s10, 0, v8
	s_add_i32 s12, s13, s12
	s_add_i32 s13, s14, s16
	s_bcnt1_i32_b32 s8, s8
	s_add_i32 s14, s15, s17
	s_add_i32 s80, s13, s8
	s_delay_alu instid0(SALU_CYCLE_1)
	v_dual_mov_b32 v7, s80 :: v_dual_add_nc_u32 v2, s53, v2
	s_add_i32 s11, s11, s18
	s_bcnt1_i32_b32 s7, s7
	s_bcnt1_i32_b32 s9, s9
	s_bcnt1_i32_b32 s10, s10
	v_cmp_le_u32_e32 vcc_lo, s64, v2
	s_add_i32 s81, s12, s7
	s_add_i32 s26, s14, s9
	;; [unrolled: 1-line block ×3, first 2 shown]
	v_mov_b32_e32 v6, s81
	v_dual_mov_b32 v8, s26 :: v_dual_mov_b32 v9, s25
	s_or_b32 s22, vcc_lo, s22
	s_delay_alu instid0(SALU_CYCLE_1)
	s_and_not1_b32 exec_lo, exec_lo, s22
	s_cbranch_execnz .LBB97_45
; %bb.46:                               ;   in Loop: Header=BB97_12 Depth=1
	s_or_b32 exec_lo, exec_lo, s22
.LBB97_47:                              ;   in Loop: Header=BB97_12 Depth=1
	s_delay_alu instid0(SALU_CYCLE_1)
	s_or_b32 exec_lo, exec_lo, s21
	v_mov_b32_e32 v18, 0
	v_mov_b32_e32 v19, 0
	s_and_saveexec_b32 s7, s5
	s_cbranch_execz .LBB97_49
; %bb.48:                               ;   in Loop: Header=BB97_12 Depth=1
	global_load_b64 v[18:19], v[15:16], off
.LBB97_49:                              ;   in Loop: Header=BB97_12 Depth=1
	s_or_b32 exec_lo, exec_lo, s7
	s_and_saveexec_b32 s11, s5
	s_cbranch_execz .LBB97_56
; %bb.50:                               ;   in Loop: Header=BB97_12 Depth=1
	v_dual_mov_b32 v2, v32 :: v_dual_mov_b32 v35, v26
	s_and_b32 s13, s72, 0xfe
	s_mov_b32 s12, 0
	s_branch .LBB97_52
.LBB97_51:                              ;   in Loop: Header=BB97_52 Depth=2
	s_or_b32 exec_lo, exec_lo, s8
	s_waitcnt vmcnt(0)
	v_xor_b32_e32 v19, 0x80000000, v19
	s_and_b32 s9, exec_lo, vcc_lo
	v_add_nc_u32_e32 v2, s54, v2
	s_or_b32 s12, s9, s12
	s_delay_alu instid0(VALU_DEP_2) | instskip(SKIP_2) | instid1(VALU_DEP_3)
	v_lshrrev_b64 v[36:37], s13, v[18:19]
	v_and_b32_e32 v18, s46, v18
	v_and_b32_e32 v19, s47, v19
	;; [unrolled: 1-line block ×3, first 2 shown]
	s_delay_alu instid0(VALU_DEP_2) | instskip(NEXT) | instid1(VALU_DEP_2)
	v_cmp_eq_u64_e64 s7, s[44:45], v[18:19]
	v_cmp_eq_u64_e64 s8, 0, v[11:12]
	v_cmp_eq_u64_e32 vcc_lo, 1, v[11:12]
	v_cmp_eq_u64_e64 s9, 2, v[11:12]
	v_cmp_eq_u64_e64 s10, 3, v[11:12]
	s_delay_alu instid0(VALU_DEP_4) | instskip(NEXT) | instid1(SALU_CYCLE_1)
	s_and_b32 s8, s7, s8
	v_cndmask_b32_e64 v3, 0, 1, s8
	s_and_b32 s8, s7, vcc_lo
	s_delay_alu instid0(SALU_CYCLE_1)
	v_cndmask_b32_e64 v11, 0, 1, s8
	s_and_b32 s8, s7, s9
	s_and_b32 s7, s7, s10
	v_cndmask_b32_e64 v18, 0, 1, s8
	v_cndmask_b32_e64 v19, 0, 1, s7
	v_cmp_ne_u32_e32 vcc_lo, 0, v3
	v_cmp_ne_u32_e64 s7, 0, v11
	s_delay_alu instid0(VALU_DEP_4) | instskip(NEXT) | instid1(VALU_DEP_4)
	v_cmp_ne_u32_e64 s8, 0, v18
	v_cmp_ne_u32_e64 s9, 0, v19
	v_mov_b32_e32 v18, v20
	s_bcnt1_i32_b32 s10, vcc_lo
	s_bcnt1_i32_b32 s7, s7
	s_bcnt1_i32_b32 s8, s8
	s_bcnt1_i32_b32 s9, s9
	v_add_nc_u32_e32 v6, s10, v6
	v_add_nc_u32_e32 v7, s7, v7
	;; [unrolled: 1-line block ×4, first 2 shown]
	v_mov_b32_e32 v19, v21
	s_and_not1_b32 exec_lo, exec_lo, s12
	s_cbranch_execz .LBB97_55
.LBB97_52:                              ;   Parent Loop BB97_12 Depth=1
                                        ; =>  This Inner Loop Header: Depth=2
	s_delay_alu instid0(VALU_DEP_1) | instskip(SKIP_2) | instid1(VALU_DEP_2)
	v_dual_mov_b32 v20, 0 :: v_dual_add_nc_u32 v35, s51, v35
	v_mov_b32_e32 v21, 0
	s_mov_b32 s8, exec_lo
	v_cmp_le_u32_e32 vcc_lo, s28, v35
	v_cmpx_gt_u32_e64 s28, v35
	s_cbranch_execz .LBB97_51
; %bb.53:                               ;   in Loop: Header=BB97_52 Depth=2
	v_mov_b32_e32 v3, v12
	s_delay_alu instid0(VALU_DEP_1) | instskip(NEXT) | instid1(VALU_DEP_1)
	v_lshlrev_b64 v[20:21], 3, v[2:3]
	v_add_co_u32 v20, s7, s49, v20
	s_delay_alu instid0(VALU_DEP_1)
	v_add_co_ci_u32_e64 v21, s7, s50, v21, s7
	global_load_b64 v[20:21], v[20:21], off
	s_branch .LBB97_51
.LBB97_54:                              ;   in Loop: Header=BB97_12 Depth=1
                                        ; implicit-def: $vgpr9
	s_cbranch_execnz .LBB97_57
	s_branch .LBB97_66
.LBB97_55:                              ;   in Loop: Header=BB97_12 Depth=1
	s_or_b32 exec_lo, exec_lo, s12
.LBB97_56:                              ;   in Loop: Header=BB97_12 Depth=1
	s_delay_alu instid0(SALU_CYCLE_1)
	s_or_b32 exec_lo, exec_lo, s11
	s_branch .LBB97_66
.LBB97_57:                              ;   in Loop: Header=BB97_12 Depth=1
	s_mul_hi_u32 s7, s79, s63
	v_dual_mov_b32 v6, 0 :: v_dual_mov_b32 v7, 0
	s_mul_i32 s7, s7, s53
	v_dual_mov_b32 v8, 0 :: v_dual_mov_b32 v9, 0
	s_sub_i32 s7, s79, s7
	s_mov_b32 s82, 0
	s_sub_i32 s8, s7, s53
	s_cmp_ge_u32 s7, s53
	s_mov_b32 s81, exec_lo
	s_cselect_b32 s7, s8, s7
	s_delay_alu instid0(SALU_CYCLE_1) | instskip(SKIP_2) | instid1(SALU_CYCLE_1)
	s_sub_i32 s8, s7, s53
	s_cmp_ge_u32 s7, s53
	s_cselect_b32 s7, s8, s7
	s_sub_i32 s80, s79, s7
	s_delay_alu instid0(SALU_CYCLE_1)
	v_cmpx_gt_u32_e64 s80, v23
	s_cbranch_execz .LBB97_61
; %bb.58:                               ;   in Loop: Header=BB97_12 Depth=1
	v_dual_mov_b32 v2, v33 :: v_dual_mov_b32 v3, v23
	s_and_b32 s83, s72, 0xfe
	s_mov_b32 s84, 0
	s_mov_b32 s85, 0
	;; [unrolled: 1-line block ×4, first 2 shown]
.LBB97_59:                              ;   Parent Loop BB97_12 Depth=1
                                        ; =>  This Inner Loop Header: Depth=2
	ds_load_b128 v[6:9], v2
	s_waitcnt vmcnt(0)
	ds_load_b128 v[18:21], v2 offset:16
	v_mov_b32_e32 v38, v12
	v_dual_mov_b32 v40, v12 :: v_dual_add_nc_u32 v3, s53, v3
	v_mov_b32_e32 v36, v12
	s_delay_alu instid0(VALU_DEP_2)
	v_cmp_le_u32_e32 vcc_lo, s80, v3
	s_waitcnt lgkmcnt(1)
	v_xor_b32_e32 v7, 0x80000000, v7
	v_xor_b32_e32 v9, 0x80000000, v9
	s_waitcnt lgkmcnt(0)
	v_xor_b32_e32 v19, 0x80000000, v19
	v_and_b32_e32 v41, s46, v6
	v_xor_b32_e32 v21, 0x80000000, v21
	v_and_b32_e32 v42, s47, v7
	v_lshrrev_b64 v[6:7], s83, v[6:7]
	v_and_b32_e32 v43, s46, v8
	v_lshrrev_b64 v[7:8], s83, v[8:9]
	;; [unrolled: 2-line block ×3, first 2 shown]
	v_and_b32_e32 v45, s46, v18
	v_and_b32_e32 v46, s47, v19
	v_lshrrev_b64 v[18:19], s83, v[20:21]
	v_and_b32_e32 v11, 3, v6
	v_and_b32_e32 v35, 3, v7
	;; [unrolled: 1-line block ×3, first 2 shown]
	v_cmp_eq_u64_e64 s7, s[44:45], v[41:42]
	v_and_b32_e32 v47, s46, v20
	v_cmp_eq_u64_e64 s11, 0, v[11:12]
	v_and_b32_e32 v48, s47, v21
	v_and_b32_e32 v39, 3, v18
	v_cmp_eq_u64_e64 s8, s[44:45], v[43:44]
	v_cmp_eq_u64_e64 s12, 0, v[35:36]
	;; [unrolled: 1-line block ×6, first 2 shown]
	s_and_b32 s11, s7, s11
	v_cmp_eq_u64_e64 s15, 1, v[11:12]
	v_cndmask_b32_e64 v6, 0, 1, s11
	s_and_b32 s11, s8, s12
	v_cmp_eq_u64_e64 s16, 1, v[35:36]
	v_cndmask_b32_e64 v7, 0, 1, s11
	s_and_b32 s11, s9, s13
	v_cmp_eq_u64_e64 s17, 1, v[37:38]
	v_cndmask_b32_e64 v8, 0, 1, s11
	s_and_b32 s11, s10, s14
	v_cmp_eq_u64_e64 s18, 1, v[39:40]
	v_cndmask_b32_e64 v9, 0, 1, s11
	s_and_b32 s11, s7, s15
	v_cmp_eq_u64_e64 s19, 2, v[11:12]
	v_cmp_eq_u64_e64 s23, 3, v[11:12]
	v_cndmask_b32_e64 v11, 0, 1, s11
	s_and_b32 s11, s8, s16
	v_cmp_eq_u64_e64 s20, 2, v[35:36]
	v_cmp_eq_u64_e64 s24, 3, v[35:36]
	v_cndmask_b32_e64 v18, 0, 1, s11
	;; [unrolled: 4-line block ×4, first 2 shown]
	s_and_b32 s11, s7, s19
	s_and_b32 s7, s7, s23
	v_cndmask_b32_e64 v21, 0, 1, s11
	s_and_b32 s11, s8, s20
	v_cndmask_b32_e64 v38, 0, 1, s7
	;; [unrolled: 2-line block ×7, first 2 shown]
	v_cndmask_b32_e64 v41, 0, 1, s7
	v_cmp_ne_u32_e64 s7, 0, v6
	v_cmp_ne_u32_e64 s11, 0, v11
	;; [unrolled: 1-line block ×12, first 2 shown]
	s_bcnt1_i32_b32 s7, s7
	s_bcnt1_i32_b32 s11, s11
	s_bcnt1_i32_b32 s15, s15
	s_bcnt1_i32_b32 s19, s19
	v_cmp_ne_u32_e64 s10, 0, v9
	v_cmp_ne_u32_e64 s14, 0, v20
	v_cmp_ne_u32_e64 s18, 0, v37
	v_cmp_ne_u32_e64 s22, 0, v41
	s_bcnt1_i32_b32 s8, s8
	s_bcnt1_i32_b32 s12, s12
	s_bcnt1_i32_b32 s16, s16
	s_bcnt1_i32_b32 s20, s20
	s_add_i32 s7, s7, s87
	s_add_i32 s11, s11, s86
	s_add_i32 s15, s15, s85
	s_add_i32 s19, s19, s84
	s_bcnt1_i32_b32 s9, s9
	s_bcnt1_i32_b32 s13, s13
	s_bcnt1_i32_b32 s17, s17
	s_bcnt1_i32_b32 s21, s21
	s_add_i32 s7, s7, s8
	s_add_i32 s8, s11, s12
	s_add_i32 s11, s15, s16
	s_add_i32 s12, s19, s20
	;; [unrolled: 8-line block ×3, first 2 shown]
	s_add_i32 s87, s7, s10
	s_add_i32 s86, s8, s14
	;; [unrolled: 1-line block ×4, first 2 shown]
	v_mov_b32_e32 v8, s85
	v_dual_mov_b32 v7, s86 :: v_dual_add_nc_u32 v2, s68, v2
	v_dual_mov_b32 v6, s87 :: v_dual_mov_b32 v9, s84
	s_or_b32 s82, vcc_lo, s82
	s_delay_alu instid0(SALU_CYCLE_1)
	s_and_not1_b32 exec_lo, exec_lo, s82
	s_cbranch_execnz .LBB97_59
; %bb.60:                               ;   in Loop: Header=BB97_12 Depth=1
	s_or_b32 exec_lo, exec_lo, s82
.LBB97_61:                              ;   in Loop: Header=BB97_12 Depth=1
	s_delay_alu instid0(SALU_CYCLE_1) | instskip(SKIP_2) | instid1(VALU_DEP_1)
	s_or_b32 exec_lo, exec_lo, s81
	v_add_nc_u32_e32 v2, s80, v0
	s_mov_b32 s12, exec_lo
	v_cmpx_gt_u32_e64 s79, v2
	s_cbranch_execz .LBB97_65
; %bb.62:                               ;   in Loop: Header=BB97_12 Depth=1
	v_lshlrev_b32_e32 v3, 3, v2
	s_and_b32 s14, s72, 0xfe
	s_mov_b32 s13, 0
.LBB97_63:                              ;   Parent Loop BB97_12 Depth=1
                                        ; =>  This Inner Loop Header: Depth=2
	s_waitcnt vmcnt(0)
	ds_load_b64 v[18:19], v3
	v_add_nc_u32_e32 v2, s51, v2
	v_add_nc_u32_e32 v3, s69, v3
	s_delay_alu instid0(VALU_DEP_2) | instskip(SKIP_3) | instid1(VALU_DEP_2)
	v_cmp_le_u32_e32 vcc_lo, s79, v2
	s_waitcnt lgkmcnt(0)
	v_xor_b32_e32 v19, 0x80000000, v19
	v_and_b32_e32 v20, s46, v18
	v_and_b32_e32 v21, s47, v19
	v_lshrrev_b64 v[18:19], s14, v[18:19]
	s_delay_alu instid0(VALU_DEP_2) | instskip(NEXT) | instid1(VALU_DEP_2)
	v_cmp_eq_u64_e64 s7, s[44:45], v[20:21]
	v_and_b32_e32 v11, 3, v18
	s_delay_alu instid0(VALU_DEP_1) | instskip(SKIP_3) | instid1(VALU_DEP_4)
	v_cmp_eq_u64_e64 s8, 0, v[11:12]
	v_cmp_eq_u64_e64 s9, 1, v[11:12]
	;; [unrolled: 1-line block ×4, first 2 shown]
	s_and_b32 s8, s7, s8
	s_delay_alu instid0(SALU_CYCLE_1) | instskip(NEXT) | instid1(VALU_DEP_4)
	v_cndmask_b32_e64 v11, 0, 1, s8
	s_and_b32 s8, s7, s9
	s_delay_alu instid0(SALU_CYCLE_1)
	v_cndmask_b32_e64 v18, 0, 1, s8
	s_and_b32 s8, s7, s10
	s_and_b32 s7, s7, s11
	v_cndmask_b32_e64 v19, 0, 1, s8
	v_cndmask_b32_e64 v20, 0, 1, s7
	v_cmp_ne_u32_e64 s7, 0, v11
	v_cmp_ne_u32_e64 s8, 0, v18
	s_delay_alu instid0(VALU_DEP_4) | instskip(NEXT) | instid1(VALU_DEP_4)
	v_cmp_ne_u32_e64 s9, 0, v19
	v_cmp_ne_u32_e64 s10, 0, v20
	s_delay_alu instid0(VALU_DEP_4) | instskip(NEXT) | instid1(VALU_DEP_3)
	s_bcnt1_i32_b32 s7, s7
	s_bcnt1_i32_b32 s8, s8
	v_add_nc_u32_e32 v6, s7, v6
	s_bcnt1_i32_b32 s9, s9
	s_bcnt1_i32_b32 s10, s10
	v_add_nc_u32_e32 v7, s8, v7
	v_add_nc_u32_e32 v8, s9, v8
	;; [unrolled: 1-line block ×3, first 2 shown]
	s_or_b32 s13, vcc_lo, s13
	s_delay_alu instid0(SALU_CYCLE_1)
	s_and_not1_b32 exec_lo, exec_lo, s13
	s_cbranch_execnz .LBB97_63
; %bb.64:                               ;   in Loop: Header=BB97_12 Depth=1
	s_or_b32 exec_lo, exec_lo, s13
.LBB97_65:                              ;   in Loop: Header=BB97_12 Depth=1
	s_delay_alu instid0(SALU_CYCLE_1)
	s_or_b32 exec_lo, exec_lo, s12
.LBB97_66:                              ;   in Loop: Header=BB97_12 Depth=1
	s_lshl_b32 s7, s76, 7
	s_and_saveexec_b32 s8, s3
	s_cbranch_execz .LBB97_68
; %bb.67:                               ;   in Loop: Header=BB97_12 Depth=1
	v_or_b32_e32 v2, s7, v27
	s_delay_alu instid0(VALU_DEP_1)
	v_lshlrev_b32_e32 v2, 2, v2
	ds_store_b128 v2, v[6:9] offset:3072
.LBB97_68:                              ;   in Loop: Header=BB97_12 Depth=1
	s_or_b32 exec_lo, exec_lo, s8
	s_waitcnt vmcnt(0) lgkmcnt(0)
	s_barrier
	buffer_gl0_inv
	s_and_saveexec_b32 s8, s56
	s_cbranch_execz .LBB97_78
; %bb.69:                               ;   in Loop: Header=BB97_12 Depth=1
	v_mov_b32_e32 v2, 0
	s_and_not1_b32 vcc_lo, exec_lo, s58
	s_cbranch_vccnz .LBB97_77
; %bb.70:                               ;   in Loop: Header=BB97_12 Depth=1
	v_mov_b32_e32 v2, 0
	s_and_not1_b32 vcc_lo, exec_lo, s60
	s_mov_b32 s9, 0
	s_cbranch_vccnz .LBB97_74
; %bb.71:                               ;   in Loop: Header=BB97_12 Depth=1
	v_lshl_add_u32 v3, s76, 9, v34
	v_mov_b32_e32 v2, 0
	.p2align	6
.LBB97_72:                              ;   Parent Loop BB97_12 Depth=1
                                        ; =>  This Inner Loop Header: Depth=2
	ds_load_2addr_b32 v[6:7], v3 offset1:4
	ds_load_2addr_b32 v[8:9], v3 offset0:8 offset1:12
	ds_load_2addr_b32 v[18:19], v3 offset0:16 offset1:20
	;; [unrolled: 1-line block ×3, first 2 shown]
	v_add_nc_u32_e32 v3, 0x80, v3
	s_add_i32 s9, s9, 8
	s_delay_alu instid0(SALU_CYCLE_1) | instskip(SKIP_3) | instid1(VALU_DEP_1)
	s_cmp_eq_u32 s61, s9
	s_waitcnt lgkmcnt(3)
	v_add3_u32 v2, v6, v2, v7
	s_waitcnt lgkmcnt(2)
	v_add3_u32 v2, v8, v2, v9
	s_waitcnt lgkmcnt(1)
	s_delay_alu instid0(VALU_DEP_1) | instskip(SKIP_1) | instid1(VALU_DEP_1)
	v_add3_u32 v2, v18, v2, v19
	s_waitcnt lgkmcnt(0)
	v_add3_u32 v2, v20, v2, v21
	s_cbranch_scc0 .LBB97_72
; %bb.73:                               ;   in Loop: Header=BB97_12 Depth=1
	s_mov_b32 s9, s61
.LBB97_74:                              ;   in Loop: Header=BB97_12 Depth=1
	s_and_not1_b32 vcc_lo, exec_lo, s62
	s_cbranch_vccnz .LBB97_77
; %bb.75:                               ;   in Loop: Header=BB97_12 Depth=1
	s_lshl_b32 s10, s76, 9
	s_lshl_b32 s9, s9, 4
	s_delay_alu instid0(SALU_CYCLE_1)
	v_add3_u32 v3, s10, s9, v34
	s_mov_b32 s9, s59
.LBB97_76:                              ;   Parent Loop BB97_12 Depth=1
                                        ; =>  This Inner Loop Header: Depth=2
	ds_load_b32 v6, v3
	v_add_nc_u32_e32 v3, 16, v3
	s_add_i32 s9, s9, -1
	s_delay_alu instid0(SALU_CYCLE_1)
	s_cmp_lg_u32 s9, 0
	s_waitcnt lgkmcnt(0)
	v_add_nc_u32_e32 v2, v6, v2
	s_cbranch_scc1 .LBB97_76
.LBB97_77:                              ;   in Loop: Header=BB97_12 Depth=1
	v_add_lshl_u32 v3, s7, v22, 2
	ds_store_b32 v3, v2 offset:3072
.LBB97_78:                              ;   in Loop: Header=BB97_12 Depth=1
	s_or_b32 exec_lo, exec_lo, s8
	s_lshl_b32 s7, s7, 2
	s_waitcnt lgkmcnt(0)
	v_mov_b32_e32 v2, s7
	s_barrier
	buffer_gl0_inv
	s_and_b32 s22, s72, 0xfe
	s_delay_alu instid0(SALU_CYCLE_1)
	s_lshl_b64 s[8:9], 3, s22
	ds_load_b128 v[6:9], v2 offset:3072
	s_not_b64 s[10:11], s[8:9]
	s_waitcnt lgkmcnt(0)
	v_readfirstlane_b32 s18, v6
	v_readfirstlane_b32 s25, v7
	;; [unrolled: 1-line block ×4, first 2 shown]
	s_delay_alu instid0(VALU_DEP_4) | instskip(SKIP_3) | instid1(SALU_CYCLE_1)
	s_cmp_eq_u32 s18, 1
	s_cselect_b32 s7, -1, 0
	s_cmp_eq_u32 s78, 1
	s_cselect_b32 s12, -1, 0
	s_and_b32 s13, s7, s12
	s_mov_b32 s12, -1
	s_and_b32 vcc_lo, exec_lo, s13
	s_cbranch_vccz .LBB97_90
; %bb.79:                               ;   in Loop: Header=BB97_12 Depth=1
	ds_load_b32 v2, v12 offset:4104
	s_waitcnt lgkmcnt(0)
	s_barrier
	buffer_gl0_inv
	v_readfirstlane_b32 s14, v2
	s_and_saveexec_b32 s7, s1
	s_cbranch_execz .LBB97_81
; %bb.80:                               ;   in Loop: Header=BB97_12 Depth=1
	v_mov_b32_e32 v11, v12
	ds_store_b64 v25, v[11:12]
.LBB97_81:                              ;   in Loop: Header=BB97_12 Depth=1
	s_or_b32 exec_lo, exec_lo, s7
	s_and_b64 s[44:45], s[44:45], s[10:11]
	s_or_b64 s[46:47], s[46:47], s[8:9]
	s_cmp_eq_u32 s14, 0
	s_waitcnt lgkmcnt(0)
	s_barrier
	buffer_gl0_inv
	s_cbranch_scc1 .LBB97_91
; %bb.82:                               ;   in Loop: Header=BB97_12 Depth=1
	s_add_i32 s7, s14, s55
                                        ; implicit-def: $vgpr4_vgpr5
	s_delay_alu instid0(SALU_CYCLE_1) | instskip(NEXT) | instid1(SALU_CYCLE_1)
	s_mul_hi_u32 s15, s7, s65
	s_mul_i32 s15, s15, s51
	s_delay_alu instid0(SALU_CYCLE_1) | instskip(NEXT) | instid1(SALU_CYCLE_1)
	s_sub_i32 s15, s7, s15
	s_sub_i32 s17, s15, s51
	s_cmp_ge_u32 s15, s51
	s_cselect_b32 s15, s17, s15
	s_delay_alu instid0(SALU_CYCLE_1) | instskip(SKIP_2) | instid1(SALU_CYCLE_1)
	s_sub_i32 s17, s15, s51
	s_cmp_ge_u32 s15, s51
	s_cselect_b32 s15, s17, s15
	s_sub_i32 s17, s7, s15
	s_mov_b32 s7, 0
	s_mov_b32 s15, exec_lo
	v_cmpx_gt_u32_e64 s17, v0
	s_cbranch_execz .LBB97_93
; %bb.83:                               ;   in Loop: Header=BB97_12 Depth=1
	v_mov_b32_e32 v6, v24
	v_mov_b32_e32 v7, v0
	s_mov_b32 s20, 0
                                        ; implicit-def: $sgpr7
	s_set_inst_prefetch_distance 0x1
	s_branch .LBB97_85
	.p2align	6
.LBB97_84:                              ;   in Loop: Header=BB97_85 Depth=2
	s_or_b32 exec_lo, exec_lo, s21
	s_waitcnt lgkmcnt(0)
	s_barrier
	buffer_gl0_inv
	ds_load_b128 v[2:5], v12 offset:3072
	v_add_nc_u32_e32 v7, s51, v7
	v_add_nc_u32_e32 v6, s69, v6
	s_waitcnt lgkmcnt(0)
	s_barrier
	buffer_gl0_inv
	v_cmp_le_u32_e32 vcc_lo, s17, v7
	v_readfirstlane_b32 s81, v3
	v_readfirstlane_b32 s80, v2
	s_delay_alu instid0(VALU_DEP_1) | instskip(SKIP_1) | instid1(SALU_CYCLE_1)
	s_cmp_lg_u64 s[80:81], 0
	s_cselect_b32 s21, -1, 0
	s_or_b32 s23, vcc_lo, s21
	s_delay_alu instid0(SALU_CYCLE_1) | instskip(NEXT) | instid1(SALU_CYCLE_1)
	s_and_b32 s23, exec_lo, s23
	s_or_b32 s20, s23, s20
	s_and_not1_b32 s7, s7, exec_lo
	s_and_b32 s21, s21, exec_lo
	s_delay_alu instid0(SALU_CYCLE_1)
	s_or_b32 s7, s7, s21
	s_and_not1_b32 exec_lo, exec_lo, s20
	s_cbranch_execz .LBB97_92
.LBB97_85:                              ;   Parent Loop BB97_12 Depth=1
                                        ; =>  This Inner Loop Header: Depth=2
	v_mov_b32_e32 v3, 0
	v_mov_b32_e32 v4, 0
	v_cmp_gt_u32_e32 vcc_lo, s14, v7
	s_and_saveexec_b32 s21, vcc_lo
	s_cbranch_execz .LBB97_87
; %bb.86:                               ;   in Loop: Header=BB97_85 Depth=2
	ds_load_b64 v[3:4], v6
.LBB97_87:                              ;   in Loop: Header=BB97_85 Depth=2
	s_or_b32 exec_lo, exec_lo, s21
	s_and_saveexec_b32 s21, vcc_lo
	s_cbranch_execz .LBB97_84
; %bb.88:                               ;   in Loop: Header=BB97_85 Depth=2
	s_waitcnt lgkmcnt(0)
	v_xor_b32_e32 v2, 0x80000000, v4
	v_and_b32_e32 v8, s46, v3
	s_delay_alu instid0(VALU_DEP_2) | instskip(NEXT) | instid1(VALU_DEP_1)
	v_and_b32_e32 v9, s47, v2
	v_cmp_eq_u64_e32 vcc_lo, s[44:45], v[8:9]
	s_and_b32 exec_lo, exec_lo, vcc_lo
	s_cbranch_execz .LBB97_84
; %bb.89:                               ;   in Loop: Header=BB97_85 Depth=2
	v_mov_b32_e32 v2, v12
	ds_store_b128 v12, v[1:4] offset:3072
	s_branch .LBB97_84
.LBB97_90:                              ;   in Loop: Header=BB97_12 Depth=1
	s_mov_b32 s7, -1
                                        ; implicit-def: $sgpr14
                                        ; implicit-def: $sgpr17
                                        ; implicit-def: $sgpr15
	s_branch .LBB97_104
.LBB97_91:                              ;   in Loop: Header=BB97_12 Depth=1
	s_mov_b32 s14, -1
	s_mov_b32 s7, 0
                                        ; implicit-def: $sgpr15
                                        ; implicit-def: $vgpr4_vgpr5
	s_mov_b32 s17, s14
	s_cbranch_execnz .LBB97_94
	s_branch .LBB97_104
.LBB97_92:                              ;   in Loop: Header=BB97_12 Depth=1
	s_set_inst_prefetch_distance 0x2
	s_or_b32 exec_lo, exec_lo, s20
	s_delay_alu instid0(SALU_CYCLE_1)
	s_and_b32 s7, s7, exec_lo
.LBB97_93:                              ;   in Loop: Header=BB97_12 Depth=1
	s_or_b32 exec_lo, exec_lo, s15
	s_mov_b32 s15, -1
	s_mov_b32 s14, 0
	s_delay_alu instid0(SALU_CYCLE_1)
	s_mov_b32 s17, s14
	s_branch .LBB97_104
.LBB97_94:                              ;   in Loop: Header=BB97_12 Depth=1
	s_mov_b32 s7, 0
                                        ; implicit-def: $vgpr4_vgpr5
	s_and_saveexec_b32 s14, s6
	s_cbranch_execz .LBB97_103
; %bb.95:                               ;   in Loop: Header=BB97_12 Depth=1
	v_dual_mov_b32 v11, v10 :: v_dual_mov_b32 v6, v0
	s_mov_b32 s17, 0
                                        ; implicit-def: $sgpr15
	s_set_inst_prefetch_distance 0x1
	s_branch .LBB97_97
	.p2align	6
.LBB97_96:                              ;   in Loop: Header=BB97_97 Depth=2
	s_or_b32 exec_lo, exec_lo, s7
	s_waitcnt vmcnt(0) lgkmcnt(0)
	s_barrier
	buffer_gl0_inv
	ds_load_b128 v[2:5], v12 offset:3072
	v_add_nc_u32_e32 v6, s51, v6
	v_add_nc_u32_e32 v11, s54, v11
	s_waitcnt lgkmcnt(0)
	s_barrier
	buffer_gl0_inv
	v_cmp_le_u32_e32 vcc_lo, s66, v6
	v_readfirstlane_b32 s21, v3
	v_readfirstlane_b32 s20, v2
	s_delay_alu instid0(VALU_DEP_1) | instskip(SKIP_1) | instid1(SALU_CYCLE_1)
	s_cmp_lg_u64 s[20:21], 0
	s_cselect_b32 s7, -1, 0
	s_or_b32 s20, vcc_lo, s7
	s_delay_alu instid0(SALU_CYCLE_1) | instskip(NEXT) | instid1(SALU_CYCLE_1)
	s_and_b32 s20, exec_lo, s20
	s_or_b32 s17, s20, s17
	s_and_not1_b32 s15, s15, exec_lo
	s_and_b32 s7, s7, exec_lo
	s_delay_alu instid0(SALU_CYCLE_1)
	s_or_b32 s15, s15, s7
	s_and_not1_b32 exec_lo, exec_lo, s17
	s_cbranch_execz .LBB97_102
.LBB97_97:                              ;   Parent Loop BB97_12 Depth=1
                                        ; =>  This Inner Loop Header: Depth=2
	v_mov_b32_e32 v3, 0
	v_mov_b32_e32 v4, 0
	v_cmp_gt_u32_e32 vcc_lo, s28, v6
	s_and_saveexec_b32 s20, vcc_lo
	s_cbranch_execz .LBB97_99
; %bb.98:                               ;   in Loop: Header=BB97_97 Depth=2
	v_lshlrev_b64 v[2:3], 3, v[11:12]
	s_delay_alu instid0(VALU_DEP_1) | instskip(NEXT) | instid1(VALU_DEP_1)
	v_add_co_u32 v2, s7, s49, v2
	v_add_co_ci_u32_e64 v3, s7, s50, v3, s7
	global_load_b64 v[3:4], v[2:3], off
.LBB97_99:                              ;   in Loop: Header=BB97_97 Depth=2
	s_or_b32 exec_lo, exec_lo, s20
	s_and_saveexec_b32 s7, vcc_lo
	s_cbranch_execz .LBB97_96
; %bb.100:                              ;   in Loop: Header=BB97_97 Depth=2
	s_waitcnt vmcnt(0)
	v_xor_b32_e32 v2, 0x80000000, v4
	v_and_b32_e32 v7, s46, v3
	s_delay_alu instid0(VALU_DEP_2) | instskip(NEXT) | instid1(VALU_DEP_1)
	v_and_b32_e32 v8, s47, v2
	v_cmp_eq_u64_e32 vcc_lo, s[44:45], v[7:8]
	s_and_b32 exec_lo, exec_lo, vcc_lo
	s_cbranch_execz .LBB97_96
; %bb.101:                              ;   in Loop: Header=BB97_97 Depth=2
	v_mov_b32_e32 v2, v12
	ds_store_b128 v12, v[1:4] offset:3072
	s_branch .LBB97_96
.LBB97_102:                             ;   in Loop: Header=BB97_12 Depth=1
	s_set_inst_prefetch_distance 0x2
	s_or_b32 exec_lo, exec_lo, s17
	s_delay_alu instid0(SALU_CYCLE_1)
	s_and_b32 s7, s15, exec_lo
.LBB97_103:                             ;   in Loop: Header=BB97_12 Depth=1
	s_or_b32 exec_lo, exec_lo, s14
	s_mov_b32 s17, -1
	s_mov_b32 s14, 0
	s_mov_b32 s15, 0
.LBB97_104:                             ;   in Loop: Header=BB97_12 Depth=1
	s_and_not1_b32 s20, s74, exec_lo
	s_and_b32 s14, s14, exec_lo
	s_and_b32 s17, s17, exec_lo
	s_or_b32 s74, s20, s14
	s_and_not1_b32 s14, s77, exec_lo
	s_and_not1_b32 s20, s75, exec_lo
	s_and_b32 s15, s15, exec_lo
	s_or_b32 s77, s14, s17
	s_or_b32 s75, s20, s15
	s_and_saveexec_b32 s17, s7
	s_cbranch_execz .LBB97_11
; %bb.105:                              ;   in Loop: Header=BB97_12 Depth=1
	s_xor_b32 s7, s13, -1
	s_mov_b32 s20, 0
	s_and_not1_b32 vcc_lo, exec_lo, s7
	s_mov_b32 s26, 1
	s_cbranch_vccnz .LBB97_116
; %bb.106:                              ;   in Loop: Header=BB97_12 Depth=1
	s_cmp_gt_u32 s78, s18
	s_mov_b32 s20, -1
                                        ; implicit-def: $sgpr7
                                        ; implicit-def: $sgpr12_sgpr13
                                        ; implicit-def: $sgpr14_sgpr15
	s_cbranch_scc1 .LBB97_112
; %bb.107:                              ;   in Loop: Header=BB97_12 Depth=1
	ds_load_b32 v2, v12 offset:4104
	s_waitcnt lgkmcnt(0)
	v_cmp_ne_u32_e32 vcc_lo, 0, v2
	s_cbranch_vccnz .LBB97_111
; %bb.108:                              ;   in Loop: Header=BB97_12 Depth=1
	s_and_saveexec_b32 s7, s2
	s_cbranch_execz .LBB97_110
; %bb.109:                              ;   in Loop: Header=BB97_12 Depth=1
	v_mov_b32_e32 v2, s18
	ds_store_b32 v12, v2 offset:4108
.LBB97_110:                             ;   in Loop: Header=BB97_12 Depth=1
	s_or_b32 exec_lo, exec_lo, s7
	s_waitcnt lgkmcnt(0)
	s_barrier
	buffer_gl0_inv
.LBB97_111:                             ;   in Loop: Header=BB97_12 Depth=1
	s_and_b64 s[12:13], s[44:45], s[10:11]
	s_or_b64 s[14:15], s[46:47], s[8:9]
	s_mov_b32 s20, 0
	s_mov_b32 s7, 8
.LBB97_112:                             ;   in Loop: Header=BB97_12 Depth=1
	s_and_not1_b32 vcc_lo, exec_lo, s20
	s_cbranch_vccnz .LBB97_114
; %bb.113:                              ;   in Loop: Header=BB97_12 Depth=1
	s_sub_i32 s78, s78, s18
	s_mov_b32 s20, -1
	s_mov_b32 s7, 0
	s_mov_b64 s[12:13], s[44:45]
	s_mov_b64 s[14:15], s[46:47]
.LBB97_114:                             ;   in Loop: Header=BB97_12 Depth=1
	s_delay_alu instid0(SALU_CYCLE_1)
	s_mov_b64 s[46:47], s[14:15]
	s_mov_b64 s[44:45], s[12:13]
	s_mov_b32 s26, s78
	s_and_b32 vcc_lo, exec_lo, s20
	s_mov_b32 s18, -1
	s_cbranch_vccnz .LBB97_117
.LBB97_115:                             ;   in Loop: Header=BB97_12 Depth=1
	s_mov_b32 s14, -1
                                        ; implicit-def: $sgpr20
                                        ; implicit-def: $sgpr23
                                        ; implicit-def: $sgpr21
                                        ; implicit-def: $sgpr78
	s_delay_alu instid0(SALU_CYCLE_1) | instskip(NEXT) | instid1(SALU_CYCLE_1)
	s_and_saveexec_b32 s8, s14
	s_xor_b32 s8, exec_lo, s8
	s_cbranch_execz .LBB97_10
	s_branch .LBB97_243
.LBB97_116:                             ;   in Loop: Header=BB97_12 Depth=1
	s_mov_b32 s7, 1
	s_and_b32 vcc_lo, exec_lo, s20
	s_mov_b32 s18, -1
	s_cbranch_vccz .LBB97_115
.LBB97_117:                             ;   in Loop: Header=BB97_12 Depth=1
	s_cmp_eq_u32 s25, 1
	s_mov_b32 s13, -1
	s_cselect_b32 s7, -1, 0
	s_cmp_eq_u32 s26, 1
	s_cselect_b32 s12, -1, 0
	s_delay_alu instid0(SALU_CYCLE_1) | instskip(NEXT) | instid1(SALU_CYCLE_1)
	s_and_b32 s12, s7, s12
	s_and_b32 vcc_lo, exec_lo, s12
	s_cbranch_vccz .LBB97_129
; %bb.118:                              ;   in Loop: Header=BB97_12 Depth=1
	ds_load_b32 v2, v12 offset:4104
	s_waitcnt lgkmcnt(0)
	s_barrier
	buffer_gl0_inv
	v_readfirstlane_b32 s7, v2
	s_and_saveexec_b32 s13, s1
	s_cbranch_execz .LBB97_120
; %bb.119:                              ;   in Loop: Header=BB97_12 Depth=1
	v_mov_b32_e32 v11, v12
	ds_store_b64 v25, v[11:12]
.LBB97_120:                             ;   in Loop: Header=BB97_12 Depth=1
	s_or_b32 exec_lo, exec_lo, s13
	s_lshl_b64 s[14:15], 1, s22
	s_and_b64 s[20:21], s[44:45], s[10:11]
	s_or_b64 s[46:47], s[46:47], s[8:9]
	s_or_b64 s[44:45], s[20:21], s[14:15]
	s_cmp_eq_u32 s7, 0
	s_waitcnt lgkmcnt(0)
	s_barrier
	buffer_gl0_inv
	s_cbranch_scc1 .LBB97_133
; %bb.121:                              ;   in Loop: Header=BB97_12 Depth=1
	s_add_i32 s13, s7, s55
                                        ; implicit-def: $vgpr4_vgpr5
	s_delay_alu instid0(SALU_CYCLE_1) | instskip(NEXT) | instid1(SALU_CYCLE_1)
	s_mul_hi_u32 s14, s13, s65
	s_mul_i32 s14, s14, s51
	s_delay_alu instid0(SALU_CYCLE_1) | instskip(NEXT) | instid1(SALU_CYCLE_1)
	s_sub_i32 s14, s13, s14
	s_sub_i32 s15, s14, s51
	s_cmp_ge_u32 s14, s51
	s_cselect_b32 s14, s15, s14
	s_delay_alu instid0(SALU_CYCLE_1) | instskip(SKIP_2) | instid1(SALU_CYCLE_1)
	s_sub_i32 s15, s14, s51
	s_cmp_ge_u32 s14, s51
	s_cselect_b32 s14, s15, s14
	s_sub_i32 s15, s13, s14
	s_mov_b32 s13, 0
	s_mov_b32 s14, exec_lo
	v_cmpx_gt_u32_e64 s15, v0
	s_cbranch_execz .LBB97_135
; %bb.122:                              ;   in Loop: Header=BB97_12 Depth=1
	v_mov_b32_e32 v6, v24
	v_mov_b32_e32 v7, v0
	s_mov_b32 s20, 0
                                        ; implicit-def: $sgpr13
	s_set_inst_prefetch_distance 0x1
	s_branch .LBB97_124
	.p2align	6
.LBB97_123:                             ;   in Loop: Header=BB97_124 Depth=2
	s_or_b32 exec_lo, exec_lo, s21
	s_waitcnt lgkmcnt(0)
	s_barrier
	buffer_gl0_inv
	ds_load_b128 v[2:5], v12 offset:3072
	v_add_nc_u32_e32 v7, s51, v7
	v_add_nc_u32_e32 v6, s69, v6
	s_waitcnt lgkmcnt(0)
	s_barrier
	buffer_gl0_inv
	v_cmp_le_u32_e32 vcc_lo, s15, v7
	v_readfirstlane_b32 s79, v3
	v_readfirstlane_b32 s78, v2
	s_delay_alu instid0(VALU_DEP_1) | instskip(SKIP_1) | instid1(SALU_CYCLE_1)
	s_cmp_lg_u64 s[78:79], 0
	s_cselect_b32 s21, -1, 0
	s_or_b32 s23, vcc_lo, s21
	s_delay_alu instid0(SALU_CYCLE_1) | instskip(NEXT) | instid1(SALU_CYCLE_1)
	s_and_b32 s23, exec_lo, s23
	s_or_b32 s20, s23, s20
	s_and_not1_b32 s13, s13, exec_lo
	s_and_b32 s21, s21, exec_lo
	s_delay_alu instid0(SALU_CYCLE_1)
	s_or_b32 s13, s13, s21
	s_and_not1_b32 exec_lo, exec_lo, s20
	s_cbranch_execz .LBB97_134
.LBB97_124:                             ;   Parent Loop BB97_12 Depth=1
                                        ; =>  This Inner Loop Header: Depth=2
	v_mov_b32_e32 v3, 0
	v_mov_b32_e32 v4, 0
	v_cmp_gt_u32_e32 vcc_lo, s7, v7
	s_and_saveexec_b32 s21, vcc_lo
	s_cbranch_execz .LBB97_126
; %bb.125:                              ;   in Loop: Header=BB97_124 Depth=2
	ds_load_b64 v[3:4], v6
.LBB97_126:                             ;   in Loop: Header=BB97_124 Depth=2
	s_or_b32 exec_lo, exec_lo, s21
	s_and_saveexec_b32 s21, vcc_lo
	s_cbranch_execz .LBB97_123
; %bb.127:                              ;   in Loop: Header=BB97_124 Depth=2
	s_waitcnt lgkmcnt(0)
	v_xor_b32_e32 v2, 0x80000000, v4
	v_and_b32_e32 v8, s46, v3
	s_delay_alu instid0(VALU_DEP_2) | instskip(NEXT) | instid1(VALU_DEP_1)
	v_and_b32_e32 v9, s47, v2
	v_cmp_eq_u64_e32 vcc_lo, s[44:45], v[8:9]
	s_and_b32 exec_lo, exec_lo, vcc_lo
	s_cbranch_execz .LBB97_123
; %bb.128:                              ;   in Loop: Header=BB97_124 Depth=2
	v_mov_b32_e32 v2, v12
	ds_store_b128 v12, v[1:4] offset:3072
	s_branch .LBB97_123
.LBB97_129:                             ;   in Loop: Header=BB97_12 Depth=1
                                        ; implicit-def: $sgpr21
                                        ; implicit-def: $sgpr23
                                        ; implicit-def: $sgpr20
	s_branch .LBB97_146
.LBB97_130:                             ;   in Loop: Header=BB97_12 Depth=1
	s_or_b32 exec_lo, exec_lo, s9
	s_waitcnt vmcnt(0) lgkmcnt(0)
	s_barrier
	buffer_gl0_inv
	s_and_saveexec_b32 s7, s2
	s_cbranch_execz .LBB97_132
; %bb.131:                              ;   in Loop: Header=BB97_12 Depth=1
	ds_load_b32 v2, v12 offset:4112
	s_waitcnt lgkmcnt(0)
	ds_store_b32 v12, v2 offset:4104
.LBB97_132:                             ;   in Loop: Header=BB97_12 Depth=1
	s_or_b32 exec_lo, exec_lo, s7
	s_waitcnt lgkmcnt(0)
	s_mov_b32 s7, -1
	s_barrier
	s_and_b32 vcc_lo, exec_lo, s79
	s_cbranch_vccnz .LBB97_30
	s_branch .LBB97_40
.LBB97_133:                             ;   in Loop: Header=BB97_12 Depth=1
	s_mov_b32 s21, -1
	s_mov_b32 s13, 0
                                        ; implicit-def: $sgpr20
                                        ; implicit-def: $vgpr4_vgpr5
	s_mov_b32 s23, s21
	s_cbranch_execnz .LBB97_136
	s_branch .LBB97_146
.LBB97_134:                             ;   in Loop: Header=BB97_12 Depth=1
	s_set_inst_prefetch_distance 0x2
	s_or_b32 exec_lo, exec_lo, s20
	s_delay_alu instid0(SALU_CYCLE_1)
	s_and_b32 s13, s13, exec_lo
.LBB97_135:                             ;   in Loop: Header=BB97_12 Depth=1
	s_or_b32 exec_lo, exec_lo, s14
	s_mov_b32 s20, -1
	s_mov_b32 s21, 0
	s_delay_alu instid0(SALU_CYCLE_1)
	s_mov_b32 s23, s21
	s_branch .LBB97_146
.LBB97_136:                             ;   in Loop: Header=BB97_12 Depth=1
	s_mov_b32 s13, 0
                                        ; implicit-def: $vgpr4_vgpr5
	s_and_saveexec_b32 s14, s6
	s_cbranch_execz .LBB97_145
; %bb.137:                              ;   in Loop: Header=BB97_12 Depth=1
	v_dual_mov_b32 v11, v10 :: v_dual_mov_b32 v6, v0
	s_mov_b32 s15, 0
                                        ; implicit-def: $sgpr13
	s_set_inst_prefetch_distance 0x1
	s_branch .LBB97_139
	.p2align	6
.LBB97_138:                             ;   in Loop: Header=BB97_139 Depth=2
	s_or_b32 exec_lo, exec_lo, s7
	s_waitcnt vmcnt(0) lgkmcnt(0)
	s_barrier
	buffer_gl0_inv
	ds_load_b128 v[2:5], v12 offset:3072
	v_add_nc_u32_e32 v6, s51, v6
	v_add_nc_u32_e32 v11, s54, v11
	s_waitcnt lgkmcnt(0)
	s_barrier
	buffer_gl0_inv
	v_cmp_le_u32_e32 vcc_lo, s66, v6
	v_readfirstlane_b32 s21, v3
	v_readfirstlane_b32 s20, v2
	s_delay_alu instid0(VALU_DEP_1) | instskip(SKIP_1) | instid1(SALU_CYCLE_1)
	s_cmp_lg_u64 s[20:21], 0
	s_cselect_b32 s7, -1, 0
	s_or_b32 s20, vcc_lo, s7
	s_delay_alu instid0(SALU_CYCLE_1) | instskip(NEXT) | instid1(SALU_CYCLE_1)
	s_and_b32 s20, exec_lo, s20
	s_or_b32 s15, s20, s15
	s_and_not1_b32 s13, s13, exec_lo
	s_and_b32 s7, s7, exec_lo
	s_delay_alu instid0(SALU_CYCLE_1)
	s_or_b32 s13, s13, s7
	s_and_not1_b32 exec_lo, exec_lo, s15
	s_cbranch_execz .LBB97_144
.LBB97_139:                             ;   Parent Loop BB97_12 Depth=1
                                        ; =>  This Inner Loop Header: Depth=2
	v_mov_b32_e32 v3, 0
	v_mov_b32_e32 v4, 0
	v_cmp_gt_u32_e32 vcc_lo, s28, v6
	s_and_saveexec_b32 s20, vcc_lo
	s_cbranch_execz .LBB97_141
; %bb.140:                              ;   in Loop: Header=BB97_139 Depth=2
	v_lshlrev_b64 v[2:3], 3, v[11:12]
	s_delay_alu instid0(VALU_DEP_1) | instskip(NEXT) | instid1(VALU_DEP_1)
	v_add_co_u32 v2, s7, s49, v2
	v_add_co_ci_u32_e64 v3, s7, s50, v3, s7
	global_load_b64 v[3:4], v[2:3], off
.LBB97_141:                             ;   in Loop: Header=BB97_139 Depth=2
	s_or_b32 exec_lo, exec_lo, s20
	s_and_saveexec_b32 s7, vcc_lo
	s_cbranch_execz .LBB97_138
; %bb.142:                              ;   in Loop: Header=BB97_139 Depth=2
	s_waitcnt vmcnt(0)
	v_xor_b32_e32 v2, 0x80000000, v4
	v_and_b32_e32 v7, s46, v3
	s_delay_alu instid0(VALU_DEP_2) | instskip(NEXT) | instid1(VALU_DEP_1)
	v_and_b32_e32 v8, s47, v2
	v_cmp_eq_u64_e32 vcc_lo, s[44:45], v[7:8]
	s_and_b32 exec_lo, exec_lo, vcc_lo
	s_cbranch_execz .LBB97_138
; %bb.143:                              ;   in Loop: Header=BB97_139 Depth=2
	v_mov_b32_e32 v2, v12
	ds_store_b128 v12, v[1:4] offset:3072
	s_branch .LBB97_138
.LBB97_144:                             ;   in Loop: Header=BB97_12 Depth=1
	s_set_inst_prefetch_distance 0x2
	s_or_b32 exec_lo, exec_lo, s15
	s_delay_alu instid0(SALU_CYCLE_1)
	s_and_b32 s13, s13, exec_lo
.LBB97_145:                             ;   in Loop: Header=BB97_12 Depth=1
	s_or_b32 exec_lo, exec_lo, s14
	s_mov_b32 s23, -1
	s_mov_b32 s21, 0
	s_mov_b32 s20, 0
.LBB97_146:                             ;   in Loop: Header=BB97_12 Depth=1
	s_mov_b32 s14, 0
                                        ; implicit-def: $sgpr7
	s_and_saveexec_b32 s24, s13
	s_cbranch_execz .LBB97_242
; %bb.147:                              ;   in Loop: Header=BB97_12 Depth=1
	s_xor_b32 s7, s12, -1
	s_mov_b32 s78, 0
	s_and_not1_b32 vcc_lo, exec_lo, s7
	s_mov_b32 s80, 1
	s_cbranch_vccnz .LBB97_158
; %bb.148:                              ;   in Loop: Header=BB97_12 Depth=1
	s_cmp_gt_u32 s26, s25
	s_mov_b32 s78, -1
                                        ; implicit-def: $sgpr7
                                        ; implicit-def: $sgpr12_sgpr13
                                        ; implicit-def: $sgpr14_sgpr15
	s_cbranch_scc1 .LBB97_154
; %bb.149:                              ;   in Loop: Header=BB97_12 Depth=1
	ds_load_b32 v2, v12 offset:4104
	s_waitcnt lgkmcnt(0)
	v_cmp_ne_u32_e32 vcc_lo, 0, v2
	s_cbranch_vccnz .LBB97_153
; %bb.150:                              ;   in Loop: Header=BB97_12 Depth=1
	s_and_saveexec_b32 s7, s2
	s_cbranch_execz .LBB97_152
; %bb.151:                              ;   in Loop: Header=BB97_12 Depth=1
	v_mov_b32_e32 v2, s25
	ds_store_b32 v12, v2 offset:4108
.LBB97_152:                             ;   in Loop: Header=BB97_12 Depth=1
	s_or_b32 exec_lo, exec_lo, s7
	s_waitcnt lgkmcnt(0)
	s_barrier
	buffer_gl0_inv
.LBB97_153:                             ;   in Loop: Header=BB97_12 Depth=1
	s_lshl_b64 s[12:13], 1, s22
	s_and_b64 s[14:15], s[44:45], s[10:11]
	s_mov_b32 s78, 0
	s_or_b64 s[12:13], s[14:15], s[12:13]
	s_or_b64 s[14:15], s[46:47], s[8:9]
	s_mov_b32 s7, 8
.LBB97_154:                             ;   in Loop: Header=BB97_12 Depth=1
	s_and_not1_b32 vcc_lo, exec_lo, s78
	s_cbranch_vccnz .LBB97_156
; %bb.155:                              ;   in Loop: Header=BB97_12 Depth=1
	s_sub_i32 s26, s26, s25
	s_mov_b32 s78, -1
	s_mov_b32 s7, 0
	s_mov_b64 s[12:13], s[44:45]
	s_mov_b64 s[14:15], s[46:47]
.LBB97_156:                             ;   in Loop: Header=BB97_12 Depth=1
	s_delay_alu instid0(SALU_CYCLE_1)
	s_mov_b64 s[46:47], s[14:15]
	s_mov_b64 s[44:45], s[12:13]
	s_mov_b32 s80, s26
	s_and_not1_b32 vcc_lo, exec_lo, s78
	s_mov_b32 s14, -1
	s_cbranch_vccz .LBB97_159
.LBB97_157:                             ;   in Loop: Header=BB97_12 Depth=1
                                        ; implicit-def: $sgpr26
                                        ; implicit-def: $sgpr78
                                        ; implicit-def: $sgpr25
	s_branch .LBB97_241
.LBB97_158:                             ;   in Loop: Header=BB97_12 Depth=1
	s_mov_b32 s7, 1
	s_and_not1_b32 vcc_lo, exec_lo, s78
	s_mov_b32 s14, -1
	s_cbranch_vccnz .LBB97_157
.LBB97_159:                             ;   in Loop: Header=BB97_12 Depth=1
	s_cmp_eq_u32 s19, 1
	s_mov_b32 s13, -1
	s_cselect_b32 s7, -1, 0
	s_cmp_eq_u32 s80, 1
	s_cselect_b32 s12, -1, 0
	s_delay_alu instid0(SALU_CYCLE_1) | instskip(NEXT) | instid1(SALU_CYCLE_1)
	s_and_b32 s12, s7, s12
	s_and_b32 vcc_lo, exec_lo, s12
	s_cbranch_vccz .LBB97_171
; %bb.160:                              ;   in Loop: Header=BB97_12 Depth=1
	ds_load_b32 v2, v12 offset:4104
	s_waitcnt lgkmcnt(0)
	s_barrier
	buffer_gl0_inv
	v_readfirstlane_b32 s7, v2
	s_and_saveexec_b32 s13, s1
	s_cbranch_execz .LBB97_162
; %bb.161:                              ;   in Loop: Header=BB97_12 Depth=1
	v_mov_b32_e32 v11, v12
	ds_store_b64 v25, v[11:12]
.LBB97_162:                             ;   in Loop: Header=BB97_12 Depth=1
	s_or_b32 exec_lo, exec_lo, s13
	s_lshl_b64 s[14:15], 2, s22
	s_and_b64 s[44:45], s[44:45], s[10:11]
	s_or_b64 s[46:47], s[46:47], s[8:9]
	s_or_b64 s[44:45], s[44:45], s[14:15]
	s_cmp_eq_u32 s7, 0
	s_waitcnt lgkmcnt(0)
	s_barrier
	buffer_gl0_inv
	s_cbranch_scc1 .LBB97_172
; %bb.163:                              ;   in Loop: Header=BB97_12 Depth=1
	s_add_i32 s13, s7, s55
                                        ; implicit-def: $vgpr4_vgpr5
	s_delay_alu instid0(SALU_CYCLE_1) | instskip(NEXT) | instid1(SALU_CYCLE_1)
	s_mul_hi_u32 s14, s13, s65
	s_mul_i32 s14, s14, s51
	s_delay_alu instid0(SALU_CYCLE_1) | instskip(NEXT) | instid1(SALU_CYCLE_1)
	s_sub_i32 s14, s13, s14
	s_sub_i32 s15, s14, s51
	s_cmp_ge_u32 s14, s51
	s_cselect_b32 s14, s15, s14
	s_delay_alu instid0(SALU_CYCLE_1) | instskip(SKIP_2) | instid1(SALU_CYCLE_1)
	s_sub_i32 s15, s14, s51
	s_cmp_ge_u32 s14, s51
	s_cselect_b32 s14, s15, s14
	s_sub_i32 s15, s13, s14
	s_mov_b32 s13, 0
	s_mov_b32 s14, exec_lo
	v_cmpx_gt_u32_e64 s15, v0
	s_cbranch_execz .LBB97_174
; %bb.164:                              ;   in Loop: Header=BB97_12 Depth=1
	v_mov_b32_e32 v6, v24
	v_mov_b32_e32 v7, v0
	s_mov_b32 s25, 0
                                        ; implicit-def: $sgpr13
	s_set_inst_prefetch_distance 0x1
	s_branch .LBB97_166
	.p2align	6
.LBB97_165:                             ;   in Loop: Header=BB97_166 Depth=2
	s_or_b32 exec_lo, exec_lo, s26
	s_waitcnt lgkmcnt(0)
	s_barrier
	buffer_gl0_inv
	ds_load_b128 v[2:5], v12 offset:3072
	v_add_nc_u32_e32 v7, s51, v7
	v_add_nc_u32_e32 v6, s69, v6
	s_waitcnt lgkmcnt(0)
	s_barrier
	buffer_gl0_inv
	v_cmp_le_u32_e32 vcc_lo, s15, v7
	v_readfirstlane_b32 s79, v3
	v_readfirstlane_b32 s78, v2
	s_delay_alu instid0(VALU_DEP_1) | instskip(SKIP_1) | instid1(SALU_CYCLE_1)
	s_cmp_lg_u64 s[78:79], 0
	s_cselect_b32 s26, -1, 0
	s_or_b32 s78, vcc_lo, s26
	s_delay_alu instid0(SALU_CYCLE_1) | instskip(NEXT) | instid1(SALU_CYCLE_1)
	s_and_b32 s78, exec_lo, s78
	s_or_b32 s25, s78, s25
	s_and_not1_b32 s13, s13, exec_lo
	s_and_b32 s26, s26, exec_lo
	s_delay_alu instid0(SALU_CYCLE_1)
	s_or_b32 s13, s13, s26
	s_and_not1_b32 exec_lo, exec_lo, s25
	s_cbranch_execz .LBB97_173
.LBB97_166:                             ;   Parent Loop BB97_12 Depth=1
                                        ; =>  This Inner Loop Header: Depth=2
	v_mov_b32_e32 v3, 0
	v_mov_b32_e32 v4, 0
	v_cmp_gt_u32_e32 vcc_lo, s7, v7
	s_and_saveexec_b32 s26, vcc_lo
	s_cbranch_execz .LBB97_168
; %bb.167:                              ;   in Loop: Header=BB97_166 Depth=2
	ds_load_b64 v[3:4], v6
.LBB97_168:                             ;   in Loop: Header=BB97_166 Depth=2
	s_or_b32 exec_lo, exec_lo, s26
	s_and_saveexec_b32 s26, vcc_lo
	s_cbranch_execz .LBB97_165
; %bb.169:                              ;   in Loop: Header=BB97_166 Depth=2
	s_waitcnt lgkmcnt(0)
	v_xor_b32_e32 v2, 0x80000000, v4
	v_and_b32_e32 v8, s46, v3
	s_delay_alu instid0(VALU_DEP_2) | instskip(NEXT) | instid1(VALU_DEP_1)
	v_and_b32_e32 v9, s47, v2
	v_cmp_eq_u64_e32 vcc_lo, s[44:45], v[8:9]
	s_and_b32 exec_lo, exec_lo, vcc_lo
	s_cbranch_execz .LBB97_165
; %bb.170:                              ;   in Loop: Header=BB97_166 Depth=2
	v_mov_b32_e32 v2, v12
	ds_store_b128 v12, v[1:4] offset:3072
	s_branch .LBB97_165
.LBB97_171:                             ;   in Loop: Header=BB97_12 Depth=1
                                        ; implicit-def: $sgpr25
                                        ; implicit-def: $sgpr78
                                        ; implicit-def: $sgpr26
	s_branch .LBB97_185
.LBB97_172:                             ;   in Loop: Header=BB97_12 Depth=1
	s_mov_b32 s25, -1
	s_mov_b32 s13, 0
                                        ; implicit-def: $sgpr26
                                        ; implicit-def: $vgpr4_vgpr5
	s_mov_b32 s78, s25
	s_cbranch_execnz .LBB97_175
	s_branch .LBB97_185
.LBB97_173:                             ;   in Loop: Header=BB97_12 Depth=1
	s_set_inst_prefetch_distance 0x2
	s_or_b32 exec_lo, exec_lo, s25
	s_delay_alu instid0(SALU_CYCLE_1)
	s_and_b32 s13, s13, exec_lo
.LBB97_174:                             ;   in Loop: Header=BB97_12 Depth=1
	s_or_b32 exec_lo, exec_lo, s14
	s_mov_b32 s26, -1
	s_mov_b32 s25, 0
	s_delay_alu instid0(SALU_CYCLE_1)
	s_mov_b32 s78, s25
	s_branch .LBB97_185
.LBB97_175:                             ;   in Loop: Header=BB97_12 Depth=1
	s_mov_b32 s13, 0
                                        ; implicit-def: $vgpr4_vgpr5
	s_and_saveexec_b32 s14, s6
	s_cbranch_execz .LBB97_184
; %bb.176:                              ;   in Loop: Header=BB97_12 Depth=1
	v_dual_mov_b32 v11, v10 :: v_dual_mov_b32 v6, v0
	s_mov_b32 s15, 0
                                        ; implicit-def: $sgpr13
	s_set_inst_prefetch_distance 0x1
	s_branch .LBB97_178
	.p2align	6
.LBB97_177:                             ;   in Loop: Header=BB97_178 Depth=2
	s_or_b32 exec_lo, exec_lo, s7
	s_waitcnt vmcnt(0) lgkmcnt(0)
	s_barrier
	buffer_gl0_inv
	ds_load_b128 v[2:5], v12 offset:3072
	v_add_nc_u32_e32 v6, s51, v6
	v_add_nc_u32_e32 v11, s54, v11
	s_waitcnt lgkmcnt(0)
	s_barrier
	buffer_gl0_inv
	v_cmp_le_u32_e32 vcc_lo, s66, v6
	v_readfirstlane_b32 s79, v3
	v_readfirstlane_b32 s78, v2
	s_delay_alu instid0(VALU_DEP_1) | instskip(SKIP_1) | instid1(SALU_CYCLE_1)
	s_cmp_lg_u64 s[78:79], 0
	s_cselect_b32 s7, -1, 0
	s_or_b32 s25, vcc_lo, s7
	s_delay_alu instid0(SALU_CYCLE_1) | instskip(NEXT) | instid1(SALU_CYCLE_1)
	s_and_b32 s25, exec_lo, s25
	s_or_b32 s15, s25, s15
	s_and_not1_b32 s13, s13, exec_lo
	s_and_b32 s7, s7, exec_lo
	s_delay_alu instid0(SALU_CYCLE_1)
	s_or_b32 s13, s13, s7
	s_and_not1_b32 exec_lo, exec_lo, s15
	s_cbranch_execz .LBB97_183
.LBB97_178:                             ;   Parent Loop BB97_12 Depth=1
                                        ; =>  This Inner Loop Header: Depth=2
	v_mov_b32_e32 v3, 0
	v_mov_b32_e32 v4, 0
	v_cmp_gt_u32_e32 vcc_lo, s28, v6
	s_and_saveexec_b32 s25, vcc_lo
	s_cbranch_execz .LBB97_180
; %bb.179:                              ;   in Loop: Header=BB97_178 Depth=2
	v_lshlrev_b64 v[2:3], 3, v[11:12]
	s_delay_alu instid0(VALU_DEP_1) | instskip(NEXT) | instid1(VALU_DEP_1)
	v_add_co_u32 v2, s7, s49, v2
	v_add_co_ci_u32_e64 v3, s7, s50, v3, s7
	global_load_b64 v[3:4], v[2:3], off
.LBB97_180:                             ;   in Loop: Header=BB97_178 Depth=2
	s_or_b32 exec_lo, exec_lo, s25
	s_and_saveexec_b32 s7, vcc_lo
	s_cbranch_execz .LBB97_177
; %bb.181:                              ;   in Loop: Header=BB97_178 Depth=2
	s_waitcnt vmcnt(0)
	v_xor_b32_e32 v2, 0x80000000, v4
	v_and_b32_e32 v7, s46, v3
	s_delay_alu instid0(VALU_DEP_2) | instskip(NEXT) | instid1(VALU_DEP_1)
	v_and_b32_e32 v8, s47, v2
	v_cmp_eq_u64_e32 vcc_lo, s[44:45], v[7:8]
	s_and_b32 exec_lo, exec_lo, vcc_lo
	s_cbranch_execz .LBB97_177
; %bb.182:                              ;   in Loop: Header=BB97_178 Depth=2
	v_mov_b32_e32 v2, v12
	ds_store_b128 v12, v[1:4] offset:3072
	s_branch .LBB97_177
.LBB97_183:                             ;   in Loop: Header=BB97_12 Depth=1
	s_set_inst_prefetch_distance 0x2
	s_or_b32 exec_lo, exec_lo, s15
	s_delay_alu instid0(SALU_CYCLE_1)
	s_and_b32 s13, s13, exec_lo
.LBB97_184:                             ;   in Loop: Header=BB97_12 Depth=1
	s_or_b32 exec_lo, exec_lo, s14
	s_mov_b32 s78, -1
	s_mov_b32 s25, 0
	s_mov_b32 s26, 0
.LBB97_185:                             ;   in Loop: Header=BB97_12 Depth=1
	s_mov_b32 s14, 0
                                        ; implicit-def: $sgpr7
	s_and_saveexec_b32 s79, s13
	s_cbranch_execz .LBB97_240
; %bb.186:                              ;   in Loop: Header=BB97_12 Depth=1
	s_xor_b32 s7, s12, -1
	s_mov_b32 s81, 0
	s_and_not1_b32 vcc_lo, exec_lo, s7
	s_mov_b32 s12, 1
	s_cbranch_vccnz .LBB97_197
; %bb.187:                              ;   in Loop: Header=BB97_12 Depth=1
	s_cmp_gt_u32 s80, s19
	s_mov_b32 s81, -1
                                        ; implicit-def: $sgpr7
                                        ; implicit-def: $sgpr12_sgpr13
                                        ; implicit-def: $sgpr14_sgpr15
	s_cbranch_scc1 .LBB97_193
; %bb.188:                              ;   in Loop: Header=BB97_12 Depth=1
	ds_load_b32 v2, v12 offset:4104
	s_waitcnt lgkmcnt(0)
	v_cmp_ne_u32_e32 vcc_lo, 0, v2
	s_cbranch_vccnz .LBB97_192
; %bb.189:                              ;   in Loop: Header=BB97_12 Depth=1
	s_and_saveexec_b32 s7, s2
	s_cbranch_execz .LBB97_191
; %bb.190:                              ;   in Loop: Header=BB97_12 Depth=1
	v_mov_b32_e32 v2, s19
	ds_store_b32 v12, v2 offset:4108
.LBB97_191:                             ;   in Loop: Header=BB97_12 Depth=1
	s_or_b32 exec_lo, exec_lo, s7
	s_waitcnt lgkmcnt(0)
	s_barrier
	buffer_gl0_inv
.LBB97_192:                             ;   in Loop: Header=BB97_12 Depth=1
	s_lshl_b64 s[12:13], 2, s22
	s_and_b64 s[10:11], s[44:45], s[10:11]
	s_or_b64 s[14:15], s[46:47], s[8:9]
	s_or_b64 s[12:13], s[10:11], s[12:13]
	s_mov_b32 s81, 0
	s_mov_b32 s7, 8
.LBB97_193:                             ;   in Loop: Header=BB97_12 Depth=1
	s_and_not1_b32 vcc_lo, exec_lo, s81
	s_cbranch_vccnz .LBB97_195
; %bb.194:                              ;   in Loop: Header=BB97_12 Depth=1
	s_sub_i32 s80, s80, s19
	s_mov_b32 s81, -1
	s_mov_b32 s7, 0
	s_mov_b64 s[12:13], s[44:45]
	s_mov_b64 s[14:15], s[46:47]
.LBB97_195:                             ;   in Loop: Header=BB97_12 Depth=1
	s_delay_alu instid0(SALU_CYCLE_1)
	s_mov_b64 s[46:47], s[14:15]
	s_mov_b64 s[44:45], s[12:13]
	s_mov_b32 s12, s80
	s_and_not1_b32 vcc_lo, exec_lo, s81
	s_mov_b32 s22, -1
	s_cbranch_vccz .LBB97_198
.LBB97_196:                             ;   in Loop: Header=BB97_12 Depth=1
                                        ; implicit-def: $sgpr13
                                        ; implicit-def: $sgpr15
                                        ; implicit-def: $sgpr14
	s_branch .LBB97_239
.LBB97_197:                             ;   in Loop: Header=BB97_12 Depth=1
	s_mov_b32 s7, 1
	s_and_not1_b32 vcc_lo, exec_lo, s81
	s_mov_b32 s22, -1
	s_cbranch_vccnz .LBB97_196
.LBB97_198:                             ;   in Loop: Header=BB97_12 Depth=1
	s_cmp_eq_u32 s16, 1
	s_mov_b32 s11, -1
	s_cselect_b32 s7, -1, 0
	s_cmp_eq_u32 s12, 1
	s_cselect_b32 s10, -1, 0
	s_delay_alu instid0(SALU_CYCLE_1) | instskip(NEXT) | instid1(SALU_CYCLE_1)
	s_and_b32 s10, s7, s10
	s_and_b32 vcc_lo, exec_lo, s10
	s_cbranch_vccz .LBB97_210
; %bb.199:                              ;   in Loop: Header=BB97_12 Depth=1
	ds_load_b32 v2, v12 offset:4104
	s_waitcnt lgkmcnt(0)
	s_barrier
	buffer_gl0_inv
	v_readfirstlane_b32 s7, v2
	s_and_saveexec_b32 s11, s1
	s_cbranch_execz .LBB97_201
; %bb.200:                              ;   in Loop: Header=BB97_12 Depth=1
	v_mov_b32_e32 v11, v12
	ds_store_b64 v25, v[11:12]
.LBB97_201:                             ;   in Loop: Header=BB97_12 Depth=1
	s_or_b32 exec_lo, exec_lo, s11
	s_or_b64 s[44:45], s[44:45], s[8:9]
	s_or_b64 s[46:47], s[46:47], s[8:9]
	s_cmp_eq_u32 s7, 0
	s_waitcnt lgkmcnt(0)
	s_barrier
	buffer_gl0_inv
	s_cbranch_scc1 .LBB97_211
; %bb.202:                              ;   in Loop: Header=BB97_12 Depth=1
	s_add_i32 s11, s7, s55
                                        ; implicit-def: $vgpr4_vgpr5
	s_delay_alu instid0(SALU_CYCLE_1) | instskip(NEXT) | instid1(SALU_CYCLE_1)
	s_mul_hi_u32 s13, s11, s65
	s_mul_i32 s13, s13, s51
	s_delay_alu instid0(SALU_CYCLE_1) | instskip(NEXT) | instid1(SALU_CYCLE_1)
	s_sub_i32 s13, s11, s13
	s_sub_i32 s14, s13, s51
	s_cmp_ge_u32 s13, s51
	s_cselect_b32 s13, s14, s13
	s_delay_alu instid0(SALU_CYCLE_1) | instskip(SKIP_2) | instid1(SALU_CYCLE_1)
	s_sub_i32 s14, s13, s51
	s_cmp_ge_u32 s13, s51
	s_cselect_b32 s13, s14, s13
	s_sub_i32 s14, s11, s13
	s_mov_b32 s11, 0
	s_mov_b32 s13, exec_lo
	v_cmpx_gt_u32_e64 s14, v0
	s_cbranch_execz .LBB97_213
; %bb.203:                              ;   in Loop: Header=BB97_12 Depth=1
	v_mov_b32_e32 v6, v24
	v_mov_b32_e32 v7, v0
	s_mov_b32 s15, 0
                                        ; implicit-def: $sgpr11
	s_set_inst_prefetch_distance 0x1
	s_branch .LBB97_205
	.p2align	6
.LBB97_204:                             ;   in Loop: Header=BB97_205 Depth=2
	s_or_b32 exec_lo, exec_lo, s19
	s_waitcnt lgkmcnt(0)
	s_barrier
	buffer_gl0_inv
	ds_load_b128 v[2:5], v12 offset:3072
	v_add_nc_u32_e32 v7, s51, v7
	v_add_nc_u32_e32 v6, s69, v6
	s_waitcnt lgkmcnt(0)
	s_barrier
	buffer_gl0_inv
	v_cmp_le_u32_e32 vcc_lo, s14, v7
	v_readfirstlane_b32 s81, v3
	v_readfirstlane_b32 s80, v2
	s_delay_alu instid0(VALU_DEP_1) | instskip(SKIP_1) | instid1(SALU_CYCLE_1)
	s_cmp_lg_u64 s[80:81], 0
	s_cselect_b32 s19, -1, 0
	s_or_b32 s22, vcc_lo, s19
	s_delay_alu instid0(SALU_CYCLE_1) | instskip(NEXT) | instid1(SALU_CYCLE_1)
	s_and_b32 s22, exec_lo, s22
	s_or_b32 s15, s22, s15
	s_and_not1_b32 s11, s11, exec_lo
	s_and_b32 s19, s19, exec_lo
	s_delay_alu instid0(SALU_CYCLE_1)
	s_or_b32 s11, s11, s19
	s_and_not1_b32 exec_lo, exec_lo, s15
	s_cbranch_execz .LBB97_212
.LBB97_205:                             ;   Parent Loop BB97_12 Depth=1
                                        ; =>  This Inner Loop Header: Depth=2
	v_mov_b32_e32 v3, 0
	v_mov_b32_e32 v4, 0
	v_cmp_gt_u32_e32 vcc_lo, s7, v7
	s_and_saveexec_b32 s19, vcc_lo
	s_cbranch_execz .LBB97_207
; %bb.206:                              ;   in Loop: Header=BB97_205 Depth=2
	ds_load_b64 v[3:4], v6
.LBB97_207:                             ;   in Loop: Header=BB97_205 Depth=2
	s_or_b32 exec_lo, exec_lo, s19
	s_and_saveexec_b32 s19, vcc_lo
	s_cbranch_execz .LBB97_204
; %bb.208:                              ;   in Loop: Header=BB97_205 Depth=2
	s_waitcnt lgkmcnt(0)
	v_xor_b32_e32 v2, 0x80000000, v4
	v_and_b32_e32 v8, s46, v3
	s_delay_alu instid0(VALU_DEP_2) | instskip(NEXT) | instid1(VALU_DEP_1)
	v_and_b32_e32 v9, s47, v2
	v_cmp_eq_u64_e32 vcc_lo, s[44:45], v[8:9]
	s_and_b32 exec_lo, exec_lo, vcc_lo
	s_cbranch_execz .LBB97_204
; %bb.209:                              ;   in Loop: Header=BB97_205 Depth=2
	v_mov_b32_e32 v2, v12
	ds_store_b128 v12, v[1:4] offset:3072
	s_branch .LBB97_204
.LBB97_210:                             ;   in Loop: Header=BB97_12 Depth=1
                                        ; implicit-def: $sgpr13
                                        ; implicit-def: $sgpr15
                                        ; implicit-def: $sgpr14
	s_branch .LBB97_224
.LBB97_211:                             ;   in Loop: Header=BB97_12 Depth=1
	s_mov_b32 s13, -1
	s_mov_b32 s11, 0
                                        ; implicit-def: $sgpr14
                                        ; implicit-def: $vgpr4_vgpr5
	s_mov_b32 s15, s13
	s_cbranch_execnz .LBB97_214
	s_branch .LBB97_224
.LBB97_212:                             ;   in Loop: Header=BB97_12 Depth=1
	s_set_inst_prefetch_distance 0x2
	s_or_b32 exec_lo, exec_lo, s15
	s_delay_alu instid0(SALU_CYCLE_1)
	s_and_b32 s11, s11, exec_lo
.LBB97_213:                             ;   in Loop: Header=BB97_12 Depth=1
	s_or_b32 exec_lo, exec_lo, s13
	s_mov_b32 s14, -1
	s_mov_b32 s13, 0
	s_delay_alu instid0(SALU_CYCLE_1)
	s_mov_b32 s15, s13
	s_branch .LBB97_224
.LBB97_214:                             ;   in Loop: Header=BB97_12 Depth=1
	s_mov_b32 s11, 0
                                        ; implicit-def: $vgpr4_vgpr5
	s_and_saveexec_b32 s13, s6
	s_cbranch_execz .LBB97_223
; %bb.215:                              ;   in Loop: Header=BB97_12 Depth=1
	v_dual_mov_b32 v11, v10 :: v_dual_mov_b32 v6, v0
	s_mov_b32 s14, 0
                                        ; implicit-def: $sgpr11
	s_set_inst_prefetch_distance 0x1
	s_branch .LBB97_217
	.p2align	6
.LBB97_216:                             ;   in Loop: Header=BB97_217 Depth=2
	s_or_b32 exec_lo, exec_lo, s7
	s_waitcnt vmcnt(0) lgkmcnt(0)
	s_barrier
	buffer_gl0_inv
	ds_load_b128 v[2:5], v12 offset:3072
	v_add_nc_u32_e32 v6, s51, v6
	v_add_nc_u32_e32 v11, s54, v11
	s_waitcnt lgkmcnt(0)
	s_barrier
	buffer_gl0_inv
	v_cmp_le_u32_e32 vcc_lo, s66, v6
	v_readfirstlane_b32 s81, v3
	v_readfirstlane_b32 s80, v2
	s_delay_alu instid0(VALU_DEP_1) | instskip(SKIP_1) | instid1(SALU_CYCLE_1)
	s_cmp_lg_u64 s[80:81], 0
	s_cselect_b32 s7, -1, 0
	s_or_b32 s15, vcc_lo, s7
	s_delay_alu instid0(SALU_CYCLE_1) | instskip(NEXT) | instid1(SALU_CYCLE_1)
	s_and_b32 s15, exec_lo, s15
	s_or_b32 s14, s15, s14
	s_and_not1_b32 s11, s11, exec_lo
	s_and_b32 s7, s7, exec_lo
	s_delay_alu instid0(SALU_CYCLE_1)
	s_or_b32 s11, s11, s7
	s_and_not1_b32 exec_lo, exec_lo, s14
	s_cbranch_execz .LBB97_222
.LBB97_217:                             ;   Parent Loop BB97_12 Depth=1
                                        ; =>  This Inner Loop Header: Depth=2
	v_mov_b32_e32 v3, 0
	v_mov_b32_e32 v4, 0
	v_cmp_gt_u32_e32 vcc_lo, s28, v6
	s_and_saveexec_b32 s15, vcc_lo
	s_cbranch_execz .LBB97_219
; %bb.218:                              ;   in Loop: Header=BB97_217 Depth=2
	v_lshlrev_b64 v[2:3], 3, v[11:12]
	s_delay_alu instid0(VALU_DEP_1) | instskip(NEXT) | instid1(VALU_DEP_1)
	v_add_co_u32 v2, s7, s49, v2
	v_add_co_ci_u32_e64 v3, s7, s50, v3, s7
	global_load_b64 v[3:4], v[2:3], off
.LBB97_219:                             ;   in Loop: Header=BB97_217 Depth=2
	s_or_b32 exec_lo, exec_lo, s15
	s_and_saveexec_b32 s7, vcc_lo
	s_cbranch_execz .LBB97_216
; %bb.220:                              ;   in Loop: Header=BB97_217 Depth=2
	s_waitcnt vmcnt(0)
	v_xor_b32_e32 v2, 0x80000000, v4
	v_and_b32_e32 v7, s46, v3
	s_delay_alu instid0(VALU_DEP_2) | instskip(NEXT) | instid1(VALU_DEP_1)
	v_and_b32_e32 v8, s47, v2
	v_cmp_eq_u64_e32 vcc_lo, s[44:45], v[7:8]
	s_and_b32 exec_lo, exec_lo, vcc_lo
	s_cbranch_execz .LBB97_216
; %bb.221:                              ;   in Loop: Header=BB97_217 Depth=2
	v_mov_b32_e32 v2, v12
	ds_store_b128 v12, v[1:4] offset:3072
	s_branch .LBB97_216
.LBB97_222:                             ;   in Loop: Header=BB97_12 Depth=1
	s_set_inst_prefetch_distance 0x2
	s_or_b32 exec_lo, exec_lo, s14
	s_delay_alu instid0(SALU_CYCLE_1)
	s_and_b32 s11, s11, exec_lo
.LBB97_223:                             ;   in Loop: Header=BB97_12 Depth=1
	s_or_b32 exec_lo, exec_lo, s13
	s_mov_b32 s15, -1
	s_mov_b32 s13, 0
	s_mov_b32 s14, 0
.LBB97_224:                             ;   in Loop: Header=BB97_12 Depth=1
	s_mov_b32 s22, 0
                                        ; implicit-def: $sgpr7
	s_and_saveexec_b32 s19, s11
	s_cbranch_execz .LBB97_238
; %bb.225:                              ;   in Loop: Header=BB97_12 Depth=1
	s_xor_b32 s7, s10, -1
	s_delay_alu instid0(SALU_CYCLE_1)
	s_and_not1_b32 vcc_lo, exec_lo, s7
	s_mov_b32 s7, 1
	s_cbranch_vccnz .LBB97_232
; %bb.226:                              ;   in Loop: Header=BB97_12 Depth=1
	s_cmp_gt_u32 s12, s16
	s_cbranch_scc1 .LBB97_233
; %bb.227:                              ;   in Loop: Header=BB97_12 Depth=1
	ds_load_b32 v2, v12 offset:4104
	s_waitcnt lgkmcnt(0)
	v_cmp_ne_u32_e32 vcc_lo, 0, v2
	s_cbranch_vccnz .LBB97_231
; %bb.228:                              ;   in Loop: Header=BB97_12 Depth=1
	s_and_saveexec_b32 s7, s2
	s_cbranch_execz .LBB97_230
; %bb.229:                              ;   in Loop: Header=BB97_12 Depth=1
	v_mov_b32_e32 v2, s16
	ds_store_b32 v12, v2 offset:4108
.LBB97_230:                             ;   in Loop: Header=BB97_12 Depth=1
	s_or_b32 exec_lo, exec_lo, s7
	s_waitcnt lgkmcnt(0)
	s_barrier
	buffer_gl0_inv
.LBB97_231:                             ;   in Loop: Header=BB97_12 Depth=1
	s_or_b64 s[10:11], s[44:45], s[8:9]
	s_or_b64 s[8:9], s[46:47], s[8:9]
	s_mov_b32 s7, 8
	s_branch .LBB97_234
.LBB97_232:                             ;   in Loop: Header=BB97_12 Depth=1
	s_mov_b32 s12, 1
	s_branch .LBB97_237
.LBB97_233:                             ;   in Loop: Header=BB97_12 Depth=1
	s_mov_b32 s22, -1
                                        ; implicit-def: $sgpr7
                                        ; implicit-def: $sgpr10_sgpr11
                                        ; implicit-def: $sgpr8_sgpr9
.LBB97_234:                             ;   in Loop: Header=BB97_12 Depth=1
	s_delay_alu instid0(SALU_CYCLE_1)
	s_and_not1_b32 vcc_lo, exec_lo, s22
	s_cbranch_vccnz .LBB97_236
; %bb.235:                              ;   in Loop: Header=BB97_12 Depth=1
	s_sub_i32 s12, s12, s16
	s_mov_b32 s7, 8
	s_mov_b64 s[10:11], s[44:45]
	s_mov_b64 s[8:9], s[46:47]
.LBB97_236:                             ;   in Loop: Header=BB97_12 Depth=1
	s_mov_b64 s[44:45], s[10:11]
	s_mov_b64 s[46:47], s[8:9]
.LBB97_237:                             ;   in Loop: Header=BB97_12 Depth=1
	s_mov_b32 s22, exec_lo
.LBB97_238:                             ;   in Loop: Header=BB97_12 Depth=1
	s_or_b32 exec_lo, exec_lo, s19
.LBB97_239:                             ;   in Loop: Header=BB97_12 Depth=1
	s_delay_alu instid0(SALU_CYCLE_1)
	s_and_not1_b32 s8, s25, exec_lo
	s_and_b32 s9, s13, exec_lo
	s_and_not1_b32 s10, s26, exec_lo
	s_or_b32 s25, s8, s9
	s_and_not1_b32 s8, s78, exec_lo
	s_and_b32 s9, s15, exec_lo
	s_and_b32 s11, s14, exec_lo
	s_or_b32 s78, s8, s9
	s_or_b32 s26, s10, s11
	s_and_b32 s14, s22, exec_lo
	s_mov_b32 s80, s12
.LBB97_240:                             ;   in Loop: Header=BB97_12 Depth=1
	s_or_b32 exec_lo, exec_lo, s79
.LBB97_241:                             ;   in Loop: Header=BB97_12 Depth=1
	s_delay_alu instid0(SALU_CYCLE_1)
	s_and_not1_b32 s8, s21, exec_lo
	s_and_b32 s9, s25, exec_lo
	s_and_not1_b32 s10, s20, exec_lo
	s_or_b32 s21, s8, s9
	s_and_not1_b32 s8, s23, exec_lo
	s_and_b32 s9, s78, exec_lo
	s_and_b32 s11, s26, exec_lo
	s_or_b32 s23, s8, s9
	s_or_b32 s20, s10, s11
	s_and_b32 s14, s14, exec_lo
	s_mov_b32 s26, s80
.LBB97_242:                             ;   in Loop: Header=BB97_12 Depth=1
	s_or_b32 exec_lo, exec_lo, s24
                                        ; implicit-def: $sgpr78
	s_and_saveexec_b32 s8, s14
	s_delay_alu instid0(SALU_CYCLE_1)
	s_xor_b32 s8, exec_lo, s8
	s_cbranch_execz .LBB97_10
.LBB97_243:                             ;   in Loop: Header=BB97_12 Depth=1
	s_and_b32 s7, s7, -9
	s_delay_alu instid0(SALU_CYCLE_1)
	s_cmp_eq_u32 s7, 0
	s_cbranch_scc1 .LBB97_8
; %bb.244:                              ;   in Loop: Header=BB97_12 Depth=1
	s_mov_b32 s7, -1
	s_mov_b32 s9, -1
                                        ; implicit-def: $sgpr46_sgpr47
                                        ; implicit-def: $sgpr26
                                        ; implicit-def: $sgpr72
                                        ; implicit-def: $sgpr76
	s_branch .LBB97_9
.LBB97_245:
	s_or_b32 exec_lo, exec_lo, s27
	s_xor_b32 s4, s73, -1
	s_xor_b32 s1, s70, -1
	;; [unrolled: 1-line block ×3, first 2 shown]
	s_mov_b32 s2, 0
	s_and_saveexec_b32 s5, s1
	s_delay_alu instid0(SALU_CYCLE_1)
	s_xor_b32 s1, exec_lo, s5
	s_cbranch_execz .LBB97_259
; %bb.246:
	s_and_saveexec_b32 s2, s4
	s_delay_alu instid0(SALU_CYCLE_1)
	s_xor_b32 s4, exec_lo, s2
	s_cbranch_execz .LBB97_257
; %bb.247:
	s_and_saveexec_b32 s2, s3
	s_delay_alu instid0(SALU_CYCLE_1)
	s_xor_b32 s2, exec_lo, s2
; %bb.248:
	v_xor_b32_e32 v3, 0x80000000, v3
	s_delay_alu instid0(VALU_DEP_1)
	v_dual_mov_b32 v5, v3 :: v_dual_mov_b32 v4, v2
; %bb.249:
	s_or_b32 exec_lo, exec_lo, s2
	s_mul_i32 s2, s52, s48
	s_add_i32 s3, s52, 1
	s_sub_i32 s2, s33, s2
	v_mov_b32_e32 v11, 0
	s_sub_i32 s5, s2, s48
	s_cmp_ge_u32 s2, s48
	s_cselect_b32 s3, s3, s52
	s_cselect_b32 s2, s5, s2
	s_add_i32 s5, s3, 1
	s_cmp_ge_u32 s2, s48
	s_cselect_b32 s2, s5, s3
	s_delay_alu instid0(SALU_CYCLE_1) | instskip(SKIP_2) | instid1(SALU_CYCLE_1)
	s_mul_i32 s3, s2, s48
	s_mul_i32 s2, s2, s40
	s_sub_i32 s3, s33, s3
	s_mul_i32 s5, s3, s41
	s_mov_b32 s3, 0
	s_add_i32 s2, s2, s5
	s_delay_alu instid0(SALU_CYCLE_1) | instskip(NEXT) | instid1(SALU_CYCLE_1)
	s_lshl_b64 s[6:7], s[2:3], 3
	s_add_u32 s6, s38, s6
	s_addc_u32 s7, s39, s7
	global_store_b64 v11, v[4:5], s[6:7]
	s_and_saveexec_b32 s2, s0
	s_cbranch_execz .LBB97_256
; %bb.250:
                                        ; implicit-def: $sgpr0
                                        ; implicit-def: $sgpr6
                                        ; implicit-def: $sgpr5
	s_set_inst_prefetch_distance 0x1
	s_branch .LBB97_252
	.p2align	6
.LBB97_251:                             ;   in Loop: Header=BB97_252 Depth=1
	s_or_b32 exec_lo, exec_lo, s7
	s_delay_alu instid0(SALU_CYCLE_1) | instskip(NEXT) | instid1(SALU_CYCLE_1)
	s_and_b32 s7, exec_lo, s6
	s_or_b32 s3, s7, s3
	s_and_not1_b32 s0, s0, exec_lo
	s_and_b32 s7, s5, exec_lo
	s_delay_alu instid0(SALU_CYCLE_1)
	s_or_b32 s0, s0, s7
	s_and_not1_b32 exec_lo, exec_lo, s3
	s_cbranch_execz .LBB97_254
.LBB97_252:                             ; =>This Inner Loop Header: Depth=1
	v_lshlrev_b64 v[1:2], 3, v[10:11]
	s_or_b32 s5, s5, exec_lo
	s_or_b32 s6, s6, exec_lo
	s_delay_alu instid0(VALU_DEP_1) | instskip(NEXT) | instid1(VALU_DEP_2)
	v_add_co_u32 v1, vcc_lo, s49, v1
	v_add_co_ci_u32_e32 v2, vcc_lo, s50, v2, vcc_lo
	global_load_b64 v[1:2], v[1:2], off
	s_waitcnt vmcnt(0)
	v_cmp_ne_u64_e32 vcc_lo, v[1:2], v[4:5]
	v_mov_b32_e32 v1, v0
                                        ; implicit-def: $vgpr0
	s_and_saveexec_b32 s7, vcc_lo
	s_cbranch_execz .LBB97_251
; %bb.253:                              ;   in Loop: Header=BB97_252 Depth=1
	s_delay_alu instid0(VALU_DEP_1) | instskip(SKIP_3) | instid1(VALU_DEP_2)
	v_add_nc_u32_e32 v0, s51, v1
	s_and_not1_b32 s6, s6, exec_lo
	v_add_nc_u32_e32 v10, s54, v10
	s_and_not1_b32 s5, s5, exec_lo
	v_cmp_le_u32_e32 vcc_lo, s28, v0
	s_and_b32 s8, vcc_lo, exec_lo
	s_delay_alu instid0(SALU_CYCLE_1)
	s_or_b32 s6, s6, s8
	s_branch .LBB97_251
.LBB97_254:
	s_set_inst_prefetch_distance 0x2
	s_or_b32 exec_lo, exec_lo, s3
	s_and_saveexec_b32 s3, s0
	s_delay_alu instid0(SALU_CYCLE_1)
	s_xor_b32 s3, exec_lo, s3
	s_cbranch_execz .LBB97_256
; %bb.255:
	s_mul_i32 s0, s31, s29
	s_add_i32 s3, s31, 1
	s_sub_i32 s0, s33, s0
	s_mov_b32 s7, 0
	s_sub_i32 s5, s0, s29
	s_cmp_ge_u32 s0, s29
	v_mov_b32_e32 v2, 0
	s_cselect_b32 s3, s3, s31
	s_cselect_b32 s0, s5, s0
	s_add_i32 s5, s3, 1
	s_cmp_ge_u32 s0, s29
	s_cselect_b32 s0, s5, s3
	s_delay_alu instid0(SALU_CYCLE_1) | instskip(SKIP_2) | instid1(SALU_CYCLE_1)
	s_mul_i32 s3, s0, s29
	s_mul_i32 s0, s0, s36
	s_sub_i32 s3, s33, s3
	s_mul_i32 s3, s3, s37
	s_delay_alu instid0(SALU_CYCLE_1) | instskip(NEXT) | instid1(SALU_CYCLE_1)
	s_add_i32 s6, s0, s3
	s_lshl_b64 s[6:7], s[6:7], 3
	s_delay_alu instid0(SALU_CYCLE_1)
	s_add_u32 s6, s34, s6
	s_addc_u32 s7, s35, s7
	global_store_b64 v2, v[1:2], s[6:7]
.LBB97_256:
	s_or_b32 exec_lo, exec_lo, s2
.LBB97_257:
	s_or_saveexec_b32 s0, s4
	s_mov_b32 s2, 0
	s_xor_b32 exec_lo, exec_lo, s0
	s_cbranch_execnz .LBB97_265
.LBB97_258:
	s_or_b32 exec_lo, exec_lo, s0
	s_delay_alu instid0(SALU_CYCLE_1)
	s_and_b32 s2, s2, exec_lo
.LBB97_259:
	s_and_not1_saveexec_b32 s0, s1
	s_cbranch_execnz .LBB97_263
; %bb.260:
	s_or_b32 exec_lo, exec_lo, s0
	s_and_saveexec_b32 s0, s2
.LBB97_261:
	; divergent unreachable
.LBB97_262:
	s_nop 0
	s_sendmsg sendmsg(MSG_DEALLOC_VGPRS)
	s_endpgm
.LBB97_263:
	s_cbranch_execnz .LBB97_267
; %bb.264:
	s_or_b32 s2, s2, exec_lo
	s_or_b32 exec_lo, exec_lo, s0
	s_and_saveexec_b32 s0, s2
	s_cbranch_execnz .LBB97_261
	s_branch .LBB97_262
.LBB97_265:
	s_cbranch_execnz .LBB97_269
; %bb.266:
	s_mov_b32 s2, exec_lo
	s_branch .LBB97_258
.LBB97_267:
	s_trap 2
	s_sendmsg_rtn_b32 s0, sendmsg(MSG_RTN_GET_DOORBELL)
	s_mov_b32 ttmp2, m0
	s_waitcnt lgkmcnt(0)
	s_and_b32 s0, s0, 0x3ff
	s_delay_alu instid0(SALU_CYCLE_1) | instskip(NEXT) | instid1(SALU_CYCLE_1)
	s_bitset1_b32 s0, 10
	s_mov_b32 m0, s0
	s_sendmsg sendmsg(MSG_INTERRUPT)
	s_mov_b32 m0, ttmp2
.LBB97_268:                             ; =>This Inner Loop Header: Depth=1
	s_sethalt 5
	s_branch .LBB97_268
.LBB97_269:
	s_trap 2
	s_sendmsg_rtn_b32 s0, sendmsg(MSG_RTN_GET_DOORBELL)
	s_mov_b32 ttmp2, m0
	s_waitcnt lgkmcnt(0)
	s_and_b32 s0, s0, 0x3ff
	s_delay_alu instid0(SALU_CYCLE_1) | instskip(NEXT) | instid1(SALU_CYCLE_1)
	s_bitset1_b32 s0, 10
	s_mov_b32 m0, s0
	s_sendmsg sendmsg(MSG_INTERRUPT)
	s_mov_b32 m0, ttmp2
.LBB97_270:                             ; =>This Inner Loop Header: Depth=1
	s_sethalt 5
	s_branch .LBB97_270
	.section	.rodata,"a",@progbits
	.p2align	6, 0x0
	.amdhsa_kernel _ZN2at6native12_GLOBAL__N_112gatherMedianIljLi2EEEvNS_4cuda6detail10TensorInfoIT_T0_EENS5_IlS7_EENS5_IKS6_S7_EES7_S7_S7_b
		.amdhsa_group_segment_fixed_size 4120
		.amdhsa_private_segment_fixed_size 0
		.amdhsa_kernarg_size 920
		.amdhsa_user_sgpr_count 13
		.amdhsa_user_sgpr_dispatch_ptr 0
		.amdhsa_user_sgpr_queue_ptr 0
		.amdhsa_user_sgpr_kernarg_segment_ptr 1
		.amdhsa_user_sgpr_dispatch_id 0
		.amdhsa_user_sgpr_private_segment_size 0
		.amdhsa_wavefront_size32 1
		.amdhsa_uses_dynamic_stack 0
		.amdhsa_enable_private_segment 0
		.amdhsa_system_sgpr_workgroup_id_x 1
		.amdhsa_system_sgpr_workgroup_id_y 1
		.amdhsa_system_sgpr_workgroup_id_z 1
		.amdhsa_system_sgpr_workgroup_info 0
		.amdhsa_system_vgpr_workitem_id 0
		.amdhsa_next_free_vgpr 49
		.amdhsa_next_free_sgpr 88
		.amdhsa_reserve_vcc 1
		.amdhsa_float_round_mode_32 0
		.amdhsa_float_round_mode_16_64 0
		.amdhsa_float_denorm_mode_32 3
		.amdhsa_float_denorm_mode_16_64 3
		.amdhsa_dx10_clamp 1
		.amdhsa_ieee_mode 1
		.amdhsa_fp16_overflow 0
		.amdhsa_workgroup_processor_mode 1
		.amdhsa_memory_ordered 1
		.amdhsa_forward_progress 0
		.amdhsa_shared_vgpr_count 0
		.amdhsa_exception_fp_ieee_invalid_op 0
		.amdhsa_exception_fp_denorm_src 0
		.amdhsa_exception_fp_ieee_div_zero 0
		.amdhsa_exception_fp_ieee_overflow 0
		.amdhsa_exception_fp_ieee_underflow 0
		.amdhsa_exception_fp_ieee_inexact 0
		.amdhsa_exception_int_div_zero 0
	.end_amdhsa_kernel
	.section	.text._ZN2at6native12_GLOBAL__N_112gatherMedianIljLi2EEEvNS_4cuda6detail10TensorInfoIT_T0_EENS5_IlS7_EENS5_IKS6_S7_EES7_S7_S7_b,"axG",@progbits,_ZN2at6native12_GLOBAL__N_112gatherMedianIljLi2EEEvNS_4cuda6detail10TensorInfoIT_T0_EENS5_IlS7_EENS5_IKS6_S7_EES7_S7_S7_b,comdat
.Lfunc_end97:
	.size	_ZN2at6native12_GLOBAL__N_112gatherMedianIljLi2EEEvNS_4cuda6detail10TensorInfoIT_T0_EENS5_IlS7_EENS5_IKS6_S7_EES7_S7_S7_b, .Lfunc_end97-_ZN2at6native12_GLOBAL__N_112gatherMedianIljLi2EEEvNS_4cuda6detail10TensorInfoIT_T0_EENS5_IlS7_EENS5_IKS6_S7_EES7_S7_S7_b
                                        ; -- End function
	.section	.AMDGPU.csdata,"",@progbits
; Kernel info:
; codeLenInByte = 10096
; NumSgprs: 90
; NumVgprs: 49
; ScratchSize: 0
; MemoryBound: 0
; FloatMode: 240
; IeeeMode: 1
; LDSByteSize: 4120 bytes/workgroup (compile time only)
; SGPRBlocks: 11
; VGPRBlocks: 6
; NumSGPRsForWavesPerEU: 90
; NumVGPRsForWavesPerEU: 49
; Occupancy: 16
; WaveLimiterHint : 1
; COMPUTE_PGM_RSRC2:SCRATCH_EN: 0
; COMPUTE_PGM_RSRC2:USER_SGPR: 13
; COMPUTE_PGM_RSRC2:TRAP_HANDLER: 0
; COMPUTE_PGM_RSRC2:TGID_X_EN: 1
; COMPUTE_PGM_RSRC2:TGID_Y_EN: 1
; COMPUTE_PGM_RSRC2:TGID_Z_EN: 1
; COMPUTE_PGM_RSRC2:TIDIG_COMP_CNT: 0
	.section	.text._ZN2at6native12_GLOBAL__N_112gatherMedianIljLi3EEEvNS_4cuda6detail10TensorInfoIT_T0_EENS5_IlS7_EENS5_IKS6_S7_EES7_S7_S7_b,"axG",@progbits,_ZN2at6native12_GLOBAL__N_112gatherMedianIljLi3EEEvNS_4cuda6detail10TensorInfoIT_T0_EENS5_IlS7_EENS5_IKS6_S7_EES7_S7_S7_b,comdat
	.globl	_ZN2at6native12_GLOBAL__N_112gatherMedianIljLi3EEEvNS_4cuda6detail10TensorInfoIT_T0_EENS5_IlS7_EENS5_IKS6_S7_EES7_S7_S7_b ; -- Begin function _ZN2at6native12_GLOBAL__N_112gatherMedianIljLi3EEEvNS_4cuda6detail10TensorInfoIT_T0_EENS5_IlS7_EENS5_IKS6_S7_EES7_S7_S7_b
	.p2align	8
	.type	_ZN2at6native12_GLOBAL__N_112gatherMedianIljLi3EEEvNS_4cuda6detail10TensorInfoIT_T0_EENS5_IlS7_EENS5_IKS6_S7_EES7_S7_S7_b,@function
_ZN2at6native12_GLOBAL__N_112gatherMedianIljLi3EEEvNS_4cuda6detail10TensorInfoIT_T0_EENS5_IlS7_EENS5_IKS6_S7_EES7_S7_S7_b: ; @_ZN2at6native12_GLOBAL__N_112gatherMedianIljLi3EEEvNS_4cuda6detail10TensorInfoIT_T0_EENS5_IlS7_EENS5_IKS6_S7_EES7_S7_S7_b
; %bb.0:
	s_clause 0x1
	s_load_b64 s[10:11], s[0:1], 0x298
	s_load_b128 s[28:31], s[0:1], 0x288
	s_add_u32 s8, s0, 0x298
	s_addc_u32 s9, s1, 0
	s_waitcnt lgkmcnt(0)
	s_mul_i32 s2, s11, s15
	s_delay_alu instid0(SALU_CYCLE_1) | instskip(NEXT) | instid1(SALU_CYCLE_1)
	s_add_i32 s2, s2, s14
	s_mul_i32 s33, s2, s10
	s_delay_alu instid0(SALU_CYCLE_1) | instskip(NEXT) | instid1(SALU_CYCLE_1)
	s_add_i32 s33, s33, s13
	s_cmp_ge_u32 s33, s29
	s_cbranch_scc1 .LBB98_262
; %bb.1:
	s_clause 0x2
	s_load_b64 s[44:45], s[0:1], 0xc
	s_load_b64 s[34:35], s[0:1], 0xe4
	;; [unrolled: 1-line block ×3, first 2 shown]
	s_waitcnt lgkmcnt(0)
	v_cvt_f32_u32_e32 v1, s45
	v_cvt_f32_u32_e32 v2, s35
	s_sub_i32 s2, 0, s45
	v_cvt_f32_u32_e32 v3, s44
	s_delay_alu instid0(VALU_DEP_3) | instskip(NEXT) | instid1(VALU_DEP_2)
	v_rcp_iflag_f32_e32 v1, v1
	v_rcp_iflag_f32_e32 v2, v2
	s_delay_alu instid0(VALU_DEP_1) | instskip(SKIP_2) | instid1(VALU_DEP_1)
	v_rcp_iflag_f32_e32 v3, v3
	s_waitcnt_depctr 0xfff
	v_dual_mul_f32 v1, 0x4f7ffffe, v1 :: v_dual_mul_f32 v2, 0x4f7ffffe, v2
	v_cvt_u32_f32_e32 v1, v1
	s_delay_alu instid0(VALU_DEP_2) | instskip(NEXT) | instid1(VALU_DEP_2)
	v_cvt_u32_f32_e32 v2, v2
	v_readfirstlane_b32 s3, v1
	s_delay_alu instid0(VALU_DEP_2) | instskip(SKIP_1) | instid1(VALU_DEP_3)
	v_readfirstlane_b32 s11, v2
	v_cvt_f32_u32_e32 v1, s34
	s_mul_i32 s2, s2, s3
	s_delay_alu instid0(VALU_DEP_1) | instskip(SKIP_1) | instid1(SALU_CYCLE_1)
	v_rcp_iflag_f32_e32 v1, v1
	s_mul_hi_u32 s2, s3, s2
	s_add_i32 s3, s3, s2
	s_delay_alu instid0(SALU_CYCLE_1) | instskip(NEXT) | instid1(SALU_CYCLE_1)
	s_mul_hi_u32 s2, s33, s3
	s_mul_i32 s3, s2, s45
	s_add_i32 s4, s2, 1
	s_sub_i32 s3, s33, s3
	s_waitcnt_depctr 0xfff
	v_mul_f32_e32 v1, 0x4f7ffffe, v1
	s_sub_i32 s5, s3, s45
	s_cmp_ge_u32 s3, s45
	s_cselect_b32 s2, s4, s2
	s_cselect_b32 s3, s5, s3
	s_load_b128 s[4:7], s[0:1], 0x21c
	v_cvt_f32_u32_e32 v4, s15
	s_add_i32 s12, s2, 1
	s_cmp_ge_u32 s3, s45
	v_cvt_f32_u32_e32 v5, s14
	s_cselect_b32 s56, s12, s2
	v_rcp_iflag_f32_e32 v4, v4
	s_sub_i32 s2, 0, s35
	v_mul_f32_e32 v2, 0x4f7ffffe, v3
	s_mul_i32 s2, s2, s11
	s_sub_i32 s12, 0, s44
	s_mul_hi_u32 s2, s11, s2
	v_rcp_iflag_f32_e32 v5, v5
	s_add_i32 s11, s11, s2
	v_cvt_u32_f32_e32 v1, v1
	s_mul_hi_u32 s2, s33, s11
	s_waitcnt_depctr 0xfff
	v_mul_f32_e32 v3, 0x4f7ffffe, v4
	s_mul_i32 s3, s2, s35
	s_waitcnt lgkmcnt(0)
	s_add_i32 s7, s2, 1
	s_sub_i32 s3, s33, s3
	v_cvt_u32_f32_e32 v2, v2
	v_cvt_u32_f32_e32 v3, v3
	s_sub_i32 s11, s3, s35
	s_cmp_ge_u32 s3, s35
	v_mul_f32_e32 v4, 0x4f7ffffe, v5
	s_cselect_b32 s2, s7, s2
	s_cselect_b32 s3, s11, s3
	v_readfirstlane_b32 s16, v3
	s_add_i32 s7, s2, 1
	s_cmp_ge_u32 s3, s35
	v_cvt_u32_f32_e32 v3, v4
	s_cselect_b32 s29, s7, s2
	s_sub_i32 s2, 0, s15
	v_readfirstlane_b32 s11, v2
	s_mul_i32 s2, s2, s16
	v_readfirstlane_b32 s18, v3
	s_mul_hi_u32 s2, s16, s2
	v_readfirstlane_b32 s7, v1
	s_add_i32 s16, s16, s2
	s_mul_i32 s12, s12, s11
	s_mul_hi_u32 s2, s33, s16
	s_sub_i32 s16, 0, s34
	s_mul_i32 s3, s2, s15
	s_add_i32 s17, s2, 1
	s_sub_i32 s3, s33, s3
	s_mul_i32 s16, s16, s7
	s_sub_i32 s19, s3, s15
	s_cmp_ge_u32 s3, s15
	s_mul_hi_u32 s12, s11, s12
	s_cselect_b32 s2, s17, s2
	s_cselect_b32 s3, s19, s3
	s_add_i32 s17, s2, 1
	s_cmp_ge_u32 s3, s15
	s_mul_hi_u32 s19, s7, s16
	s_cselect_b32 s3, s17, s2
	s_sub_i32 s2, 0, s14
	s_delay_alu instid0(SALU_CYCLE_1) | instskip(SKIP_2) | instid1(SALU_CYCLE_1)
	s_mul_i32 s17, s2, s18
	v_cmp_eq_u32_e64 s2, 0, v0
	s_mul_hi_u32 s17, s18, s17
	s_add_i32 s18, s18, s17
	s_delay_alu instid0(VALU_DEP_1)
	s_and_saveexec_b32 s16, s2
	s_cbranch_execz .LBB98_3
; %bb.2:
	v_mov_b32_e32 v1, 0
	s_delay_alu instid0(VALU_DEP_1)
	v_mov_b32_e32 v2, v1
	ds_store_b64 v1, v[1:2] offset:4096
.LBB98_3:
	s_or_b32 exec_lo, exec_lo, s16
	v_mov_b32_e32 v1, 0
	s_waitcnt lgkmcnt(0)
	s_barrier
	buffer_gl0_inv
	s_barrier
	buffer_gl0_inv
	ds_load_b64 v[1:2], v1 offset:4096
	s_clause 0x2
	s_load_b128 s[36:39], s[0:1], 0x144
	s_load_b128 s[40:43], s[0:1], 0x6c
	s_load_b64 s[16:17], s[0:1], 0x1b0
	s_add_i32 s11, s11, s12
	s_add_i32 s12, s7, s19
	s_bitcmp1_b32 s31, 0
	s_mov_b32 s84, s28
	s_cselect_b32 s7, -1, 0
	s_waitcnt lgkmcnt(0)
	v_cmp_gt_i64_e32 vcc_lo, 1, v[1:2]
	s_or_b32 s19, s7, vcc_lo
	s_mul_hi_u32 s7, s3, s18
	s_and_not1_b32 vcc_lo, exec_lo, s19
	s_cbranch_vccnz .LBB98_5
; %bb.4:
	v_not_b32_e32 v1, v1
	v_not_b32_e32 v2, v2
	s_delay_alu instid0(VALU_DEP_2) | instskip(NEXT) | instid1(VALU_DEP_2)
	v_add_co_u32 v1, vcc_lo, v1, s28
	v_add_co_ci_u32_e32 v2, vcc_lo, 0, v2, vcc_lo
	s_delay_alu instid0(VALU_DEP_1) | instskip(NEXT) | instid1(VALU_DEP_1)
	v_lshrrev_b32_e32 v3, 31, v2
	v_add_co_u32 v1, vcc_lo, v1, v3
	v_add_co_ci_u32_e32 v2, vcc_lo, 0, v2, vcc_lo
	s_delay_alu instid0(VALU_DEP_1) | instskip(NEXT) | instid1(VALU_DEP_1)
	v_alignbit_b32 v1, v2, v1, 1
	v_readfirstlane_b32 s18, v1
	s_delay_alu instid0(VALU_DEP_1)
	s_add_i32 s84, s18, 1
.LBB98_5:
	s_clause 0x1
	s_load_b64 s[46:47], s[0:1], 0xd8
	s_load_b64 s[48:49], s[0:1], 0x0
	s_mul_hi_u32 s58, s56, s11
	s_mul_hi_u32 s31, s29, s12
	s_and_saveexec_b32 s0, s2
	s_cbranch_execz .LBB98_7
; %bb.6:
	v_dual_mov_b32 v1, 0 :: v_dual_mov_b32 v2, s28
	ds_store_b32 v1, v1 offset:4112
	ds_store_b64 v1, v[1:2] offset:4104
.LBB98_7:
	s_or_b32 exec_lo, exec_lo, s0
	s_mul_i32 s1, s7, s14
	s_mul_i32 s0, s3, s15
	s_sub_i32 s1, s3, s1
	s_sub_i32 s0, s33, s0
	s_add_i32 s11, s7, 1
	s_sub_i32 s12, s1, s14
	s_cmp_ge_u32 s1, s14
	s_waitcnt lgkmcnt(0)
	s_cselect_b32 s7, s11, s7
	s_cselect_b32 s1, s12, s1
	s_barrier
	buffer_gl0_inv
	s_load_b32 s12, s[8:9], 0xc
	s_add_i32 s11, s7, 1
	s_cmp_ge_u32 s1, s14
	s_mul_i32 s0, s0, s6
	s_cselect_b32 s1, s11, s7
	s_mov_b32 s27, 0
	s_mul_i32 s7, s1, s14
	s_mul_i32 s1, s1, s4
	s_sub_i32 s3, s3, s7
	v_mbcnt_lo_u32_b32 v22, -1, 0
	s_mul_i32 s3, s3, s5
	v_cmp_gt_u32_e32 vcc_lo, 32, v0
	s_add_i32 s0, s3, s0
	v_dual_mov_b32 v12, 0 :: v_dual_lshlrev_b32 v23, 2, v0
	s_add_i32 s26, s0, s1
	v_mul_lo_u32 v10, v0, s30
	s_lshl_b64 s[0:1], s[26:27], 3
	v_lshrrev_b32_e32 v5, 3, v0
	s_add_u32 s39, s16, s0
	s_addc_u32 s43, s17, s1
	s_waitcnt lgkmcnt(0)
	s_and_b32 s57, s12, 0xffff
	v_cmp_gt_i32_e64 s0, 4, v22
	s_lshl_b32 s59, s57, 2
	s_add_i32 s61, s57, -1
	v_cvt_f32_u32_e32 v1, s59
	s_bfe_u32 s1, s12, 0xb0005
	s_and_b32 s62, vcc_lo, s0
	s_add_i32 s6, s61, s28
	s_cmpk_gt_u32 s28, 0x180
	v_rcp_iflag_f32_e32 v1, v1
	s_cselect_b32 s63, -1, 0
	s_cmp_gt_u32 s57, 31
	v_cvt_f32_u32_e32 v2, s57
	s_cselect_b32 s64, -1, 0
	s_cmp_lt_u32 s13, s10
	v_lshlrev_b32_e32 v24, 3, v0
	s_cselect_b32 s3, 12, 18
	v_mov_b32_e32 v11, v12
	s_add_u32 s50, s8, s3
	s_waitcnt_depctr 0xfff
	v_mul_f32_e32 v1, 0x4f7ffffe, v1
	s_addc_u32 s51, s9, 0
	s_add_i32 s3, s1, -1
	s_bfe_u32 s65, s57, 0x30005
	s_cmp_gt_u32 s3, 6
	v_cvt_u32_f32_e32 v1, v1
	s_cselect_b32 s66, -1, 0
	s_and_b32 s67, s1, 0x7f8
	s_cmp_lg_u32 s65, 0
	v_lshlrev_b64 v[3:4], v22, -1
	v_readfirstlane_b32 s4, v1
	s_cselect_b32 s68, -1, 0
	s_sub_i32 s3, 0, s59
	v_rcp_iflag_f32_e32 v1, v2
	v_and_b32_e32 v27, 0x7c, v5
	s_mul_i32 s5, s3, s4
	v_mov_b32_e32 v4, 0
	s_mul_hi_u32 s5, s4, s5
	v_not_b32_e32 v28, v3
	s_add_i32 s69, s4, s5
	v_or_b32_e32 v3, 3, v23
	s_mul_hi_u32 s4, s28, s69
	v_mad_u64_u32 v[17:18], null, s30, v23, s[30:31]
	s_mul_i32 s4, s4, s59
	s_delay_alu instid0(VALU_DEP_2)
	v_mul_lo_u32 v30, s30, v3
	s_sub_i32 s4, s28, s4
	v_cmp_gt_u32_e64 s0, s28, v0
	s_sub_i32 s5, s4, s59
	s_cmp_ge_u32 s4, s59
	v_cmp_eq_u32_e64 s1, 0, v22
	s_cselect_b32 s4, s5, s4
	v_cmp_gt_u32_e64 s3, 2, v0
	s_sub_i32 s5, s4, s59
	s_cmp_ge_u32 s4, s59
	v_add_nc_u32_e32 v25, 0xc00, v24
	s_cselect_b32 s8, s5, s4
	s_sub_i32 s4, 0, s57
	s_sub_i32 s70, s28, s8
	s_delay_alu instid0(SALU_CYCLE_1) | instskip(SKIP_3) | instid1(VALU_DEP_4)
	v_dual_mul_f32 v1, 0x4f7ffffe, v1 :: v_dual_add_nc_u32 v26, s70, v0
	v_lshlrev_b32_e32 v31, 2, v10
	v_lshlrev_b32_e32 v33, 5, v0
	v_lshl_or_b32 v34, v22, 2, 0xc00
	v_cvt_u32_f32_e32 v1, v1
	v_mov_b32_e32 v5, 0
	s_mul_i32 s60, s30, s57
	s_mov_b32 s78, 62
	s_mov_b64 s[52:53], 0
	v_readfirstlane_b32 s7, v1
	v_lshlrev_b64 v[1:2], 3, v[10:11]
	v_mul_lo_u32 v11, v26, s30
	s_mov_b32 s82, s27
	s_mov_b64 s[54:55], 0
	s_mul_i32 s4, s4, s7
                                        ; implicit-def: $sgpr76
                                        ; implicit-def: $sgpr79
                                        ; implicit-def: $sgpr77
                                        ; implicit-def: $sgpr81
                                        ; implicit-def: $sgpr83
                                        ; implicit-def: $sgpr80
	s_delay_alu instid0(SALU_CYCLE_1)
	s_mul_hi_u32 s4, s7, s4
	v_add_co_u32 v13, vcc_lo, s39, v1
	s_add_i32 s71, s7, s4
	v_add_co_ci_u32_e32 v14, vcc_lo, s43, v2, vcc_lo
	v_lshlrev_b64 v[1:2], 3, v[11:12]
	s_mul_hi_u32 s4, s6, s71
	s_delay_alu instid0(SALU_CYCLE_1) | instskip(NEXT) | instid1(SALU_CYCLE_1)
	s_mul_i32 s4, s4, s57
	s_sub_i32 s4, s6, s4
	s_delay_alu instid0(VALU_DEP_1)
	v_add_co_u32 v15, vcc_lo, s39, v1
	v_add3_u32 v1, s57, s28, v0
	s_sub_i32 s5, s4, s57
	s_cmp_ge_u32 s4, s57
	v_add_co_ci_u32_e32 v16, vcc_lo, s43, v2, vcc_lo
	s_cselect_b32 s5, s5, s4
	v_or_b32_e32 v2, 2, v23
	v_subrev_nc_u32_e32 v1, s8, v1
	s_sub_i32 s7, s5, s57
	s_cmp_ge_u32 s5, s57
	v_cmp_gt_u32_e64 s4, s70, v23
	s_cselect_b32 s7, s7, s5
	v_mul_lo_u32 v29, s30, v2
	v_mul_lo_u32 v32, s30, v1
	s_sub_i32 s72, s6, s7
	v_cmp_gt_u32_e64 s5, s28, v26
	v_cmp_gt_u32_e64 s6, s72, v0
	v_mov_b32_e32 v1, 1
	s_lshl_b32 s73, s60, 2
	s_lshl_b32 s74, s57, 5
	;; [unrolled: 1-line block ×3, first 2 shown]
	s_branch .LBB98_12
.LBB98_8:                               ;   in Loop: Header=BB98_12 Depth=1
	s_xor_b32 s82, s82, 1
	s_add_i32 s10, s78, -2
	s_cmp_eq_u32 s78, 0
	s_mov_b32 s7, 0
	s_cselect_b32 s9, -1, 0
	s_mov_b32 s78, s10
.LBB98_9:                               ;   in Loop: Header=BB98_12 Depth=1
	s_and_not1_b32 s10, s21, exec_lo
	s_and_b32 s7, s7, exec_lo
	s_and_not1_b32 s23, s23, exec_lo
	s_or_b32 s21, s10, s7
	s_and_not1_b32 s20, s20, exec_lo
	s_or_not1_b32 s18, s9, exec_lo
	s_mov_b32 s84, s26
.LBB98_10:                              ;   in Loop: Header=BB98_12 Depth=1
	s_or_b32 exec_lo, exec_lo, s8
	s_delay_alu instid0(SALU_CYCLE_1)
	s_and_not1_b32 s7, s80, exec_lo
	s_and_b32 s8, s21, exec_lo
	s_and_not1_b32 s9, s81, exec_lo
	s_or_b32 s80, s7, s8
	s_and_not1_b32 s7, s83, exec_lo
	s_and_b32 s8, s23, exec_lo
	s_and_b32 s10, s20, exec_lo
	s_or_b32 s83, s7, s8
	s_or_b32 s81, s9, s10
	s_or_not1_b32 s12, s18, exec_lo
.LBB98_11:                              ;   in Loop: Header=BB98_12 Depth=1
	s_or_b32 exec_lo, exec_lo, s17
	s_delay_alu instid0(SALU_CYCLE_1)
	s_and_b32 s7, exec_lo, s12
	v_dual_mov_b32 v2, s52 :: v_dual_mov_b32 v3, s53
	s_or_b32 s27, s7, s27
	s_and_not1_b32 s7, s77, exec_lo
	s_and_b32 s8, s80, exec_lo
	s_and_not1_b32 s9, s76, exec_lo
	s_or_b32 s77, s7, s8
	s_and_not1_b32 s7, s79, exec_lo
	s_and_b32 s8, s83, exec_lo
	s_and_b32 s10, s81, exec_lo
	s_or_b32 s79, s7, s8
	s_or_b32 s76, s9, s10
	s_and_not1_b32 exec_lo, exec_lo, s27
	s_cbranch_execz .LBB98_245
.LBB98_12:                              ; =>This Loop Header: Depth=1
                                        ;     Child Loop BB98_20 Depth 2
                                        ;     Child Loop BB98_35 Depth 2
	;; [unrolled: 1-line block ×16, first 2 shown]
	ds_load_b64 v[2:3], v12 offset:4104
	s_waitcnt lgkmcnt(0)
	v_readfirstlane_b32 s85, v2
	s_delay_alu instid0(VALU_DEP_1)
	s_cmp_lg_u32 s85, 0
	s_cbranch_scc1 .LBB98_42
; %bb.13:                               ;   in Loop: Header=BB98_12 Depth=1
	s_and_b32 vcc_lo, exec_lo, s63
	s_cbranch_vccz .LBB98_28
; %bb.14:                               ;   in Loop: Header=BB98_12 Depth=1
	v_cmp_gt_u32_e32 vcc_lo, 0x181, v3
	s_mov_b32 s85, 0
	s_mov_b32 s7, 0
	s_cbranch_vccz .LBB98_29
; %bb.15:                               ;   in Loop: Header=BB98_12 Depth=1
	v_mov_b32_e32 v2, 0
	v_mov_b32_e32 v3, 0
	s_and_saveexec_b32 s7, s0
	s_cbranch_execz .LBB98_17
; %bb.16:                               ;   in Loop: Header=BB98_12 Depth=1
	global_load_b64 v[2:3], v[13:14], off
.LBB98_17:                              ;   in Loop: Header=BB98_12 Depth=1
	s_or_b32 exec_lo, exec_lo, s7
	s_and_saveexec_b32 s9, s0
	s_cbranch_execz .LBB98_130
; %bb.18:                               ;   in Loop: Header=BB98_12 Depth=1
	global_load_u16 v8, v12, s[50:51]
	v_mov_b32_e32 v18, v0
	s_mov_b32 s10, 0
	s_waitcnt vmcnt(0)
	v_add_nc_u32_e32 v6, v0, v8
	v_mul_lo_u32 v9, s30, v8
	s_delay_alu instid0(VALU_DEP_2)
	v_mul_lo_u32 v11, s30, v6
	s_branch .LBB98_20
.LBB98_19:                              ;   in Loop: Header=BB98_20 Depth=2
	s_or_b32 exec_lo, exec_lo, s8
	s_waitcnt vmcnt(0)
	v_dual_mov_b32 v2, v6 :: v_dual_add_nc_u32 v11, v11, v9
	v_mov_b32_e32 v3, v7
	s_and_not1_b32 exec_lo, exec_lo, s10
	s_cbranch_execz .LBB98_130
.LBB98_20:                              ;   Parent Loop BB98_12 Depth=1
                                        ; =>  This Inner Loop Header: Depth=2
	v_add_nc_u32_e32 v18, v18, v8
	v_mov_b32_e32 v6, 0
	v_mov_b32_e32 v7, 0
	s_mov_b32 s8, exec_lo
	s_delay_alu instid0(VALU_DEP_3)
	v_cmp_le_u32_e32 vcc_lo, s28, v18
	v_cmpx_gt_u32_e64 s28, v18
	s_cbranch_execz .LBB98_22
; %bb.21:                               ;   in Loop: Header=BB98_20 Depth=2
	v_lshlrev_b64 v[6:7], 3, v[11:12]
	s_delay_alu instid0(VALU_DEP_1) | instskip(NEXT) | instid1(VALU_DEP_1)
	v_add_co_u32 v6, s7, s39, v6
	v_add_co_ci_u32_e64 v7, s7, s43, v7, s7
	global_load_b64 v[6:7], v[6:7], off
.LBB98_22:                              ;   in Loop: Header=BB98_20 Depth=2
	s_or_b32 exec_lo, exec_lo, s8
	s_waitcnt lgkmcnt(0)
	v_xor_b32_e32 v19, 0x80000000, v3
	s_delay_alu instid0(VALU_DEP_1) | instskip(SKIP_1) | instid1(VALU_DEP_1)
	v_and_b32_e32 v20, s55, v19
	v_and_b32_e32 v19, s54, v2
	v_cmp_eq_u64_e64 s7, s[52:53], v[19:20]
	v_mov_b32_e32 v19, 0
	s_delay_alu instid0(VALU_DEP_2) | instskip(SKIP_1) | instid1(SALU_CYCLE_1)
	s_cmp_lg_u32 s7, 0
	s_cselect_b32 s8, -1, 0
	s_and_b32 s8, s1, s8
	s_delay_alu instid0(SALU_CYCLE_1)
	s_and_saveexec_b32 s11, s8
	s_cbranch_execz .LBB98_26
; %bb.23:                               ;   in Loop: Header=BB98_20 Depth=2
	s_mov_b32 s14, exec_lo
	s_bcnt1_i32_b32 s12, s7
	v_mbcnt_lo_u32_b32 v19, s14, 0
	s_mov_b32 s13, exec_lo
                                        ; implicit-def: $vgpr20
	s_delay_alu instid0(VALU_DEP_1)
	v_cmpx_eq_u32_e32 0, v19
	s_cbranch_execz .LBB98_25
; %bb.24:                               ;   in Loop: Header=BB98_20 Depth=2
	s_bcnt1_i32_b32 s8, s14
	s_delay_alu instid0(SALU_CYCLE_1) | instskip(NEXT) | instid1(SALU_CYCLE_1)
	s_mul_i32 s8, s12, s8
	v_mov_b32_e32 v20, s8
	ds_add_rtn_u32 v20, v12, v20 offset:4112
.LBB98_25:                              ;   in Loop: Header=BB98_20 Depth=2
	s_or_b32 exec_lo, exec_lo, s13
	s_waitcnt lgkmcnt(0)
	v_readfirstlane_b32 s8, v20
	s_delay_alu instid0(VALU_DEP_1)
	v_mad_u32_u24 v19, s12, v19, s8
.LBB98_26:                              ;   in Loop: Header=BB98_20 Depth=2
	s_or_b32 exec_lo, exec_lo, s11
	ds_bpermute_b32 v19, v12, v19
	s_and_b32 s8, exec_lo, vcc_lo
	s_delay_alu instid0(SALU_CYCLE_1)
	s_or_b32 s10, s8, s10
	s_and_saveexec_b32 s8, s7
	s_cbranch_execz .LBB98_19
; %bb.27:                               ;   in Loop: Header=BB98_20 Depth=2
	v_and_b32_e32 v20, s7, v28
	s_delay_alu instid0(VALU_DEP_1) | instskip(NEXT) | instid1(VALU_DEP_1)
	v_bcnt_u32_b32 v20, v20, 0
	v_lshlrev_b32_e32 v20, 3, v20
	s_waitcnt lgkmcnt(0)
	s_delay_alu instid0(VALU_DEP_1)
	v_lshl_add_u32 v19, v19, 3, v20
	ds_store_b64 v19, v[2:3]
	s_branch .LBB98_19
.LBB98_28:                              ;   in Loop: Header=BB98_12 Depth=1
	s_mov_b32 s85, -1
	s_mov_b32 s7, 0
.LBB98_29:                              ;   in Loop: Header=BB98_12 Depth=1
	s_and_b32 vcc_lo, exec_lo, s85
	s_cbranch_vccz .LBB98_40
.LBB98_30:                              ;   in Loop: Header=BB98_12 Depth=1
	v_mov_b32_e32 v2, 0
	v_mov_b32_e32 v3, 0
	s_and_saveexec_b32 s7, s0
	s_cbranch_execz .LBB98_32
; %bb.31:                               ;   in Loop: Header=BB98_12 Depth=1
	global_load_b64 v[2:3], v[13:14], off
.LBB98_32:                              ;   in Loop: Header=BB98_12 Depth=1
	s_or_b32 exec_lo, exec_lo, s7
	s_and_saveexec_b32 s8, s0
	s_cbranch_execz .LBB98_37
; %bb.33:                               ;   in Loop: Header=BB98_12 Depth=1
	global_load_u16 v8, v12, s[50:51]
	v_mov_b32_e32 v20, v0
	s_mov_b32 s9, 0
	v_mov_b32_e32 v19, v24
	s_waitcnt vmcnt(0)
	v_add_nc_u32_e32 v6, v0, v8
	v_mul_lo_u32 v9, s30, v8
	v_lshlrev_b32_e32 v18, 3, v8
	s_delay_alu instid0(VALU_DEP_3)
	v_mul_lo_u32 v11, s30, v6
	s_set_inst_prefetch_distance 0x1
	s_branch .LBB98_35
	.p2align	6
.LBB98_34:                              ;   in Loop: Header=BB98_35 Depth=2
	s_or_b32 exec_lo, exec_lo, s10
	ds_store_b64 v19, v[2:3]
	s_waitcnt vmcnt(0)
	v_dual_mov_b32 v2, v6 :: v_dual_add_nc_u32 v19, v19, v18
	v_add_nc_u32_e32 v11, v11, v9
	v_mov_b32_e32 v3, v7
	s_and_b32 s7, exec_lo, vcc_lo
	s_delay_alu instid0(SALU_CYCLE_1) | instskip(NEXT) | instid1(SALU_CYCLE_1)
	s_or_b32 s9, s7, s9
	s_and_not1_b32 exec_lo, exec_lo, s9
	s_cbranch_execz .LBB98_37
.LBB98_35:                              ;   Parent Loop BB98_12 Depth=1
                                        ; =>  This Inner Loop Header: Depth=2
	v_add_nc_u32_e32 v20, v20, v8
	v_mov_b32_e32 v6, 0
	v_mov_b32_e32 v7, 0
	s_mov_b32 s10, exec_lo
	s_delay_alu instid0(VALU_DEP_3)
	v_cmp_le_u32_e32 vcc_lo, s28, v20
	v_cmpx_gt_u32_e64 s28, v20
	s_cbranch_execz .LBB98_34
; %bb.36:                               ;   in Loop: Header=BB98_35 Depth=2
	v_lshlrev_b64 v[6:7], 3, v[11:12]
	s_delay_alu instid0(VALU_DEP_1) | instskip(NEXT) | instid1(VALU_DEP_1)
	v_add_co_u32 v6, s7, s39, v6
	v_add_co_ci_u32_e64 v7, s7, s43, v7, s7
	global_load_b64 v[6:7], v[6:7], off
	s_branch .LBB98_34
.LBB98_37:                              ;   in Loop: Header=BB98_12 Depth=1
	s_set_inst_prefetch_distance 0x2
	s_or_b32 exec_lo, exec_lo, s8
	s_waitcnt vmcnt(0) lgkmcnt(0)
	s_barrier
	buffer_gl0_inv
	s_and_saveexec_b32 s7, s2
	s_cbranch_execz .LBB98_39
; %bb.38:                               ;   in Loop: Header=BB98_12 Depth=1
	v_mov_b32_e32 v2, s28
	ds_store_b32 v12, v2 offset:4104
.LBB98_39:                              ;   in Loop: Header=BB98_12 Depth=1
	s_or_b32 exec_lo, exec_lo, s7
	s_mov_b32 s7, -1
	s_waitcnt lgkmcnt(0)
	s_barrier
                                        ; implicit-def: $sgpr85
.LBB98_40:                              ;   in Loop: Header=BB98_12 Depth=1
	s_and_b32 vcc_lo, exec_lo, s7
	s_cbranch_vccz .LBB98_42
; %bb.41:                               ;   in Loop: Header=BB98_12 Depth=1
	buffer_gl0_inv
	ds_load_b32 v2, v12 offset:4104
	s_waitcnt lgkmcnt(0)
	v_readfirstlane_b32 s85, v2
.LBB98_42:                              ;   in Loop: Header=BB98_12 Depth=1
	s_delay_alu instid0(VALU_DEP_1)
	s_cmp_lt_i32 s85, 1
	s_cbranch_scc0 .LBB98_54
; %bb.43:                               ;   in Loop: Header=BB98_12 Depth=1
	v_dual_mov_b32 v6, 0 :: v_dual_mov_b32 v7, 0
	v_dual_mov_b32 v8, 0 :: v_dual_mov_b32 v9, 0
	s_mov_b32 s22, 0
	s_and_saveexec_b32 s21, s4
	s_cbranch_execz .LBB98_47
; %bb.44:                               ;   in Loop: Header=BB98_12 Depth=1
	v_mov_b32_e32 v2, v23
	s_and_b32 s23, s78, 0xfe
	s_mov_b32 s24, 0
	s_mov_b32 s25, 0
	;; [unrolled: 1-line block ×5, first 2 shown]
.LBB98_45:                              ;   Parent Loop BB98_12 Depth=1
                                        ; =>  This Inner Loop Header: Depth=2
	v_dual_mov_b32 v36, v12 :: v_dual_add_nc_u32 v11, s24, v31
	v_mov_b32_e32 v38, v12
	v_mov_b32_e32 v40, v12
	s_delay_alu instid0(VALU_DEP_3) | instskip(SKIP_1) | instid1(VALU_DEP_1)
	v_lshlrev_b64 v[6:7], 3, v[11:12]
	v_add_nc_u32_e32 v11, s24, v17
	v_lshlrev_b64 v[8:9], 3, v[11:12]
	v_add_nc_u32_e32 v11, s24, v29
	s_delay_alu instid0(VALU_DEP_4) | instskip(SKIP_1) | instid1(VALU_DEP_3)
	v_add_co_u32 v6, vcc_lo, s39, v6
	v_add_co_ci_u32_e32 v7, vcc_lo, s43, v7, vcc_lo
	v_lshlrev_b64 v[18:19], 3, v[11:12]
	v_add_co_u32 v8, vcc_lo, s39, v8
	global_load_b64 v[6:7], v[6:7], off
	v_add_nc_u32_e32 v11, s24, v30
	v_add_co_ci_u32_e32 v9, vcc_lo, s43, v9, vcc_lo
	v_add_co_u32 v18, vcc_lo, s39, v18
	v_add_co_ci_u32_e32 v19, vcc_lo, s43, v19, vcc_lo
	s_delay_alu instid0(VALU_DEP_4)
	v_lshlrev_b64 v[20:21], 3, v[11:12]
	s_clause 0x1
	global_load_b64 v[8:9], v[8:9], off
	global_load_b64 v[18:19], v[18:19], off
	s_add_i32 s24, s24, s73
	v_add_co_u32 v20, vcc_lo, s39, v20
	v_add_co_ci_u32_e32 v21, vcc_lo, s43, v21, vcc_lo
	global_load_b64 v[20:21], v[20:21], off
	s_waitcnt vmcnt(3)
	v_xor_b32_e32 v7, 0x80000000, v7
	v_and_b32_e32 v41, s54, v6
	s_delay_alu instid0(VALU_DEP_2)
	v_and_b32_e32 v42, s55, v7
	v_lshrrev_b64 v[6:7], s23, v[6:7]
	s_waitcnt vmcnt(2)
	v_xor_b32_e32 v9, 0x80000000, v9
	s_waitcnt vmcnt(1)
	v_xor_b32_e32 v19, 0x80000000, v19
	v_cmp_eq_u64_e64 s7, s[52:53], v[41:42]
	v_and_b32_e32 v11, 3, v6
	v_and_b32_e32 v43, s54, v8
	v_lshrrev_b64 v[41:42], s23, v[8:9]
	v_and_b32_e32 v7, s54, v18
	v_and_b32_e32 v8, s55, v19
	v_cmp_eq_u64_e64 s9, 0, v[11:12]
	v_lshrrev_b64 v[18:19], s23, v[18:19]
	v_and_b32_e32 v44, s55, v9
	v_and_b32_e32 v35, 3, v41
	v_cmp_eq_u64_e64 s10, 1, v[11:12]
	s_waitcnt vmcnt(0)
	v_xor_b32_e32 v21, 0x80000000, v21
	v_cmp_eq_u64_e64 s11, 2, v[11:12]
	v_cmp_eq_u64_e64 s12, 3, v[11:12]
	s_and_b32 s9, s7, s9
	v_cmp_eq_u64_e64 s8, s[52:53], v[43:44]
	v_and_b32_e32 v37, 3, v18
	v_cmp_eq_u64_e64 s14, 0, v[35:36]
	v_cmp_eq_u64_e64 s15, 1, v[35:36]
	;; [unrolled: 1-line block ×3, first 2 shown]
	v_lshrrev_b64 v[8:9], s23, v[20:21]
	v_cndmask_b32_e64 v3, 0, 1, s9
	s_and_b32 s9, s7, s10
	v_and_b32_e32 v6, s54, v20
	v_and_b32_e32 v7, s55, v21
	v_cmp_eq_u64_e64 s16, 2, v[35:36]
	v_cndmask_b32_e64 v9, 0, 1, s9
	s_and_b32 s9, s7, s11
	v_cmp_eq_u64_e64 s17, 3, v[35:36]
	s_and_b32 s7, s7, s12
	v_cndmask_b32_e64 v11, 0, 1, s9
	v_cmp_eq_u64_e64 s9, 0, v[37:38]
	v_cndmask_b32_e64 v18, 0, 1, s7
	s_and_b32 s14, s8, s14
	s_and_b32 s15, s8, s15
	v_and_b32_e32 v39, 3, v8
	v_cmp_eq_u64_e64 s10, 1, v[37:38]
	v_cmp_eq_u64_e64 s7, s[52:53], v[6:7]
	v_cmp_ne_u32_e64 s18, 0, v3
	v_cndmask_b32_e64 v3, 0, 1, s14
	v_cndmask_b32_e64 v6, 0, 1, s15
	s_and_b32 s16, s8, s16
	v_cmp_eq_u64_e64 s11, 2, v[37:38]
	s_and_b32 s8, s8, s17
	v_cndmask_b32_e64 v7, 0, 1, s16
	v_cmp_ne_u32_e64 s16, 0, v18
	s_and_b32 s9, s13, s9
	v_cmp_eq_u64_e64 s12, 3, v[37:38]
	v_cndmask_b32_e64 v8, 0, 1, s8
	v_cmp_eq_u64_e64 s8, 0, v[39:40]
	v_cmp_eq_u64_e64 s17, 1, v[39:40]
	s_bcnt1_i32_b32 s88, s18
	v_cmp_ne_u32_e64 s18, 0, v3
	v_cndmask_b32_e64 v3, 0, 1, s9
	v_cmp_ne_u32_e64 s9, 0, v6
	s_and_b32 s10, s13, s10
	s_and_b32 s11, s13, s11
	v_cndmask_b32_e64 v6, 0, 1, s10
	s_bcnt1_i32_b32 s16, s16
	v_cmp_eq_u64_e64 s19, 2, v[39:40]
	v_cmp_eq_u64_e64 s20, 3, v[39:40]
	v_cmp_ne_u32_e64 s10, 0, v7
	v_cndmask_b32_e64 v7, 0, 1, s11
	v_cmp_ne_u32_e64 s11, 0, v8
	s_and_b32 s12, s13, s12
	s_add_i32 s16, s16, s25
	s_and_b32 s8, s7, s8
	s_bcnt1_i32_b32 s25, s9
	s_and_b32 s9, s7, s17
	v_cmp_ne_u32_e64 s14, 0, v9
	v_cndmask_b32_e64 v8, 0, 1, s12
	v_cmp_ne_u32_e64 s12, 0, v3
	v_cndmask_b32_e64 v3, 0, 1, s8
	;; [unrolled: 2-line block ×3, first 2 shown]
	v_cmp_ne_u32_e64 s15, 0, v11
	s_bcnt1_i32_b32 s17, s10
	s_and_b32 s10, s7, s19
	s_bcnt1_i32_b32 s11, s11
	s_and_b32 s7, s7, s20
	s_bcnt1_i32_b32 s14, s14
	v_cmp_ne_u32_e64 s9, 0, v7
	v_cndmask_b32_e64 v7, 0, 1, s10
	v_cmp_ne_u32_e64 s10, 0, v8
	v_cndmask_b32_e64 v8, 0, 1, s7
	s_add_i32 s11, s16, s11
	s_bcnt1_i32_b32 s16, s8
	v_cmp_ne_u32_e64 s8, 0, v6
	s_bcnt1_i32_b32 s15, s15
	s_add_i32 s13, s88, s87
	s_add_i32 s14, s14, s86
	s_bcnt1_i32_b32 s18, s18
	s_add_i32 s15, s15, s26
	s_add_i32 s13, s13, s18
	;; [unrolled: 1-line block ×3, first 2 shown]
	s_bcnt1_i32_b32 s12, s12
	s_add_i32 s15, s15, s17
	v_cmp_ne_u32_e64 s7, 0, v3
	s_bcnt1_i32_b32 s17, s9
	v_cmp_ne_u32_e64 s9, 0, v7
	s_bcnt1_i32_b32 s18, s10
	v_cmp_ne_u32_e64 s10, 0, v8
	s_add_i32 s12, s13, s12
	s_add_i32 s13, s14, s16
	s_bcnt1_i32_b32 s8, s8
	s_add_i32 s14, s15, s17
	s_add_i32 s86, s13, s8
	s_delay_alu instid0(SALU_CYCLE_1)
	v_dual_mov_b32 v7, s86 :: v_dual_add_nc_u32 v2, s59, v2
	s_add_i32 s11, s11, s18
	s_bcnt1_i32_b32 s7, s7
	s_bcnt1_i32_b32 s9, s9
	;; [unrolled: 1-line block ×3, first 2 shown]
	v_cmp_le_u32_e32 vcc_lo, s70, v2
	s_add_i32 s87, s12, s7
	s_add_i32 s26, s14, s9
	;; [unrolled: 1-line block ×3, first 2 shown]
	v_mov_b32_e32 v6, s87
	v_dual_mov_b32 v8, s26 :: v_dual_mov_b32 v9, s25
	s_or_b32 s22, vcc_lo, s22
	s_delay_alu instid0(SALU_CYCLE_1)
	s_and_not1_b32 exec_lo, exec_lo, s22
	s_cbranch_execnz .LBB98_45
; %bb.46:                               ;   in Loop: Header=BB98_12 Depth=1
	s_or_b32 exec_lo, exec_lo, s22
.LBB98_47:                              ;   in Loop: Header=BB98_12 Depth=1
	s_delay_alu instid0(SALU_CYCLE_1)
	s_or_b32 exec_lo, exec_lo, s21
	v_mov_b32_e32 v18, 0
	v_mov_b32_e32 v19, 0
	s_and_saveexec_b32 s7, s5
	s_cbranch_execz .LBB98_49
; %bb.48:                               ;   in Loop: Header=BB98_12 Depth=1
	global_load_b64 v[18:19], v[15:16], off
.LBB98_49:                              ;   in Loop: Header=BB98_12 Depth=1
	s_or_b32 exec_lo, exec_lo, s7
	s_and_saveexec_b32 s11, s5
	s_cbranch_execz .LBB98_56
; %bb.50:                               ;   in Loop: Header=BB98_12 Depth=1
	v_dual_mov_b32 v2, v32 :: v_dual_mov_b32 v35, v26
	s_and_b32 s13, s78, 0xfe
	s_mov_b32 s12, 0
	s_branch .LBB98_52
.LBB98_51:                              ;   in Loop: Header=BB98_52 Depth=2
	s_or_b32 exec_lo, exec_lo, s8
	s_waitcnt vmcnt(0)
	v_xor_b32_e32 v19, 0x80000000, v19
	s_and_b32 s9, exec_lo, vcc_lo
	v_add_nc_u32_e32 v2, s60, v2
	s_or_b32 s12, s9, s12
	s_delay_alu instid0(VALU_DEP_2) | instskip(SKIP_2) | instid1(VALU_DEP_3)
	v_lshrrev_b64 v[36:37], s13, v[18:19]
	v_and_b32_e32 v18, s54, v18
	v_and_b32_e32 v19, s55, v19
	;; [unrolled: 1-line block ×3, first 2 shown]
	s_delay_alu instid0(VALU_DEP_2) | instskip(NEXT) | instid1(VALU_DEP_2)
	v_cmp_eq_u64_e64 s7, s[52:53], v[18:19]
	v_cmp_eq_u64_e64 s8, 0, v[11:12]
	v_cmp_eq_u64_e32 vcc_lo, 1, v[11:12]
	v_cmp_eq_u64_e64 s9, 2, v[11:12]
	v_cmp_eq_u64_e64 s10, 3, v[11:12]
	s_delay_alu instid0(VALU_DEP_4) | instskip(NEXT) | instid1(SALU_CYCLE_1)
	s_and_b32 s8, s7, s8
	v_cndmask_b32_e64 v3, 0, 1, s8
	s_and_b32 s8, s7, vcc_lo
	s_delay_alu instid0(SALU_CYCLE_1)
	v_cndmask_b32_e64 v11, 0, 1, s8
	s_and_b32 s8, s7, s9
	s_and_b32 s7, s7, s10
	v_cndmask_b32_e64 v18, 0, 1, s8
	v_cndmask_b32_e64 v19, 0, 1, s7
	v_cmp_ne_u32_e32 vcc_lo, 0, v3
	v_cmp_ne_u32_e64 s7, 0, v11
	s_delay_alu instid0(VALU_DEP_4) | instskip(NEXT) | instid1(VALU_DEP_4)
	v_cmp_ne_u32_e64 s8, 0, v18
	v_cmp_ne_u32_e64 s9, 0, v19
	v_mov_b32_e32 v18, v20
	s_bcnt1_i32_b32 s10, vcc_lo
	s_bcnt1_i32_b32 s7, s7
	s_bcnt1_i32_b32 s8, s8
	;; [unrolled: 1-line block ×3, first 2 shown]
	v_add_nc_u32_e32 v6, s10, v6
	v_add_nc_u32_e32 v7, s7, v7
	;; [unrolled: 1-line block ×4, first 2 shown]
	v_mov_b32_e32 v19, v21
	s_and_not1_b32 exec_lo, exec_lo, s12
	s_cbranch_execz .LBB98_55
.LBB98_52:                              ;   Parent Loop BB98_12 Depth=1
                                        ; =>  This Inner Loop Header: Depth=2
	s_delay_alu instid0(VALU_DEP_1) | instskip(SKIP_2) | instid1(VALU_DEP_2)
	v_dual_mov_b32 v20, 0 :: v_dual_add_nc_u32 v35, s57, v35
	v_mov_b32_e32 v21, 0
	s_mov_b32 s8, exec_lo
	v_cmp_le_u32_e32 vcc_lo, s28, v35
	v_cmpx_gt_u32_e64 s28, v35
	s_cbranch_execz .LBB98_51
; %bb.53:                               ;   in Loop: Header=BB98_52 Depth=2
	v_mov_b32_e32 v3, v12
	s_delay_alu instid0(VALU_DEP_1) | instskip(NEXT) | instid1(VALU_DEP_1)
	v_lshlrev_b64 v[20:21], 3, v[2:3]
	v_add_co_u32 v20, s7, s39, v20
	s_delay_alu instid0(VALU_DEP_1)
	v_add_co_ci_u32_e64 v21, s7, s43, v21, s7
	global_load_b64 v[20:21], v[20:21], off
	s_branch .LBB98_51
.LBB98_54:                              ;   in Loop: Header=BB98_12 Depth=1
                                        ; implicit-def: $vgpr9
	s_cbranch_execnz .LBB98_57
	s_branch .LBB98_66
.LBB98_55:                              ;   in Loop: Header=BB98_12 Depth=1
	s_or_b32 exec_lo, exec_lo, s12
.LBB98_56:                              ;   in Loop: Header=BB98_12 Depth=1
	s_delay_alu instid0(SALU_CYCLE_1)
	s_or_b32 exec_lo, exec_lo, s11
	s_branch .LBB98_66
.LBB98_57:                              ;   in Loop: Header=BB98_12 Depth=1
	s_mul_hi_u32 s7, s85, s69
	v_dual_mov_b32 v6, 0 :: v_dual_mov_b32 v7, 0
	s_mul_i32 s7, s7, s59
	v_dual_mov_b32 v8, 0 :: v_dual_mov_b32 v9, 0
	s_sub_i32 s7, s85, s7
	s_mov_b32 s88, 0
	s_sub_i32 s8, s7, s59
	s_cmp_ge_u32 s7, s59
	s_mov_b32 s87, exec_lo
	s_cselect_b32 s7, s8, s7
	s_delay_alu instid0(SALU_CYCLE_1) | instskip(SKIP_2) | instid1(SALU_CYCLE_1)
	s_sub_i32 s8, s7, s59
	s_cmp_ge_u32 s7, s59
	s_cselect_b32 s7, s8, s7
	s_sub_i32 s86, s85, s7
	s_delay_alu instid0(SALU_CYCLE_1)
	v_cmpx_gt_u32_e64 s86, v23
	s_cbranch_execz .LBB98_61
; %bb.58:                               ;   in Loop: Header=BB98_12 Depth=1
	v_dual_mov_b32 v2, v33 :: v_dual_mov_b32 v3, v23
	s_and_b32 s89, s78, 0xfe
	s_mov_b32 s90, 0
	s_mov_b32 s91, 0
	;; [unrolled: 1-line block ×4, first 2 shown]
.LBB98_59:                              ;   Parent Loop BB98_12 Depth=1
                                        ; =>  This Inner Loop Header: Depth=2
	ds_load_b128 v[6:9], v2
	s_waitcnt vmcnt(0)
	ds_load_b128 v[18:21], v2 offset:16
	v_mov_b32_e32 v38, v12
	v_dual_mov_b32 v40, v12 :: v_dual_add_nc_u32 v3, s59, v3
	v_mov_b32_e32 v36, v12
	s_delay_alu instid0(VALU_DEP_2)
	v_cmp_le_u32_e32 vcc_lo, s86, v3
	s_waitcnt lgkmcnt(1)
	v_xor_b32_e32 v7, 0x80000000, v7
	v_xor_b32_e32 v9, 0x80000000, v9
	s_waitcnt lgkmcnt(0)
	v_xor_b32_e32 v19, 0x80000000, v19
	v_and_b32_e32 v41, s54, v6
	v_xor_b32_e32 v21, 0x80000000, v21
	v_and_b32_e32 v42, s55, v7
	v_lshrrev_b64 v[6:7], s89, v[6:7]
	v_and_b32_e32 v43, s54, v8
	v_lshrrev_b64 v[7:8], s89, v[8:9]
	;; [unrolled: 2-line block ×3, first 2 shown]
	v_and_b32_e32 v45, s54, v18
	v_and_b32_e32 v46, s55, v19
	v_lshrrev_b64 v[18:19], s89, v[20:21]
	v_and_b32_e32 v11, 3, v6
	v_and_b32_e32 v35, 3, v7
	;; [unrolled: 1-line block ×3, first 2 shown]
	v_cmp_eq_u64_e64 s7, s[52:53], v[41:42]
	v_and_b32_e32 v47, s54, v20
	v_cmp_eq_u64_e64 s11, 0, v[11:12]
	v_and_b32_e32 v48, s55, v21
	v_and_b32_e32 v39, 3, v18
	v_cmp_eq_u64_e64 s8, s[52:53], v[43:44]
	v_cmp_eq_u64_e64 s12, 0, v[35:36]
	;; [unrolled: 1-line block ×6, first 2 shown]
	s_and_b32 s11, s7, s11
	v_cmp_eq_u64_e64 s15, 1, v[11:12]
	v_cndmask_b32_e64 v6, 0, 1, s11
	s_and_b32 s11, s8, s12
	v_cmp_eq_u64_e64 s16, 1, v[35:36]
	v_cndmask_b32_e64 v7, 0, 1, s11
	;; [unrolled: 3-line block ×4, first 2 shown]
	s_and_b32 s11, s7, s15
	v_cmp_eq_u64_e64 s19, 2, v[11:12]
	v_cmp_eq_u64_e64 s23, 3, v[11:12]
	v_cndmask_b32_e64 v11, 0, 1, s11
	s_and_b32 s11, s8, s16
	v_cmp_eq_u64_e64 s20, 2, v[35:36]
	v_cmp_eq_u64_e64 s24, 3, v[35:36]
	v_cndmask_b32_e64 v18, 0, 1, s11
	s_and_b32 s11, s9, s17
	v_cmp_eq_u64_e64 s21, 2, v[37:38]
	v_cmp_eq_u64_e64 s25, 3, v[37:38]
	v_cndmask_b32_e64 v19, 0, 1, s11
	s_and_b32 s11, s10, s18
	v_cmp_eq_u64_e64 s22, 2, v[39:40]
	v_cmp_eq_u64_e64 s26, 3, v[39:40]
	v_cndmask_b32_e64 v20, 0, 1, s11
	s_and_b32 s11, s7, s19
	s_and_b32 s7, s7, s23
	v_cndmask_b32_e64 v21, 0, 1, s11
	s_and_b32 s11, s8, s20
	v_cndmask_b32_e64 v38, 0, 1, s7
	;; [unrolled: 2-line block ×7, first 2 shown]
	v_cndmask_b32_e64 v41, 0, 1, s7
	v_cmp_ne_u32_e64 s7, 0, v6
	v_cmp_ne_u32_e64 s11, 0, v11
	;; [unrolled: 1-line block ×12, first 2 shown]
	s_bcnt1_i32_b32 s7, s7
	s_bcnt1_i32_b32 s11, s11
	;; [unrolled: 1-line block ×4, first 2 shown]
	v_cmp_ne_u32_e64 s10, 0, v9
	v_cmp_ne_u32_e64 s14, 0, v20
	;; [unrolled: 1-line block ×4, first 2 shown]
	s_bcnt1_i32_b32 s8, s8
	s_bcnt1_i32_b32 s12, s12
	s_bcnt1_i32_b32 s16, s16
	s_bcnt1_i32_b32 s20, s20
	s_add_i32 s7, s7, s93
	s_add_i32 s11, s11, s92
	s_add_i32 s15, s15, s91
	s_add_i32 s19, s19, s90
	s_bcnt1_i32_b32 s9, s9
	s_bcnt1_i32_b32 s13, s13
	s_bcnt1_i32_b32 s17, s17
	s_bcnt1_i32_b32 s21, s21
	s_add_i32 s7, s7, s8
	s_add_i32 s8, s11, s12
	s_add_i32 s11, s15, s16
	s_add_i32 s12, s19, s20
	;; [unrolled: 8-line block ×3, first 2 shown]
	s_add_i32 s93, s7, s10
	s_add_i32 s92, s8, s14
	s_add_i32 s91, s9, s18
	s_add_i32 s90, s11, s22
	v_mov_b32_e32 v8, s91
	v_dual_mov_b32 v7, s92 :: v_dual_add_nc_u32 v2, s74, v2
	v_dual_mov_b32 v6, s93 :: v_dual_mov_b32 v9, s90
	s_or_b32 s88, vcc_lo, s88
	s_delay_alu instid0(SALU_CYCLE_1)
	s_and_not1_b32 exec_lo, exec_lo, s88
	s_cbranch_execnz .LBB98_59
; %bb.60:                               ;   in Loop: Header=BB98_12 Depth=1
	s_or_b32 exec_lo, exec_lo, s88
.LBB98_61:                              ;   in Loop: Header=BB98_12 Depth=1
	s_delay_alu instid0(SALU_CYCLE_1) | instskip(SKIP_2) | instid1(VALU_DEP_1)
	s_or_b32 exec_lo, exec_lo, s87
	v_add_nc_u32_e32 v2, s86, v0
	s_mov_b32 s12, exec_lo
	v_cmpx_gt_u32_e64 s85, v2
	s_cbranch_execz .LBB98_65
; %bb.62:                               ;   in Loop: Header=BB98_12 Depth=1
	v_lshlrev_b32_e32 v3, 3, v2
	s_and_b32 s14, s78, 0xfe
	s_mov_b32 s13, 0
.LBB98_63:                              ;   Parent Loop BB98_12 Depth=1
                                        ; =>  This Inner Loop Header: Depth=2
	s_waitcnt vmcnt(0)
	ds_load_b64 v[18:19], v3
	v_add_nc_u32_e32 v2, s57, v2
	v_add_nc_u32_e32 v3, s75, v3
	s_delay_alu instid0(VALU_DEP_2) | instskip(SKIP_3) | instid1(VALU_DEP_2)
	v_cmp_le_u32_e32 vcc_lo, s85, v2
	s_waitcnt lgkmcnt(0)
	v_xor_b32_e32 v19, 0x80000000, v19
	v_and_b32_e32 v20, s54, v18
	v_and_b32_e32 v21, s55, v19
	v_lshrrev_b64 v[18:19], s14, v[18:19]
	s_delay_alu instid0(VALU_DEP_2) | instskip(NEXT) | instid1(VALU_DEP_2)
	v_cmp_eq_u64_e64 s7, s[52:53], v[20:21]
	v_and_b32_e32 v11, 3, v18
	s_delay_alu instid0(VALU_DEP_1) | instskip(SKIP_3) | instid1(VALU_DEP_4)
	v_cmp_eq_u64_e64 s8, 0, v[11:12]
	v_cmp_eq_u64_e64 s9, 1, v[11:12]
	;; [unrolled: 1-line block ×4, first 2 shown]
	s_and_b32 s8, s7, s8
	s_delay_alu instid0(SALU_CYCLE_1) | instskip(NEXT) | instid1(VALU_DEP_4)
	v_cndmask_b32_e64 v11, 0, 1, s8
	s_and_b32 s8, s7, s9
	s_delay_alu instid0(SALU_CYCLE_1)
	v_cndmask_b32_e64 v18, 0, 1, s8
	s_and_b32 s8, s7, s10
	s_and_b32 s7, s7, s11
	v_cndmask_b32_e64 v19, 0, 1, s8
	v_cndmask_b32_e64 v20, 0, 1, s7
	v_cmp_ne_u32_e64 s7, 0, v11
	v_cmp_ne_u32_e64 s8, 0, v18
	s_delay_alu instid0(VALU_DEP_4) | instskip(NEXT) | instid1(VALU_DEP_4)
	v_cmp_ne_u32_e64 s9, 0, v19
	v_cmp_ne_u32_e64 s10, 0, v20
	s_delay_alu instid0(VALU_DEP_4) | instskip(NEXT) | instid1(VALU_DEP_3)
	s_bcnt1_i32_b32 s7, s7
	s_bcnt1_i32_b32 s8, s8
	v_add_nc_u32_e32 v6, s7, v6
	s_bcnt1_i32_b32 s9, s9
	s_bcnt1_i32_b32 s10, s10
	v_add_nc_u32_e32 v7, s8, v7
	v_add_nc_u32_e32 v8, s9, v8
	;; [unrolled: 1-line block ×3, first 2 shown]
	s_or_b32 s13, vcc_lo, s13
	s_delay_alu instid0(SALU_CYCLE_1)
	s_and_not1_b32 exec_lo, exec_lo, s13
	s_cbranch_execnz .LBB98_63
; %bb.64:                               ;   in Loop: Header=BB98_12 Depth=1
	s_or_b32 exec_lo, exec_lo, s13
.LBB98_65:                              ;   in Loop: Header=BB98_12 Depth=1
	s_delay_alu instid0(SALU_CYCLE_1)
	s_or_b32 exec_lo, exec_lo, s12
.LBB98_66:                              ;   in Loop: Header=BB98_12 Depth=1
	s_lshl_b32 s7, s82, 7
	s_and_saveexec_b32 s8, s1
	s_cbranch_execz .LBB98_68
; %bb.67:                               ;   in Loop: Header=BB98_12 Depth=1
	v_or_b32_e32 v2, s7, v27
	s_delay_alu instid0(VALU_DEP_1)
	v_lshlrev_b32_e32 v2, 2, v2
	ds_store_b128 v2, v[6:9] offset:3072
.LBB98_68:                              ;   in Loop: Header=BB98_12 Depth=1
	s_or_b32 exec_lo, exec_lo, s8
	s_waitcnt vmcnt(0) lgkmcnt(0)
	s_barrier
	buffer_gl0_inv
	s_and_saveexec_b32 s8, s62
	s_cbranch_execz .LBB98_78
; %bb.69:                               ;   in Loop: Header=BB98_12 Depth=1
	v_mov_b32_e32 v2, 0
	s_and_not1_b32 vcc_lo, exec_lo, s64
	s_cbranch_vccnz .LBB98_77
; %bb.70:                               ;   in Loop: Header=BB98_12 Depth=1
	v_mov_b32_e32 v2, 0
	s_and_not1_b32 vcc_lo, exec_lo, s66
	s_mov_b32 s9, 0
	s_cbranch_vccnz .LBB98_74
; %bb.71:                               ;   in Loop: Header=BB98_12 Depth=1
	v_lshl_add_u32 v3, s82, 9, v34
	v_mov_b32_e32 v2, 0
	.p2align	6
.LBB98_72:                              ;   Parent Loop BB98_12 Depth=1
                                        ; =>  This Inner Loop Header: Depth=2
	ds_load_2addr_b32 v[6:7], v3 offset1:4
	ds_load_2addr_b32 v[8:9], v3 offset0:8 offset1:12
	ds_load_2addr_b32 v[18:19], v3 offset0:16 offset1:20
	;; [unrolled: 1-line block ×3, first 2 shown]
	v_add_nc_u32_e32 v3, 0x80, v3
	s_add_i32 s9, s9, 8
	s_delay_alu instid0(SALU_CYCLE_1) | instskip(SKIP_3) | instid1(VALU_DEP_1)
	s_cmp_eq_u32 s67, s9
	s_waitcnt lgkmcnt(3)
	v_add3_u32 v2, v6, v2, v7
	s_waitcnt lgkmcnt(2)
	v_add3_u32 v2, v8, v2, v9
	s_waitcnt lgkmcnt(1)
	s_delay_alu instid0(VALU_DEP_1) | instskip(SKIP_1) | instid1(VALU_DEP_1)
	v_add3_u32 v2, v18, v2, v19
	s_waitcnt lgkmcnt(0)
	v_add3_u32 v2, v20, v2, v21
	s_cbranch_scc0 .LBB98_72
; %bb.73:                               ;   in Loop: Header=BB98_12 Depth=1
	s_mov_b32 s9, s67
.LBB98_74:                              ;   in Loop: Header=BB98_12 Depth=1
	s_and_not1_b32 vcc_lo, exec_lo, s68
	s_cbranch_vccnz .LBB98_77
; %bb.75:                               ;   in Loop: Header=BB98_12 Depth=1
	s_lshl_b32 s10, s82, 9
	s_lshl_b32 s9, s9, 4
	s_delay_alu instid0(SALU_CYCLE_1)
	v_add3_u32 v3, s10, s9, v34
	s_mov_b32 s9, s65
.LBB98_76:                              ;   Parent Loop BB98_12 Depth=1
                                        ; =>  This Inner Loop Header: Depth=2
	ds_load_b32 v6, v3
	v_add_nc_u32_e32 v3, 16, v3
	s_add_i32 s9, s9, -1
	s_delay_alu instid0(SALU_CYCLE_1)
	s_cmp_lg_u32 s9, 0
	s_waitcnt lgkmcnt(0)
	v_add_nc_u32_e32 v2, v6, v2
	s_cbranch_scc1 .LBB98_76
.LBB98_77:                              ;   in Loop: Header=BB98_12 Depth=1
	v_add_lshl_u32 v3, s7, v22, 2
	ds_store_b32 v3, v2 offset:3072
.LBB98_78:                              ;   in Loop: Header=BB98_12 Depth=1
	s_or_b32 exec_lo, exec_lo, s8
	s_lshl_b32 s7, s7, 2
	s_waitcnt lgkmcnt(0)
	v_mov_b32_e32 v2, s7
	s_barrier
	buffer_gl0_inv
	s_and_b32 s22, s78, 0xfe
	s_delay_alu instid0(SALU_CYCLE_1)
	s_lshl_b64 s[8:9], 3, s22
	ds_load_b128 v[6:9], v2 offset:3072
	s_not_b64 s[10:11], s[8:9]
	s_waitcnt lgkmcnt(0)
	v_readfirstlane_b32 s18, v6
	v_readfirstlane_b32 s25, v7
	;; [unrolled: 1-line block ×4, first 2 shown]
	s_delay_alu instid0(VALU_DEP_4) | instskip(SKIP_3) | instid1(SALU_CYCLE_1)
	s_cmp_eq_u32 s18, 1
	s_cselect_b32 s7, -1, 0
	s_cmp_eq_u32 s84, 1
	s_cselect_b32 s12, -1, 0
	s_and_b32 s13, s7, s12
	s_mov_b32 s12, -1
	s_and_b32 vcc_lo, exec_lo, s13
	s_cbranch_vccz .LBB98_90
; %bb.79:                               ;   in Loop: Header=BB98_12 Depth=1
	ds_load_b32 v2, v12 offset:4104
	s_waitcnt lgkmcnt(0)
	s_barrier
	buffer_gl0_inv
	v_readfirstlane_b32 s14, v2
	s_and_saveexec_b32 s7, s3
	s_cbranch_execz .LBB98_81
; %bb.80:                               ;   in Loop: Header=BB98_12 Depth=1
	v_mov_b32_e32 v11, v12
	ds_store_b64 v25, v[11:12]
.LBB98_81:                              ;   in Loop: Header=BB98_12 Depth=1
	s_or_b32 exec_lo, exec_lo, s7
	s_and_b64 s[52:53], s[52:53], s[10:11]
	s_or_b64 s[54:55], s[54:55], s[8:9]
	s_cmp_eq_u32 s14, 0
	s_waitcnt lgkmcnt(0)
	s_barrier
	buffer_gl0_inv
	s_cbranch_scc1 .LBB98_91
; %bb.82:                               ;   in Loop: Header=BB98_12 Depth=1
	s_add_i32 s7, s14, s61
                                        ; implicit-def: $vgpr4_vgpr5
	s_delay_alu instid0(SALU_CYCLE_1) | instskip(NEXT) | instid1(SALU_CYCLE_1)
	s_mul_hi_u32 s15, s7, s71
	s_mul_i32 s15, s15, s57
	s_delay_alu instid0(SALU_CYCLE_1) | instskip(NEXT) | instid1(SALU_CYCLE_1)
	s_sub_i32 s15, s7, s15
	s_sub_i32 s17, s15, s57
	s_cmp_ge_u32 s15, s57
	s_cselect_b32 s15, s17, s15
	s_delay_alu instid0(SALU_CYCLE_1) | instskip(SKIP_2) | instid1(SALU_CYCLE_1)
	s_sub_i32 s17, s15, s57
	s_cmp_ge_u32 s15, s57
	s_cselect_b32 s15, s17, s15
	s_sub_i32 s17, s7, s15
	s_mov_b32 s7, 0
	s_mov_b32 s15, exec_lo
	v_cmpx_gt_u32_e64 s17, v0
	s_cbranch_execz .LBB98_93
; %bb.83:                               ;   in Loop: Header=BB98_12 Depth=1
	v_mov_b32_e32 v6, v24
	v_mov_b32_e32 v7, v0
	s_mov_b32 s20, 0
                                        ; implicit-def: $sgpr7
	s_set_inst_prefetch_distance 0x1
	s_branch .LBB98_85
	.p2align	6
.LBB98_84:                              ;   in Loop: Header=BB98_85 Depth=2
	s_or_b32 exec_lo, exec_lo, s21
	s_waitcnt lgkmcnt(0)
	s_barrier
	buffer_gl0_inv
	ds_load_b128 v[2:5], v12 offset:3072
	v_add_nc_u32_e32 v7, s57, v7
	v_add_nc_u32_e32 v6, s75, v6
	s_waitcnt lgkmcnt(0)
	s_barrier
	buffer_gl0_inv
	v_cmp_le_u32_e32 vcc_lo, s17, v7
	v_readfirstlane_b32 s87, v3
	v_readfirstlane_b32 s86, v2
	s_delay_alu instid0(VALU_DEP_1) | instskip(SKIP_1) | instid1(SALU_CYCLE_1)
	s_cmp_lg_u64 s[86:87], 0
	s_cselect_b32 s21, -1, 0
	s_or_b32 s23, vcc_lo, s21
	s_delay_alu instid0(SALU_CYCLE_1) | instskip(NEXT) | instid1(SALU_CYCLE_1)
	s_and_b32 s23, exec_lo, s23
	s_or_b32 s20, s23, s20
	s_and_not1_b32 s7, s7, exec_lo
	s_and_b32 s21, s21, exec_lo
	s_delay_alu instid0(SALU_CYCLE_1)
	s_or_b32 s7, s7, s21
	s_and_not1_b32 exec_lo, exec_lo, s20
	s_cbranch_execz .LBB98_92
.LBB98_85:                              ;   Parent Loop BB98_12 Depth=1
                                        ; =>  This Inner Loop Header: Depth=2
	v_mov_b32_e32 v3, 0
	v_mov_b32_e32 v4, 0
	v_cmp_gt_u32_e32 vcc_lo, s14, v7
	s_and_saveexec_b32 s21, vcc_lo
	s_cbranch_execz .LBB98_87
; %bb.86:                               ;   in Loop: Header=BB98_85 Depth=2
	ds_load_b64 v[3:4], v6
.LBB98_87:                              ;   in Loop: Header=BB98_85 Depth=2
	s_or_b32 exec_lo, exec_lo, s21
	s_and_saveexec_b32 s21, vcc_lo
	s_cbranch_execz .LBB98_84
; %bb.88:                               ;   in Loop: Header=BB98_85 Depth=2
	s_waitcnt lgkmcnt(0)
	v_xor_b32_e32 v2, 0x80000000, v4
	v_and_b32_e32 v8, s54, v3
	s_delay_alu instid0(VALU_DEP_2) | instskip(NEXT) | instid1(VALU_DEP_1)
	v_and_b32_e32 v9, s55, v2
	v_cmp_eq_u64_e32 vcc_lo, s[52:53], v[8:9]
	s_and_b32 exec_lo, exec_lo, vcc_lo
	s_cbranch_execz .LBB98_84
; %bb.89:                               ;   in Loop: Header=BB98_85 Depth=2
	v_mov_b32_e32 v2, v12
	ds_store_b128 v12, v[1:4] offset:3072
	s_branch .LBB98_84
.LBB98_90:                              ;   in Loop: Header=BB98_12 Depth=1
	s_mov_b32 s7, -1
                                        ; implicit-def: $sgpr14
                                        ; implicit-def: $sgpr17
                                        ; implicit-def: $sgpr15
	s_branch .LBB98_104
.LBB98_91:                              ;   in Loop: Header=BB98_12 Depth=1
	s_mov_b32 s14, -1
	s_mov_b32 s7, 0
                                        ; implicit-def: $sgpr15
                                        ; implicit-def: $vgpr4_vgpr5
	s_mov_b32 s17, s14
	s_cbranch_execnz .LBB98_94
	s_branch .LBB98_104
.LBB98_92:                              ;   in Loop: Header=BB98_12 Depth=1
	s_set_inst_prefetch_distance 0x2
	s_or_b32 exec_lo, exec_lo, s20
	s_delay_alu instid0(SALU_CYCLE_1)
	s_and_b32 s7, s7, exec_lo
.LBB98_93:                              ;   in Loop: Header=BB98_12 Depth=1
	s_or_b32 exec_lo, exec_lo, s15
	s_mov_b32 s15, -1
	s_mov_b32 s14, 0
	s_delay_alu instid0(SALU_CYCLE_1)
	s_mov_b32 s17, s14
	s_branch .LBB98_104
.LBB98_94:                              ;   in Loop: Header=BB98_12 Depth=1
	s_mov_b32 s7, 0
                                        ; implicit-def: $vgpr4_vgpr5
	s_and_saveexec_b32 s14, s6
	s_cbranch_execz .LBB98_103
; %bb.95:                               ;   in Loop: Header=BB98_12 Depth=1
	v_dual_mov_b32 v11, v10 :: v_dual_mov_b32 v6, v0
	s_mov_b32 s17, 0
                                        ; implicit-def: $sgpr15
	s_set_inst_prefetch_distance 0x1
	s_branch .LBB98_97
	.p2align	6
.LBB98_96:                              ;   in Loop: Header=BB98_97 Depth=2
	s_or_b32 exec_lo, exec_lo, s7
	s_waitcnt vmcnt(0) lgkmcnt(0)
	s_barrier
	buffer_gl0_inv
	ds_load_b128 v[2:5], v12 offset:3072
	v_add_nc_u32_e32 v6, s57, v6
	v_add_nc_u32_e32 v11, s60, v11
	s_waitcnt lgkmcnt(0)
	s_barrier
	buffer_gl0_inv
	v_cmp_le_u32_e32 vcc_lo, s72, v6
	v_readfirstlane_b32 s21, v3
	v_readfirstlane_b32 s20, v2
	s_delay_alu instid0(VALU_DEP_1) | instskip(SKIP_1) | instid1(SALU_CYCLE_1)
	s_cmp_lg_u64 s[20:21], 0
	s_cselect_b32 s7, -1, 0
	s_or_b32 s20, vcc_lo, s7
	s_delay_alu instid0(SALU_CYCLE_1) | instskip(NEXT) | instid1(SALU_CYCLE_1)
	s_and_b32 s20, exec_lo, s20
	s_or_b32 s17, s20, s17
	s_and_not1_b32 s15, s15, exec_lo
	s_and_b32 s7, s7, exec_lo
	s_delay_alu instid0(SALU_CYCLE_1)
	s_or_b32 s15, s15, s7
	s_and_not1_b32 exec_lo, exec_lo, s17
	s_cbranch_execz .LBB98_102
.LBB98_97:                              ;   Parent Loop BB98_12 Depth=1
                                        ; =>  This Inner Loop Header: Depth=2
	v_mov_b32_e32 v3, 0
	v_mov_b32_e32 v4, 0
	v_cmp_gt_u32_e32 vcc_lo, s28, v6
	s_and_saveexec_b32 s20, vcc_lo
	s_cbranch_execz .LBB98_99
; %bb.98:                               ;   in Loop: Header=BB98_97 Depth=2
	v_lshlrev_b64 v[2:3], 3, v[11:12]
	s_delay_alu instid0(VALU_DEP_1) | instskip(NEXT) | instid1(VALU_DEP_1)
	v_add_co_u32 v2, s7, s39, v2
	v_add_co_ci_u32_e64 v3, s7, s43, v3, s7
	global_load_b64 v[3:4], v[2:3], off
.LBB98_99:                              ;   in Loop: Header=BB98_97 Depth=2
	s_or_b32 exec_lo, exec_lo, s20
	s_and_saveexec_b32 s7, vcc_lo
	s_cbranch_execz .LBB98_96
; %bb.100:                              ;   in Loop: Header=BB98_97 Depth=2
	s_waitcnt vmcnt(0)
	v_xor_b32_e32 v2, 0x80000000, v4
	v_and_b32_e32 v7, s54, v3
	s_delay_alu instid0(VALU_DEP_2) | instskip(NEXT) | instid1(VALU_DEP_1)
	v_and_b32_e32 v8, s55, v2
	v_cmp_eq_u64_e32 vcc_lo, s[52:53], v[7:8]
	s_and_b32 exec_lo, exec_lo, vcc_lo
	s_cbranch_execz .LBB98_96
; %bb.101:                              ;   in Loop: Header=BB98_97 Depth=2
	v_mov_b32_e32 v2, v12
	ds_store_b128 v12, v[1:4] offset:3072
	s_branch .LBB98_96
.LBB98_102:                             ;   in Loop: Header=BB98_12 Depth=1
	s_set_inst_prefetch_distance 0x2
	s_or_b32 exec_lo, exec_lo, s17
	s_delay_alu instid0(SALU_CYCLE_1)
	s_and_b32 s7, s15, exec_lo
.LBB98_103:                             ;   in Loop: Header=BB98_12 Depth=1
	s_or_b32 exec_lo, exec_lo, s14
	s_mov_b32 s17, -1
	s_mov_b32 s14, 0
	s_mov_b32 s15, 0
.LBB98_104:                             ;   in Loop: Header=BB98_12 Depth=1
	s_and_not1_b32 s20, s80, exec_lo
	s_and_b32 s14, s14, exec_lo
	s_and_b32 s17, s17, exec_lo
	s_or_b32 s80, s20, s14
	s_and_not1_b32 s14, s83, exec_lo
	s_and_not1_b32 s20, s81, exec_lo
	s_and_b32 s15, s15, exec_lo
	s_or_b32 s83, s14, s17
	s_or_b32 s81, s20, s15
	s_and_saveexec_b32 s17, s7
	s_cbranch_execz .LBB98_11
; %bb.105:                              ;   in Loop: Header=BB98_12 Depth=1
	s_xor_b32 s7, s13, -1
	s_mov_b32 s20, 0
	s_and_not1_b32 vcc_lo, exec_lo, s7
	s_mov_b32 s26, 1
	s_cbranch_vccnz .LBB98_116
; %bb.106:                              ;   in Loop: Header=BB98_12 Depth=1
	s_cmp_gt_u32 s84, s18
	s_mov_b32 s20, -1
                                        ; implicit-def: $sgpr7
                                        ; implicit-def: $sgpr12_sgpr13
                                        ; implicit-def: $sgpr14_sgpr15
	s_cbranch_scc1 .LBB98_112
; %bb.107:                              ;   in Loop: Header=BB98_12 Depth=1
	ds_load_b32 v2, v12 offset:4104
	s_waitcnt lgkmcnt(0)
	v_cmp_ne_u32_e32 vcc_lo, 0, v2
	s_cbranch_vccnz .LBB98_111
; %bb.108:                              ;   in Loop: Header=BB98_12 Depth=1
	s_and_saveexec_b32 s7, s2
	s_cbranch_execz .LBB98_110
; %bb.109:                              ;   in Loop: Header=BB98_12 Depth=1
	v_mov_b32_e32 v2, s18
	ds_store_b32 v12, v2 offset:4108
.LBB98_110:                             ;   in Loop: Header=BB98_12 Depth=1
	s_or_b32 exec_lo, exec_lo, s7
	s_waitcnt lgkmcnt(0)
	s_barrier
	buffer_gl0_inv
.LBB98_111:                             ;   in Loop: Header=BB98_12 Depth=1
	s_and_b64 s[12:13], s[52:53], s[10:11]
	s_or_b64 s[14:15], s[54:55], s[8:9]
	s_mov_b32 s20, 0
	s_mov_b32 s7, 8
.LBB98_112:                             ;   in Loop: Header=BB98_12 Depth=1
	s_and_not1_b32 vcc_lo, exec_lo, s20
	s_cbranch_vccnz .LBB98_114
; %bb.113:                              ;   in Loop: Header=BB98_12 Depth=1
	s_sub_i32 s84, s84, s18
	s_mov_b32 s20, -1
	s_mov_b32 s7, 0
	s_mov_b64 s[12:13], s[52:53]
	s_mov_b64 s[14:15], s[54:55]
.LBB98_114:                             ;   in Loop: Header=BB98_12 Depth=1
	s_delay_alu instid0(SALU_CYCLE_1)
	s_mov_b64 s[54:55], s[14:15]
	s_mov_b64 s[52:53], s[12:13]
	s_mov_b32 s26, s84
	s_and_b32 vcc_lo, exec_lo, s20
	s_mov_b32 s18, -1
	s_cbranch_vccnz .LBB98_117
.LBB98_115:                             ;   in Loop: Header=BB98_12 Depth=1
	s_mov_b32 s14, -1
                                        ; implicit-def: $sgpr20
                                        ; implicit-def: $sgpr23
                                        ; implicit-def: $sgpr21
                                        ; implicit-def: $sgpr84
	s_delay_alu instid0(SALU_CYCLE_1) | instskip(NEXT) | instid1(SALU_CYCLE_1)
	s_and_saveexec_b32 s8, s14
	s_xor_b32 s8, exec_lo, s8
	s_cbranch_execz .LBB98_10
	s_branch .LBB98_243
.LBB98_116:                             ;   in Loop: Header=BB98_12 Depth=1
	s_mov_b32 s7, 1
	s_and_b32 vcc_lo, exec_lo, s20
	s_mov_b32 s18, -1
	s_cbranch_vccz .LBB98_115
.LBB98_117:                             ;   in Loop: Header=BB98_12 Depth=1
	s_cmp_eq_u32 s25, 1
	s_mov_b32 s13, -1
	s_cselect_b32 s7, -1, 0
	s_cmp_eq_u32 s26, 1
	s_cselect_b32 s12, -1, 0
	s_delay_alu instid0(SALU_CYCLE_1) | instskip(NEXT) | instid1(SALU_CYCLE_1)
	s_and_b32 s12, s7, s12
	s_and_b32 vcc_lo, exec_lo, s12
	s_cbranch_vccz .LBB98_129
; %bb.118:                              ;   in Loop: Header=BB98_12 Depth=1
	ds_load_b32 v2, v12 offset:4104
	s_waitcnt lgkmcnt(0)
	s_barrier
	buffer_gl0_inv
	v_readfirstlane_b32 s7, v2
	s_and_saveexec_b32 s13, s3
	s_cbranch_execz .LBB98_120
; %bb.119:                              ;   in Loop: Header=BB98_12 Depth=1
	v_mov_b32_e32 v11, v12
	ds_store_b64 v25, v[11:12]
.LBB98_120:                             ;   in Loop: Header=BB98_12 Depth=1
	s_or_b32 exec_lo, exec_lo, s13
	s_lshl_b64 s[14:15], 1, s22
	s_and_b64 s[20:21], s[52:53], s[10:11]
	s_or_b64 s[54:55], s[54:55], s[8:9]
	s_or_b64 s[52:53], s[20:21], s[14:15]
	s_cmp_eq_u32 s7, 0
	s_waitcnt lgkmcnt(0)
	s_barrier
	buffer_gl0_inv
	s_cbranch_scc1 .LBB98_133
; %bb.121:                              ;   in Loop: Header=BB98_12 Depth=1
	s_add_i32 s13, s7, s61
                                        ; implicit-def: $vgpr4_vgpr5
	s_delay_alu instid0(SALU_CYCLE_1) | instskip(NEXT) | instid1(SALU_CYCLE_1)
	s_mul_hi_u32 s14, s13, s71
	s_mul_i32 s14, s14, s57
	s_delay_alu instid0(SALU_CYCLE_1) | instskip(NEXT) | instid1(SALU_CYCLE_1)
	s_sub_i32 s14, s13, s14
	s_sub_i32 s15, s14, s57
	s_cmp_ge_u32 s14, s57
	s_cselect_b32 s14, s15, s14
	s_delay_alu instid0(SALU_CYCLE_1) | instskip(SKIP_2) | instid1(SALU_CYCLE_1)
	s_sub_i32 s15, s14, s57
	s_cmp_ge_u32 s14, s57
	s_cselect_b32 s14, s15, s14
	s_sub_i32 s15, s13, s14
	s_mov_b32 s13, 0
	s_mov_b32 s14, exec_lo
	v_cmpx_gt_u32_e64 s15, v0
	s_cbranch_execz .LBB98_135
; %bb.122:                              ;   in Loop: Header=BB98_12 Depth=1
	v_mov_b32_e32 v6, v24
	v_mov_b32_e32 v7, v0
	s_mov_b32 s20, 0
                                        ; implicit-def: $sgpr13
	s_set_inst_prefetch_distance 0x1
	s_branch .LBB98_124
	.p2align	6
.LBB98_123:                             ;   in Loop: Header=BB98_124 Depth=2
	s_or_b32 exec_lo, exec_lo, s21
	s_waitcnt lgkmcnt(0)
	s_barrier
	buffer_gl0_inv
	ds_load_b128 v[2:5], v12 offset:3072
	v_add_nc_u32_e32 v7, s57, v7
	v_add_nc_u32_e32 v6, s75, v6
	s_waitcnt lgkmcnt(0)
	s_barrier
	buffer_gl0_inv
	v_cmp_le_u32_e32 vcc_lo, s15, v7
	v_readfirstlane_b32 s85, v3
	v_readfirstlane_b32 s84, v2
	s_delay_alu instid0(VALU_DEP_1) | instskip(SKIP_1) | instid1(SALU_CYCLE_1)
	s_cmp_lg_u64 s[84:85], 0
	s_cselect_b32 s21, -1, 0
	s_or_b32 s23, vcc_lo, s21
	s_delay_alu instid0(SALU_CYCLE_1) | instskip(NEXT) | instid1(SALU_CYCLE_1)
	s_and_b32 s23, exec_lo, s23
	s_or_b32 s20, s23, s20
	s_and_not1_b32 s13, s13, exec_lo
	s_and_b32 s21, s21, exec_lo
	s_delay_alu instid0(SALU_CYCLE_1)
	s_or_b32 s13, s13, s21
	s_and_not1_b32 exec_lo, exec_lo, s20
	s_cbranch_execz .LBB98_134
.LBB98_124:                             ;   Parent Loop BB98_12 Depth=1
                                        ; =>  This Inner Loop Header: Depth=2
	v_mov_b32_e32 v3, 0
	v_mov_b32_e32 v4, 0
	v_cmp_gt_u32_e32 vcc_lo, s7, v7
	s_and_saveexec_b32 s21, vcc_lo
	s_cbranch_execz .LBB98_126
; %bb.125:                              ;   in Loop: Header=BB98_124 Depth=2
	ds_load_b64 v[3:4], v6
.LBB98_126:                             ;   in Loop: Header=BB98_124 Depth=2
	s_or_b32 exec_lo, exec_lo, s21
	s_and_saveexec_b32 s21, vcc_lo
	s_cbranch_execz .LBB98_123
; %bb.127:                              ;   in Loop: Header=BB98_124 Depth=2
	s_waitcnt lgkmcnt(0)
	v_xor_b32_e32 v2, 0x80000000, v4
	v_and_b32_e32 v8, s54, v3
	s_delay_alu instid0(VALU_DEP_2) | instskip(NEXT) | instid1(VALU_DEP_1)
	v_and_b32_e32 v9, s55, v2
	v_cmp_eq_u64_e32 vcc_lo, s[52:53], v[8:9]
	s_and_b32 exec_lo, exec_lo, vcc_lo
	s_cbranch_execz .LBB98_123
; %bb.128:                              ;   in Loop: Header=BB98_124 Depth=2
	v_mov_b32_e32 v2, v12
	ds_store_b128 v12, v[1:4] offset:3072
	s_branch .LBB98_123
.LBB98_129:                             ;   in Loop: Header=BB98_12 Depth=1
                                        ; implicit-def: $sgpr21
                                        ; implicit-def: $sgpr23
                                        ; implicit-def: $sgpr20
	s_branch .LBB98_146
.LBB98_130:                             ;   in Loop: Header=BB98_12 Depth=1
	s_or_b32 exec_lo, exec_lo, s9
	s_waitcnt vmcnt(0) lgkmcnt(0)
	s_barrier
	buffer_gl0_inv
	s_and_saveexec_b32 s7, s2
	s_cbranch_execz .LBB98_132
; %bb.131:                              ;   in Loop: Header=BB98_12 Depth=1
	ds_load_b32 v2, v12 offset:4112
	s_waitcnt lgkmcnt(0)
	ds_store_b32 v12, v2 offset:4104
.LBB98_132:                             ;   in Loop: Header=BB98_12 Depth=1
	s_or_b32 exec_lo, exec_lo, s7
	s_waitcnt lgkmcnt(0)
	s_mov_b32 s7, -1
	s_barrier
	s_and_b32 vcc_lo, exec_lo, s85
	s_cbranch_vccnz .LBB98_30
	s_branch .LBB98_40
.LBB98_133:                             ;   in Loop: Header=BB98_12 Depth=1
	s_mov_b32 s21, -1
	s_mov_b32 s13, 0
                                        ; implicit-def: $sgpr20
                                        ; implicit-def: $vgpr4_vgpr5
	s_mov_b32 s23, s21
	s_cbranch_execnz .LBB98_136
	s_branch .LBB98_146
.LBB98_134:                             ;   in Loop: Header=BB98_12 Depth=1
	s_set_inst_prefetch_distance 0x2
	s_or_b32 exec_lo, exec_lo, s20
	s_delay_alu instid0(SALU_CYCLE_1)
	s_and_b32 s13, s13, exec_lo
.LBB98_135:                             ;   in Loop: Header=BB98_12 Depth=1
	s_or_b32 exec_lo, exec_lo, s14
	s_mov_b32 s20, -1
	s_mov_b32 s21, 0
	s_delay_alu instid0(SALU_CYCLE_1)
	s_mov_b32 s23, s21
	s_branch .LBB98_146
.LBB98_136:                             ;   in Loop: Header=BB98_12 Depth=1
	s_mov_b32 s13, 0
                                        ; implicit-def: $vgpr4_vgpr5
	s_and_saveexec_b32 s14, s6
	s_cbranch_execz .LBB98_145
; %bb.137:                              ;   in Loop: Header=BB98_12 Depth=1
	v_dual_mov_b32 v11, v10 :: v_dual_mov_b32 v6, v0
	s_mov_b32 s15, 0
                                        ; implicit-def: $sgpr13
	s_set_inst_prefetch_distance 0x1
	s_branch .LBB98_139
	.p2align	6
.LBB98_138:                             ;   in Loop: Header=BB98_139 Depth=2
	s_or_b32 exec_lo, exec_lo, s7
	s_waitcnt vmcnt(0) lgkmcnt(0)
	s_barrier
	buffer_gl0_inv
	ds_load_b128 v[2:5], v12 offset:3072
	v_add_nc_u32_e32 v6, s57, v6
	v_add_nc_u32_e32 v11, s60, v11
	s_waitcnt lgkmcnt(0)
	s_barrier
	buffer_gl0_inv
	v_cmp_le_u32_e32 vcc_lo, s72, v6
	v_readfirstlane_b32 s21, v3
	v_readfirstlane_b32 s20, v2
	s_delay_alu instid0(VALU_DEP_1) | instskip(SKIP_1) | instid1(SALU_CYCLE_1)
	s_cmp_lg_u64 s[20:21], 0
	s_cselect_b32 s7, -1, 0
	s_or_b32 s20, vcc_lo, s7
	s_delay_alu instid0(SALU_CYCLE_1) | instskip(NEXT) | instid1(SALU_CYCLE_1)
	s_and_b32 s20, exec_lo, s20
	s_or_b32 s15, s20, s15
	s_and_not1_b32 s13, s13, exec_lo
	s_and_b32 s7, s7, exec_lo
	s_delay_alu instid0(SALU_CYCLE_1)
	s_or_b32 s13, s13, s7
	s_and_not1_b32 exec_lo, exec_lo, s15
	s_cbranch_execz .LBB98_144
.LBB98_139:                             ;   Parent Loop BB98_12 Depth=1
                                        ; =>  This Inner Loop Header: Depth=2
	v_mov_b32_e32 v3, 0
	v_mov_b32_e32 v4, 0
	v_cmp_gt_u32_e32 vcc_lo, s28, v6
	s_and_saveexec_b32 s20, vcc_lo
	s_cbranch_execz .LBB98_141
; %bb.140:                              ;   in Loop: Header=BB98_139 Depth=2
	v_lshlrev_b64 v[2:3], 3, v[11:12]
	s_delay_alu instid0(VALU_DEP_1) | instskip(NEXT) | instid1(VALU_DEP_1)
	v_add_co_u32 v2, s7, s39, v2
	v_add_co_ci_u32_e64 v3, s7, s43, v3, s7
	global_load_b64 v[3:4], v[2:3], off
.LBB98_141:                             ;   in Loop: Header=BB98_139 Depth=2
	s_or_b32 exec_lo, exec_lo, s20
	s_and_saveexec_b32 s7, vcc_lo
	s_cbranch_execz .LBB98_138
; %bb.142:                              ;   in Loop: Header=BB98_139 Depth=2
	s_waitcnt vmcnt(0)
	v_xor_b32_e32 v2, 0x80000000, v4
	v_and_b32_e32 v7, s54, v3
	s_delay_alu instid0(VALU_DEP_2) | instskip(NEXT) | instid1(VALU_DEP_1)
	v_and_b32_e32 v8, s55, v2
	v_cmp_eq_u64_e32 vcc_lo, s[52:53], v[7:8]
	s_and_b32 exec_lo, exec_lo, vcc_lo
	s_cbranch_execz .LBB98_138
; %bb.143:                              ;   in Loop: Header=BB98_139 Depth=2
	v_mov_b32_e32 v2, v12
	ds_store_b128 v12, v[1:4] offset:3072
	s_branch .LBB98_138
.LBB98_144:                             ;   in Loop: Header=BB98_12 Depth=1
	s_set_inst_prefetch_distance 0x2
	s_or_b32 exec_lo, exec_lo, s15
	s_delay_alu instid0(SALU_CYCLE_1)
	s_and_b32 s13, s13, exec_lo
.LBB98_145:                             ;   in Loop: Header=BB98_12 Depth=1
	s_or_b32 exec_lo, exec_lo, s14
	s_mov_b32 s23, -1
	s_mov_b32 s21, 0
	s_mov_b32 s20, 0
.LBB98_146:                             ;   in Loop: Header=BB98_12 Depth=1
	s_mov_b32 s14, 0
                                        ; implicit-def: $sgpr7
	s_and_saveexec_b32 s24, s13
	s_cbranch_execz .LBB98_242
; %bb.147:                              ;   in Loop: Header=BB98_12 Depth=1
	s_xor_b32 s7, s12, -1
	s_mov_b32 s84, 0
	s_and_not1_b32 vcc_lo, exec_lo, s7
	s_mov_b32 s86, 1
	s_cbranch_vccnz .LBB98_158
; %bb.148:                              ;   in Loop: Header=BB98_12 Depth=1
	s_cmp_gt_u32 s26, s25
	s_mov_b32 s84, -1
                                        ; implicit-def: $sgpr7
                                        ; implicit-def: $sgpr12_sgpr13
                                        ; implicit-def: $sgpr14_sgpr15
	s_cbranch_scc1 .LBB98_154
; %bb.149:                              ;   in Loop: Header=BB98_12 Depth=1
	ds_load_b32 v2, v12 offset:4104
	s_waitcnt lgkmcnt(0)
	v_cmp_ne_u32_e32 vcc_lo, 0, v2
	s_cbranch_vccnz .LBB98_153
; %bb.150:                              ;   in Loop: Header=BB98_12 Depth=1
	s_and_saveexec_b32 s7, s2
	s_cbranch_execz .LBB98_152
; %bb.151:                              ;   in Loop: Header=BB98_12 Depth=1
	v_mov_b32_e32 v2, s25
	ds_store_b32 v12, v2 offset:4108
.LBB98_152:                             ;   in Loop: Header=BB98_12 Depth=1
	s_or_b32 exec_lo, exec_lo, s7
	s_waitcnt lgkmcnt(0)
	s_barrier
	buffer_gl0_inv
.LBB98_153:                             ;   in Loop: Header=BB98_12 Depth=1
	s_lshl_b64 s[12:13], 1, s22
	s_and_b64 s[14:15], s[52:53], s[10:11]
	s_mov_b32 s84, 0
	s_or_b64 s[12:13], s[14:15], s[12:13]
	s_or_b64 s[14:15], s[54:55], s[8:9]
	s_mov_b32 s7, 8
.LBB98_154:                             ;   in Loop: Header=BB98_12 Depth=1
	s_and_not1_b32 vcc_lo, exec_lo, s84
	s_cbranch_vccnz .LBB98_156
; %bb.155:                              ;   in Loop: Header=BB98_12 Depth=1
	s_sub_i32 s26, s26, s25
	s_mov_b32 s84, -1
	s_mov_b32 s7, 0
	s_mov_b64 s[12:13], s[52:53]
	s_mov_b64 s[14:15], s[54:55]
.LBB98_156:                             ;   in Loop: Header=BB98_12 Depth=1
	s_delay_alu instid0(SALU_CYCLE_1)
	s_mov_b64 s[54:55], s[14:15]
	s_mov_b64 s[52:53], s[12:13]
	s_mov_b32 s86, s26
	s_and_not1_b32 vcc_lo, exec_lo, s84
	s_mov_b32 s14, -1
	s_cbranch_vccz .LBB98_159
.LBB98_157:                             ;   in Loop: Header=BB98_12 Depth=1
                                        ; implicit-def: $sgpr26
                                        ; implicit-def: $sgpr84
                                        ; implicit-def: $sgpr25
	s_branch .LBB98_241
.LBB98_158:                             ;   in Loop: Header=BB98_12 Depth=1
	s_mov_b32 s7, 1
	s_and_not1_b32 vcc_lo, exec_lo, s84
	s_mov_b32 s14, -1
	s_cbranch_vccnz .LBB98_157
.LBB98_159:                             ;   in Loop: Header=BB98_12 Depth=1
	s_cmp_eq_u32 s19, 1
	s_mov_b32 s13, -1
	s_cselect_b32 s7, -1, 0
	s_cmp_eq_u32 s86, 1
	s_cselect_b32 s12, -1, 0
	s_delay_alu instid0(SALU_CYCLE_1) | instskip(NEXT) | instid1(SALU_CYCLE_1)
	s_and_b32 s12, s7, s12
	s_and_b32 vcc_lo, exec_lo, s12
	s_cbranch_vccz .LBB98_171
; %bb.160:                              ;   in Loop: Header=BB98_12 Depth=1
	ds_load_b32 v2, v12 offset:4104
	s_waitcnt lgkmcnt(0)
	s_barrier
	buffer_gl0_inv
	v_readfirstlane_b32 s7, v2
	s_and_saveexec_b32 s13, s3
	s_cbranch_execz .LBB98_162
; %bb.161:                              ;   in Loop: Header=BB98_12 Depth=1
	v_mov_b32_e32 v11, v12
	ds_store_b64 v25, v[11:12]
.LBB98_162:                             ;   in Loop: Header=BB98_12 Depth=1
	s_or_b32 exec_lo, exec_lo, s13
	s_lshl_b64 s[14:15], 2, s22
	s_and_b64 s[52:53], s[52:53], s[10:11]
	s_or_b64 s[54:55], s[54:55], s[8:9]
	s_or_b64 s[52:53], s[52:53], s[14:15]
	s_cmp_eq_u32 s7, 0
	s_waitcnt lgkmcnt(0)
	s_barrier
	buffer_gl0_inv
	s_cbranch_scc1 .LBB98_172
; %bb.163:                              ;   in Loop: Header=BB98_12 Depth=1
	s_add_i32 s13, s7, s61
                                        ; implicit-def: $vgpr4_vgpr5
	s_delay_alu instid0(SALU_CYCLE_1) | instskip(NEXT) | instid1(SALU_CYCLE_1)
	s_mul_hi_u32 s14, s13, s71
	s_mul_i32 s14, s14, s57
	s_delay_alu instid0(SALU_CYCLE_1) | instskip(NEXT) | instid1(SALU_CYCLE_1)
	s_sub_i32 s14, s13, s14
	s_sub_i32 s15, s14, s57
	s_cmp_ge_u32 s14, s57
	s_cselect_b32 s14, s15, s14
	s_delay_alu instid0(SALU_CYCLE_1) | instskip(SKIP_2) | instid1(SALU_CYCLE_1)
	s_sub_i32 s15, s14, s57
	s_cmp_ge_u32 s14, s57
	s_cselect_b32 s14, s15, s14
	s_sub_i32 s15, s13, s14
	s_mov_b32 s13, 0
	s_mov_b32 s14, exec_lo
	v_cmpx_gt_u32_e64 s15, v0
	s_cbranch_execz .LBB98_174
; %bb.164:                              ;   in Loop: Header=BB98_12 Depth=1
	v_mov_b32_e32 v6, v24
	v_mov_b32_e32 v7, v0
	s_mov_b32 s25, 0
                                        ; implicit-def: $sgpr13
	s_set_inst_prefetch_distance 0x1
	s_branch .LBB98_166
	.p2align	6
.LBB98_165:                             ;   in Loop: Header=BB98_166 Depth=2
	s_or_b32 exec_lo, exec_lo, s26
	s_waitcnt lgkmcnt(0)
	s_barrier
	buffer_gl0_inv
	ds_load_b128 v[2:5], v12 offset:3072
	v_add_nc_u32_e32 v7, s57, v7
	v_add_nc_u32_e32 v6, s75, v6
	s_waitcnt lgkmcnt(0)
	s_barrier
	buffer_gl0_inv
	v_cmp_le_u32_e32 vcc_lo, s15, v7
	v_readfirstlane_b32 s85, v3
	v_readfirstlane_b32 s84, v2
	s_delay_alu instid0(VALU_DEP_1) | instskip(SKIP_1) | instid1(SALU_CYCLE_1)
	s_cmp_lg_u64 s[84:85], 0
	s_cselect_b32 s26, -1, 0
	s_or_b32 s84, vcc_lo, s26
	s_delay_alu instid0(SALU_CYCLE_1) | instskip(NEXT) | instid1(SALU_CYCLE_1)
	s_and_b32 s84, exec_lo, s84
	s_or_b32 s25, s84, s25
	s_and_not1_b32 s13, s13, exec_lo
	s_and_b32 s26, s26, exec_lo
	s_delay_alu instid0(SALU_CYCLE_1)
	s_or_b32 s13, s13, s26
	s_and_not1_b32 exec_lo, exec_lo, s25
	s_cbranch_execz .LBB98_173
.LBB98_166:                             ;   Parent Loop BB98_12 Depth=1
                                        ; =>  This Inner Loop Header: Depth=2
	v_mov_b32_e32 v3, 0
	v_mov_b32_e32 v4, 0
	v_cmp_gt_u32_e32 vcc_lo, s7, v7
	s_and_saveexec_b32 s26, vcc_lo
	s_cbranch_execz .LBB98_168
; %bb.167:                              ;   in Loop: Header=BB98_166 Depth=2
	ds_load_b64 v[3:4], v6
.LBB98_168:                             ;   in Loop: Header=BB98_166 Depth=2
	s_or_b32 exec_lo, exec_lo, s26
	s_and_saveexec_b32 s26, vcc_lo
	s_cbranch_execz .LBB98_165
; %bb.169:                              ;   in Loop: Header=BB98_166 Depth=2
	s_waitcnt lgkmcnt(0)
	v_xor_b32_e32 v2, 0x80000000, v4
	v_and_b32_e32 v8, s54, v3
	s_delay_alu instid0(VALU_DEP_2) | instskip(NEXT) | instid1(VALU_DEP_1)
	v_and_b32_e32 v9, s55, v2
	v_cmp_eq_u64_e32 vcc_lo, s[52:53], v[8:9]
	s_and_b32 exec_lo, exec_lo, vcc_lo
	s_cbranch_execz .LBB98_165
; %bb.170:                              ;   in Loop: Header=BB98_166 Depth=2
	v_mov_b32_e32 v2, v12
	ds_store_b128 v12, v[1:4] offset:3072
	s_branch .LBB98_165
.LBB98_171:                             ;   in Loop: Header=BB98_12 Depth=1
                                        ; implicit-def: $sgpr25
                                        ; implicit-def: $sgpr84
                                        ; implicit-def: $sgpr26
	s_branch .LBB98_185
.LBB98_172:                             ;   in Loop: Header=BB98_12 Depth=1
	s_mov_b32 s25, -1
	s_mov_b32 s13, 0
                                        ; implicit-def: $sgpr26
                                        ; implicit-def: $vgpr4_vgpr5
	s_mov_b32 s84, s25
	s_cbranch_execnz .LBB98_175
	s_branch .LBB98_185
.LBB98_173:                             ;   in Loop: Header=BB98_12 Depth=1
	s_set_inst_prefetch_distance 0x2
	s_or_b32 exec_lo, exec_lo, s25
	s_delay_alu instid0(SALU_CYCLE_1)
	s_and_b32 s13, s13, exec_lo
.LBB98_174:                             ;   in Loop: Header=BB98_12 Depth=1
	s_or_b32 exec_lo, exec_lo, s14
	s_mov_b32 s26, -1
	s_mov_b32 s25, 0
	s_delay_alu instid0(SALU_CYCLE_1)
	s_mov_b32 s84, s25
	s_branch .LBB98_185
.LBB98_175:                             ;   in Loop: Header=BB98_12 Depth=1
	s_mov_b32 s13, 0
                                        ; implicit-def: $vgpr4_vgpr5
	s_and_saveexec_b32 s14, s6
	s_cbranch_execz .LBB98_184
; %bb.176:                              ;   in Loop: Header=BB98_12 Depth=1
	v_dual_mov_b32 v11, v10 :: v_dual_mov_b32 v6, v0
	s_mov_b32 s15, 0
                                        ; implicit-def: $sgpr13
	s_set_inst_prefetch_distance 0x1
	s_branch .LBB98_178
	.p2align	6
.LBB98_177:                             ;   in Loop: Header=BB98_178 Depth=2
	s_or_b32 exec_lo, exec_lo, s7
	s_waitcnt vmcnt(0) lgkmcnt(0)
	s_barrier
	buffer_gl0_inv
	ds_load_b128 v[2:5], v12 offset:3072
	v_add_nc_u32_e32 v6, s57, v6
	v_add_nc_u32_e32 v11, s60, v11
	s_waitcnt lgkmcnt(0)
	s_barrier
	buffer_gl0_inv
	v_cmp_le_u32_e32 vcc_lo, s72, v6
	v_readfirstlane_b32 s85, v3
	v_readfirstlane_b32 s84, v2
	s_delay_alu instid0(VALU_DEP_1) | instskip(SKIP_1) | instid1(SALU_CYCLE_1)
	s_cmp_lg_u64 s[84:85], 0
	s_cselect_b32 s7, -1, 0
	s_or_b32 s25, vcc_lo, s7
	s_delay_alu instid0(SALU_CYCLE_1) | instskip(NEXT) | instid1(SALU_CYCLE_1)
	s_and_b32 s25, exec_lo, s25
	s_or_b32 s15, s25, s15
	s_and_not1_b32 s13, s13, exec_lo
	s_and_b32 s7, s7, exec_lo
	s_delay_alu instid0(SALU_CYCLE_1)
	s_or_b32 s13, s13, s7
	s_and_not1_b32 exec_lo, exec_lo, s15
	s_cbranch_execz .LBB98_183
.LBB98_178:                             ;   Parent Loop BB98_12 Depth=1
                                        ; =>  This Inner Loop Header: Depth=2
	v_mov_b32_e32 v3, 0
	v_mov_b32_e32 v4, 0
	v_cmp_gt_u32_e32 vcc_lo, s28, v6
	s_and_saveexec_b32 s25, vcc_lo
	s_cbranch_execz .LBB98_180
; %bb.179:                              ;   in Loop: Header=BB98_178 Depth=2
	v_lshlrev_b64 v[2:3], 3, v[11:12]
	s_delay_alu instid0(VALU_DEP_1) | instskip(NEXT) | instid1(VALU_DEP_1)
	v_add_co_u32 v2, s7, s39, v2
	v_add_co_ci_u32_e64 v3, s7, s43, v3, s7
	global_load_b64 v[3:4], v[2:3], off
.LBB98_180:                             ;   in Loop: Header=BB98_178 Depth=2
	s_or_b32 exec_lo, exec_lo, s25
	s_and_saveexec_b32 s7, vcc_lo
	s_cbranch_execz .LBB98_177
; %bb.181:                              ;   in Loop: Header=BB98_178 Depth=2
	s_waitcnt vmcnt(0)
	v_xor_b32_e32 v2, 0x80000000, v4
	v_and_b32_e32 v7, s54, v3
	s_delay_alu instid0(VALU_DEP_2) | instskip(NEXT) | instid1(VALU_DEP_1)
	v_and_b32_e32 v8, s55, v2
	v_cmp_eq_u64_e32 vcc_lo, s[52:53], v[7:8]
	s_and_b32 exec_lo, exec_lo, vcc_lo
	s_cbranch_execz .LBB98_177
; %bb.182:                              ;   in Loop: Header=BB98_178 Depth=2
	v_mov_b32_e32 v2, v12
	ds_store_b128 v12, v[1:4] offset:3072
	s_branch .LBB98_177
.LBB98_183:                             ;   in Loop: Header=BB98_12 Depth=1
	s_set_inst_prefetch_distance 0x2
	s_or_b32 exec_lo, exec_lo, s15
	s_delay_alu instid0(SALU_CYCLE_1)
	s_and_b32 s13, s13, exec_lo
.LBB98_184:                             ;   in Loop: Header=BB98_12 Depth=1
	s_or_b32 exec_lo, exec_lo, s14
	s_mov_b32 s84, -1
	s_mov_b32 s25, 0
	s_mov_b32 s26, 0
.LBB98_185:                             ;   in Loop: Header=BB98_12 Depth=1
	s_mov_b32 s14, 0
                                        ; implicit-def: $sgpr7
	s_and_saveexec_b32 s85, s13
	s_cbranch_execz .LBB98_240
; %bb.186:                              ;   in Loop: Header=BB98_12 Depth=1
	s_xor_b32 s7, s12, -1
	s_mov_b32 s87, 0
	s_and_not1_b32 vcc_lo, exec_lo, s7
	s_mov_b32 s12, 1
	s_cbranch_vccnz .LBB98_197
; %bb.187:                              ;   in Loop: Header=BB98_12 Depth=1
	s_cmp_gt_u32 s86, s19
	s_mov_b32 s87, -1
                                        ; implicit-def: $sgpr7
                                        ; implicit-def: $sgpr12_sgpr13
                                        ; implicit-def: $sgpr14_sgpr15
	s_cbranch_scc1 .LBB98_193
; %bb.188:                              ;   in Loop: Header=BB98_12 Depth=1
	ds_load_b32 v2, v12 offset:4104
	s_waitcnt lgkmcnt(0)
	v_cmp_ne_u32_e32 vcc_lo, 0, v2
	s_cbranch_vccnz .LBB98_192
; %bb.189:                              ;   in Loop: Header=BB98_12 Depth=1
	s_and_saveexec_b32 s7, s2
	s_cbranch_execz .LBB98_191
; %bb.190:                              ;   in Loop: Header=BB98_12 Depth=1
	v_mov_b32_e32 v2, s19
	ds_store_b32 v12, v2 offset:4108
.LBB98_191:                             ;   in Loop: Header=BB98_12 Depth=1
	s_or_b32 exec_lo, exec_lo, s7
	s_waitcnt lgkmcnt(0)
	s_barrier
	buffer_gl0_inv
.LBB98_192:                             ;   in Loop: Header=BB98_12 Depth=1
	s_lshl_b64 s[12:13], 2, s22
	s_and_b64 s[10:11], s[52:53], s[10:11]
	s_or_b64 s[14:15], s[54:55], s[8:9]
	s_or_b64 s[12:13], s[10:11], s[12:13]
	s_mov_b32 s87, 0
	s_mov_b32 s7, 8
.LBB98_193:                             ;   in Loop: Header=BB98_12 Depth=1
	s_and_not1_b32 vcc_lo, exec_lo, s87
	s_cbranch_vccnz .LBB98_195
; %bb.194:                              ;   in Loop: Header=BB98_12 Depth=1
	s_sub_i32 s86, s86, s19
	s_mov_b32 s87, -1
	s_mov_b32 s7, 0
	s_mov_b64 s[12:13], s[52:53]
	s_mov_b64 s[14:15], s[54:55]
.LBB98_195:                             ;   in Loop: Header=BB98_12 Depth=1
	s_delay_alu instid0(SALU_CYCLE_1)
	s_mov_b64 s[54:55], s[14:15]
	s_mov_b64 s[52:53], s[12:13]
	s_mov_b32 s12, s86
	s_and_not1_b32 vcc_lo, exec_lo, s87
	s_mov_b32 s22, -1
	s_cbranch_vccz .LBB98_198
.LBB98_196:                             ;   in Loop: Header=BB98_12 Depth=1
                                        ; implicit-def: $sgpr13
                                        ; implicit-def: $sgpr15
                                        ; implicit-def: $sgpr14
	s_branch .LBB98_239
.LBB98_197:                             ;   in Loop: Header=BB98_12 Depth=1
	s_mov_b32 s7, 1
	s_and_not1_b32 vcc_lo, exec_lo, s87
	s_mov_b32 s22, -1
	s_cbranch_vccnz .LBB98_196
.LBB98_198:                             ;   in Loop: Header=BB98_12 Depth=1
	s_cmp_eq_u32 s16, 1
	s_mov_b32 s11, -1
	s_cselect_b32 s7, -1, 0
	s_cmp_eq_u32 s12, 1
	s_cselect_b32 s10, -1, 0
	s_delay_alu instid0(SALU_CYCLE_1) | instskip(NEXT) | instid1(SALU_CYCLE_1)
	s_and_b32 s10, s7, s10
	s_and_b32 vcc_lo, exec_lo, s10
	s_cbranch_vccz .LBB98_210
; %bb.199:                              ;   in Loop: Header=BB98_12 Depth=1
	ds_load_b32 v2, v12 offset:4104
	s_waitcnt lgkmcnt(0)
	s_barrier
	buffer_gl0_inv
	v_readfirstlane_b32 s7, v2
	s_and_saveexec_b32 s11, s3
	s_cbranch_execz .LBB98_201
; %bb.200:                              ;   in Loop: Header=BB98_12 Depth=1
	v_mov_b32_e32 v11, v12
	ds_store_b64 v25, v[11:12]
.LBB98_201:                             ;   in Loop: Header=BB98_12 Depth=1
	s_or_b32 exec_lo, exec_lo, s11
	s_or_b64 s[52:53], s[52:53], s[8:9]
	s_or_b64 s[54:55], s[54:55], s[8:9]
	s_cmp_eq_u32 s7, 0
	s_waitcnt lgkmcnt(0)
	s_barrier
	buffer_gl0_inv
	s_cbranch_scc1 .LBB98_211
; %bb.202:                              ;   in Loop: Header=BB98_12 Depth=1
	s_add_i32 s11, s7, s61
                                        ; implicit-def: $vgpr4_vgpr5
	s_delay_alu instid0(SALU_CYCLE_1) | instskip(NEXT) | instid1(SALU_CYCLE_1)
	s_mul_hi_u32 s13, s11, s71
	s_mul_i32 s13, s13, s57
	s_delay_alu instid0(SALU_CYCLE_1) | instskip(NEXT) | instid1(SALU_CYCLE_1)
	s_sub_i32 s13, s11, s13
	s_sub_i32 s14, s13, s57
	s_cmp_ge_u32 s13, s57
	s_cselect_b32 s13, s14, s13
	s_delay_alu instid0(SALU_CYCLE_1) | instskip(SKIP_2) | instid1(SALU_CYCLE_1)
	s_sub_i32 s14, s13, s57
	s_cmp_ge_u32 s13, s57
	s_cselect_b32 s13, s14, s13
	s_sub_i32 s14, s11, s13
	s_mov_b32 s11, 0
	s_mov_b32 s13, exec_lo
	v_cmpx_gt_u32_e64 s14, v0
	s_cbranch_execz .LBB98_213
; %bb.203:                              ;   in Loop: Header=BB98_12 Depth=1
	v_mov_b32_e32 v6, v24
	v_mov_b32_e32 v7, v0
	s_mov_b32 s15, 0
                                        ; implicit-def: $sgpr11
	s_set_inst_prefetch_distance 0x1
	s_branch .LBB98_205
	.p2align	6
.LBB98_204:                             ;   in Loop: Header=BB98_205 Depth=2
	s_or_b32 exec_lo, exec_lo, s19
	s_waitcnt lgkmcnt(0)
	s_barrier
	buffer_gl0_inv
	ds_load_b128 v[2:5], v12 offset:3072
	v_add_nc_u32_e32 v7, s57, v7
	v_add_nc_u32_e32 v6, s75, v6
	s_waitcnt lgkmcnt(0)
	s_barrier
	buffer_gl0_inv
	v_cmp_le_u32_e32 vcc_lo, s14, v7
	v_readfirstlane_b32 s87, v3
	v_readfirstlane_b32 s86, v2
	s_delay_alu instid0(VALU_DEP_1) | instskip(SKIP_1) | instid1(SALU_CYCLE_1)
	s_cmp_lg_u64 s[86:87], 0
	s_cselect_b32 s19, -1, 0
	s_or_b32 s22, vcc_lo, s19
	s_delay_alu instid0(SALU_CYCLE_1) | instskip(NEXT) | instid1(SALU_CYCLE_1)
	s_and_b32 s22, exec_lo, s22
	s_or_b32 s15, s22, s15
	s_and_not1_b32 s11, s11, exec_lo
	s_and_b32 s19, s19, exec_lo
	s_delay_alu instid0(SALU_CYCLE_1)
	s_or_b32 s11, s11, s19
	s_and_not1_b32 exec_lo, exec_lo, s15
	s_cbranch_execz .LBB98_212
.LBB98_205:                             ;   Parent Loop BB98_12 Depth=1
                                        ; =>  This Inner Loop Header: Depth=2
	v_mov_b32_e32 v3, 0
	v_mov_b32_e32 v4, 0
	v_cmp_gt_u32_e32 vcc_lo, s7, v7
	s_and_saveexec_b32 s19, vcc_lo
	s_cbranch_execz .LBB98_207
; %bb.206:                              ;   in Loop: Header=BB98_205 Depth=2
	ds_load_b64 v[3:4], v6
.LBB98_207:                             ;   in Loop: Header=BB98_205 Depth=2
	s_or_b32 exec_lo, exec_lo, s19
	s_and_saveexec_b32 s19, vcc_lo
	s_cbranch_execz .LBB98_204
; %bb.208:                              ;   in Loop: Header=BB98_205 Depth=2
	s_waitcnt lgkmcnt(0)
	v_xor_b32_e32 v2, 0x80000000, v4
	v_and_b32_e32 v8, s54, v3
	s_delay_alu instid0(VALU_DEP_2) | instskip(NEXT) | instid1(VALU_DEP_1)
	v_and_b32_e32 v9, s55, v2
	v_cmp_eq_u64_e32 vcc_lo, s[52:53], v[8:9]
	s_and_b32 exec_lo, exec_lo, vcc_lo
	s_cbranch_execz .LBB98_204
; %bb.209:                              ;   in Loop: Header=BB98_205 Depth=2
	v_mov_b32_e32 v2, v12
	ds_store_b128 v12, v[1:4] offset:3072
	s_branch .LBB98_204
.LBB98_210:                             ;   in Loop: Header=BB98_12 Depth=1
                                        ; implicit-def: $sgpr13
                                        ; implicit-def: $sgpr15
                                        ; implicit-def: $sgpr14
	s_branch .LBB98_224
.LBB98_211:                             ;   in Loop: Header=BB98_12 Depth=1
	s_mov_b32 s13, -1
	s_mov_b32 s11, 0
                                        ; implicit-def: $sgpr14
                                        ; implicit-def: $vgpr4_vgpr5
	s_mov_b32 s15, s13
	s_cbranch_execnz .LBB98_214
	s_branch .LBB98_224
.LBB98_212:                             ;   in Loop: Header=BB98_12 Depth=1
	s_set_inst_prefetch_distance 0x2
	s_or_b32 exec_lo, exec_lo, s15
	s_delay_alu instid0(SALU_CYCLE_1)
	s_and_b32 s11, s11, exec_lo
.LBB98_213:                             ;   in Loop: Header=BB98_12 Depth=1
	s_or_b32 exec_lo, exec_lo, s13
	s_mov_b32 s14, -1
	s_mov_b32 s13, 0
	s_delay_alu instid0(SALU_CYCLE_1)
	s_mov_b32 s15, s13
	s_branch .LBB98_224
.LBB98_214:                             ;   in Loop: Header=BB98_12 Depth=1
	s_mov_b32 s11, 0
                                        ; implicit-def: $vgpr4_vgpr5
	s_and_saveexec_b32 s13, s6
	s_cbranch_execz .LBB98_223
; %bb.215:                              ;   in Loop: Header=BB98_12 Depth=1
	v_dual_mov_b32 v11, v10 :: v_dual_mov_b32 v6, v0
	s_mov_b32 s14, 0
                                        ; implicit-def: $sgpr11
	s_set_inst_prefetch_distance 0x1
	s_branch .LBB98_217
	.p2align	6
.LBB98_216:                             ;   in Loop: Header=BB98_217 Depth=2
	s_or_b32 exec_lo, exec_lo, s7
	s_waitcnt vmcnt(0) lgkmcnt(0)
	s_barrier
	buffer_gl0_inv
	ds_load_b128 v[2:5], v12 offset:3072
	v_add_nc_u32_e32 v6, s57, v6
	v_add_nc_u32_e32 v11, s60, v11
	s_waitcnt lgkmcnt(0)
	s_barrier
	buffer_gl0_inv
	v_cmp_le_u32_e32 vcc_lo, s72, v6
	v_readfirstlane_b32 s87, v3
	v_readfirstlane_b32 s86, v2
	s_delay_alu instid0(VALU_DEP_1) | instskip(SKIP_1) | instid1(SALU_CYCLE_1)
	s_cmp_lg_u64 s[86:87], 0
	s_cselect_b32 s7, -1, 0
	s_or_b32 s15, vcc_lo, s7
	s_delay_alu instid0(SALU_CYCLE_1) | instskip(NEXT) | instid1(SALU_CYCLE_1)
	s_and_b32 s15, exec_lo, s15
	s_or_b32 s14, s15, s14
	s_and_not1_b32 s11, s11, exec_lo
	s_and_b32 s7, s7, exec_lo
	s_delay_alu instid0(SALU_CYCLE_1)
	s_or_b32 s11, s11, s7
	s_and_not1_b32 exec_lo, exec_lo, s14
	s_cbranch_execz .LBB98_222
.LBB98_217:                             ;   Parent Loop BB98_12 Depth=1
                                        ; =>  This Inner Loop Header: Depth=2
	v_mov_b32_e32 v3, 0
	v_mov_b32_e32 v4, 0
	v_cmp_gt_u32_e32 vcc_lo, s28, v6
	s_and_saveexec_b32 s15, vcc_lo
	s_cbranch_execz .LBB98_219
; %bb.218:                              ;   in Loop: Header=BB98_217 Depth=2
	v_lshlrev_b64 v[2:3], 3, v[11:12]
	s_delay_alu instid0(VALU_DEP_1) | instskip(NEXT) | instid1(VALU_DEP_1)
	v_add_co_u32 v2, s7, s39, v2
	v_add_co_ci_u32_e64 v3, s7, s43, v3, s7
	global_load_b64 v[3:4], v[2:3], off
.LBB98_219:                             ;   in Loop: Header=BB98_217 Depth=2
	s_or_b32 exec_lo, exec_lo, s15
	s_and_saveexec_b32 s7, vcc_lo
	s_cbranch_execz .LBB98_216
; %bb.220:                              ;   in Loop: Header=BB98_217 Depth=2
	s_waitcnt vmcnt(0)
	v_xor_b32_e32 v2, 0x80000000, v4
	v_and_b32_e32 v7, s54, v3
	s_delay_alu instid0(VALU_DEP_2) | instskip(NEXT) | instid1(VALU_DEP_1)
	v_and_b32_e32 v8, s55, v2
	v_cmp_eq_u64_e32 vcc_lo, s[52:53], v[7:8]
	s_and_b32 exec_lo, exec_lo, vcc_lo
	s_cbranch_execz .LBB98_216
; %bb.221:                              ;   in Loop: Header=BB98_217 Depth=2
	v_mov_b32_e32 v2, v12
	ds_store_b128 v12, v[1:4] offset:3072
	s_branch .LBB98_216
.LBB98_222:                             ;   in Loop: Header=BB98_12 Depth=1
	s_set_inst_prefetch_distance 0x2
	s_or_b32 exec_lo, exec_lo, s14
	s_delay_alu instid0(SALU_CYCLE_1)
	s_and_b32 s11, s11, exec_lo
.LBB98_223:                             ;   in Loop: Header=BB98_12 Depth=1
	s_or_b32 exec_lo, exec_lo, s13
	s_mov_b32 s15, -1
	s_mov_b32 s13, 0
	s_mov_b32 s14, 0
.LBB98_224:                             ;   in Loop: Header=BB98_12 Depth=1
	s_mov_b32 s22, 0
                                        ; implicit-def: $sgpr7
	s_and_saveexec_b32 s19, s11
	s_cbranch_execz .LBB98_238
; %bb.225:                              ;   in Loop: Header=BB98_12 Depth=1
	s_xor_b32 s7, s10, -1
	s_delay_alu instid0(SALU_CYCLE_1)
	s_and_not1_b32 vcc_lo, exec_lo, s7
	s_mov_b32 s7, 1
	s_cbranch_vccnz .LBB98_232
; %bb.226:                              ;   in Loop: Header=BB98_12 Depth=1
	s_cmp_gt_u32 s12, s16
	s_cbranch_scc1 .LBB98_233
; %bb.227:                              ;   in Loop: Header=BB98_12 Depth=1
	ds_load_b32 v2, v12 offset:4104
	s_waitcnt lgkmcnt(0)
	v_cmp_ne_u32_e32 vcc_lo, 0, v2
	s_cbranch_vccnz .LBB98_231
; %bb.228:                              ;   in Loop: Header=BB98_12 Depth=1
	s_and_saveexec_b32 s7, s2
	s_cbranch_execz .LBB98_230
; %bb.229:                              ;   in Loop: Header=BB98_12 Depth=1
	v_mov_b32_e32 v2, s16
	ds_store_b32 v12, v2 offset:4108
.LBB98_230:                             ;   in Loop: Header=BB98_12 Depth=1
	s_or_b32 exec_lo, exec_lo, s7
	s_waitcnt lgkmcnt(0)
	s_barrier
	buffer_gl0_inv
.LBB98_231:                             ;   in Loop: Header=BB98_12 Depth=1
	s_or_b64 s[10:11], s[52:53], s[8:9]
	s_or_b64 s[8:9], s[54:55], s[8:9]
	s_mov_b32 s7, 8
	s_branch .LBB98_234
.LBB98_232:                             ;   in Loop: Header=BB98_12 Depth=1
	s_mov_b32 s12, 1
	s_branch .LBB98_237
.LBB98_233:                             ;   in Loop: Header=BB98_12 Depth=1
	s_mov_b32 s22, -1
                                        ; implicit-def: $sgpr7
                                        ; implicit-def: $sgpr10_sgpr11
                                        ; implicit-def: $sgpr8_sgpr9
.LBB98_234:                             ;   in Loop: Header=BB98_12 Depth=1
	s_delay_alu instid0(SALU_CYCLE_1)
	s_and_not1_b32 vcc_lo, exec_lo, s22
	s_cbranch_vccnz .LBB98_236
; %bb.235:                              ;   in Loop: Header=BB98_12 Depth=1
	s_sub_i32 s12, s12, s16
	s_mov_b32 s7, 8
	s_mov_b64 s[10:11], s[52:53]
	s_mov_b64 s[8:9], s[54:55]
.LBB98_236:                             ;   in Loop: Header=BB98_12 Depth=1
	s_mov_b64 s[52:53], s[10:11]
	s_mov_b64 s[54:55], s[8:9]
.LBB98_237:                             ;   in Loop: Header=BB98_12 Depth=1
	s_mov_b32 s22, exec_lo
.LBB98_238:                             ;   in Loop: Header=BB98_12 Depth=1
	s_or_b32 exec_lo, exec_lo, s19
.LBB98_239:                             ;   in Loop: Header=BB98_12 Depth=1
	s_delay_alu instid0(SALU_CYCLE_1)
	s_and_not1_b32 s8, s25, exec_lo
	s_and_b32 s9, s13, exec_lo
	s_and_not1_b32 s10, s26, exec_lo
	s_or_b32 s25, s8, s9
	s_and_not1_b32 s8, s84, exec_lo
	s_and_b32 s9, s15, exec_lo
	s_and_b32 s11, s14, exec_lo
	s_or_b32 s84, s8, s9
	s_or_b32 s26, s10, s11
	s_and_b32 s14, s22, exec_lo
	s_mov_b32 s86, s12
.LBB98_240:                             ;   in Loop: Header=BB98_12 Depth=1
	s_or_b32 exec_lo, exec_lo, s85
.LBB98_241:                             ;   in Loop: Header=BB98_12 Depth=1
	s_delay_alu instid0(SALU_CYCLE_1)
	s_and_not1_b32 s8, s21, exec_lo
	s_and_b32 s9, s25, exec_lo
	s_and_not1_b32 s10, s20, exec_lo
	s_or_b32 s21, s8, s9
	s_and_not1_b32 s8, s23, exec_lo
	s_and_b32 s9, s84, exec_lo
	s_and_b32 s11, s26, exec_lo
	s_or_b32 s23, s8, s9
	s_or_b32 s20, s10, s11
	s_and_b32 s14, s14, exec_lo
	s_mov_b32 s26, s86
.LBB98_242:                             ;   in Loop: Header=BB98_12 Depth=1
	s_or_b32 exec_lo, exec_lo, s24
                                        ; implicit-def: $sgpr84
	s_and_saveexec_b32 s8, s14
	s_delay_alu instid0(SALU_CYCLE_1)
	s_xor_b32 s8, exec_lo, s8
	s_cbranch_execz .LBB98_10
.LBB98_243:                             ;   in Loop: Header=BB98_12 Depth=1
	s_and_b32 s7, s7, -9
	s_delay_alu instid0(SALU_CYCLE_1)
	s_cmp_eq_u32 s7, 0
	s_cbranch_scc1 .LBB98_8
; %bb.244:                              ;   in Loop: Header=BB98_12 Depth=1
	s_mov_b32 s7, -1
	s_mov_b32 s9, -1
                                        ; implicit-def: $sgpr54_sgpr55
                                        ; implicit-def: $sgpr26
                                        ; implicit-def: $sgpr78
                                        ; implicit-def: $sgpr82
	s_branch .LBB98_9
.LBB98_245:
	s_or_b32 exec_lo, exec_lo, s27
	s_xor_b32 s4, s79, -1
	s_xor_b32 s1, s76, -1
	s_xor_b32 s3, s77, -1
	s_mov_b32 s2, 0
	s_and_saveexec_b32 s5, s1
	s_delay_alu instid0(SALU_CYCLE_1)
	s_xor_b32 s1, exec_lo, s5
	s_cbranch_execz .LBB98_259
; %bb.246:
	s_and_saveexec_b32 s2, s4
	s_delay_alu instid0(SALU_CYCLE_1)
	s_xor_b32 s4, exec_lo, s2
	s_cbranch_execz .LBB98_257
; %bb.247:
	s_and_saveexec_b32 s2, s3
	s_delay_alu instid0(SALU_CYCLE_1)
	s_xor_b32 s2, exec_lo, s2
; %bb.248:
	v_xor_b32_e32 v3, 0x80000000, v3
	s_delay_alu instid0(VALU_DEP_1)
	v_dual_mov_b32 v5, v3 :: v_dual_mov_b32 v4, v2
; %bb.249:
	s_or_b32 exec_lo, exec_lo, s2
	s_mul_i32 s3, s58, s44
	s_mul_i32 s2, s56, s45
	s_sub_i32 s3, s56, s3
	s_sub_i32 s2, s33, s2
	s_add_i32 s5, s58, 1
	s_sub_i32 s6, s3, s44
	s_cmp_ge_u32 s3, s44
	s_mul_i32 s2, s2, s42
	s_cselect_b32 s5, s5, s58
	s_cselect_b32 s3, s6, s3
	s_add_i32 s6, s5, 1
	s_cmp_ge_u32 s3, s44
	v_mov_b32_e32 v11, 0
	s_cselect_b32 s3, s6, s5
	s_delay_alu instid0(SALU_CYCLE_1) | instskip(SKIP_4) | instid1(SALU_CYCLE_1)
	s_mul_i32 s5, s3, s44
	s_mul_i32 s6, s3, s40
	s_sub_i32 s5, s56, s5
	s_mov_b32 s3, 0
	s_mul_i32 s5, s5, s41
	s_add_i32 s2, s5, s2
	s_delay_alu instid0(SALU_CYCLE_1) | instskip(NEXT) | instid1(SALU_CYCLE_1)
	s_add_i32 s2, s2, s6
	s_lshl_b64 s[6:7], s[2:3], 3
	s_delay_alu instid0(SALU_CYCLE_1)
	s_add_u32 s6, s48, s6
	s_addc_u32 s7, s49, s7
	global_store_b64 v11, v[4:5], s[6:7]
	s_and_saveexec_b32 s2, s0
	s_cbranch_execz .LBB98_256
; %bb.250:
                                        ; implicit-def: $sgpr0
                                        ; implicit-def: $sgpr6
                                        ; implicit-def: $sgpr5
	s_set_inst_prefetch_distance 0x1
	s_branch .LBB98_252
	.p2align	6
.LBB98_251:                             ;   in Loop: Header=BB98_252 Depth=1
	s_or_b32 exec_lo, exec_lo, s7
	s_delay_alu instid0(SALU_CYCLE_1) | instskip(NEXT) | instid1(SALU_CYCLE_1)
	s_and_b32 s7, exec_lo, s6
	s_or_b32 s3, s7, s3
	s_and_not1_b32 s0, s0, exec_lo
	s_and_b32 s7, s5, exec_lo
	s_delay_alu instid0(SALU_CYCLE_1)
	s_or_b32 s0, s0, s7
	s_and_not1_b32 exec_lo, exec_lo, s3
	s_cbranch_execz .LBB98_254
.LBB98_252:                             ; =>This Inner Loop Header: Depth=1
	v_lshlrev_b64 v[1:2], 3, v[10:11]
	s_or_b32 s5, s5, exec_lo
	s_or_b32 s6, s6, exec_lo
	s_delay_alu instid0(VALU_DEP_1) | instskip(NEXT) | instid1(VALU_DEP_2)
	v_add_co_u32 v1, vcc_lo, s39, v1
	v_add_co_ci_u32_e32 v2, vcc_lo, s43, v2, vcc_lo
	global_load_b64 v[1:2], v[1:2], off
	s_waitcnt vmcnt(0)
	v_cmp_ne_u64_e32 vcc_lo, v[1:2], v[4:5]
	v_mov_b32_e32 v1, v0
                                        ; implicit-def: $vgpr0
	s_and_saveexec_b32 s7, vcc_lo
	s_cbranch_execz .LBB98_251
; %bb.253:                              ;   in Loop: Header=BB98_252 Depth=1
	s_delay_alu instid0(VALU_DEP_1) | instskip(SKIP_3) | instid1(VALU_DEP_2)
	v_add_nc_u32_e32 v0, s57, v1
	s_and_not1_b32 s6, s6, exec_lo
	v_add_nc_u32_e32 v10, s60, v10
	s_and_not1_b32 s5, s5, exec_lo
	v_cmp_le_u32_e32 vcc_lo, s28, v0
	s_and_b32 s8, vcc_lo, exec_lo
	s_delay_alu instid0(SALU_CYCLE_1)
	s_or_b32 s6, s6, s8
	s_branch .LBB98_251
.LBB98_254:
	s_set_inst_prefetch_distance 0x2
	s_or_b32 exec_lo, exec_lo, s3
	s_and_saveexec_b32 s3, s0
	s_delay_alu instid0(SALU_CYCLE_1)
	s_xor_b32 s3, exec_lo, s3
	s_cbranch_execz .LBB98_256
; %bb.255:
	s_mul_i32 s3, s31, s34
	s_mul_i32 s0, s29, s35
	s_sub_i32 s3, s29, s3
	s_sub_i32 s0, s33, s0
	s_add_i32 s5, s31, 1
	s_sub_i32 s6, s3, s34
	s_cmp_ge_u32 s3, s34
	s_mul_i32 s0, s0, s38
	s_cselect_b32 s5, s5, s31
	s_cselect_b32 s3, s6, s3
	s_add_i32 s6, s5, 1
	s_cmp_ge_u32 s3, s34
	s_mov_b32 s7, 0
	s_cselect_b32 s3, s6, s5
	v_mov_b32_e32 v2, 0
	s_mul_i32 s5, s3, s34
	s_mul_i32 s3, s3, s36
	s_sub_i32 s5, s29, s5
	s_delay_alu instid0(SALU_CYCLE_1) | instskip(NEXT) | instid1(SALU_CYCLE_1)
	s_mul_i32 s5, s5, s37
	s_add_i32 s0, s5, s0
	s_delay_alu instid0(SALU_CYCLE_1) | instskip(NEXT) | instid1(SALU_CYCLE_1)
	s_add_i32 s6, s0, s3
	s_lshl_b64 s[6:7], s[6:7], 3
	s_delay_alu instid0(SALU_CYCLE_1)
	s_add_u32 s6, s46, s6
	s_addc_u32 s7, s47, s7
	global_store_b64 v2, v[1:2], s[6:7]
.LBB98_256:
	s_or_b32 exec_lo, exec_lo, s2
.LBB98_257:
	s_or_saveexec_b32 s0, s4
	s_mov_b32 s2, 0
	s_xor_b32 exec_lo, exec_lo, s0
	s_cbranch_execnz .LBB98_265
.LBB98_258:
	s_or_b32 exec_lo, exec_lo, s0
	s_delay_alu instid0(SALU_CYCLE_1)
	s_and_b32 s2, s2, exec_lo
.LBB98_259:
	s_and_not1_saveexec_b32 s0, s1
	s_cbranch_execnz .LBB98_263
; %bb.260:
	s_or_b32 exec_lo, exec_lo, s0
	s_and_saveexec_b32 s0, s2
.LBB98_261:
	; divergent unreachable
.LBB98_262:
	s_nop 0
	s_sendmsg sendmsg(MSG_DEALLOC_VGPRS)
	s_endpgm
.LBB98_263:
	s_cbranch_execnz .LBB98_267
; %bb.264:
	s_or_b32 s2, s2, exec_lo
	s_or_b32 exec_lo, exec_lo, s0
	s_and_saveexec_b32 s0, s2
	s_cbranch_execnz .LBB98_261
	s_branch .LBB98_262
.LBB98_265:
	s_cbranch_execnz .LBB98_269
; %bb.266:
	s_mov_b32 s2, exec_lo
	s_branch .LBB98_258
.LBB98_267:
	s_trap 2
	s_sendmsg_rtn_b32 s0, sendmsg(MSG_RTN_GET_DOORBELL)
	s_mov_b32 ttmp2, m0
	s_waitcnt lgkmcnt(0)
	s_and_b32 s0, s0, 0x3ff
	s_delay_alu instid0(SALU_CYCLE_1) | instskip(NEXT) | instid1(SALU_CYCLE_1)
	s_bitset1_b32 s0, 10
	s_mov_b32 m0, s0
	s_sendmsg sendmsg(MSG_INTERRUPT)
	s_mov_b32 m0, ttmp2
.LBB98_268:                             ; =>This Inner Loop Header: Depth=1
	s_sethalt 5
	s_branch .LBB98_268
.LBB98_269:
	s_trap 2
	s_sendmsg_rtn_b32 s0, sendmsg(MSG_RTN_GET_DOORBELL)
	s_mov_b32 ttmp2, m0
	s_waitcnt lgkmcnt(0)
	s_and_b32 s0, s0, 0x3ff
	s_delay_alu instid0(SALU_CYCLE_1) | instskip(NEXT) | instid1(SALU_CYCLE_1)
	s_bitset1_b32 s0, 10
	s_mov_b32 m0, s0
	s_sendmsg sendmsg(MSG_INTERRUPT)
	s_mov_b32 m0, ttmp2
.LBB98_270:                             ; =>This Inner Loop Header: Depth=1
	s_sethalt 5
	s_branch .LBB98_270
	.section	.rodata,"a",@progbits
	.p2align	6, 0x0
	.amdhsa_kernel _ZN2at6native12_GLOBAL__N_112gatherMedianIljLi3EEEvNS_4cuda6detail10TensorInfoIT_T0_EENS5_IlS7_EENS5_IKS6_S7_EES7_S7_S7_b
		.amdhsa_group_segment_fixed_size 4120
		.amdhsa_private_segment_fixed_size 0
		.amdhsa_kernarg_size 920
		.amdhsa_user_sgpr_count 13
		.amdhsa_user_sgpr_dispatch_ptr 0
		.amdhsa_user_sgpr_queue_ptr 0
		.amdhsa_user_sgpr_kernarg_segment_ptr 1
		.amdhsa_user_sgpr_dispatch_id 0
		.amdhsa_user_sgpr_private_segment_size 0
		.amdhsa_wavefront_size32 1
		.amdhsa_uses_dynamic_stack 0
		.amdhsa_enable_private_segment 0
		.amdhsa_system_sgpr_workgroup_id_x 1
		.amdhsa_system_sgpr_workgroup_id_y 1
		.amdhsa_system_sgpr_workgroup_id_z 1
		.amdhsa_system_sgpr_workgroup_info 0
		.amdhsa_system_vgpr_workitem_id 0
		.amdhsa_next_free_vgpr 49
		.amdhsa_next_free_sgpr 94
		.amdhsa_reserve_vcc 1
		.amdhsa_float_round_mode_32 0
		.amdhsa_float_round_mode_16_64 0
		.amdhsa_float_denorm_mode_32 3
		.amdhsa_float_denorm_mode_16_64 3
		.amdhsa_dx10_clamp 1
		.amdhsa_ieee_mode 1
		.amdhsa_fp16_overflow 0
		.amdhsa_workgroup_processor_mode 1
		.amdhsa_memory_ordered 1
		.amdhsa_forward_progress 0
		.amdhsa_shared_vgpr_count 0
		.amdhsa_exception_fp_ieee_invalid_op 0
		.amdhsa_exception_fp_denorm_src 0
		.amdhsa_exception_fp_ieee_div_zero 0
		.amdhsa_exception_fp_ieee_overflow 0
		.amdhsa_exception_fp_ieee_underflow 0
		.amdhsa_exception_fp_ieee_inexact 0
		.amdhsa_exception_int_div_zero 0
	.end_amdhsa_kernel
	.section	.text._ZN2at6native12_GLOBAL__N_112gatherMedianIljLi3EEEvNS_4cuda6detail10TensorInfoIT_T0_EENS5_IlS7_EENS5_IKS6_S7_EES7_S7_S7_b,"axG",@progbits,_ZN2at6native12_GLOBAL__N_112gatherMedianIljLi3EEEvNS_4cuda6detail10TensorInfoIT_T0_EENS5_IlS7_EENS5_IKS6_S7_EES7_S7_S7_b,comdat
.Lfunc_end98:
	.size	_ZN2at6native12_GLOBAL__N_112gatherMedianIljLi3EEEvNS_4cuda6detail10TensorInfoIT_T0_EENS5_IlS7_EENS5_IKS6_S7_EES7_S7_S7_b, .Lfunc_end98-_ZN2at6native12_GLOBAL__N_112gatherMedianIljLi3EEEvNS_4cuda6detail10TensorInfoIT_T0_EENS5_IlS7_EENS5_IKS6_S7_EES7_S7_S7_b
                                        ; -- End function
	.section	.AMDGPU.csdata,"",@progbits
; Kernel info:
; codeLenInByte = 10424
; NumSgprs: 96
; NumVgprs: 49
; ScratchSize: 0
; MemoryBound: 0
; FloatMode: 240
; IeeeMode: 1
; LDSByteSize: 4120 bytes/workgroup (compile time only)
; SGPRBlocks: 11
; VGPRBlocks: 6
; NumSGPRsForWavesPerEU: 96
; NumVGPRsForWavesPerEU: 49
; Occupancy: 16
; WaveLimiterHint : 1
; COMPUTE_PGM_RSRC2:SCRATCH_EN: 0
; COMPUTE_PGM_RSRC2:USER_SGPR: 13
; COMPUTE_PGM_RSRC2:TRAP_HANDLER: 0
; COMPUTE_PGM_RSRC2:TGID_X_EN: 1
; COMPUTE_PGM_RSRC2:TGID_Y_EN: 1
; COMPUTE_PGM_RSRC2:TGID_Z_EN: 1
; COMPUTE_PGM_RSRC2:TIDIG_COMP_CNT: 0
	.section	.text._ZN2at6native12_GLOBAL__N_112gatherMedianIljLin1EEEvNS_4cuda6detail10TensorInfoIT_T0_EENS5_IlS7_EENS5_IKS6_S7_EES7_S7_S7_b,"axG",@progbits,_ZN2at6native12_GLOBAL__N_112gatherMedianIljLin1EEEvNS_4cuda6detail10TensorInfoIT_T0_EENS5_IlS7_EENS5_IKS6_S7_EES7_S7_S7_b,comdat
	.globl	_ZN2at6native12_GLOBAL__N_112gatherMedianIljLin1EEEvNS_4cuda6detail10TensorInfoIT_T0_EENS5_IlS7_EENS5_IKS6_S7_EES7_S7_S7_b ; -- Begin function _ZN2at6native12_GLOBAL__N_112gatherMedianIljLin1EEEvNS_4cuda6detail10TensorInfoIT_T0_EENS5_IlS7_EENS5_IKS6_S7_EES7_S7_S7_b
	.p2align	8
	.type	_ZN2at6native12_GLOBAL__N_112gatherMedianIljLin1EEEvNS_4cuda6detail10TensorInfoIT_T0_EENS5_IlS7_EENS5_IKS6_S7_EES7_S7_S7_b,@function
_ZN2at6native12_GLOBAL__N_112gatherMedianIljLin1EEEvNS_4cuda6detail10TensorInfoIT_T0_EENS5_IlS7_EENS5_IKS6_S7_EES7_S7_S7_b: ; @_ZN2at6native12_GLOBAL__N_112gatherMedianIljLin1EEEvNS_4cuda6detail10TensorInfoIT_T0_EENS5_IlS7_EENS5_IKS6_S7_EES7_S7_S7_b
; %bb.0:
	s_clause 0x1
	s_load_b64 s[6:7], s[0:1], 0x298
	s_load_b128 s[28:31], s[0:1], 0x288
	s_add_u32 s4, s0, 0x298
	s_addc_u32 s5, s1, 0
	s_waitcnt lgkmcnt(0)
	s_mul_i32 s2, s7, s15
	s_delay_alu instid0(SALU_CYCLE_1) | instskip(NEXT) | instid1(SALU_CYCLE_1)
	s_add_i32 s2, s2, s14
	s_mul_i32 s2, s2, s6
	s_delay_alu instid0(SALU_CYCLE_1) | instskip(NEXT) | instid1(SALU_CYCLE_1)
	s_add_i32 s7, s2, s13
	s_cmp_ge_u32 s7, s29
	s_cbranch_scc1 .LBB99_271
; %bb.1:
	s_load_b32 s2, s[0:1], 0xd0
	s_mov_b32 s27, 0
	s_mov_b32 s29, s7
	s_waitcnt lgkmcnt(0)
	s_cmp_lt_i32 s2, 2
	s_cbranch_scc1 .LBB99_4
; %bb.2:
	s_add_i32 s26, s2, -1
	s_add_i32 s8, s2, 1
	s_lshl_b64 s[10:11], s[26:27], 2
	s_mov_b32 s29, s7
	s_add_u32 s2, s10, s0
	s_addc_u32 s3, s11, s1
	s_add_u32 s2, s2, 8
	s_addc_u32 s3, s3, 0
	s_set_inst_prefetch_distance 0x1
	.p2align	6
.LBB99_3:                               ; =>This Inner Loop Header: Depth=1
	s_clause 0x1
	s_load_b32 s9, s[2:3], 0x0
	s_load_b32 s10, s[2:3], 0x64
	s_mov_b32 s14, s29
	s_waitcnt lgkmcnt(0)
	v_cvt_f32_u32_e32 v1, s9
	s_sub_i32 s12, 0, s9
	s_waitcnt_depctr 0xfff
	v_rcp_iflag_f32_e32 v1, v1
	s_waitcnt_depctr 0xfff
	v_mul_f32_e32 v1, 0x4f7ffffe, v1
	s_delay_alu instid0(VALU_DEP_1) | instskip(NEXT) | instid1(VALU_DEP_1)
	v_cvt_u32_f32_e32 v1, v1
	v_readfirstlane_b32 s11, v1
	s_delay_alu instid0(VALU_DEP_1) | instskip(NEXT) | instid1(SALU_CYCLE_1)
	s_mul_i32 s12, s12, s11
	s_mul_hi_u32 s12, s11, s12
	s_delay_alu instid0(SALU_CYCLE_1) | instskip(NEXT) | instid1(SALU_CYCLE_1)
	s_add_i32 s11, s11, s12
	s_mul_hi_u32 s11, s29, s11
	s_delay_alu instid0(SALU_CYCLE_1) | instskip(SKIP_2) | instid1(SALU_CYCLE_1)
	s_mul_i32 s12, s11, s9
	s_add_i32 s15, s11, 1
	s_sub_i32 s12, s29, s12
	s_sub_i32 s16, s12, s9
	s_cmp_ge_u32 s12, s9
	s_cselect_b32 s11, s15, s11
	s_cselect_b32 s12, s16, s12
	s_add_i32 s15, s11, 1
	s_cmp_ge_u32 s12, s9
	s_cselect_b32 s29, s15, s11
	s_add_i32 s8, s8, -1
	s_mul_i32 s9, s29, s9
	s_delay_alu instid0(SALU_CYCLE_1) | instskip(NEXT) | instid1(SALU_CYCLE_1)
	s_sub_i32 s9, s14, s9
	s_mul_i32 s9, s10, s9
	s_delay_alu instid0(SALU_CYCLE_1)
	s_add_i32 s27, s9, s27
	s_add_u32 s2, s2, -4
	s_addc_u32 s3, s3, -1
	s_cmp_gt_u32 s8, 2
	s_cbranch_scc1 .LBB99_3
.LBB99_4:
	s_set_inst_prefetch_distance 0x2
	s_load_b32 s8, s[0:1], 0x1a8
	s_add_u32 s2, s0, 0xd8
	s_addc_u32 s3, s1, 0
	s_mov_b32 s35, 0
	s_mov_b32 s33, s7
	s_waitcnt lgkmcnt(0)
	s_cmp_lt_i32 s8, 2
	s_cbranch_scc1 .LBB99_7
; %bb.5:
	s_add_i32 s34, s8, -1
	s_add_i32 s10, s8, 1
	s_lshl_b64 s[14:15], s[34:35], 2
	s_mov_b32 s33, s7
	s_add_u32 s8, s14, s2
	s_addc_u32 s9, s15, s3
	s_add_u32 s8, s8, 8
	s_addc_u32 s9, s9, 0
	s_set_inst_prefetch_distance 0x1
	.p2align	6
.LBB99_6:                               ; =>This Inner Loop Header: Depth=1
	s_clause 0x1
	s_load_b32 s11, s[8:9], 0x0
	s_load_b32 s12, s[8:9], 0x64
	s_mov_b32 s16, s33
	s_waitcnt lgkmcnt(0)
	v_cvt_f32_u32_e32 v1, s11
	s_sub_i32 s15, 0, s11
	s_waitcnt_depctr 0xfff
	v_rcp_iflag_f32_e32 v1, v1
	s_waitcnt_depctr 0xfff
	v_mul_f32_e32 v1, 0x4f7ffffe, v1
	s_delay_alu instid0(VALU_DEP_1) | instskip(NEXT) | instid1(VALU_DEP_1)
	v_cvt_u32_f32_e32 v1, v1
	v_readfirstlane_b32 s14, v1
	s_delay_alu instid0(VALU_DEP_1) | instskip(NEXT) | instid1(SALU_CYCLE_1)
	s_mul_i32 s15, s15, s14
	s_mul_hi_u32 s15, s14, s15
	s_delay_alu instid0(SALU_CYCLE_1) | instskip(NEXT) | instid1(SALU_CYCLE_1)
	s_add_i32 s14, s14, s15
	s_mul_hi_u32 s14, s33, s14
	s_delay_alu instid0(SALU_CYCLE_1) | instskip(SKIP_2) | instid1(SALU_CYCLE_1)
	s_mul_i32 s15, s14, s11
	s_add_i32 s17, s14, 1
	s_sub_i32 s15, s33, s15
	s_sub_i32 s18, s15, s11
	s_cmp_ge_u32 s15, s11
	s_cselect_b32 s14, s17, s14
	s_cselect_b32 s15, s18, s15
	s_add_i32 s17, s14, 1
	s_cmp_ge_u32 s15, s11
	s_cselect_b32 s33, s17, s14
	s_add_i32 s10, s10, -1
	s_mul_i32 s11, s33, s11
	s_delay_alu instid0(SALU_CYCLE_1) | instskip(NEXT) | instid1(SALU_CYCLE_1)
	s_sub_i32 s11, s16, s11
	s_mul_i32 s11, s12, s11
	s_delay_alu instid0(SALU_CYCLE_1)
	s_add_i32 s35, s11, s35
	s_add_u32 s8, s8, -4
	s_addc_u32 s9, s9, -1
	s_cmp_gt_u32 s10, 2
	s_cbranch_scc1 .LBB99_6
.LBB99_7:
	s_set_inst_prefetch_distance 0x2
	s_clause 0x1
	s_load_b32 s34, s[0:1], 0x6c
	s_load_b32 s10, s[0:1], 0x280
	s_add_u32 s11, s0, 0x1b0
	s_addc_u32 s12, s1, 0
	s_mov_b32 s9, 0
	s_waitcnt lgkmcnt(0)
	s_cmp_lt_i32 s10, 2
	s_cbranch_scc1 .LBB99_10
; %bb.8:
	s_add_i32 s8, s10, -1
	s_delay_alu instid0(SALU_CYCLE_1)
	s_lshl_b64 s[14:15], s[8:9], 2
	s_add_i32 s8, s10, 1
	s_add_u32 s10, s14, s11
	s_addc_u32 s11, s15, s12
	s_add_u32 s10, s10, 8
	s_addc_u32 s11, s11, 0
	s_set_inst_prefetch_distance 0x1
	.p2align	6
.LBB99_9:                               ; =>This Inner Loop Header: Depth=1
	s_clause 0x1
	s_load_b32 s12, s[10:11], 0x0
	s_load_b32 s14, s[10:11], 0x64
	s_mov_b32 s17, s7
	s_waitcnt lgkmcnt(0)
	v_cvt_f32_u32_e32 v1, s12
	s_sub_i32 s16, 0, s12
	s_waitcnt_depctr 0xfff
	v_rcp_iflag_f32_e32 v1, v1
	s_waitcnt_depctr 0xfff
	v_mul_f32_e32 v1, 0x4f7ffffe, v1
	s_delay_alu instid0(VALU_DEP_1) | instskip(NEXT) | instid1(VALU_DEP_1)
	v_cvt_u32_f32_e32 v1, v1
	v_readfirstlane_b32 s15, v1
	s_delay_alu instid0(VALU_DEP_1) | instskip(NEXT) | instid1(SALU_CYCLE_1)
	s_mul_i32 s16, s16, s15
	s_mul_hi_u32 s16, s15, s16
	s_delay_alu instid0(SALU_CYCLE_1) | instskip(NEXT) | instid1(SALU_CYCLE_1)
	s_add_i32 s15, s15, s16
	s_mul_hi_u32 s7, s7, s15
	s_delay_alu instid0(SALU_CYCLE_1) | instskip(SKIP_2) | instid1(SALU_CYCLE_1)
	s_mul_i32 s15, s7, s12
	s_add_i32 s16, s7, 1
	s_sub_i32 s15, s17, s15
	s_sub_i32 s18, s15, s12
	s_cmp_ge_u32 s15, s12
	s_cselect_b32 s7, s16, s7
	s_cselect_b32 s15, s18, s15
	s_add_i32 s16, s7, 1
	s_cmp_ge_u32 s15, s12
	s_cselect_b32 s7, s16, s7
	s_add_i32 s8, s8, -1
	s_mul_i32 s12, s7, s12
	s_delay_alu instid0(SALU_CYCLE_1) | instskip(NEXT) | instid1(SALU_CYCLE_1)
	s_sub_i32 s12, s17, s12
	s_mul_i32 s12, s14, s12
	s_delay_alu instid0(SALU_CYCLE_1)
	s_add_i32 s9, s12, s9
	s_add_u32 s10, s10, -4
	s_addc_u32 s11, s11, -1
	s_cmp_gt_u32 s8, 2
	s_cbranch_scc1 .LBB99_9
.LBB99_10:
	s_set_inst_prefetch_distance 0x2
	s_load_b32 s48, s[2:3], 0x6c
	v_cmp_eq_u32_e64 s2, 0, v0
	s_delay_alu instid0(VALU_DEP_1)
	s_and_saveexec_b32 s3, s2
	s_cbranch_execz .LBB99_12
; %bb.11:
	v_mov_b32_e32 v1, 0
	s_delay_alu instid0(VALU_DEP_1)
	v_mov_b32_e32 v2, v1
	ds_store_b64 v1, v[1:2] offset:4096
.LBB99_12:
	s_or_b32 exec_lo, exec_lo, s3
	v_mov_b32_e32 v1, 0
	s_waitcnt lgkmcnt(0)
	s_barrier
	buffer_gl0_inv
	s_barrier
	buffer_gl0_inv
	ds_load_b64 v[1:2], v1 offset:4096
	s_load_b64 s[10:11], s[0:1], 0x1b0
	s_bitcmp1_b32 s31, 0
	s_mov_b32 s75, s28
	s_cselect_b32 s3, -1, 0
	s_waitcnt lgkmcnt(0)
	v_cmp_gt_i64_e32 vcc_lo, 1, v[1:2]
	s_or_b32 s3, s3, vcc_lo
	s_delay_alu instid0(SALU_CYCLE_1)
	s_and_not1_b32 vcc_lo, exec_lo, s3
	s_cbranch_vccnz .LBB99_14
; %bb.13:
	v_not_b32_e32 v1, v1
	v_not_b32_e32 v2, v2
	s_delay_alu instid0(VALU_DEP_2) | instskip(NEXT) | instid1(VALU_DEP_2)
	v_add_co_u32 v1, vcc_lo, v1, s28
	v_add_co_ci_u32_e32 v2, vcc_lo, 0, v2, vcc_lo
	s_delay_alu instid0(VALU_DEP_1) | instskip(NEXT) | instid1(VALU_DEP_1)
	v_lshrrev_b32_e32 v3, 31, v2
	v_add_co_u32 v1, vcc_lo, v1, v3
	v_add_co_ci_u32_e32 v2, vcc_lo, 0, v2, vcc_lo
	s_delay_alu instid0(VALU_DEP_1) | instskip(NEXT) | instid1(VALU_DEP_1)
	v_alignbit_b32 v1, v2, v1, 1
	v_readfirstlane_b32 s3, v1
	s_delay_alu instid0(VALU_DEP_1)
	s_add_i32 s75, s3, 1
.LBB99_14:
	s_clause 0x2
	s_load_b64 s[38:39], s[0:1], 0x0
	s_load_b64 s[36:37], s[0:1], 0xd8
	s_load_b32 s0, s[0:1], 0x21c
	s_and_saveexec_b32 s1, s2
	s_cbranch_execz .LBB99_16
; %bb.15:
	v_dual_mov_b32 v1, 0 :: v_dual_mov_b32 v2, s28
	ds_store_b32 v1, v1 offset:4112
	ds_store_b64 v1, v[1:2] offset:4104
.LBB99_16:
	s_or_b32 exec_lo, exec_lo, s1
	s_waitcnt lgkmcnt(0)
	s_barrier
	buffer_gl0_inv
	s_load_b32 s3, s[4:5], 0xc
	s_mul_i32 s0, s0, s7
	s_mov_b32 s41, 0
	s_add_i32 s40, s0, s9
	v_mbcnt_lo_u32_b32 v22, -1, 0
	s_lshl_b64 s[8:9], s[40:41], 3
	v_cmp_gt_u32_e32 vcc_lo, 32, v0
	s_add_u32 s31, s10, s8
	s_addc_u32 s40, s11, s9
	v_cmp_gt_i32_e64 s1, 4, v22
	v_dual_mov_b32 v12, 0 :: v_dual_lshlrev_b32 v23, 2, v0
	v_mul_lo_u32 v10, v0, s30
	v_cmp_gt_u32_e64 s0, s28, v0
	s_delay_alu instid0(VALU_DEP_4) | instskip(NEXT) | instid1(VALU_DEP_3)
	s_and_b32 s51, vcc_lo, s1
	v_mad_u64_u32 v[17:18], null, s30, v23, s[30:31]
	v_cmp_gt_u32_e64 s1, 2, v0
	v_lshlrev_b32_e32 v33, 5, v0
	v_lshl_or_b32 v34, v22, 2, 0xc00
	s_waitcnt lgkmcnt(0)
	s_and_b32 s49, s3, 0xffff
	s_bfe_u32 s3, s3, 0xb0005
	s_lshl_b32 s50, s49, 2
	s_add_i32 s53, s49, -1
	v_cvt_f32_u32_e32 v1, s50
	s_add_i32 s7, s53, s28
	s_cmpk_gt_u32 s28, 0x180
	v_cvt_f32_u32_e32 v2, s49
	s_cselect_b32 s54, -1, 0
	v_rcp_iflag_f32_e32 v1, v1
	s_cmp_gt_u32 s49, 31
	v_lshlrev_b32_e32 v31, 2, v10
	s_cselect_b32 s55, -1, 0
	s_cmp_lt_u32 s13, s6
	v_rcp_iflag_f32_e32 v2, v2
	s_cselect_b32 s6, 12, 18
	v_lshlrev_b32_e32 v24, 3, v0
	s_add_u32 s42, s4, s6
	s_addc_u32 s43, s5, 0
	s_waitcnt_depctr 0xfff
	v_mul_f32_e32 v1, 0x4f7ffffe, v1
	s_add_i32 s4, s3, -1
	s_bfe_u32 s56, s49, 0x30005
	s_cmp_gt_u32 s4, 6
	v_mov_b32_e32 v11, v12
	v_cvt_u32_f32_e32 v1, v1
	s_cselect_b32 s57, -1, 0
	s_and_b32 s58, s3, 0x7f8
	s_cmp_lg_u32 s56, 0
	v_mul_f32_e32 v2, 0x4f7ffffe, v2
	v_readfirstlane_b32 s3, v1
	s_cselect_b32 s59, -1, 0
	s_sub_i32 s4, 0, s50
	v_lshrrev_b32_e32 v1, 3, v0
	v_cvt_u32_f32_e32 v2, v2
	s_mul_i32 s4, s4, s3
	v_dual_mov_b32 v4, 0 :: v_dual_add_nc_u32 v25, 0xc00, v24
	s_mul_hi_u32 s4, s3, s4
	v_dual_mov_b32 v5, 0 :: v_dual_and_b32 v26, 0x7c, v1
	s_add_i32 s60, s3, s4
	v_cmp_eq_u32_e64 s3, 0, v22
	s_mul_hi_u32 s4, s28, s60
	s_mul_i32 s52, s30, s49
	s_mul_i32 s4, s4, s50
	s_mov_b32 s69, 62
	s_sub_i32 s4, s28, s4
	s_mov_b64 s[44:45], 0
	s_sub_i32 s5, s4, s50
	s_cmp_ge_u32 s4, s50
	s_mov_b32 s73, s41
	s_cselect_b32 s4, s5, s4
	v_readfirstlane_b32 s5, v2
	s_sub_i32 s6, s4, s50
	s_cmp_ge_u32 s4, s50
	v_lshlrev_b64 v[1:2], v22, -1
	s_cselect_b32 s8, s6, s4
	s_sub_i32 s4, 0, s49
	s_sub_i32 s61, s28, s8
	s_mul_i32 s4, s4, s5
	v_add_nc_u32_e32 v27, s61, v0
	v_lshlrev_b64 v[2:3], 3, v[10:11]
	s_mul_hi_u32 s4, s5, s4
	v_not_b32_e32 v28, v1
	s_add_i32 s62, s5, s4
	v_mul_lo_u32 v11, v27, s30
	s_mul_hi_u32 s4, s7, s62
	v_add_co_u32 v13, vcc_lo, s31, v2
	s_mul_i32 s4, s4, s49
	v_add_co_ci_u32_e32 v14, vcc_lo, s40, v3, vcc_lo
	s_sub_i32 s4, s7, s4
	s_delay_alu instid0(VALU_DEP_3)
	v_lshlrev_b64 v[1:2], 3, v[11:12]
	v_add3_u32 v3, s49, s28, v0
	s_sub_i32 s5, s4, s49
	s_cmp_ge_u32 s4, s49
	s_mov_b64 s[46:47], 0
	s_cselect_b32 s5, s5, s4
	v_add_co_u32 v15, vcc_lo, s31, v1
	v_add_co_ci_u32_e32 v16, vcc_lo, s40, v2, vcc_lo
	v_or_b32_e32 v1, 2, v23
	v_or_b32_e32 v2, 3, v23
	v_subrev_nc_u32_e32 v3, s8, v3
	s_sub_i32 s6, s5, s49
	s_cmp_ge_u32 s5, s49
	v_mul_lo_u32 v29, s30, v1
	s_cselect_b32 s6, s6, s5
	v_mul_lo_u32 v30, s30, v2
	v_mul_lo_u32 v32, s30, v3
	s_sub_i32 s63, s7, s6
	v_cmp_gt_u32_e64 s4, s61, v23
	v_cmp_gt_u32_e64 s5, s28, v27
	v_cmp_gt_u32_e64 s6, s63, v0
	v_mov_b32_e32 v1, 1
	s_lshl_b32 s64, s52, 2
	s_lshl_b32 s65, s49, 5
	;; [unrolled: 1-line block ×3, first 2 shown]
                                        ; implicit-def: $sgpr67
                                        ; implicit-def: $sgpr70
                                        ; implicit-def: $sgpr68
                                        ; implicit-def: $sgpr72
                                        ; implicit-def: $sgpr74
                                        ; implicit-def: $sgpr71
	s_branch .LBB99_21
.LBB99_17:                              ;   in Loop: Header=BB99_21 Depth=1
	s_xor_b32 s73, s73, 1
	s_add_i32 s10, s69, -2
	s_cmp_eq_u32 s69, 0
	s_mov_b32 s7, 0
	s_cselect_b32 s9, -1, 0
	s_mov_b32 s69, s10
.LBB99_18:                              ;   in Loop: Header=BB99_21 Depth=1
	s_and_not1_b32 s10, s21, exec_lo
	s_and_b32 s7, s7, exec_lo
	s_and_not1_b32 s23, s23, exec_lo
	s_or_b32 s21, s10, s7
	s_and_not1_b32 s20, s20, exec_lo
	s_or_not1_b32 s18, s9, exec_lo
	s_mov_b32 s75, s26
.LBB99_19:                              ;   in Loop: Header=BB99_21 Depth=1
	s_or_b32 exec_lo, exec_lo, s8
	s_delay_alu instid0(SALU_CYCLE_1)
	s_and_not1_b32 s7, s71, exec_lo
	s_and_b32 s8, s21, exec_lo
	s_and_not1_b32 s9, s72, exec_lo
	s_or_b32 s71, s7, s8
	s_and_not1_b32 s7, s74, exec_lo
	s_and_b32 s8, s23, exec_lo
	s_and_b32 s10, s20, exec_lo
	s_or_b32 s74, s7, s8
	s_or_b32 s72, s9, s10
	s_or_not1_b32 s12, s18, exec_lo
.LBB99_20:                              ;   in Loop: Header=BB99_21 Depth=1
	s_or_b32 exec_lo, exec_lo, s17
	s_delay_alu instid0(SALU_CYCLE_1)
	s_and_b32 s7, exec_lo, s12
	v_dual_mov_b32 v2, s44 :: v_dual_mov_b32 v3, s45
	s_or_b32 s41, s7, s41
	s_and_not1_b32 s7, s68, exec_lo
	s_and_b32 s8, s71, exec_lo
	s_and_not1_b32 s9, s67, exec_lo
	s_or_b32 s68, s7, s8
	s_and_not1_b32 s7, s70, exec_lo
	s_and_b32 s8, s74, exec_lo
	s_and_b32 s10, s72, exec_lo
	s_or_b32 s70, s7, s8
	s_or_b32 s67, s9, s10
	s_and_not1_b32 exec_lo, exec_lo, s41
	s_cbranch_execz .LBB99_254
.LBB99_21:                              ; =>This Loop Header: Depth=1
                                        ;     Child Loop BB99_29 Depth 2
                                        ;     Child Loop BB99_44 Depth 2
	;; [unrolled: 1-line block ×16, first 2 shown]
	ds_load_b64 v[2:3], v12 offset:4104
	s_waitcnt lgkmcnt(0)
	v_readfirstlane_b32 s76, v2
	s_delay_alu instid0(VALU_DEP_1)
	s_cmp_lg_u32 s76, 0
	s_cbranch_scc1 .LBB99_51
; %bb.22:                               ;   in Loop: Header=BB99_21 Depth=1
	s_and_b32 vcc_lo, exec_lo, s54
	s_cbranch_vccz .LBB99_37
; %bb.23:                               ;   in Loop: Header=BB99_21 Depth=1
	v_cmp_gt_u32_e32 vcc_lo, 0x181, v3
	s_mov_b32 s76, 0
	s_mov_b32 s7, 0
	s_cbranch_vccz .LBB99_38
; %bb.24:                               ;   in Loop: Header=BB99_21 Depth=1
	v_mov_b32_e32 v2, 0
	v_mov_b32_e32 v3, 0
	s_and_saveexec_b32 s7, s0
	s_cbranch_execz .LBB99_26
; %bb.25:                               ;   in Loop: Header=BB99_21 Depth=1
	global_load_b64 v[2:3], v[13:14], off
.LBB99_26:                              ;   in Loop: Header=BB99_21 Depth=1
	s_or_b32 exec_lo, exec_lo, s7
	s_and_saveexec_b32 s9, s0
	s_cbranch_execz .LBB99_139
; %bb.27:                               ;   in Loop: Header=BB99_21 Depth=1
	global_load_u16 v8, v12, s[42:43]
	v_mov_b32_e32 v18, v0
	s_mov_b32 s10, 0
	s_waitcnt vmcnt(0)
	v_add_nc_u32_e32 v6, v0, v8
	v_mul_lo_u32 v9, s30, v8
	s_delay_alu instid0(VALU_DEP_2)
	v_mul_lo_u32 v11, s30, v6
	s_branch .LBB99_29
.LBB99_28:                              ;   in Loop: Header=BB99_29 Depth=2
	s_or_b32 exec_lo, exec_lo, s8
	s_waitcnt vmcnt(0)
	v_dual_mov_b32 v2, v6 :: v_dual_add_nc_u32 v11, v11, v9
	v_mov_b32_e32 v3, v7
	s_and_not1_b32 exec_lo, exec_lo, s10
	s_cbranch_execz .LBB99_139
.LBB99_29:                              ;   Parent Loop BB99_21 Depth=1
                                        ; =>  This Inner Loop Header: Depth=2
	v_add_nc_u32_e32 v18, v18, v8
	v_mov_b32_e32 v6, 0
	v_mov_b32_e32 v7, 0
	s_mov_b32 s8, exec_lo
	s_delay_alu instid0(VALU_DEP_3)
	v_cmp_le_u32_e32 vcc_lo, s28, v18
	v_cmpx_gt_u32_e64 s28, v18
	s_cbranch_execz .LBB99_31
; %bb.30:                               ;   in Loop: Header=BB99_29 Depth=2
	v_lshlrev_b64 v[6:7], 3, v[11:12]
	s_delay_alu instid0(VALU_DEP_1) | instskip(NEXT) | instid1(VALU_DEP_1)
	v_add_co_u32 v6, s7, s31, v6
	v_add_co_ci_u32_e64 v7, s7, s40, v7, s7
	global_load_b64 v[6:7], v[6:7], off
.LBB99_31:                              ;   in Loop: Header=BB99_29 Depth=2
	s_or_b32 exec_lo, exec_lo, s8
	s_waitcnt lgkmcnt(0)
	v_xor_b32_e32 v19, 0x80000000, v3
	s_delay_alu instid0(VALU_DEP_1) | instskip(SKIP_1) | instid1(VALU_DEP_1)
	v_and_b32_e32 v20, s47, v19
	v_and_b32_e32 v19, s46, v2
	v_cmp_eq_u64_e64 s7, s[44:45], v[19:20]
	v_mov_b32_e32 v19, 0
	s_delay_alu instid0(VALU_DEP_2) | instskip(SKIP_1) | instid1(SALU_CYCLE_1)
	s_cmp_lg_u32 s7, 0
	s_cselect_b32 s8, -1, 0
	s_and_b32 s8, s3, s8
	s_delay_alu instid0(SALU_CYCLE_1)
	s_and_saveexec_b32 s11, s8
	s_cbranch_execz .LBB99_35
; %bb.32:                               ;   in Loop: Header=BB99_29 Depth=2
	s_mov_b32 s14, exec_lo
	s_bcnt1_i32_b32 s12, s7
	v_mbcnt_lo_u32_b32 v19, s14, 0
	s_mov_b32 s13, exec_lo
                                        ; implicit-def: $vgpr20
	s_delay_alu instid0(VALU_DEP_1)
	v_cmpx_eq_u32_e32 0, v19
	s_cbranch_execz .LBB99_34
; %bb.33:                               ;   in Loop: Header=BB99_29 Depth=2
	s_bcnt1_i32_b32 s8, s14
	s_delay_alu instid0(SALU_CYCLE_1) | instskip(NEXT) | instid1(SALU_CYCLE_1)
	s_mul_i32 s8, s12, s8
	v_mov_b32_e32 v20, s8
	ds_add_rtn_u32 v20, v12, v20 offset:4112
.LBB99_34:                              ;   in Loop: Header=BB99_29 Depth=2
	s_or_b32 exec_lo, exec_lo, s13
	s_waitcnt lgkmcnt(0)
	v_readfirstlane_b32 s8, v20
	s_delay_alu instid0(VALU_DEP_1)
	v_mad_u32_u24 v19, s12, v19, s8
.LBB99_35:                              ;   in Loop: Header=BB99_29 Depth=2
	s_or_b32 exec_lo, exec_lo, s11
	ds_bpermute_b32 v19, v12, v19
	s_and_b32 s8, exec_lo, vcc_lo
	s_delay_alu instid0(SALU_CYCLE_1)
	s_or_b32 s10, s8, s10
	s_and_saveexec_b32 s8, s7
	s_cbranch_execz .LBB99_28
; %bb.36:                               ;   in Loop: Header=BB99_29 Depth=2
	v_and_b32_e32 v20, s7, v28
	s_delay_alu instid0(VALU_DEP_1) | instskip(NEXT) | instid1(VALU_DEP_1)
	v_bcnt_u32_b32 v20, v20, 0
	v_lshlrev_b32_e32 v20, 3, v20
	s_waitcnt lgkmcnt(0)
	s_delay_alu instid0(VALU_DEP_1)
	v_lshl_add_u32 v19, v19, 3, v20
	ds_store_b64 v19, v[2:3]
	s_branch .LBB99_28
.LBB99_37:                              ;   in Loop: Header=BB99_21 Depth=1
	s_mov_b32 s76, -1
	s_mov_b32 s7, 0
.LBB99_38:                              ;   in Loop: Header=BB99_21 Depth=1
	s_and_b32 vcc_lo, exec_lo, s76
	s_cbranch_vccz .LBB99_49
.LBB99_39:                              ;   in Loop: Header=BB99_21 Depth=1
	v_mov_b32_e32 v2, 0
	v_mov_b32_e32 v3, 0
	s_and_saveexec_b32 s7, s0
	s_cbranch_execz .LBB99_41
; %bb.40:                               ;   in Loop: Header=BB99_21 Depth=1
	global_load_b64 v[2:3], v[13:14], off
.LBB99_41:                              ;   in Loop: Header=BB99_21 Depth=1
	s_or_b32 exec_lo, exec_lo, s7
	s_and_saveexec_b32 s8, s0
	s_cbranch_execz .LBB99_46
; %bb.42:                               ;   in Loop: Header=BB99_21 Depth=1
	global_load_u16 v8, v12, s[42:43]
	v_mov_b32_e32 v20, v0
	s_mov_b32 s9, 0
	v_mov_b32_e32 v19, v24
	s_waitcnt vmcnt(0)
	v_add_nc_u32_e32 v6, v0, v8
	v_mul_lo_u32 v9, s30, v8
	v_lshlrev_b32_e32 v18, 3, v8
	s_delay_alu instid0(VALU_DEP_3)
	v_mul_lo_u32 v11, s30, v6
	s_set_inst_prefetch_distance 0x1
	s_branch .LBB99_44
	.p2align	6
.LBB99_43:                              ;   in Loop: Header=BB99_44 Depth=2
	s_or_b32 exec_lo, exec_lo, s10
	ds_store_b64 v19, v[2:3]
	s_waitcnt vmcnt(0)
	v_dual_mov_b32 v2, v6 :: v_dual_add_nc_u32 v19, v19, v18
	v_add_nc_u32_e32 v11, v11, v9
	v_mov_b32_e32 v3, v7
	s_and_b32 s7, exec_lo, vcc_lo
	s_delay_alu instid0(SALU_CYCLE_1) | instskip(NEXT) | instid1(SALU_CYCLE_1)
	s_or_b32 s9, s7, s9
	s_and_not1_b32 exec_lo, exec_lo, s9
	s_cbranch_execz .LBB99_46
.LBB99_44:                              ;   Parent Loop BB99_21 Depth=1
                                        ; =>  This Inner Loop Header: Depth=2
	v_add_nc_u32_e32 v20, v20, v8
	v_mov_b32_e32 v6, 0
	v_mov_b32_e32 v7, 0
	s_mov_b32 s10, exec_lo
	s_delay_alu instid0(VALU_DEP_3)
	v_cmp_le_u32_e32 vcc_lo, s28, v20
	v_cmpx_gt_u32_e64 s28, v20
	s_cbranch_execz .LBB99_43
; %bb.45:                               ;   in Loop: Header=BB99_44 Depth=2
	v_lshlrev_b64 v[6:7], 3, v[11:12]
	s_delay_alu instid0(VALU_DEP_1) | instskip(NEXT) | instid1(VALU_DEP_1)
	v_add_co_u32 v6, s7, s31, v6
	v_add_co_ci_u32_e64 v7, s7, s40, v7, s7
	global_load_b64 v[6:7], v[6:7], off
	s_branch .LBB99_43
.LBB99_46:                              ;   in Loop: Header=BB99_21 Depth=1
	s_set_inst_prefetch_distance 0x2
	s_or_b32 exec_lo, exec_lo, s8
	s_waitcnt vmcnt(0) lgkmcnt(0)
	s_barrier
	buffer_gl0_inv
	s_and_saveexec_b32 s7, s2
	s_cbranch_execz .LBB99_48
; %bb.47:                               ;   in Loop: Header=BB99_21 Depth=1
	v_mov_b32_e32 v2, s28
	ds_store_b32 v12, v2 offset:4104
.LBB99_48:                              ;   in Loop: Header=BB99_21 Depth=1
	s_or_b32 exec_lo, exec_lo, s7
	s_mov_b32 s7, -1
	s_waitcnt lgkmcnt(0)
	s_barrier
                                        ; implicit-def: $sgpr76
.LBB99_49:                              ;   in Loop: Header=BB99_21 Depth=1
	s_and_b32 vcc_lo, exec_lo, s7
	s_cbranch_vccz .LBB99_51
; %bb.50:                               ;   in Loop: Header=BB99_21 Depth=1
	buffer_gl0_inv
	ds_load_b32 v2, v12 offset:4104
	s_waitcnt lgkmcnt(0)
	v_readfirstlane_b32 s76, v2
.LBB99_51:                              ;   in Loop: Header=BB99_21 Depth=1
	s_delay_alu instid0(VALU_DEP_1)
	s_cmp_lt_i32 s76, 1
	s_cbranch_scc0 .LBB99_63
; %bb.52:                               ;   in Loop: Header=BB99_21 Depth=1
	v_dual_mov_b32 v6, 0 :: v_dual_mov_b32 v7, 0
	v_dual_mov_b32 v8, 0 :: v_dual_mov_b32 v9, 0
	s_mov_b32 s22, 0
	s_and_saveexec_b32 s21, s4
	s_cbranch_execz .LBB99_56
; %bb.53:                               ;   in Loop: Header=BB99_21 Depth=1
	v_mov_b32_e32 v2, v23
	s_and_b32 s23, s69, 0xfe
	s_mov_b32 s24, 0
	s_mov_b32 s25, 0
	;; [unrolled: 1-line block ×5, first 2 shown]
.LBB99_54:                              ;   Parent Loop BB99_21 Depth=1
                                        ; =>  This Inner Loop Header: Depth=2
	v_dual_mov_b32 v36, v12 :: v_dual_add_nc_u32 v11, s24, v31
	v_mov_b32_e32 v38, v12
	v_mov_b32_e32 v40, v12
	s_delay_alu instid0(VALU_DEP_3) | instskip(SKIP_1) | instid1(VALU_DEP_1)
	v_lshlrev_b64 v[6:7], 3, v[11:12]
	v_add_nc_u32_e32 v11, s24, v17
	v_lshlrev_b64 v[8:9], 3, v[11:12]
	v_add_nc_u32_e32 v11, s24, v29
	s_delay_alu instid0(VALU_DEP_4) | instskip(SKIP_1) | instid1(VALU_DEP_3)
	v_add_co_u32 v6, vcc_lo, s31, v6
	v_add_co_ci_u32_e32 v7, vcc_lo, s40, v7, vcc_lo
	v_lshlrev_b64 v[18:19], 3, v[11:12]
	v_add_co_u32 v8, vcc_lo, s31, v8
	global_load_b64 v[6:7], v[6:7], off
	v_add_nc_u32_e32 v11, s24, v30
	v_add_co_ci_u32_e32 v9, vcc_lo, s40, v9, vcc_lo
	v_add_co_u32 v18, vcc_lo, s31, v18
	v_add_co_ci_u32_e32 v19, vcc_lo, s40, v19, vcc_lo
	s_delay_alu instid0(VALU_DEP_4)
	v_lshlrev_b64 v[20:21], 3, v[11:12]
	s_clause 0x1
	global_load_b64 v[8:9], v[8:9], off
	global_load_b64 v[18:19], v[18:19], off
	s_add_i32 s24, s24, s64
	v_add_co_u32 v20, vcc_lo, s31, v20
	v_add_co_ci_u32_e32 v21, vcc_lo, s40, v21, vcc_lo
	global_load_b64 v[20:21], v[20:21], off
	s_waitcnt vmcnt(3)
	v_xor_b32_e32 v7, 0x80000000, v7
	v_and_b32_e32 v41, s46, v6
	s_delay_alu instid0(VALU_DEP_2)
	v_and_b32_e32 v42, s47, v7
	v_lshrrev_b64 v[6:7], s23, v[6:7]
	s_waitcnt vmcnt(2)
	v_xor_b32_e32 v9, 0x80000000, v9
	s_waitcnt vmcnt(1)
	v_xor_b32_e32 v19, 0x80000000, v19
	v_cmp_eq_u64_e64 s7, s[44:45], v[41:42]
	v_and_b32_e32 v11, 3, v6
	v_and_b32_e32 v43, s46, v8
	v_lshrrev_b64 v[41:42], s23, v[8:9]
	v_and_b32_e32 v7, s46, v18
	v_and_b32_e32 v8, s47, v19
	v_cmp_eq_u64_e64 s9, 0, v[11:12]
	v_lshrrev_b64 v[18:19], s23, v[18:19]
	v_and_b32_e32 v44, s47, v9
	v_and_b32_e32 v35, 3, v41
	v_cmp_eq_u64_e64 s10, 1, v[11:12]
	s_waitcnt vmcnt(0)
	v_xor_b32_e32 v21, 0x80000000, v21
	v_cmp_eq_u64_e64 s11, 2, v[11:12]
	v_cmp_eq_u64_e64 s12, 3, v[11:12]
	s_and_b32 s9, s7, s9
	v_cmp_eq_u64_e64 s8, s[44:45], v[43:44]
	v_and_b32_e32 v37, 3, v18
	v_cmp_eq_u64_e64 s14, 0, v[35:36]
	v_cmp_eq_u64_e64 s15, 1, v[35:36]
	;; [unrolled: 1-line block ×3, first 2 shown]
	v_lshrrev_b64 v[8:9], s23, v[20:21]
	v_cndmask_b32_e64 v3, 0, 1, s9
	s_and_b32 s9, s7, s10
	v_and_b32_e32 v6, s46, v20
	v_and_b32_e32 v7, s47, v21
	v_cmp_eq_u64_e64 s16, 2, v[35:36]
	v_cndmask_b32_e64 v9, 0, 1, s9
	s_and_b32 s9, s7, s11
	v_cmp_eq_u64_e64 s17, 3, v[35:36]
	s_and_b32 s7, s7, s12
	v_cndmask_b32_e64 v11, 0, 1, s9
	v_cmp_eq_u64_e64 s9, 0, v[37:38]
	v_cndmask_b32_e64 v18, 0, 1, s7
	s_and_b32 s14, s8, s14
	s_and_b32 s15, s8, s15
	v_and_b32_e32 v39, 3, v8
	v_cmp_eq_u64_e64 s10, 1, v[37:38]
	v_cmp_eq_u64_e64 s7, s[44:45], v[6:7]
	v_cmp_ne_u32_e64 s18, 0, v3
	v_cndmask_b32_e64 v3, 0, 1, s14
	v_cndmask_b32_e64 v6, 0, 1, s15
	s_and_b32 s16, s8, s16
	v_cmp_eq_u64_e64 s11, 2, v[37:38]
	s_and_b32 s8, s8, s17
	v_cndmask_b32_e64 v7, 0, 1, s16
	v_cmp_ne_u32_e64 s16, 0, v18
	s_and_b32 s9, s13, s9
	v_cmp_eq_u64_e64 s12, 3, v[37:38]
	v_cndmask_b32_e64 v8, 0, 1, s8
	v_cmp_eq_u64_e64 s8, 0, v[39:40]
	v_cmp_eq_u64_e64 s17, 1, v[39:40]
	s_bcnt1_i32_b32 s79, s18
	v_cmp_ne_u32_e64 s18, 0, v3
	v_cndmask_b32_e64 v3, 0, 1, s9
	v_cmp_ne_u32_e64 s9, 0, v6
	s_and_b32 s10, s13, s10
	s_and_b32 s11, s13, s11
	v_cndmask_b32_e64 v6, 0, 1, s10
	s_bcnt1_i32_b32 s16, s16
	v_cmp_eq_u64_e64 s19, 2, v[39:40]
	v_cmp_eq_u64_e64 s20, 3, v[39:40]
	v_cmp_ne_u32_e64 s10, 0, v7
	v_cndmask_b32_e64 v7, 0, 1, s11
	v_cmp_ne_u32_e64 s11, 0, v8
	s_and_b32 s12, s13, s12
	s_add_i32 s16, s16, s25
	s_and_b32 s8, s7, s8
	s_bcnt1_i32_b32 s25, s9
	s_and_b32 s9, s7, s17
	v_cmp_ne_u32_e64 s14, 0, v9
	v_cndmask_b32_e64 v8, 0, 1, s12
	v_cmp_ne_u32_e64 s12, 0, v3
	v_cndmask_b32_e64 v3, 0, 1, s8
	;; [unrolled: 2-line block ×3, first 2 shown]
	v_cmp_ne_u32_e64 s15, 0, v11
	s_bcnt1_i32_b32 s17, s10
	s_and_b32 s10, s7, s19
	s_bcnt1_i32_b32 s11, s11
	s_and_b32 s7, s7, s20
	s_bcnt1_i32_b32 s14, s14
	v_cmp_ne_u32_e64 s9, 0, v7
	v_cndmask_b32_e64 v7, 0, 1, s10
	v_cmp_ne_u32_e64 s10, 0, v8
	v_cndmask_b32_e64 v8, 0, 1, s7
	s_add_i32 s11, s16, s11
	s_bcnt1_i32_b32 s16, s8
	v_cmp_ne_u32_e64 s8, 0, v6
	s_bcnt1_i32_b32 s15, s15
	s_add_i32 s13, s79, s78
	s_add_i32 s14, s14, s77
	s_bcnt1_i32_b32 s18, s18
	s_add_i32 s15, s15, s26
	s_add_i32 s13, s13, s18
	s_add_i32 s14, s14, s25
	s_bcnt1_i32_b32 s12, s12
	s_add_i32 s15, s15, s17
	v_cmp_ne_u32_e64 s7, 0, v3
	s_bcnt1_i32_b32 s17, s9
	v_cmp_ne_u32_e64 s9, 0, v7
	s_bcnt1_i32_b32 s18, s10
	v_cmp_ne_u32_e64 s10, 0, v8
	s_add_i32 s12, s13, s12
	s_add_i32 s13, s14, s16
	s_bcnt1_i32_b32 s8, s8
	s_add_i32 s14, s15, s17
	s_add_i32 s77, s13, s8
	s_delay_alu instid0(SALU_CYCLE_1)
	v_dual_mov_b32 v7, s77 :: v_dual_add_nc_u32 v2, s50, v2
	s_add_i32 s11, s11, s18
	s_bcnt1_i32_b32 s7, s7
	s_bcnt1_i32_b32 s9, s9
	;; [unrolled: 1-line block ×3, first 2 shown]
	v_cmp_le_u32_e32 vcc_lo, s61, v2
	s_add_i32 s78, s12, s7
	s_add_i32 s26, s14, s9
	;; [unrolled: 1-line block ×3, first 2 shown]
	v_mov_b32_e32 v6, s78
	v_dual_mov_b32 v8, s26 :: v_dual_mov_b32 v9, s25
	s_or_b32 s22, vcc_lo, s22
	s_delay_alu instid0(SALU_CYCLE_1)
	s_and_not1_b32 exec_lo, exec_lo, s22
	s_cbranch_execnz .LBB99_54
; %bb.55:                               ;   in Loop: Header=BB99_21 Depth=1
	s_or_b32 exec_lo, exec_lo, s22
.LBB99_56:                              ;   in Loop: Header=BB99_21 Depth=1
	s_delay_alu instid0(SALU_CYCLE_1)
	s_or_b32 exec_lo, exec_lo, s21
	v_mov_b32_e32 v18, 0
	v_mov_b32_e32 v19, 0
	s_and_saveexec_b32 s7, s5
	s_cbranch_execz .LBB99_58
; %bb.57:                               ;   in Loop: Header=BB99_21 Depth=1
	global_load_b64 v[18:19], v[15:16], off
.LBB99_58:                              ;   in Loop: Header=BB99_21 Depth=1
	s_or_b32 exec_lo, exec_lo, s7
	s_and_saveexec_b32 s11, s5
	s_cbranch_execz .LBB99_65
; %bb.59:                               ;   in Loop: Header=BB99_21 Depth=1
	v_dual_mov_b32 v2, v32 :: v_dual_mov_b32 v35, v27
	s_and_b32 s13, s69, 0xfe
	s_mov_b32 s12, 0
	s_branch .LBB99_61
.LBB99_60:                              ;   in Loop: Header=BB99_61 Depth=2
	s_or_b32 exec_lo, exec_lo, s8
	s_waitcnt vmcnt(0)
	v_xor_b32_e32 v19, 0x80000000, v19
	s_and_b32 s9, exec_lo, vcc_lo
	v_add_nc_u32_e32 v2, s52, v2
	s_or_b32 s12, s9, s12
	s_delay_alu instid0(VALU_DEP_2) | instskip(SKIP_2) | instid1(VALU_DEP_3)
	v_lshrrev_b64 v[36:37], s13, v[18:19]
	v_and_b32_e32 v18, s46, v18
	v_and_b32_e32 v19, s47, v19
	;; [unrolled: 1-line block ×3, first 2 shown]
	s_delay_alu instid0(VALU_DEP_2) | instskip(NEXT) | instid1(VALU_DEP_2)
	v_cmp_eq_u64_e64 s7, s[44:45], v[18:19]
	v_cmp_eq_u64_e64 s8, 0, v[11:12]
	v_cmp_eq_u64_e32 vcc_lo, 1, v[11:12]
	v_cmp_eq_u64_e64 s9, 2, v[11:12]
	v_cmp_eq_u64_e64 s10, 3, v[11:12]
	s_delay_alu instid0(VALU_DEP_4) | instskip(NEXT) | instid1(SALU_CYCLE_1)
	s_and_b32 s8, s7, s8
	v_cndmask_b32_e64 v3, 0, 1, s8
	s_and_b32 s8, s7, vcc_lo
	s_delay_alu instid0(SALU_CYCLE_1)
	v_cndmask_b32_e64 v11, 0, 1, s8
	s_and_b32 s8, s7, s9
	s_and_b32 s7, s7, s10
	v_cndmask_b32_e64 v18, 0, 1, s8
	v_cndmask_b32_e64 v19, 0, 1, s7
	v_cmp_ne_u32_e32 vcc_lo, 0, v3
	v_cmp_ne_u32_e64 s7, 0, v11
	s_delay_alu instid0(VALU_DEP_4) | instskip(NEXT) | instid1(VALU_DEP_4)
	v_cmp_ne_u32_e64 s8, 0, v18
	v_cmp_ne_u32_e64 s9, 0, v19
	v_mov_b32_e32 v18, v20
	s_bcnt1_i32_b32 s10, vcc_lo
	s_bcnt1_i32_b32 s7, s7
	s_bcnt1_i32_b32 s8, s8
	s_bcnt1_i32_b32 s9, s9
	v_add_nc_u32_e32 v6, s10, v6
	v_add_nc_u32_e32 v7, s7, v7
	;; [unrolled: 1-line block ×4, first 2 shown]
	v_mov_b32_e32 v19, v21
	s_and_not1_b32 exec_lo, exec_lo, s12
	s_cbranch_execz .LBB99_64
.LBB99_61:                              ;   Parent Loop BB99_21 Depth=1
                                        ; =>  This Inner Loop Header: Depth=2
	s_delay_alu instid0(VALU_DEP_1) | instskip(SKIP_2) | instid1(VALU_DEP_2)
	v_dual_mov_b32 v20, 0 :: v_dual_add_nc_u32 v35, s49, v35
	v_mov_b32_e32 v21, 0
	s_mov_b32 s8, exec_lo
	v_cmp_le_u32_e32 vcc_lo, s28, v35
	v_cmpx_gt_u32_e64 s28, v35
	s_cbranch_execz .LBB99_60
; %bb.62:                               ;   in Loop: Header=BB99_61 Depth=2
	v_mov_b32_e32 v3, v12
	s_delay_alu instid0(VALU_DEP_1) | instskip(NEXT) | instid1(VALU_DEP_1)
	v_lshlrev_b64 v[20:21], 3, v[2:3]
	v_add_co_u32 v20, s7, s31, v20
	s_delay_alu instid0(VALU_DEP_1)
	v_add_co_ci_u32_e64 v21, s7, s40, v21, s7
	global_load_b64 v[20:21], v[20:21], off
	s_branch .LBB99_60
.LBB99_63:                              ;   in Loop: Header=BB99_21 Depth=1
                                        ; implicit-def: $vgpr9
	s_cbranch_execnz .LBB99_66
	s_branch .LBB99_75
.LBB99_64:                              ;   in Loop: Header=BB99_21 Depth=1
	s_or_b32 exec_lo, exec_lo, s12
.LBB99_65:                              ;   in Loop: Header=BB99_21 Depth=1
	s_delay_alu instid0(SALU_CYCLE_1)
	s_or_b32 exec_lo, exec_lo, s11
	s_branch .LBB99_75
.LBB99_66:                              ;   in Loop: Header=BB99_21 Depth=1
	s_mul_hi_u32 s7, s76, s60
	v_dual_mov_b32 v6, 0 :: v_dual_mov_b32 v7, 0
	s_mul_i32 s7, s7, s50
	v_dual_mov_b32 v8, 0 :: v_dual_mov_b32 v9, 0
	s_sub_i32 s7, s76, s7
	s_mov_b32 s79, 0
	s_sub_i32 s8, s7, s50
	s_cmp_ge_u32 s7, s50
	s_mov_b32 s78, exec_lo
	s_cselect_b32 s7, s8, s7
	s_delay_alu instid0(SALU_CYCLE_1) | instskip(SKIP_2) | instid1(SALU_CYCLE_1)
	s_sub_i32 s8, s7, s50
	s_cmp_ge_u32 s7, s50
	s_cselect_b32 s7, s8, s7
	s_sub_i32 s77, s76, s7
	s_delay_alu instid0(SALU_CYCLE_1)
	v_cmpx_gt_u32_e64 s77, v23
	s_cbranch_execz .LBB99_70
; %bb.67:                               ;   in Loop: Header=BB99_21 Depth=1
	v_dual_mov_b32 v2, v33 :: v_dual_mov_b32 v3, v23
	s_and_b32 s80, s69, 0xfe
	s_mov_b32 s81, 0
	s_mov_b32 s82, 0
	s_mov_b32 s83, 0
	s_mov_b32 s84, 0
.LBB99_68:                              ;   Parent Loop BB99_21 Depth=1
                                        ; =>  This Inner Loop Header: Depth=2
	ds_load_b128 v[6:9], v2
	s_waitcnt vmcnt(0)
	ds_load_b128 v[18:21], v2 offset:16
	v_mov_b32_e32 v38, v12
	v_dual_mov_b32 v40, v12 :: v_dual_add_nc_u32 v3, s50, v3
	v_mov_b32_e32 v36, v12
	s_delay_alu instid0(VALU_DEP_2)
	v_cmp_le_u32_e32 vcc_lo, s77, v3
	s_waitcnt lgkmcnt(1)
	v_xor_b32_e32 v7, 0x80000000, v7
	v_xor_b32_e32 v9, 0x80000000, v9
	s_waitcnt lgkmcnt(0)
	v_xor_b32_e32 v19, 0x80000000, v19
	v_and_b32_e32 v41, s46, v6
	v_xor_b32_e32 v21, 0x80000000, v21
	v_and_b32_e32 v42, s47, v7
	v_lshrrev_b64 v[6:7], s80, v[6:7]
	v_and_b32_e32 v43, s46, v8
	v_lshrrev_b64 v[7:8], s80, v[8:9]
	;; [unrolled: 2-line block ×3, first 2 shown]
	v_and_b32_e32 v45, s46, v18
	v_and_b32_e32 v46, s47, v19
	v_lshrrev_b64 v[18:19], s80, v[20:21]
	v_and_b32_e32 v11, 3, v6
	v_and_b32_e32 v35, 3, v7
	v_and_b32_e32 v37, 3, v8
	v_cmp_eq_u64_e64 s7, s[44:45], v[41:42]
	v_and_b32_e32 v47, s46, v20
	v_cmp_eq_u64_e64 s11, 0, v[11:12]
	v_and_b32_e32 v48, s47, v21
	v_and_b32_e32 v39, 3, v18
	v_cmp_eq_u64_e64 s8, s[44:45], v[43:44]
	v_cmp_eq_u64_e64 s12, 0, v[35:36]
	;; [unrolled: 1-line block ×6, first 2 shown]
	s_and_b32 s11, s7, s11
	v_cmp_eq_u64_e64 s15, 1, v[11:12]
	v_cndmask_b32_e64 v6, 0, 1, s11
	s_and_b32 s11, s8, s12
	v_cmp_eq_u64_e64 s16, 1, v[35:36]
	v_cndmask_b32_e64 v7, 0, 1, s11
	;; [unrolled: 3-line block ×4, first 2 shown]
	s_and_b32 s11, s7, s15
	v_cmp_eq_u64_e64 s19, 2, v[11:12]
	v_cmp_eq_u64_e64 s23, 3, v[11:12]
	v_cndmask_b32_e64 v11, 0, 1, s11
	s_and_b32 s11, s8, s16
	v_cmp_eq_u64_e64 s20, 2, v[35:36]
	v_cmp_eq_u64_e64 s24, 3, v[35:36]
	v_cndmask_b32_e64 v18, 0, 1, s11
	;; [unrolled: 4-line block ×4, first 2 shown]
	s_and_b32 s11, s7, s19
	s_and_b32 s7, s7, s23
	v_cndmask_b32_e64 v21, 0, 1, s11
	s_and_b32 s11, s8, s20
	v_cndmask_b32_e64 v38, 0, 1, s7
	;; [unrolled: 2-line block ×7, first 2 shown]
	v_cndmask_b32_e64 v41, 0, 1, s7
	v_cmp_ne_u32_e64 s7, 0, v6
	v_cmp_ne_u32_e64 s11, 0, v11
	;; [unrolled: 1-line block ×12, first 2 shown]
	s_bcnt1_i32_b32 s7, s7
	s_bcnt1_i32_b32 s11, s11
	;; [unrolled: 1-line block ×4, first 2 shown]
	v_cmp_ne_u32_e64 s10, 0, v9
	v_cmp_ne_u32_e64 s14, 0, v20
	;; [unrolled: 1-line block ×4, first 2 shown]
	s_bcnt1_i32_b32 s8, s8
	s_bcnt1_i32_b32 s12, s12
	s_bcnt1_i32_b32 s16, s16
	s_bcnt1_i32_b32 s20, s20
	s_add_i32 s7, s7, s84
	s_add_i32 s11, s11, s83
	s_add_i32 s15, s15, s82
	s_add_i32 s19, s19, s81
	s_bcnt1_i32_b32 s9, s9
	s_bcnt1_i32_b32 s13, s13
	s_bcnt1_i32_b32 s17, s17
	s_bcnt1_i32_b32 s21, s21
	s_add_i32 s7, s7, s8
	s_add_i32 s8, s11, s12
	s_add_i32 s11, s15, s16
	s_add_i32 s12, s19, s20
	;; [unrolled: 8-line block ×3, first 2 shown]
	s_add_i32 s84, s7, s10
	s_add_i32 s83, s8, s14
	;; [unrolled: 1-line block ×4, first 2 shown]
	v_mov_b32_e32 v8, s82
	v_dual_mov_b32 v7, s83 :: v_dual_add_nc_u32 v2, s65, v2
	v_dual_mov_b32 v6, s84 :: v_dual_mov_b32 v9, s81
	s_or_b32 s79, vcc_lo, s79
	s_delay_alu instid0(SALU_CYCLE_1)
	s_and_not1_b32 exec_lo, exec_lo, s79
	s_cbranch_execnz .LBB99_68
; %bb.69:                               ;   in Loop: Header=BB99_21 Depth=1
	s_or_b32 exec_lo, exec_lo, s79
.LBB99_70:                              ;   in Loop: Header=BB99_21 Depth=1
	s_delay_alu instid0(SALU_CYCLE_1) | instskip(SKIP_2) | instid1(VALU_DEP_1)
	s_or_b32 exec_lo, exec_lo, s78
	v_add_nc_u32_e32 v2, s77, v0
	s_mov_b32 s12, exec_lo
	v_cmpx_gt_u32_e64 s76, v2
	s_cbranch_execz .LBB99_74
; %bb.71:                               ;   in Loop: Header=BB99_21 Depth=1
	v_lshlrev_b32_e32 v3, 3, v2
	s_and_b32 s14, s69, 0xfe
	s_mov_b32 s13, 0
.LBB99_72:                              ;   Parent Loop BB99_21 Depth=1
                                        ; =>  This Inner Loop Header: Depth=2
	s_waitcnt vmcnt(0)
	ds_load_b64 v[18:19], v3
	v_add_nc_u32_e32 v2, s49, v2
	v_add_nc_u32_e32 v3, s66, v3
	s_delay_alu instid0(VALU_DEP_2) | instskip(SKIP_3) | instid1(VALU_DEP_2)
	v_cmp_le_u32_e32 vcc_lo, s76, v2
	s_waitcnt lgkmcnt(0)
	v_xor_b32_e32 v19, 0x80000000, v19
	v_and_b32_e32 v20, s46, v18
	v_and_b32_e32 v21, s47, v19
	v_lshrrev_b64 v[18:19], s14, v[18:19]
	s_delay_alu instid0(VALU_DEP_2) | instskip(NEXT) | instid1(VALU_DEP_2)
	v_cmp_eq_u64_e64 s7, s[44:45], v[20:21]
	v_and_b32_e32 v11, 3, v18
	s_delay_alu instid0(VALU_DEP_1) | instskip(SKIP_3) | instid1(VALU_DEP_4)
	v_cmp_eq_u64_e64 s8, 0, v[11:12]
	v_cmp_eq_u64_e64 s9, 1, v[11:12]
	;; [unrolled: 1-line block ×4, first 2 shown]
	s_and_b32 s8, s7, s8
	s_delay_alu instid0(SALU_CYCLE_1) | instskip(NEXT) | instid1(VALU_DEP_4)
	v_cndmask_b32_e64 v11, 0, 1, s8
	s_and_b32 s8, s7, s9
	s_delay_alu instid0(SALU_CYCLE_1)
	v_cndmask_b32_e64 v18, 0, 1, s8
	s_and_b32 s8, s7, s10
	s_and_b32 s7, s7, s11
	v_cndmask_b32_e64 v19, 0, 1, s8
	v_cndmask_b32_e64 v20, 0, 1, s7
	v_cmp_ne_u32_e64 s7, 0, v11
	v_cmp_ne_u32_e64 s8, 0, v18
	s_delay_alu instid0(VALU_DEP_4) | instskip(NEXT) | instid1(VALU_DEP_4)
	v_cmp_ne_u32_e64 s9, 0, v19
	v_cmp_ne_u32_e64 s10, 0, v20
	s_delay_alu instid0(VALU_DEP_4) | instskip(NEXT) | instid1(VALU_DEP_3)
	s_bcnt1_i32_b32 s7, s7
	s_bcnt1_i32_b32 s8, s8
	v_add_nc_u32_e32 v6, s7, v6
	s_bcnt1_i32_b32 s9, s9
	s_bcnt1_i32_b32 s10, s10
	v_add_nc_u32_e32 v7, s8, v7
	v_add_nc_u32_e32 v8, s9, v8
	;; [unrolled: 1-line block ×3, first 2 shown]
	s_or_b32 s13, vcc_lo, s13
	s_delay_alu instid0(SALU_CYCLE_1)
	s_and_not1_b32 exec_lo, exec_lo, s13
	s_cbranch_execnz .LBB99_72
; %bb.73:                               ;   in Loop: Header=BB99_21 Depth=1
	s_or_b32 exec_lo, exec_lo, s13
.LBB99_74:                              ;   in Loop: Header=BB99_21 Depth=1
	s_delay_alu instid0(SALU_CYCLE_1)
	s_or_b32 exec_lo, exec_lo, s12
.LBB99_75:                              ;   in Loop: Header=BB99_21 Depth=1
	s_lshl_b32 s7, s73, 7
	s_and_saveexec_b32 s8, s3
	s_cbranch_execz .LBB99_77
; %bb.76:                               ;   in Loop: Header=BB99_21 Depth=1
	v_or_b32_e32 v2, s7, v26
	s_delay_alu instid0(VALU_DEP_1)
	v_lshlrev_b32_e32 v2, 2, v2
	ds_store_b128 v2, v[6:9] offset:3072
.LBB99_77:                              ;   in Loop: Header=BB99_21 Depth=1
	s_or_b32 exec_lo, exec_lo, s8
	s_waitcnt vmcnt(0) lgkmcnt(0)
	s_barrier
	buffer_gl0_inv
	s_and_saveexec_b32 s8, s51
	s_cbranch_execz .LBB99_87
; %bb.78:                               ;   in Loop: Header=BB99_21 Depth=1
	v_mov_b32_e32 v2, 0
	s_and_not1_b32 vcc_lo, exec_lo, s55
	s_cbranch_vccnz .LBB99_86
; %bb.79:                               ;   in Loop: Header=BB99_21 Depth=1
	v_mov_b32_e32 v2, 0
	s_and_not1_b32 vcc_lo, exec_lo, s57
	s_mov_b32 s9, 0
	s_cbranch_vccnz .LBB99_83
; %bb.80:                               ;   in Loop: Header=BB99_21 Depth=1
	v_lshl_add_u32 v3, s73, 9, v34
	v_mov_b32_e32 v2, 0
	.p2align	6
.LBB99_81:                              ;   Parent Loop BB99_21 Depth=1
                                        ; =>  This Inner Loop Header: Depth=2
	ds_load_2addr_b32 v[6:7], v3 offset1:4
	ds_load_2addr_b32 v[8:9], v3 offset0:8 offset1:12
	ds_load_2addr_b32 v[18:19], v3 offset0:16 offset1:20
	;; [unrolled: 1-line block ×3, first 2 shown]
	v_add_nc_u32_e32 v3, 0x80, v3
	s_add_i32 s9, s9, 8
	s_delay_alu instid0(SALU_CYCLE_1) | instskip(SKIP_3) | instid1(VALU_DEP_1)
	s_cmp_eq_u32 s58, s9
	s_waitcnt lgkmcnt(3)
	v_add3_u32 v2, v6, v2, v7
	s_waitcnt lgkmcnt(2)
	v_add3_u32 v2, v8, v2, v9
	s_waitcnt lgkmcnt(1)
	s_delay_alu instid0(VALU_DEP_1) | instskip(SKIP_1) | instid1(VALU_DEP_1)
	v_add3_u32 v2, v18, v2, v19
	s_waitcnt lgkmcnt(0)
	v_add3_u32 v2, v20, v2, v21
	s_cbranch_scc0 .LBB99_81
; %bb.82:                               ;   in Loop: Header=BB99_21 Depth=1
	s_mov_b32 s9, s58
.LBB99_83:                              ;   in Loop: Header=BB99_21 Depth=1
	s_and_not1_b32 vcc_lo, exec_lo, s59
	s_cbranch_vccnz .LBB99_86
; %bb.84:                               ;   in Loop: Header=BB99_21 Depth=1
	s_lshl_b32 s10, s73, 9
	s_lshl_b32 s9, s9, 4
	s_delay_alu instid0(SALU_CYCLE_1)
	v_add3_u32 v3, s10, s9, v34
	s_mov_b32 s9, s56
.LBB99_85:                              ;   Parent Loop BB99_21 Depth=1
                                        ; =>  This Inner Loop Header: Depth=2
	ds_load_b32 v6, v3
	v_add_nc_u32_e32 v3, 16, v3
	s_add_i32 s9, s9, -1
	s_delay_alu instid0(SALU_CYCLE_1)
	s_cmp_lg_u32 s9, 0
	s_waitcnt lgkmcnt(0)
	v_add_nc_u32_e32 v2, v6, v2
	s_cbranch_scc1 .LBB99_85
.LBB99_86:                              ;   in Loop: Header=BB99_21 Depth=1
	v_add_lshl_u32 v3, s7, v22, 2
	ds_store_b32 v3, v2 offset:3072
.LBB99_87:                              ;   in Loop: Header=BB99_21 Depth=1
	s_or_b32 exec_lo, exec_lo, s8
	s_lshl_b32 s7, s7, 2
	s_waitcnt lgkmcnt(0)
	v_mov_b32_e32 v2, s7
	s_barrier
	buffer_gl0_inv
	s_and_b32 s22, s69, 0xfe
	s_delay_alu instid0(SALU_CYCLE_1)
	s_lshl_b64 s[8:9], 3, s22
	ds_load_b128 v[6:9], v2 offset:3072
	s_not_b64 s[10:11], s[8:9]
	s_waitcnt lgkmcnt(0)
	v_readfirstlane_b32 s18, v6
	v_readfirstlane_b32 s25, v7
	;; [unrolled: 1-line block ×4, first 2 shown]
	s_delay_alu instid0(VALU_DEP_4) | instskip(SKIP_3) | instid1(SALU_CYCLE_1)
	s_cmp_eq_u32 s18, 1
	s_cselect_b32 s7, -1, 0
	s_cmp_eq_u32 s75, 1
	s_cselect_b32 s12, -1, 0
	s_and_b32 s13, s7, s12
	s_mov_b32 s12, -1
	s_and_b32 vcc_lo, exec_lo, s13
	s_cbranch_vccz .LBB99_99
; %bb.88:                               ;   in Loop: Header=BB99_21 Depth=1
	ds_load_b32 v2, v12 offset:4104
	s_waitcnt lgkmcnt(0)
	s_barrier
	buffer_gl0_inv
	v_readfirstlane_b32 s14, v2
	s_and_saveexec_b32 s7, s1
	s_cbranch_execz .LBB99_90
; %bb.89:                               ;   in Loop: Header=BB99_21 Depth=1
	v_mov_b32_e32 v11, v12
	ds_store_b64 v25, v[11:12]
.LBB99_90:                              ;   in Loop: Header=BB99_21 Depth=1
	s_or_b32 exec_lo, exec_lo, s7
	s_and_b64 s[44:45], s[44:45], s[10:11]
	s_or_b64 s[46:47], s[46:47], s[8:9]
	s_cmp_eq_u32 s14, 0
	s_waitcnt lgkmcnt(0)
	s_barrier
	buffer_gl0_inv
	s_cbranch_scc1 .LBB99_100
; %bb.91:                               ;   in Loop: Header=BB99_21 Depth=1
	s_add_i32 s7, s14, s53
                                        ; implicit-def: $vgpr4_vgpr5
	s_delay_alu instid0(SALU_CYCLE_1) | instskip(NEXT) | instid1(SALU_CYCLE_1)
	s_mul_hi_u32 s15, s7, s62
	s_mul_i32 s15, s15, s49
	s_delay_alu instid0(SALU_CYCLE_1) | instskip(NEXT) | instid1(SALU_CYCLE_1)
	s_sub_i32 s15, s7, s15
	s_sub_i32 s17, s15, s49
	s_cmp_ge_u32 s15, s49
	s_cselect_b32 s15, s17, s15
	s_delay_alu instid0(SALU_CYCLE_1) | instskip(SKIP_2) | instid1(SALU_CYCLE_1)
	s_sub_i32 s17, s15, s49
	s_cmp_ge_u32 s15, s49
	s_cselect_b32 s15, s17, s15
	s_sub_i32 s17, s7, s15
	s_mov_b32 s7, 0
	s_mov_b32 s15, exec_lo
	v_cmpx_gt_u32_e64 s17, v0
	s_cbranch_execz .LBB99_102
; %bb.92:                               ;   in Loop: Header=BB99_21 Depth=1
	v_mov_b32_e32 v6, v24
	v_mov_b32_e32 v7, v0
	s_mov_b32 s20, 0
                                        ; implicit-def: $sgpr7
	s_set_inst_prefetch_distance 0x1
	s_branch .LBB99_94
	.p2align	6
.LBB99_93:                              ;   in Loop: Header=BB99_94 Depth=2
	s_or_b32 exec_lo, exec_lo, s21
	s_waitcnt lgkmcnt(0)
	s_barrier
	buffer_gl0_inv
	ds_load_b128 v[2:5], v12 offset:3072
	v_add_nc_u32_e32 v7, s49, v7
	v_add_nc_u32_e32 v6, s66, v6
	s_waitcnt lgkmcnt(0)
	s_barrier
	buffer_gl0_inv
	v_cmp_le_u32_e32 vcc_lo, s17, v7
	v_readfirstlane_b32 s77, v3
	v_readfirstlane_b32 s76, v2
	s_delay_alu instid0(VALU_DEP_1) | instskip(SKIP_1) | instid1(SALU_CYCLE_1)
	s_cmp_lg_u64 s[76:77], 0
	s_cselect_b32 s21, -1, 0
	s_or_b32 s23, vcc_lo, s21
	s_delay_alu instid0(SALU_CYCLE_1) | instskip(NEXT) | instid1(SALU_CYCLE_1)
	s_and_b32 s23, exec_lo, s23
	s_or_b32 s20, s23, s20
	s_and_not1_b32 s7, s7, exec_lo
	s_and_b32 s21, s21, exec_lo
	s_delay_alu instid0(SALU_CYCLE_1)
	s_or_b32 s7, s7, s21
	s_and_not1_b32 exec_lo, exec_lo, s20
	s_cbranch_execz .LBB99_101
.LBB99_94:                              ;   Parent Loop BB99_21 Depth=1
                                        ; =>  This Inner Loop Header: Depth=2
	v_mov_b32_e32 v3, 0
	v_mov_b32_e32 v4, 0
	v_cmp_gt_u32_e32 vcc_lo, s14, v7
	s_and_saveexec_b32 s21, vcc_lo
	s_cbranch_execz .LBB99_96
; %bb.95:                               ;   in Loop: Header=BB99_94 Depth=2
	ds_load_b64 v[3:4], v6
.LBB99_96:                              ;   in Loop: Header=BB99_94 Depth=2
	s_or_b32 exec_lo, exec_lo, s21
	s_and_saveexec_b32 s21, vcc_lo
	s_cbranch_execz .LBB99_93
; %bb.97:                               ;   in Loop: Header=BB99_94 Depth=2
	s_waitcnt lgkmcnt(0)
	v_xor_b32_e32 v2, 0x80000000, v4
	v_and_b32_e32 v8, s46, v3
	s_delay_alu instid0(VALU_DEP_2) | instskip(NEXT) | instid1(VALU_DEP_1)
	v_and_b32_e32 v9, s47, v2
	v_cmp_eq_u64_e32 vcc_lo, s[44:45], v[8:9]
	s_and_b32 exec_lo, exec_lo, vcc_lo
	s_cbranch_execz .LBB99_93
; %bb.98:                               ;   in Loop: Header=BB99_94 Depth=2
	v_mov_b32_e32 v2, v12
	ds_store_b128 v12, v[1:4] offset:3072
	s_branch .LBB99_93
.LBB99_99:                              ;   in Loop: Header=BB99_21 Depth=1
	s_mov_b32 s7, -1
                                        ; implicit-def: $sgpr14
                                        ; implicit-def: $sgpr17
                                        ; implicit-def: $sgpr15
	s_branch .LBB99_113
.LBB99_100:                             ;   in Loop: Header=BB99_21 Depth=1
	s_mov_b32 s14, -1
	s_mov_b32 s7, 0
                                        ; implicit-def: $sgpr15
                                        ; implicit-def: $vgpr4_vgpr5
	s_mov_b32 s17, s14
	s_cbranch_execnz .LBB99_103
	s_branch .LBB99_113
.LBB99_101:                             ;   in Loop: Header=BB99_21 Depth=1
	s_set_inst_prefetch_distance 0x2
	s_or_b32 exec_lo, exec_lo, s20
	s_delay_alu instid0(SALU_CYCLE_1)
	s_and_b32 s7, s7, exec_lo
.LBB99_102:                             ;   in Loop: Header=BB99_21 Depth=1
	s_or_b32 exec_lo, exec_lo, s15
	s_mov_b32 s15, -1
	s_mov_b32 s14, 0
	s_delay_alu instid0(SALU_CYCLE_1)
	s_mov_b32 s17, s14
	s_branch .LBB99_113
.LBB99_103:                             ;   in Loop: Header=BB99_21 Depth=1
	s_mov_b32 s7, 0
                                        ; implicit-def: $vgpr4_vgpr5
	s_and_saveexec_b32 s14, s6
	s_cbranch_execz .LBB99_112
; %bb.104:                              ;   in Loop: Header=BB99_21 Depth=1
	v_dual_mov_b32 v11, v10 :: v_dual_mov_b32 v6, v0
	s_mov_b32 s17, 0
                                        ; implicit-def: $sgpr15
	s_set_inst_prefetch_distance 0x1
	s_branch .LBB99_106
	.p2align	6
.LBB99_105:                             ;   in Loop: Header=BB99_106 Depth=2
	s_or_b32 exec_lo, exec_lo, s7
	s_waitcnt vmcnt(0) lgkmcnt(0)
	s_barrier
	buffer_gl0_inv
	ds_load_b128 v[2:5], v12 offset:3072
	v_add_nc_u32_e32 v6, s49, v6
	v_add_nc_u32_e32 v11, s52, v11
	s_waitcnt lgkmcnt(0)
	s_barrier
	buffer_gl0_inv
	v_cmp_le_u32_e32 vcc_lo, s63, v6
	v_readfirstlane_b32 s21, v3
	v_readfirstlane_b32 s20, v2
	s_delay_alu instid0(VALU_DEP_1) | instskip(SKIP_1) | instid1(SALU_CYCLE_1)
	s_cmp_lg_u64 s[20:21], 0
	s_cselect_b32 s7, -1, 0
	s_or_b32 s20, vcc_lo, s7
	s_delay_alu instid0(SALU_CYCLE_1) | instskip(NEXT) | instid1(SALU_CYCLE_1)
	s_and_b32 s20, exec_lo, s20
	s_or_b32 s17, s20, s17
	s_and_not1_b32 s15, s15, exec_lo
	s_and_b32 s7, s7, exec_lo
	s_delay_alu instid0(SALU_CYCLE_1)
	s_or_b32 s15, s15, s7
	s_and_not1_b32 exec_lo, exec_lo, s17
	s_cbranch_execz .LBB99_111
.LBB99_106:                             ;   Parent Loop BB99_21 Depth=1
                                        ; =>  This Inner Loop Header: Depth=2
	v_mov_b32_e32 v3, 0
	v_mov_b32_e32 v4, 0
	v_cmp_gt_u32_e32 vcc_lo, s28, v6
	s_and_saveexec_b32 s20, vcc_lo
	s_cbranch_execz .LBB99_108
; %bb.107:                              ;   in Loop: Header=BB99_106 Depth=2
	v_lshlrev_b64 v[2:3], 3, v[11:12]
	s_delay_alu instid0(VALU_DEP_1) | instskip(NEXT) | instid1(VALU_DEP_1)
	v_add_co_u32 v2, s7, s31, v2
	v_add_co_ci_u32_e64 v3, s7, s40, v3, s7
	global_load_b64 v[3:4], v[2:3], off
.LBB99_108:                             ;   in Loop: Header=BB99_106 Depth=2
	s_or_b32 exec_lo, exec_lo, s20
	s_and_saveexec_b32 s7, vcc_lo
	s_cbranch_execz .LBB99_105
; %bb.109:                              ;   in Loop: Header=BB99_106 Depth=2
	s_waitcnt vmcnt(0)
	v_xor_b32_e32 v2, 0x80000000, v4
	v_and_b32_e32 v7, s46, v3
	s_delay_alu instid0(VALU_DEP_2) | instskip(NEXT) | instid1(VALU_DEP_1)
	v_and_b32_e32 v8, s47, v2
	v_cmp_eq_u64_e32 vcc_lo, s[44:45], v[7:8]
	s_and_b32 exec_lo, exec_lo, vcc_lo
	s_cbranch_execz .LBB99_105
; %bb.110:                              ;   in Loop: Header=BB99_106 Depth=2
	v_mov_b32_e32 v2, v12
	ds_store_b128 v12, v[1:4] offset:3072
	s_branch .LBB99_105
.LBB99_111:                             ;   in Loop: Header=BB99_21 Depth=1
	s_set_inst_prefetch_distance 0x2
	s_or_b32 exec_lo, exec_lo, s17
	s_delay_alu instid0(SALU_CYCLE_1)
	s_and_b32 s7, s15, exec_lo
.LBB99_112:                             ;   in Loop: Header=BB99_21 Depth=1
	s_or_b32 exec_lo, exec_lo, s14
	s_mov_b32 s17, -1
	s_mov_b32 s14, 0
	s_mov_b32 s15, 0
.LBB99_113:                             ;   in Loop: Header=BB99_21 Depth=1
	s_and_not1_b32 s20, s71, exec_lo
	s_and_b32 s14, s14, exec_lo
	s_and_b32 s17, s17, exec_lo
	s_or_b32 s71, s20, s14
	s_and_not1_b32 s14, s74, exec_lo
	s_and_not1_b32 s20, s72, exec_lo
	s_and_b32 s15, s15, exec_lo
	s_or_b32 s74, s14, s17
	s_or_b32 s72, s20, s15
	s_and_saveexec_b32 s17, s7
	s_cbranch_execz .LBB99_20
; %bb.114:                              ;   in Loop: Header=BB99_21 Depth=1
	s_xor_b32 s7, s13, -1
	s_mov_b32 s20, 0
	s_and_not1_b32 vcc_lo, exec_lo, s7
	s_mov_b32 s26, 1
	s_cbranch_vccnz .LBB99_125
; %bb.115:                              ;   in Loop: Header=BB99_21 Depth=1
	s_cmp_gt_u32 s75, s18
	s_mov_b32 s20, -1
                                        ; implicit-def: $sgpr7
                                        ; implicit-def: $sgpr12_sgpr13
                                        ; implicit-def: $sgpr14_sgpr15
	s_cbranch_scc1 .LBB99_121
; %bb.116:                              ;   in Loop: Header=BB99_21 Depth=1
	ds_load_b32 v2, v12 offset:4104
	s_waitcnt lgkmcnt(0)
	v_cmp_ne_u32_e32 vcc_lo, 0, v2
	s_cbranch_vccnz .LBB99_120
; %bb.117:                              ;   in Loop: Header=BB99_21 Depth=1
	s_and_saveexec_b32 s7, s2
	s_cbranch_execz .LBB99_119
; %bb.118:                              ;   in Loop: Header=BB99_21 Depth=1
	v_mov_b32_e32 v2, s18
	ds_store_b32 v12, v2 offset:4108
.LBB99_119:                             ;   in Loop: Header=BB99_21 Depth=1
	s_or_b32 exec_lo, exec_lo, s7
	s_waitcnt lgkmcnt(0)
	s_barrier
	buffer_gl0_inv
.LBB99_120:                             ;   in Loop: Header=BB99_21 Depth=1
	s_and_b64 s[12:13], s[44:45], s[10:11]
	s_or_b64 s[14:15], s[46:47], s[8:9]
	s_mov_b32 s20, 0
	s_mov_b32 s7, 8
.LBB99_121:                             ;   in Loop: Header=BB99_21 Depth=1
	s_and_not1_b32 vcc_lo, exec_lo, s20
	s_cbranch_vccnz .LBB99_123
; %bb.122:                              ;   in Loop: Header=BB99_21 Depth=1
	s_sub_i32 s75, s75, s18
	s_mov_b32 s20, -1
	s_mov_b32 s7, 0
	s_mov_b64 s[12:13], s[44:45]
	s_mov_b64 s[14:15], s[46:47]
.LBB99_123:                             ;   in Loop: Header=BB99_21 Depth=1
	s_delay_alu instid0(SALU_CYCLE_1)
	s_mov_b64 s[46:47], s[14:15]
	s_mov_b64 s[44:45], s[12:13]
	s_mov_b32 s26, s75
	s_and_b32 vcc_lo, exec_lo, s20
	s_mov_b32 s18, -1
	s_cbranch_vccnz .LBB99_126
.LBB99_124:                             ;   in Loop: Header=BB99_21 Depth=1
	s_mov_b32 s14, -1
                                        ; implicit-def: $sgpr20
                                        ; implicit-def: $sgpr23
                                        ; implicit-def: $sgpr21
                                        ; implicit-def: $sgpr75
	s_delay_alu instid0(SALU_CYCLE_1) | instskip(NEXT) | instid1(SALU_CYCLE_1)
	s_and_saveexec_b32 s8, s14
	s_xor_b32 s8, exec_lo, s8
	s_cbranch_execz .LBB99_19
	s_branch .LBB99_252
.LBB99_125:                             ;   in Loop: Header=BB99_21 Depth=1
	s_mov_b32 s7, 1
	s_and_b32 vcc_lo, exec_lo, s20
	s_mov_b32 s18, -1
	s_cbranch_vccz .LBB99_124
.LBB99_126:                             ;   in Loop: Header=BB99_21 Depth=1
	s_cmp_eq_u32 s25, 1
	s_mov_b32 s13, -1
	s_cselect_b32 s7, -1, 0
	s_cmp_eq_u32 s26, 1
	s_cselect_b32 s12, -1, 0
	s_delay_alu instid0(SALU_CYCLE_1) | instskip(NEXT) | instid1(SALU_CYCLE_1)
	s_and_b32 s12, s7, s12
	s_and_b32 vcc_lo, exec_lo, s12
	s_cbranch_vccz .LBB99_138
; %bb.127:                              ;   in Loop: Header=BB99_21 Depth=1
	ds_load_b32 v2, v12 offset:4104
	s_waitcnt lgkmcnt(0)
	s_barrier
	buffer_gl0_inv
	v_readfirstlane_b32 s7, v2
	s_and_saveexec_b32 s13, s1
	s_cbranch_execz .LBB99_129
; %bb.128:                              ;   in Loop: Header=BB99_21 Depth=1
	v_mov_b32_e32 v11, v12
	ds_store_b64 v25, v[11:12]
.LBB99_129:                             ;   in Loop: Header=BB99_21 Depth=1
	s_or_b32 exec_lo, exec_lo, s13
	s_lshl_b64 s[14:15], 1, s22
	s_and_b64 s[20:21], s[44:45], s[10:11]
	s_or_b64 s[46:47], s[46:47], s[8:9]
	s_or_b64 s[44:45], s[20:21], s[14:15]
	s_cmp_eq_u32 s7, 0
	s_waitcnt lgkmcnt(0)
	s_barrier
	buffer_gl0_inv
	s_cbranch_scc1 .LBB99_142
; %bb.130:                              ;   in Loop: Header=BB99_21 Depth=1
	s_add_i32 s13, s7, s53
                                        ; implicit-def: $vgpr4_vgpr5
	s_delay_alu instid0(SALU_CYCLE_1) | instskip(NEXT) | instid1(SALU_CYCLE_1)
	s_mul_hi_u32 s14, s13, s62
	s_mul_i32 s14, s14, s49
	s_delay_alu instid0(SALU_CYCLE_1) | instskip(NEXT) | instid1(SALU_CYCLE_1)
	s_sub_i32 s14, s13, s14
	s_sub_i32 s15, s14, s49
	s_cmp_ge_u32 s14, s49
	s_cselect_b32 s14, s15, s14
	s_delay_alu instid0(SALU_CYCLE_1) | instskip(SKIP_2) | instid1(SALU_CYCLE_1)
	s_sub_i32 s15, s14, s49
	s_cmp_ge_u32 s14, s49
	s_cselect_b32 s14, s15, s14
	s_sub_i32 s15, s13, s14
	s_mov_b32 s13, 0
	s_mov_b32 s14, exec_lo
	v_cmpx_gt_u32_e64 s15, v0
	s_cbranch_execz .LBB99_144
; %bb.131:                              ;   in Loop: Header=BB99_21 Depth=1
	v_mov_b32_e32 v6, v24
	v_mov_b32_e32 v7, v0
	s_mov_b32 s20, 0
                                        ; implicit-def: $sgpr13
	s_set_inst_prefetch_distance 0x1
	s_branch .LBB99_133
	.p2align	6
.LBB99_132:                             ;   in Loop: Header=BB99_133 Depth=2
	s_or_b32 exec_lo, exec_lo, s21
	s_waitcnt lgkmcnt(0)
	s_barrier
	buffer_gl0_inv
	ds_load_b128 v[2:5], v12 offset:3072
	v_add_nc_u32_e32 v7, s49, v7
	v_add_nc_u32_e32 v6, s66, v6
	s_waitcnt lgkmcnt(0)
	s_barrier
	buffer_gl0_inv
	v_cmp_le_u32_e32 vcc_lo, s15, v7
	v_readfirstlane_b32 s77, v3
	v_readfirstlane_b32 s76, v2
	s_delay_alu instid0(VALU_DEP_1) | instskip(SKIP_1) | instid1(SALU_CYCLE_1)
	s_cmp_lg_u64 s[76:77], 0
	s_cselect_b32 s21, -1, 0
	s_or_b32 s23, vcc_lo, s21
	s_delay_alu instid0(SALU_CYCLE_1) | instskip(NEXT) | instid1(SALU_CYCLE_1)
	s_and_b32 s23, exec_lo, s23
	s_or_b32 s20, s23, s20
	s_and_not1_b32 s13, s13, exec_lo
	s_and_b32 s21, s21, exec_lo
	s_delay_alu instid0(SALU_CYCLE_1)
	s_or_b32 s13, s13, s21
	s_and_not1_b32 exec_lo, exec_lo, s20
	s_cbranch_execz .LBB99_143
.LBB99_133:                             ;   Parent Loop BB99_21 Depth=1
                                        ; =>  This Inner Loop Header: Depth=2
	v_mov_b32_e32 v3, 0
	v_mov_b32_e32 v4, 0
	v_cmp_gt_u32_e32 vcc_lo, s7, v7
	s_and_saveexec_b32 s21, vcc_lo
	s_cbranch_execz .LBB99_135
; %bb.134:                              ;   in Loop: Header=BB99_133 Depth=2
	ds_load_b64 v[3:4], v6
.LBB99_135:                             ;   in Loop: Header=BB99_133 Depth=2
	s_or_b32 exec_lo, exec_lo, s21
	s_and_saveexec_b32 s21, vcc_lo
	s_cbranch_execz .LBB99_132
; %bb.136:                              ;   in Loop: Header=BB99_133 Depth=2
	s_waitcnt lgkmcnt(0)
	v_xor_b32_e32 v2, 0x80000000, v4
	v_and_b32_e32 v8, s46, v3
	s_delay_alu instid0(VALU_DEP_2) | instskip(NEXT) | instid1(VALU_DEP_1)
	v_and_b32_e32 v9, s47, v2
	v_cmp_eq_u64_e32 vcc_lo, s[44:45], v[8:9]
	s_and_b32 exec_lo, exec_lo, vcc_lo
	s_cbranch_execz .LBB99_132
; %bb.137:                              ;   in Loop: Header=BB99_133 Depth=2
	v_mov_b32_e32 v2, v12
	ds_store_b128 v12, v[1:4] offset:3072
	s_branch .LBB99_132
.LBB99_138:                             ;   in Loop: Header=BB99_21 Depth=1
                                        ; implicit-def: $sgpr21
                                        ; implicit-def: $sgpr23
                                        ; implicit-def: $sgpr20
	s_branch .LBB99_155
.LBB99_139:                             ;   in Loop: Header=BB99_21 Depth=1
	s_or_b32 exec_lo, exec_lo, s9
	s_waitcnt vmcnt(0) lgkmcnt(0)
	s_barrier
	buffer_gl0_inv
	s_and_saveexec_b32 s7, s2
	s_cbranch_execz .LBB99_141
; %bb.140:                              ;   in Loop: Header=BB99_21 Depth=1
	ds_load_b32 v2, v12 offset:4112
	s_waitcnt lgkmcnt(0)
	ds_store_b32 v12, v2 offset:4104
.LBB99_141:                             ;   in Loop: Header=BB99_21 Depth=1
	s_or_b32 exec_lo, exec_lo, s7
	s_waitcnt lgkmcnt(0)
	s_mov_b32 s7, -1
	s_barrier
	s_and_b32 vcc_lo, exec_lo, s76
	s_cbranch_vccnz .LBB99_39
	s_branch .LBB99_49
.LBB99_142:                             ;   in Loop: Header=BB99_21 Depth=1
	s_mov_b32 s21, -1
	s_mov_b32 s13, 0
                                        ; implicit-def: $sgpr20
                                        ; implicit-def: $vgpr4_vgpr5
	s_mov_b32 s23, s21
	s_cbranch_execnz .LBB99_145
	s_branch .LBB99_155
.LBB99_143:                             ;   in Loop: Header=BB99_21 Depth=1
	s_set_inst_prefetch_distance 0x2
	s_or_b32 exec_lo, exec_lo, s20
	s_delay_alu instid0(SALU_CYCLE_1)
	s_and_b32 s13, s13, exec_lo
.LBB99_144:                             ;   in Loop: Header=BB99_21 Depth=1
	s_or_b32 exec_lo, exec_lo, s14
	s_mov_b32 s20, -1
	s_mov_b32 s21, 0
	s_delay_alu instid0(SALU_CYCLE_1)
	s_mov_b32 s23, s21
	s_branch .LBB99_155
.LBB99_145:                             ;   in Loop: Header=BB99_21 Depth=1
	s_mov_b32 s13, 0
                                        ; implicit-def: $vgpr4_vgpr5
	s_and_saveexec_b32 s14, s6
	s_cbranch_execz .LBB99_154
; %bb.146:                              ;   in Loop: Header=BB99_21 Depth=1
	v_dual_mov_b32 v11, v10 :: v_dual_mov_b32 v6, v0
	s_mov_b32 s15, 0
                                        ; implicit-def: $sgpr13
	s_set_inst_prefetch_distance 0x1
	s_branch .LBB99_148
	.p2align	6
.LBB99_147:                             ;   in Loop: Header=BB99_148 Depth=2
	s_or_b32 exec_lo, exec_lo, s7
	s_waitcnt vmcnt(0) lgkmcnt(0)
	s_barrier
	buffer_gl0_inv
	ds_load_b128 v[2:5], v12 offset:3072
	v_add_nc_u32_e32 v6, s49, v6
	v_add_nc_u32_e32 v11, s52, v11
	s_waitcnt lgkmcnt(0)
	s_barrier
	buffer_gl0_inv
	v_cmp_le_u32_e32 vcc_lo, s63, v6
	v_readfirstlane_b32 s21, v3
	v_readfirstlane_b32 s20, v2
	s_delay_alu instid0(VALU_DEP_1) | instskip(SKIP_1) | instid1(SALU_CYCLE_1)
	s_cmp_lg_u64 s[20:21], 0
	s_cselect_b32 s7, -1, 0
	s_or_b32 s20, vcc_lo, s7
	s_delay_alu instid0(SALU_CYCLE_1) | instskip(NEXT) | instid1(SALU_CYCLE_1)
	s_and_b32 s20, exec_lo, s20
	s_or_b32 s15, s20, s15
	s_and_not1_b32 s13, s13, exec_lo
	s_and_b32 s7, s7, exec_lo
	s_delay_alu instid0(SALU_CYCLE_1)
	s_or_b32 s13, s13, s7
	s_and_not1_b32 exec_lo, exec_lo, s15
	s_cbranch_execz .LBB99_153
.LBB99_148:                             ;   Parent Loop BB99_21 Depth=1
                                        ; =>  This Inner Loop Header: Depth=2
	v_mov_b32_e32 v3, 0
	v_mov_b32_e32 v4, 0
	v_cmp_gt_u32_e32 vcc_lo, s28, v6
	s_and_saveexec_b32 s20, vcc_lo
	s_cbranch_execz .LBB99_150
; %bb.149:                              ;   in Loop: Header=BB99_148 Depth=2
	v_lshlrev_b64 v[2:3], 3, v[11:12]
	s_delay_alu instid0(VALU_DEP_1) | instskip(NEXT) | instid1(VALU_DEP_1)
	v_add_co_u32 v2, s7, s31, v2
	v_add_co_ci_u32_e64 v3, s7, s40, v3, s7
	global_load_b64 v[3:4], v[2:3], off
.LBB99_150:                             ;   in Loop: Header=BB99_148 Depth=2
	s_or_b32 exec_lo, exec_lo, s20
	s_and_saveexec_b32 s7, vcc_lo
	s_cbranch_execz .LBB99_147
; %bb.151:                              ;   in Loop: Header=BB99_148 Depth=2
	s_waitcnt vmcnt(0)
	v_xor_b32_e32 v2, 0x80000000, v4
	v_and_b32_e32 v7, s46, v3
	s_delay_alu instid0(VALU_DEP_2) | instskip(NEXT) | instid1(VALU_DEP_1)
	v_and_b32_e32 v8, s47, v2
	v_cmp_eq_u64_e32 vcc_lo, s[44:45], v[7:8]
	s_and_b32 exec_lo, exec_lo, vcc_lo
	s_cbranch_execz .LBB99_147
; %bb.152:                              ;   in Loop: Header=BB99_148 Depth=2
	v_mov_b32_e32 v2, v12
	ds_store_b128 v12, v[1:4] offset:3072
	s_branch .LBB99_147
.LBB99_153:                             ;   in Loop: Header=BB99_21 Depth=1
	s_set_inst_prefetch_distance 0x2
	s_or_b32 exec_lo, exec_lo, s15
	s_delay_alu instid0(SALU_CYCLE_1)
	s_and_b32 s13, s13, exec_lo
.LBB99_154:                             ;   in Loop: Header=BB99_21 Depth=1
	s_or_b32 exec_lo, exec_lo, s14
	s_mov_b32 s23, -1
	s_mov_b32 s21, 0
	s_mov_b32 s20, 0
.LBB99_155:                             ;   in Loop: Header=BB99_21 Depth=1
	s_mov_b32 s14, 0
                                        ; implicit-def: $sgpr7
	s_and_saveexec_b32 s24, s13
	s_cbranch_execz .LBB99_251
; %bb.156:                              ;   in Loop: Header=BB99_21 Depth=1
	s_xor_b32 s7, s12, -1
	s_mov_b32 s75, 0
	s_and_not1_b32 vcc_lo, exec_lo, s7
	s_mov_b32 s77, 1
	s_cbranch_vccnz .LBB99_167
; %bb.157:                              ;   in Loop: Header=BB99_21 Depth=1
	s_cmp_gt_u32 s26, s25
	s_mov_b32 s75, -1
                                        ; implicit-def: $sgpr7
                                        ; implicit-def: $sgpr12_sgpr13
                                        ; implicit-def: $sgpr14_sgpr15
	s_cbranch_scc1 .LBB99_163
; %bb.158:                              ;   in Loop: Header=BB99_21 Depth=1
	ds_load_b32 v2, v12 offset:4104
	s_waitcnt lgkmcnt(0)
	v_cmp_ne_u32_e32 vcc_lo, 0, v2
	s_cbranch_vccnz .LBB99_162
; %bb.159:                              ;   in Loop: Header=BB99_21 Depth=1
	s_and_saveexec_b32 s7, s2
	s_cbranch_execz .LBB99_161
; %bb.160:                              ;   in Loop: Header=BB99_21 Depth=1
	v_mov_b32_e32 v2, s25
	ds_store_b32 v12, v2 offset:4108
.LBB99_161:                             ;   in Loop: Header=BB99_21 Depth=1
	s_or_b32 exec_lo, exec_lo, s7
	s_waitcnt lgkmcnt(0)
	s_barrier
	buffer_gl0_inv
.LBB99_162:                             ;   in Loop: Header=BB99_21 Depth=1
	s_lshl_b64 s[12:13], 1, s22
	s_and_b64 s[14:15], s[44:45], s[10:11]
	s_mov_b32 s75, 0
	s_or_b64 s[12:13], s[14:15], s[12:13]
	s_or_b64 s[14:15], s[46:47], s[8:9]
	s_mov_b32 s7, 8
.LBB99_163:                             ;   in Loop: Header=BB99_21 Depth=1
	s_and_not1_b32 vcc_lo, exec_lo, s75
	s_cbranch_vccnz .LBB99_165
; %bb.164:                              ;   in Loop: Header=BB99_21 Depth=1
	s_sub_i32 s26, s26, s25
	s_mov_b32 s75, -1
	s_mov_b32 s7, 0
	s_mov_b64 s[12:13], s[44:45]
	s_mov_b64 s[14:15], s[46:47]
.LBB99_165:                             ;   in Loop: Header=BB99_21 Depth=1
	s_delay_alu instid0(SALU_CYCLE_1)
	s_mov_b64 s[46:47], s[14:15]
	s_mov_b64 s[44:45], s[12:13]
	s_mov_b32 s77, s26
	s_and_not1_b32 vcc_lo, exec_lo, s75
	s_mov_b32 s14, -1
	s_cbranch_vccz .LBB99_168
.LBB99_166:                             ;   in Loop: Header=BB99_21 Depth=1
                                        ; implicit-def: $sgpr26
                                        ; implicit-def: $sgpr75
                                        ; implicit-def: $sgpr25
	s_branch .LBB99_250
.LBB99_167:                             ;   in Loop: Header=BB99_21 Depth=1
	s_mov_b32 s7, 1
	s_and_not1_b32 vcc_lo, exec_lo, s75
	s_mov_b32 s14, -1
	s_cbranch_vccnz .LBB99_166
.LBB99_168:                             ;   in Loop: Header=BB99_21 Depth=1
	s_cmp_eq_u32 s19, 1
	s_mov_b32 s13, -1
	s_cselect_b32 s7, -1, 0
	s_cmp_eq_u32 s77, 1
	s_cselect_b32 s12, -1, 0
	s_delay_alu instid0(SALU_CYCLE_1) | instskip(NEXT) | instid1(SALU_CYCLE_1)
	s_and_b32 s12, s7, s12
	s_and_b32 vcc_lo, exec_lo, s12
	s_cbranch_vccz .LBB99_180
; %bb.169:                              ;   in Loop: Header=BB99_21 Depth=1
	ds_load_b32 v2, v12 offset:4104
	s_waitcnt lgkmcnt(0)
	s_barrier
	buffer_gl0_inv
	v_readfirstlane_b32 s7, v2
	s_and_saveexec_b32 s13, s1
	s_cbranch_execz .LBB99_171
; %bb.170:                              ;   in Loop: Header=BB99_21 Depth=1
	v_mov_b32_e32 v11, v12
	ds_store_b64 v25, v[11:12]
.LBB99_171:                             ;   in Loop: Header=BB99_21 Depth=1
	s_or_b32 exec_lo, exec_lo, s13
	s_lshl_b64 s[14:15], 2, s22
	s_and_b64 s[44:45], s[44:45], s[10:11]
	s_or_b64 s[46:47], s[46:47], s[8:9]
	s_or_b64 s[44:45], s[44:45], s[14:15]
	s_cmp_eq_u32 s7, 0
	s_waitcnt lgkmcnt(0)
	s_barrier
	buffer_gl0_inv
	s_cbranch_scc1 .LBB99_181
; %bb.172:                              ;   in Loop: Header=BB99_21 Depth=1
	s_add_i32 s13, s7, s53
                                        ; implicit-def: $vgpr4_vgpr5
	s_delay_alu instid0(SALU_CYCLE_1) | instskip(NEXT) | instid1(SALU_CYCLE_1)
	s_mul_hi_u32 s14, s13, s62
	s_mul_i32 s14, s14, s49
	s_delay_alu instid0(SALU_CYCLE_1) | instskip(NEXT) | instid1(SALU_CYCLE_1)
	s_sub_i32 s14, s13, s14
	s_sub_i32 s15, s14, s49
	s_cmp_ge_u32 s14, s49
	s_cselect_b32 s14, s15, s14
	s_delay_alu instid0(SALU_CYCLE_1) | instskip(SKIP_2) | instid1(SALU_CYCLE_1)
	s_sub_i32 s15, s14, s49
	s_cmp_ge_u32 s14, s49
	s_cselect_b32 s14, s15, s14
	s_sub_i32 s15, s13, s14
	s_mov_b32 s13, 0
	s_mov_b32 s14, exec_lo
	v_cmpx_gt_u32_e64 s15, v0
	s_cbranch_execz .LBB99_183
; %bb.173:                              ;   in Loop: Header=BB99_21 Depth=1
	v_mov_b32_e32 v6, v24
	v_mov_b32_e32 v7, v0
	s_mov_b32 s25, 0
                                        ; implicit-def: $sgpr13
	s_set_inst_prefetch_distance 0x1
	s_branch .LBB99_175
	.p2align	6
.LBB99_174:                             ;   in Loop: Header=BB99_175 Depth=2
	s_or_b32 exec_lo, exec_lo, s26
	s_waitcnt lgkmcnt(0)
	s_barrier
	buffer_gl0_inv
	ds_load_b128 v[2:5], v12 offset:3072
	v_add_nc_u32_e32 v7, s49, v7
	v_add_nc_u32_e32 v6, s66, v6
	s_waitcnt lgkmcnt(0)
	s_barrier
	buffer_gl0_inv
	v_cmp_le_u32_e32 vcc_lo, s15, v7
	v_readfirstlane_b32 s79, v3
	v_readfirstlane_b32 s78, v2
	s_delay_alu instid0(VALU_DEP_1) | instskip(SKIP_1) | instid1(SALU_CYCLE_1)
	s_cmp_lg_u64 s[78:79], 0
	s_cselect_b32 s26, -1, 0
	s_or_b32 s75, vcc_lo, s26
	s_delay_alu instid0(SALU_CYCLE_1) | instskip(NEXT) | instid1(SALU_CYCLE_1)
	s_and_b32 s75, exec_lo, s75
	s_or_b32 s25, s75, s25
	s_and_not1_b32 s13, s13, exec_lo
	s_and_b32 s26, s26, exec_lo
	s_delay_alu instid0(SALU_CYCLE_1)
	s_or_b32 s13, s13, s26
	s_and_not1_b32 exec_lo, exec_lo, s25
	s_cbranch_execz .LBB99_182
.LBB99_175:                             ;   Parent Loop BB99_21 Depth=1
                                        ; =>  This Inner Loop Header: Depth=2
	v_mov_b32_e32 v3, 0
	v_mov_b32_e32 v4, 0
	v_cmp_gt_u32_e32 vcc_lo, s7, v7
	s_and_saveexec_b32 s26, vcc_lo
	s_cbranch_execz .LBB99_177
; %bb.176:                              ;   in Loop: Header=BB99_175 Depth=2
	ds_load_b64 v[3:4], v6
.LBB99_177:                             ;   in Loop: Header=BB99_175 Depth=2
	s_or_b32 exec_lo, exec_lo, s26
	s_and_saveexec_b32 s26, vcc_lo
	s_cbranch_execz .LBB99_174
; %bb.178:                              ;   in Loop: Header=BB99_175 Depth=2
	s_waitcnt lgkmcnt(0)
	v_xor_b32_e32 v2, 0x80000000, v4
	v_and_b32_e32 v8, s46, v3
	s_delay_alu instid0(VALU_DEP_2) | instskip(NEXT) | instid1(VALU_DEP_1)
	v_and_b32_e32 v9, s47, v2
	v_cmp_eq_u64_e32 vcc_lo, s[44:45], v[8:9]
	s_and_b32 exec_lo, exec_lo, vcc_lo
	s_cbranch_execz .LBB99_174
; %bb.179:                              ;   in Loop: Header=BB99_175 Depth=2
	v_mov_b32_e32 v2, v12
	ds_store_b128 v12, v[1:4] offset:3072
	s_branch .LBB99_174
.LBB99_180:                             ;   in Loop: Header=BB99_21 Depth=1
                                        ; implicit-def: $sgpr25
                                        ; implicit-def: $sgpr75
                                        ; implicit-def: $sgpr26
	s_branch .LBB99_194
.LBB99_181:                             ;   in Loop: Header=BB99_21 Depth=1
	s_mov_b32 s25, -1
	s_mov_b32 s13, 0
                                        ; implicit-def: $sgpr26
                                        ; implicit-def: $vgpr4_vgpr5
	s_mov_b32 s75, s25
	s_cbranch_execnz .LBB99_184
	s_branch .LBB99_194
.LBB99_182:                             ;   in Loop: Header=BB99_21 Depth=1
	s_set_inst_prefetch_distance 0x2
	s_or_b32 exec_lo, exec_lo, s25
	s_delay_alu instid0(SALU_CYCLE_1)
	s_and_b32 s13, s13, exec_lo
.LBB99_183:                             ;   in Loop: Header=BB99_21 Depth=1
	s_or_b32 exec_lo, exec_lo, s14
	s_mov_b32 s26, -1
	s_mov_b32 s25, 0
	s_delay_alu instid0(SALU_CYCLE_1)
	s_mov_b32 s75, s25
	s_branch .LBB99_194
.LBB99_184:                             ;   in Loop: Header=BB99_21 Depth=1
	s_mov_b32 s13, 0
                                        ; implicit-def: $vgpr4_vgpr5
	s_and_saveexec_b32 s14, s6
	s_cbranch_execz .LBB99_193
; %bb.185:                              ;   in Loop: Header=BB99_21 Depth=1
	v_dual_mov_b32 v11, v10 :: v_dual_mov_b32 v6, v0
	s_mov_b32 s15, 0
                                        ; implicit-def: $sgpr13
	s_set_inst_prefetch_distance 0x1
	s_branch .LBB99_187
	.p2align	6
.LBB99_186:                             ;   in Loop: Header=BB99_187 Depth=2
	s_or_b32 exec_lo, exec_lo, s7
	s_waitcnt vmcnt(0) lgkmcnt(0)
	s_barrier
	buffer_gl0_inv
	ds_load_b128 v[2:5], v12 offset:3072
	v_add_nc_u32_e32 v6, s49, v6
	v_add_nc_u32_e32 v11, s52, v11
	s_waitcnt lgkmcnt(0)
	s_barrier
	buffer_gl0_inv
	v_cmp_le_u32_e32 vcc_lo, s63, v6
	v_readfirstlane_b32 s79, v3
	v_readfirstlane_b32 s78, v2
	s_delay_alu instid0(VALU_DEP_1) | instskip(SKIP_1) | instid1(SALU_CYCLE_1)
	s_cmp_lg_u64 s[78:79], 0
	s_cselect_b32 s7, -1, 0
	s_or_b32 s25, vcc_lo, s7
	s_delay_alu instid0(SALU_CYCLE_1) | instskip(NEXT) | instid1(SALU_CYCLE_1)
	s_and_b32 s25, exec_lo, s25
	s_or_b32 s15, s25, s15
	s_and_not1_b32 s13, s13, exec_lo
	s_and_b32 s7, s7, exec_lo
	s_delay_alu instid0(SALU_CYCLE_1)
	s_or_b32 s13, s13, s7
	s_and_not1_b32 exec_lo, exec_lo, s15
	s_cbranch_execz .LBB99_192
.LBB99_187:                             ;   Parent Loop BB99_21 Depth=1
                                        ; =>  This Inner Loop Header: Depth=2
	v_mov_b32_e32 v3, 0
	v_mov_b32_e32 v4, 0
	v_cmp_gt_u32_e32 vcc_lo, s28, v6
	s_and_saveexec_b32 s25, vcc_lo
	s_cbranch_execz .LBB99_189
; %bb.188:                              ;   in Loop: Header=BB99_187 Depth=2
	v_lshlrev_b64 v[2:3], 3, v[11:12]
	s_delay_alu instid0(VALU_DEP_1) | instskip(NEXT) | instid1(VALU_DEP_1)
	v_add_co_u32 v2, s7, s31, v2
	v_add_co_ci_u32_e64 v3, s7, s40, v3, s7
	global_load_b64 v[3:4], v[2:3], off
.LBB99_189:                             ;   in Loop: Header=BB99_187 Depth=2
	s_or_b32 exec_lo, exec_lo, s25
	s_and_saveexec_b32 s7, vcc_lo
	s_cbranch_execz .LBB99_186
; %bb.190:                              ;   in Loop: Header=BB99_187 Depth=2
	s_waitcnt vmcnt(0)
	v_xor_b32_e32 v2, 0x80000000, v4
	v_and_b32_e32 v7, s46, v3
	s_delay_alu instid0(VALU_DEP_2) | instskip(NEXT) | instid1(VALU_DEP_1)
	v_and_b32_e32 v8, s47, v2
	v_cmp_eq_u64_e32 vcc_lo, s[44:45], v[7:8]
	s_and_b32 exec_lo, exec_lo, vcc_lo
	s_cbranch_execz .LBB99_186
; %bb.191:                              ;   in Loop: Header=BB99_187 Depth=2
	v_mov_b32_e32 v2, v12
	ds_store_b128 v12, v[1:4] offset:3072
	s_branch .LBB99_186
.LBB99_192:                             ;   in Loop: Header=BB99_21 Depth=1
	s_set_inst_prefetch_distance 0x2
	s_or_b32 exec_lo, exec_lo, s15
	s_delay_alu instid0(SALU_CYCLE_1)
	s_and_b32 s13, s13, exec_lo
.LBB99_193:                             ;   in Loop: Header=BB99_21 Depth=1
	s_or_b32 exec_lo, exec_lo, s14
	s_mov_b32 s75, -1
	s_mov_b32 s25, 0
	s_mov_b32 s26, 0
.LBB99_194:                             ;   in Loop: Header=BB99_21 Depth=1
	s_mov_b32 s14, 0
                                        ; implicit-def: $sgpr7
	s_and_saveexec_b32 s76, s13
	s_cbranch_execz .LBB99_249
; %bb.195:                              ;   in Loop: Header=BB99_21 Depth=1
	s_xor_b32 s7, s12, -1
	s_mov_b32 s78, 0
	s_and_not1_b32 vcc_lo, exec_lo, s7
	s_mov_b32 s12, 1
	s_cbranch_vccnz .LBB99_206
; %bb.196:                              ;   in Loop: Header=BB99_21 Depth=1
	s_cmp_gt_u32 s77, s19
	s_mov_b32 s78, -1
                                        ; implicit-def: $sgpr7
                                        ; implicit-def: $sgpr12_sgpr13
                                        ; implicit-def: $sgpr14_sgpr15
	s_cbranch_scc1 .LBB99_202
; %bb.197:                              ;   in Loop: Header=BB99_21 Depth=1
	ds_load_b32 v2, v12 offset:4104
	s_waitcnt lgkmcnt(0)
	v_cmp_ne_u32_e32 vcc_lo, 0, v2
	s_cbranch_vccnz .LBB99_201
; %bb.198:                              ;   in Loop: Header=BB99_21 Depth=1
	s_and_saveexec_b32 s7, s2
	s_cbranch_execz .LBB99_200
; %bb.199:                              ;   in Loop: Header=BB99_21 Depth=1
	v_mov_b32_e32 v2, s19
	ds_store_b32 v12, v2 offset:4108
.LBB99_200:                             ;   in Loop: Header=BB99_21 Depth=1
	s_or_b32 exec_lo, exec_lo, s7
	s_waitcnt lgkmcnt(0)
	s_barrier
	buffer_gl0_inv
.LBB99_201:                             ;   in Loop: Header=BB99_21 Depth=1
	s_lshl_b64 s[12:13], 2, s22
	s_and_b64 s[10:11], s[44:45], s[10:11]
	s_or_b64 s[14:15], s[46:47], s[8:9]
	s_or_b64 s[12:13], s[10:11], s[12:13]
	s_mov_b32 s78, 0
	s_mov_b32 s7, 8
.LBB99_202:                             ;   in Loop: Header=BB99_21 Depth=1
	s_and_not1_b32 vcc_lo, exec_lo, s78
	s_cbranch_vccnz .LBB99_204
; %bb.203:                              ;   in Loop: Header=BB99_21 Depth=1
	s_sub_i32 s77, s77, s19
	s_mov_b32 s78, -1
	s_mov_b32 s7, 0
	s_mov_b64 s[12:13], s[44:45]
	s_mov_b64 s[14:15], s[46:47]
.LBB99_204:                             ;   in Loop: Header=BB99_21 Depth=1
	s_delay_alu instid0(SALU_CYCLE_1)
	s_mov_b64 s[46:47], s[14:15]
	s_mov_b64 s[44:45], s[12:13]
	s_mov_b32 s12, s77
	s_and_not1_b32 vcc_lo, exec_lo, s78
	s_mov_b32 s22, -1
	s_cbranch_vccz .LBB99_207
.LBB99_205:                             ;   in Loop: Header=BB99_21 Depth=1
                                        ; implicit-def: $sgpr13
                                        ; implicit-def: $sgpr15
                                        ; implicit-def: $sgpr14
	s_branch .LBB99_248
.LBB99_206:                             ;   in Loop: Header=BB99_21 Depth=1
	s_mov_b32 s7, 1
	s_and_not1_b32 vcc_lo, exec_lo, s78
	s_mov_b32 s22, -1
	s_cbranch_vccnz .LBB99_205
.LBB99_207:                             ;   in Loop: Header=BB99_21 Depth=1
	s_cmp_eq_u32 s16, 1
	s_mov_b32 s11, -1
	s_cselect_b32 s7, -1, 0
	s_cmp_eq_u32 s12, 1
	s_cselect_b32 s10, -1, 0
	s_delay_alu instid0(SALU_CYCLE_1) | instskip(NEXT) | instid1(SALU_CYCLE_1)
	s_and_b32 s10, s7, s10
	s_and_b32 vcc_lo, exec_lo, s10
	s_cbranch_vccz .LBB99_219
; %bb.208:                              ;   in Loop: Header=BB99_21 Depth=1
	ds_load_b32 v2, v12 offset:4104
	s_waitcnt lgkmcnt(0)
	s_barrier
	buffer_gl0_inv
	v_readfirstlane_b32 s7, v2
	s_and_saveexec_b32 s11, s1
	s_cbranch_execz .LBB99_210
; %bb.209:                              ;   in Loop: Header=BB99_21 Depth=1
	v_mov_b32_e32 v11, v12
	ds_store_b64 v25, v[11:12]
.LBB99_210:                             ;   in Loop: Header=BB99_21 Depth=1
	s_or_b32 exec_lo, exec_lo, s11
	s_or_b64 s[44:45], s[44:45], s[8:9]
	s_or_b64 s[46:47], s[46:47], s[8:9]
	s_cmp_eq_u32 s7, 0
	s_waitcnt lgkmcnt(0)
	s_barrier
	buffer_gl0_inv
	s_cbranch_scc1 .LBB99_220
; %bb.211:                              ;   in Loop: Header=BB99_21 Depth=1
	s_add_i32 s11, s7, s53
                                        ; implicit-def: $vgpr4_vgpr5
	s_delay_alu instid0(SALU_CYCLE_1) | instskip(NEXT) | instid1(SALU_CYCLE_1)
	s_mul_hi_u32 s13, s11, s62
	s_mul_i32 s13, s13, s49
	s_delay_alu instid0(SALU_CYCLE_1) | instskip(NEXT) | instid1(SALU_CYCLE_1)
	s_sub_i32 s13, s11, s13
	s_sub_i32 s14, s13, s49
	s_cmp_ge_u32 s13, s49
	s_cselect_b32 s13, s14, s13
	s_delay_alu instid0(SALU_CYCLE_1) | instskip(SKIP_2) | instid1(SALU_CYCLE_1)
	s_sub_i32 s14, s13, s49
	s_cmp_ge_u32 s13, s49
	s_cselect_b32 s13, s14, s13
	s_sub_i32 s14, s11, s13
	s_mov_b32 s11, 0
	s_mov_b32 s13, exec_lo
	v_cmpx_gt_u32_e64 s14, v0
	s_cbranch_execz .LBB99_222
; %bb.212:                              ;   in Loop: Header=BB99_21 Depth=1
	v_mov_b32_e32 v6, v24
	v_mov_b32_e32 v7, v0
	s_mov_b32 s15, 0
                                        ; implicit-def: $sgpr11
	s_set_inst_prefetch_distance 0x1
	s_branch .LBB99_214
	.p2align	6
.LBB99_213:                             ;   in Loop: Header=BB99_214 Depth=2
	s_or_b32 exec_lo, exec_lo, s19
	s_waitcnt lgkmcnt(0)
	s_barrier
	buffer_gl0_inv
	ds_load_b128 v[2:5], v12 offset:3072
	v_add_nc_u32_e32 v7, s49, v7
	v_add_nc_u32_e32 v6, s66, v6
	s_waitcnt lgkmcnt(0)
	s_barrier
	buffer_gl0_inv
	v_cmp_le_u32_e32 vcc_lo, s14, v7
	v_readfirstlane_b32 s79, v3
	v_readfirstlane_b32 s78, v2
	s_delay_alu instid0(VALU_DEP_1) | instskip(SKIP_1) | instid1(SALU_CYCLE_1)
	s_cmp_lg_u64 s[78:79], 0
	s_cselect_b32 s19, -1, 0
	s_or_b32 s22, vcc_lo, s19
	s_delay_alu instid0(SALU_CYCLE_1) | instskip(NEXT) | instid1(SALU_CYCLE_1)
	s_and_b32 s22, exec_lo, s22
	s_or_b32 s15, s22, s15
	s_and_not1_b32 s11, s11, exec_lo
	s_and_b32 s19, s19, exec_lo
	s_delay_alu instid0(SALU_CYCLE_1)
	s_or_b32 s11, s11, s19
	s_and_not1_b32 exec_lo, exec_lo, s15
	s_cbranch_execz .LBB99_221
.LBB99_214:                             ;   Parent Loop BB99_21 Depth=1
                                        ; =>  This Inner Loop Header: Depth=2
	v_mov_b32_e32 v3, 0
	v_mov_b32_e32 v4, 0
	v_cmp_gt_u32_e32 vcc_lo, s7, v7
	s_and_saveexec_b32 s19, vcc_lo
	s_cbranch_execz .LBB99_216
; %bb.215:                              ;   in Loop: Header=BB99_214 Depth=2
	ds_load_b64 v[3:4], v6
.LBB99_216:                             ;   in Loop: Header=BB99_214 Depth=2
	s_or_b32 exec_lo, exec_lo, s19
	s_and_saveexec_b32 s19, vcc_lo
	s_cbranch_execz .LBB99_213
; %bb.217:                              ;   in Loop: Header=BB99_214 Depth=2
	s_waitcnt lgkmcnt(0)
	v_xor_b32_e32 v2, 0x80000000, v4
	v_and_b32_e32 v8, s46, v3
	s_delay_alu instid0(VALU_DEP_2) | instskip(NEXT) | instid1(VALU_DEP_1)
	v_and_b32_e32 v9, s47, v2
	v_cmp_eq_u64_e32 vcc_lo, s[44:45], v[8:9]
	s_and_b32 exec_lo, exec_lo, vcc_lo
	s_cbranch_execz .LBB99_213
; %bb.218:                              ;   in Loop: Header=BB99_214 Depth=2
	v_mov_b32_e32 v2, v12
	ds_store_b128 v12, v[1:4] offset:3072
	s_branch .LBB99_213
.LBB99_219:                             ;   in Loop: Header=BB99_21 Depth=1
                                        ; implicit-def: $sgpr13
                                        ; implicit-def: $sgpr15
                                        ; implicit-def: $sgpr14
	s_branch .LBB99_233
.LBB99_220:                             ;   in Loop: Header=BB99_21 Depth=1
	s_mov_b32 s13, -1
	s_mov_b32 s11, 0
                                        ; implicit-def: $sgpr14
                                        ; implicit-def: $vgpr4_vgpr5
	s_mov_b32 s15, s13
	s_cbranch_execnz .LBB99_223
	s_branch .LBB99_233
.LBB99_221:                             ;   in Loop: Header=BB99_21 Depth=1
	s_set_inst_prefetch_distance 0x2
	s_or_b32 exec_lo, exec_lo, s15
	s_delay_alu instid0(SALU_CYCLE_1)
	s_and_b32 s11, s11, exec_lo
.LBB99_222:                             ;   in Loop: Header=BB99_21 Depth=1
	s_or_b32 exec_lo, exec_lo, s13
	s_mov_b32 s14, -1
	s_mov_b32 s13, 0
	s_delay_alu instid0(SALU_CYCLE_1)
	s_mov_b32 s15, s13
	s_branch .LBB99_233
.LBB99_223:                             ;   in Loop: Header=BB99_21 Depth=1
	s_mov_b32 s11, 0
                                        ; implicit-def: $vgpr4_vgpr5
	s_and_saveexec_b32 s13, s6
	s_cbranch_execz .LBB99_232
; %bb.224:                              ;   in Loop: Header=BB99_21 Depth=1
	v_dual_mov_b32 v11, v10 :: v_dual_mov_b32 v6, v0
	s_mov_b32 s14, 0
                                        ; implicit-def: $sgpr11
	s_set_inst_prefetch_distance 0x1
	s_branch .LBB99_226
	.p2align	6
.LBB99_225:                             ;   in Loop: Header=BB99_226 Depth=2
	s_or_b32 exec_lo, exec_lo, s7
	s_waitcnt vmcnt(0) lgkmcnt(0)
	s_barrier
	buffer_gl0_inv
	ds_load_b128 v[2:5], v12 offset:3072
	v_add_nc_u32_e32 v6, s49, v6
	v_add_nc_u32_e32 v11, s52, v11
	s_waitcnt lgkmcnt(0)
	s_barrier
	buffer_gl0_inv
	v_cmp_le_u32_e32 vcc_lo, s63, v6
	v_readfirstlane_b32 s79, v3
	v_readfirstlane_b32 s78, v2
	s_delay_alu instid0(VALU_DEP_1) | instskip(SKIP_1) | instid1(SALU_CYCLE_1)
	s_cmp_lg_u64 s[78:79], 0
	s_cselect_b32 s7, -1, 0
	s_or_b32 s15, vcc_lo, s7
	s_delay_alu instid0(SALU_CYCLE_1) | instskip(NEXT) | instid1(SALU_CYCLE_1)
	s_and_b32 s15, exec_lo, s15
	s_or_b32 s14, s15, s14
	s_and_not1_b32 s11, s11, exec_lo
	s_and_b32 s7, s7, exec_lo
	s_delay_alu instid0(SALU_CYCLE_1)
	s_or_b32 s11, s11, s7
	s_and_not1_b32 exec_lo, exec_lo, s14
	s_cbranch_execz .LBB99_231
.LBB99_226:                             ;   Parent Loop BB99_21 Depth=1
                                        ; =>  This Inner Loop Header: Depth=2
	v_mov_b32_e32 v3, 0
	v_mov_b32_e32 v4, 0
	v_cmp_gt_u32_e32 vcc_lo, s28, v6
	s_and_saveexec_b32 s15, vcc_lo
	s_cbranch_execz .LBB99_228
; %bb.227:                              ;   in Loop: Header=BB99_226 Depth=2
	v_lshlrev_b64 v[2:3], 3, v[11:12]
	s_delay_alu instid0(VALU_DEP_1) | instskip(NEXT) | instid1(VALU_DEP_1)
	v_add_co_u32 v2, s7, s31, v2
	v_add_co_ci_u32_e64 v3, s7, s40, v3, s7
	global_load_b64 v[3:4], v[2:3], off
.LBB99_228:                             ;   in Loop: Header=BB99_226 Depth=2
	s_or_b32 exec_lo, exec_lo, s15
	s_and_saveexec_b32 s7, vcc_lo
	s_cbranch_execz .LBB99_225
; %bb.229:                              ;   in Loop: Header=BB99_226 Depth=2
	s_waitcnt vmcnt(0)
	v_xor_b32_e32 v2, 0x80000000, v4
	v_and_b32_e32 v7, s46, v3
	s_delay_alu instid0(VALU_DEP_2) | instskip(NEXT) | instid1(VALU_DEP_1)
	v_and_b32_e32 v8, s47, v2
	v_cmp_eq_u64_e32 vcc_lo, s[44:45], v[7:8]
	s_and_b32 exec_lo, exec_lo, vcc_lo
	s_cbranch_execz .LBB99_225
; %bb.230:                              ;   in Loop: Header=BB99_226 Depth=2
	v_mov_b32_e32 v2, v12
	ds_store_b128 v12, v[1:4] offset:3072
	s_branch .LBB99_225
.LBB99_231:                             ;   in Loop: Header=BB99_21 Depth=1
	s_set_inst_prefetch_distance 0x2
	s_or_b32 exec_lo, exec_lo, s14
	s_delay_alu instid0(SALU_CYCLE_1)
	s_and_b32 s11, s11, exec_lo
.LBB99_232:                             ;   in Loop: Header=BB99_21 Depth=1
	s_or_b32 exec_lo, exec_lo, s13
	s_mov_b32 s15, -1
	s_mov_b32 s13, 0
	s_mov_b32 s14, 0
.LBB99_233:                             ;   in Loop: Header=BB99_21 Depth=1
	s_mov_b32 s22, 0
                                        ; implicit-def: $sgpr7
	s_and_saveexec_b32 s19, s11
	s_cbranch_execz .LBB99_247
; %bb.234:                              ;   in Loop: Header=BB99_21 Depth=1
	s_xor_b32 s7, s10, -1
	s_delay_alu instid0(SALU_CYCLE_1)
	s_and_not1_b32 vcc_lo, exec_lo, s7
	s_mov_b32 s7, 1
	s_cbranch_vccnz .LBB99_241
; %bb.235:                              ;   in Loop: Header=BB99_21 Depth=1
	s_cmp_gt_u32 s12, s16
	s_cbranch_scc1 .LBB99_242
; %bb.236:                              ;   in Loop: Header=BB99_21 Depth=1
	ds_load_b32 v2, v12 offset:4104
	s_waitcnt lgkmcnt(0)
	v_cmp_ne_u32_e32 vcc_lo, 0, v2
	s_cbranch_vccnz .LBB99_240
; %bb.237:                              ;   in Loop: Header=BB99_21 Depth=1
	s_and_saveexec_b32 s7, s2
	s_cbranch_execz .LBB99_239
; %bb.238:                              ;   in Loop: Header=BB99_21 Depth=1
	v_mov_b32_e32 v2, s16
	ds_store_b32 v12, v2 offset:4108
.LBB99_239:                             ;   in Loop: Header=BB99_21 Depth=1
	s_or_b32 exec_lo, exec_lo, s7
	s_waitcnt lgkmcnt(0)
	s_barrier
	buffer_gl0_inv
.LBB99_240:                             ;   in Loop: Header=BB99_21 Depth=1
	s_or_b64 s[10:11], s[44:45], s[8:9]
	s_or_b64 s[8:9], s[46:47], s[8:9]
	s_mov_b32 s7, 8
	s_branch .LBB99_243
.LBB99_241:                             ;   in Loop: Header=BB99_21 Depth=1
	s_mov_b32 s12, 1
	s_branch .LBB99_246
.LBB99_242:                             ;   in Loop: Header=BB99_21 Depth=1
	s_mov_b32 s22, -1
                                        ; implicit-def: $sgpr7
                                        ; implicit-def: $sgpr10_sgpr11
                                        ; implicit-def: $sgpr8_sgpr9
.LBB99_243:                             ;   in Loop: Header=BB99_21 Depth=1
	s_delay_alu instid0(SALU_CYCLE_1)
	s_and_not1_b32 vcc_lo, exec_lo, s22
	s_cbranch_vccnz .LBB99_245
; %bb.244:                              ;   in Loop: Header=BB99_21 Depth=1
	s_sub_i32 s12, s12, s16
	s_mov_b32 s7, 8
	s_mov_b64 s[10:11], s[44:45]
	s_mov_b64 s[8:9], s[46:47]
.LBB99_245:                             ;   in Loop: Header=BB99_21 Depth=1
	s_mov_b64 s[44:45], s[10:11]
	s_mov_b64 s[46:47], s[8:9]
.LBB99_246:                             ;   in Loop: Header=BB99_21 Depth=1
	s_mov_b32 s22, exec_lo
.LBB99_247:                             ;   in Loop: Header=BB99_21 Depth=1
	s_or_b32 exec_lo, exec_lo, s19
.LBB99_248:                             ;   in Loop: Header=BB99_21 Depth=1
	s_delay_alu instid0(SALU_CYCLE_1)
	s_and_not1_b32 s8, s25, exec_lo
	s_and_b32 s9, s13, exec_lo
	s_and_not1_b32 s10, s26, exec_lo
	s_or_b32 s25, s8, s9
	s_and_not1_b32 s8, s75, exec_lo
	s_and_b32 s9, s15, exec_lo
	s_and_b32 s11, s14, exec_lo
	s_or_b32 s75, s8, s9
	s_or_b32 s26, s10, s11
	s_and_b32 s14, s22, exec_lo
	s_mov_b32 s77, s12
.LBB99_249:                             ;   in Loop: Header=BB99_21 Depth=1
	s_or_b32 exec_lo, exec_lo, s76
.LBB99_250:                             ;   in Loop: Header=BB99_21 Depth=1
	s_delay_alu instid0(SALU_CYCLE_1)
	s_and_not1_b32 s8, s21, exec_lo
	s_and_b32 s9, s25, exec_lo
	s_and_not1_b32 s10, s20, exec_lo
	s_or_b32 s21, s8, s9
	s_and_not1_b32 s8, s23, exec_lo
	s_and_b32 s9, s75, exec_lo
	s_and_b32 s11, s26, exec_lo
	s_or_b32 s23, s8, s9
	s_or_b32 s20, s10, s11
	s_and_b32 s14, s14, exec_lo
	s_mov_b32 s26, s77
.LBB99_251:                             ;   in Loop: Header=BB99_21 Depth=1
	s_or_b32 exec_lo, exec_lo, s24
                                        ; implicit-def: $sgpr75
	s_and_saveexec_b32 s8, s14
	s_delay_alu instid0(SALU_CYCLE_1)
	s_xor_b32 s8, exec_lo, s8
	s_cbranch_execz .LBB99_19
.LBB99_252:                             ;   in Loop: Header=BB99_21 Depth=1
	s_and_b32 s7, s7, -9
	s_delay_alu instid0(SALU_CYCLE_1)
	s_cmp_eq_u32 s7, 0
	s_cbranch_scc1 .LBB99_17
; %bb.253:                              ;   in Loop: Header=BB99_21 Depth=1
	s_mov_b32 s7, -1
	s_mov_b32 s9, -1
                                        ; implicit-def: $sgpr46_sgpr47
                                        ; implicit-def: $sgpr26
                                        ; implicit-def: $sgpr69
                                        ; implicit-def: $sgpr73
	s_branch .LBB99_18
.LBB99_254:
	s_or_b32 exec_lo, exec_lo, s41
	s_xor_b32 s4, s70, -1
	s_xor_b32 s1, s67, -1
	;; [unrolled: 1-line block ×3, first 2 shown]
	s_mov_b32 s2, 0
	s_and_saveexec_b32 s5, s1
	s_delay_alu instid0(SALU_CYCLE_1)
	s_xor_b32 s1, exec_lo, s5
	s_cbranch_execz .LBB99_268
; %bb.255:
	s_and_saveexec_b32 s2, s4
	s_delay_alu instid0(SALU_CYCLE_1)
	s_xor_b32 s4, exec_lo, s2
	s_cbranch_execz .LBB99_266
; %bb.256:
	s_and_saveexec_b32 s2, s3
	s_delay_alu instid0(SALU_CYCLE_1)
	s_xor_b32 s2, exec_lo, s2
; %bb.257:
	v_xor_b32_e32 v3, 0x80000000, v3
	s_delay_alu instid0(VALU_DEP_1)
	v_dual_mov_b32 v5, v3 :: v_dual_mov_b32 v4, v2
; %bb.258:
	s_or_b32 exec_lo, exec_lo, s2
	s_mul_i32 s2, s34, s29
	s_mov_b32 s3, 0
	s_add_i32 s2, s2, s27
	v_mov_b32_e32 v11, 0
	s_lshl_b64 s[6:7], s[2:3], 3
	s_delay_alu instid0(SALU_CYCLE_1)
	s_add_u32 s6, s38, s6
	s_addc_u32 s7, s39, s7
	global_store_b64 v11, v[4:5], s[6:7]
	s_and_saveexec_b32 s2, s0
	s_cbranch_execz .LBB99_265
; %bb.259:
                                        ; implicit-def: $sgpr0
                                        ; implicit-def: $sgpr6
                                        ; implicit-def: $sgpr5
	s_set_inst_prefetch_distance 0x1
	s_branch .LBB99_261
	.p2align	6
.LBB99_260:                             ;   in Loop: Header=BB99_261 Depth=1
	s_or_b32 exec_lo, exec_lo, s7
	s_delay_alu instid0(SALU_CYCLE_1) | instskip(NEXT) | instid1(SALU_CYCLE_1)
	s_and_b32 s7, exec_lo, s6
	s_or_b32 s3, s7, s3
	s_and_not1_b32 s0, s0, exec_lo
	s_and_b32 s7, s5, exec_lo
	s_delay_alu instid0(SALU_CYCLE_1)
	s_or_b32 s0, s0, s7
	s_and_not1_b32 exec_lo, exec_lo, s3
	s_cbranch_execz .LBB99_263
.LBB99_261:                             ; =>This Inner Loop Header: Depth=1
	v_lshlrev_b64 v[1:2], 3, v[10:11]
	s_or_b32 s5, s5, exec_lo
	s_or_b32 s6, s6, exec_lo
	s_delay_alu instid0(VALU_DEP_1) | instskip(NEXT) | instid1(VALU_DEP_2)
	v_add_co_u32 v1, vcc_lo, s31, v1
	v_add_co_ci_u32_e32 v2, vcc_lo, s40, v2, vcc_lo
	global_load_b64 v[1:2], v[1:2], off
	s_waitcnt vmcnt(0)
	v_cmp_ne_u64_e32 vcc_lo, v[1:2], v[4:5]
	v_mov_b32_e32 v1, v0
                                        ; implicit-def: $vgpr0
	s_and_saveexec_b32 s7, vcc_lo
	s_cbranch_execz .LBB99_260
; %bb.262:                              ;   in Loop: Header=BB99_261 Depth=1
	s_delay_alu instid0(VALU_DEP_1) | instskip(SKIP_3) | instid1(VALU_DEP_2)
	v_add_nc_u32_e32 v0, s49, v1
	s_and_not1_b32 s6, s6, exec_lo
	v_add_nc_u32_e32 v10, s52, v10
	s_and_not1_b32 s5, s5, exec_lo
	v_cmp_le_u32_e32 vcc_lo, s28, v0
	s_and_b32 s8, vcc_lo, exec_lo
	s_delay_alu instid0(SALU_CYCLE_1)
	s_or_b32 s6, s6, s8
	s_branch .LBB99_260
.LBB99_263:
	s_set_inst_prefetch_distance 0x2
	s_or_b32 exec_lo, exec_lo, s3
	s_and_saveexec_b32 s3, s0
	s_delay_alu instid0(SALU_CYCLE_1)
	s_xor_b32 s3, exec_lo, s3
	s_cbranch_execz .LBB99_265
; %bb.264:
	s_mul_i32 s0, s48, s33
	s_mov_b32 s7, 0
	s_add_i32 s6, s0, s35
	v_mov_b32_e32 v2, 0
	s_lshl_b64 s[6:7], s[6:7], 3
	s_delay_alu instid0(SALU_CYCLE_1)
	s_add_u32 s6, s36, s6
	s_addc_u32 s7, s37, s7
	global_store_b64 v2, v[1:2], s[6:7]
.LBB99_265:
	s_or_b32 exec_lo, exec_lo, s2
.LBB99_266:
	s_or_saveexec_b32 s0, s4
	s_mov_b32 s2, 0
	s_xor_b32 exec_lo, exec_lo, s0
	s_cbranch_execnz .LBB99_274
.LBB99_267:
	s_or_b32 exec_lo, exec_lo, s0
	s_delay_alu instid0(SALU_CYCLE_1)
	s_and_b32 s2, s2, exec_lo
.LBB99_268:
	s_and_not1_saveexec_b32 s0, s1
	s_cbranch_execnz .LBB99_272
; %bb.269:
	s_or_b32 exec_lo, exec_lo, s0
	s_and_saveexec_b32 s0, s2
.LBB99_270:
	; divergent unreachable
.LBB99_271:
	s_nop 0
	s_sendmsg sendmsg(MSG_DEALLOC_VGPRS)
	s_endpgm
.LBB99_272:
	s_cbranch_execnz .LBB99_276
; %bb.273:
	s_or_b32 s2, s2, exec_lo
	s_or_b32 exec_lo, exec_lo, s0
	s_and_saveexec_b32 s0, s2
	s_cbranch_execnz .LBB99_270
	s_branch .LBB99_271
.LBB99_274:
	s_cbranch_execnz .LBB99_278
; %bb.275:
	s_mov_b32 s2, exec_lo
	s_branch .LBB99_267
.LBB99_276:
	s_trap 2
	s_sendmsg_rtn_b32 s0, sendmsg(MSG_RTN_GET_DOORBELL)
	s_mov_b32 ttmp2, m0
	s_waitcnt lgkmcnt(0)
	s_and_b32 s0, s0, 0x3ff
	s_delay_alu instid0(SALU_CYCLE_1) | instskip(NEXT) | instid1(SALU_CYCLE_1)
	s_bitset1_b32 s0, 10
	s_mov_b32 m0, s0
	s_sendmsg sendmsg(MSG_INTERRUPT)
	s_mov_b32 m0, ttmp2
.LBB99_277:                             ; =>This Inner Loop Header: Depth=1
	s_sethalt 5
	s_branch .LBB99_277
.LBB99_278:
	s_trap 2
	s_sendmsg_rtn_b32 s0, sendmsg(MSG_RTN_GET_DOORBELL)
	s_mov_b32 ttmp2, m0
	s_waitcnt lgkmcnt(0)
	s_and_b32 s0, s0, 0x3ff
	s_delay_alu instid0(SALU_CYCLE_1) | instskip(NEXT) | instid1(SALU_CYCLE_1)
	s_bitset1_b32 s0, 10
	s_mov_b32 m0, s0
	s_sendmsg sendmsg(MSG_INTERRUPT)
	s_mov_b32 m0, ttmp2
.LBB99_279:                             ; =>This Inner Loop Header: Depth=1
	s_sethalt 5
	s_branch .LBB99_279
	.section	.rodata,"a",@progbits
	.p2align	6, 0x0
	.amdhsa_kernel _ZN2at6native12_GLOBAL__N_112gatherMedianIljLin1EEEvNS_4cuda6detail10TensorInfoIT_T0_EENS5_IlS7_EENS5_IKS6_S7_EES7_S7_S7_b
		.amdhsa_group_segment_fixed_size 4120
		.amdhsa_private_segment_fixed_size 0
		.amdhsa_kernarg_size 920
		.amdhsa_user_sgpr_count 13
		.amdhsa_user_sgpr_dispatch_ptr 0
		.amdhsa_user_sgpr_queue_ptr 0
		.amdhsa_user_sgpr_kernarg_segment_ptr 1
		.amdhsa_user_sgpr_dispatch_id 0
		.amdhsa_user_sgpr_private_segment_size 0
		.amdhsa_wavefront_size32 1
		.amdhsa_uses_dynamic_stack 0
		.amdhsa_enable_private_segment 0
		.amdhsa_system_sgpr_workgroup_id_x 1
		.amdhsa_system_sgpr_workgroup_id_y 1
		.amdhsa_system_sgpr_workgroup_id_z 1
		.amdhsa_system_sgpr_workgroup_info 0
		.amdhsa_system_vgpr_workitem_id 0
		.amdhsa_next_free_vgpr 49
		.amdhsa_next_free_sgpr 85
		.amdhsa_reserve_vcc 1
		.amdhsa_float_round_mode_32 0
		.amdhsa_float_round_mode_16_64 0
		.amdhsa_float_denorm_mode_32 3
		.amdhsa_float_denorm_mode_16_64 3
		.amdhsa_dx10_clamp 1
		.amdhsa_ieee_mode 1
		.amdhsa_fp16_overflow 0
		.amdhsa_workgroup_processor_mode 1
		.amdhsa_memory_ordered 1
		.amdhsa_forward_progress 0
		.amdhsa_shared_vgpr_count 0
		.amdhsa_exception_fp_ieee_invalid_op 0
		.amdhsa_exception_fp_denorm_src 0
		.amdhsa_exception_fp_ieee_div_zero 0
		.amdhsa_exception_fp_ieee_overflow 0
		.amdhsa_exception_fp_ieee_underflow 0
		.amdhsa_exception_fp_ieee_inexact 0
		.amdhsa_exception_int_div_zero 0
	.end_amdhsa_kernel
	.section	.text._ZN2at6native12_GLOBAL__N_112gatherMedianIljLin1EEEvNS_4cuda6detail10TensorInfoIT_T0_EENS5_IlS7_EENS5_IKS6_S7_EES7_S7_S7_b,"axG",@progbits,_ZN2at6native12_GLOBAL__N_112gatherMedianIljLin1EEEvNS_4cuda6detail10TensorInfoIT_T0_EENS5_IlS7_EENS5_IKS6_S7_EES7_S7_S7_b,comdat
.Lfunc_end99:
	.size	_ZN2at6native12_GLOBAL__N_112gatherMedianIljLin1EEEvNS_4cuda6detail10TensorInfoIT_T0_EENS5_IlS7_EENS5_IKS6_S7_EES7_S7_S7_b, .Lfunc_end99-_ZN2at6native12_GLOBAL__N_112gatherMedianIljLin1EEEvNS_4cuda6detail10TensorInfoIT_T0_EENS5_IlS7_EENS5_IKS6_S7_EES7_S7_S7_b
                                        ; -- End function
	.section	.AMDGPU.csdata,"",@progbits
; Kernel info:
; codeLenInByte = 10504
; NumSgprs: 87
; NumVgprs: 49
; ScratchSize: 0
; MemoryBound: 0
; FloatMode: 240
; IeeeMode: 1
; LDSByteSize: 4120 bytes/workgroup (compile time only)
; SGPRBlocks: 10
; VGPRBlocks: 6
; NumSGPRsForWavesPerEU: 87
; NumVGPRsForWavesPerEU: 49
; Occupancy: 16
; WaveLimiterHint : 1
; COMPUTE_PGM_RSRC2:SCRATCH_EN: 0
; COMPUTE_PGM_RSRC2:USER_SGPR: 13
; COMPUTE_PGM_RSRC2:TRAP_HANDLER: 0
; COMPUTE_PGM_RSRC2:TGID_X_EN: 1
; COMPUTE_PGM_RSRC2:TGID_Y_EN: 1
; COMPUTE_PGM_RSRC2:TGID_Z_EN: 1
; COMPUTE_PGM_RSRC2:TIDIG_COMP_CNT: 0
	.section	.text._ZN2at6native12_GLOBAL__N_112gatherMedianIlmLi1EEEvNS_4cuda6detail10TensorInfoIT_T0_EENS5_IlS7_EENS5_IKS6_S7_EES7_S7_S7_b,"axG",@progbits,_ZN2at6native12_GLOBAL__N_112gatherMedianIlmLi1EEEvNS_4cuda6detail10TensorInfoIT_T0_EENS5_IlS7_EENS5_IKS6_S7_EES7_S7_S7_b,comdat
	.globl	_ZN2at6native12_GLOBAL__N_112gatherMedianIlmLi1EEEvNS_4cuda6detail10TensorInfoIT_T0_EENS5_IlS7_EENS5_IKS6_S7_EES7_S7_S7_b ; -- Begin function _ZN2at6native12_GLOBAL__N_112gatherMedianIlmLi1EEEvNS_4cuda6detail10TensorInfoIT_T0_EENS5_IlS7_EENS5_IKS6_S7_EES7_S7_S7_b
	.p2align	8
	.type	_ZN2at6native12_GLOBAL__N_112gatherMedianIlmLi1EEEvNS_4cuda6detail10TensorInfoIT_T0_EENS5_IlS7_EENS5_IKS6_S7_EES7_S7_S7_b,@function
_ZN2at6native12_GLOBAL__N_112gatherMedianIlmLi1EEEvNS_4cuda6detail10TensorInfoIT_T0_EENS5_IlS7_EENS5_IKS6_S7_EES7_S7_S7_b: ; @_ZN2at6native12_GLOBAL__N_112gatherMedianIlmLi1EEEvNS_4cuda6detail10TensorInfoIT_T0_EENS5_IlS7_EENS5_IKS6_S7_EES7_S7_S7_b
; %bb.0:
	s_clause 0x1
	s_load_b64 s[6:7], s[0:1], 0x500
	s_load_b128 s[24:27], s[0:1], 0x4e0
	s_add_u32 s4, s0, 0x500
	s_addc_u32 s5, s1, 0
	s_mov_b32 s29, 0
	s_waitcnt lgkmcnt(0)
	s_mul_i32 s2, s7, s15
	s_delay_alu instid0(SALU_CYCLE_1) | instskip(NEXT) | instid1(SALU_CYCLE_1)
	s_add_i32 s2, s2, s14
	s_mul_i32 s2, s2, s6
	s_delay_alu instid0(SALU_CYCLE_1) | instskip(NEXT) | instid1(SALU_CYCLE_1)
	s_add_i32 s28, s2, s13
	v_cmp_ge_u64_e64 s2, s[28:29], s[26:27]
	s_delay_alu instid0(VALU_DEP_1)
	s_and_b32 vcc_lo, exec_lo, s2
	s_cbranch_vccnz .LBB100_297
; %bb.1:
	s_load_b64 s[34:35], s[0:1], 0x4f0
	v_cmp_eq_u32_e64 s2, 0, v0
	s_delay_alu instid0(VALU_DEP_1)
	s_and_saveexec_b32 s3, s2
	s_cbranch_execz .LBB100_3
; %bb.2:
	v_mov_b32_e32 v1, 0
	s_delay_alu instid0(VALU_DEP_1)
	v_mov_b32_e32 v2, v1
	ds_store_b64 v1, v[1:2] offset:5136
.LBB100_3:
	s_or_b32 exec_lo, exec_lo, s3
	v_mov_b32_e32 v1, 0
	s_waitcnt lgkmcnt(0)
	s_barrier
	buffer_gl0_inv
	s_barrier
	buffer_gl0_inv
	ds_load_b64 v[1:2], v1 offset:5136
	s_clause 0x2
	s_load_b32 s3, s[0:1], 0x4f8
	s_load_b64 s[10:11], s[0:1], 0x410
	s_load_b64 s[8:9], s[0:1], 0x340
	s_mov_b64 s[40:41], s[24:25]
	s_waitcnt lgkmcnt(0)
	v_readfirstlane_b32 s14, v1
	v_readfirstlane_b32 s15, v2
	s_bitcmp1_b32 s3, 0
	s_cselect_b32 s3, -1, 0
	s_delay_alu instid0(VALU_DEP_1) | instskip(NEXT) | instid1(VALU_DEP_1)
	v_cmp_lt_i64_e64 s7, s[14:15], 1
	s_or_b32 s3, s3, s7
	s_delay_alu instid0(SALU_CYCLE_1)
	s_and_not1_b32 vcc_lo, exec_lo, s3
	s_cbranch_vccnz .LBB100_5
; %bb.4:
	s_not_b64 s[14:15], s[14:15]
	s_delay_alu instid0(SALU_CYCLE_1) | instskip(SKIP_1) | instid1(SALU_CYCLE_1)
	s_add_u32 s14, s14, s24
	s_addc_u32 s15, s15, s25
	s_lshr_b64 s[14:15], s[14:15], 1
	s_delay_alu instid0(SALU_CYCLE_1)
	s_add_u32 s40, s14, 1
	s_addc_u32 s41, s15, 0
.LBB100_5:
	s_clause 0x3
	s_load_b64 s[30:31], s[0:1], 0x270
	s_load_b64 s[26:27], s[0:1], 0x1a0
	s_load_b64 s[38:39], s[0:1], 0xd0
	s_load_b64 s[36:37], s[0:1], 0x0
	s_and_saveexec_b32 s0, s2
	s_cbranch_execz .LBB100_7
; %bb.6:
	v_dual_mov_b32 v1, 0 :: v_dual_mov_b32 v4, s25
	s_delay_alu instid0(VALU_DEP_1)
	v_dual_mov_b32 v3, s24 :: v_dual_mov_b32 v2, v1
	ds_store_b32 v1, v1 offset:5144
	ds_store_b128 v1, v[1:4] offset:5120
.LBB100_7:
	s_or_b32 exec_lo, exec_lo, s0
	v_mad_u64_u32 v[2:3], null, v0, s34, 0
	v_lshlrev_b32_e32 v36, 5, v0
	v_mbcnt_lo_u32_b32 v32, -1, 0
	s_mul_i32 s0, s11, s28
	s_mul_hi_u32 s1, s10, s28
	v_cmp_gt_u32_e32 vcc_lo, 32, v0
	v_or_b32_e32 v10, 16, v36
	v_mad_u64_u32 v[4:5], null, v0, s35, v[3:4]
	v_mov_b32_e32 v18, 0
	s_add_i32 s1, s1, s0
	s_mul_i32 s0, s10, s28
	v_cmp_gt_i32_e64 s3, 4, v32
	v_mad_u64_u32 v[23:24], null, s34, v10, 0
	s_delay_alu instid0(VALU_DEP_4)
	v_mov_b32_e32 v3, v4
	s_lshl_b64 s[0:1], s[0:1], 3
	s_waitcnt lgkmcnt(0)
	s_add_u32 s44, s8, s0
	s_addc_u32 s45, s9, s1
	v_lshlrev_b64 v[4:5], 3, v[2:3]
	s_barrier
	buffer_gl0_inv
	s_load_b32 s7, s[4:5], 0xc
	s_and_b32 s33, vcc_lo, s3
	v_lshrrev_b32_e32 v6, 3, v0
	v_add_co_u32 v15, vcc_lo, s44, v4
	v_add_co_ci_u32_e32 v16, vcc_lo, s45, v5, vcc_lo
	v_lshlrev_b64 v[4:5], v32, -1
	v_mov_b32_e32 v5, v24
	v_or_b32_e32 v9, 24, v36
	v_or_b32_e32 v11, 8, v36
	v_dual_mov_b32 v20, v18 :: v_dual_lshlrev_b32 v33, 3, v0
	v_not_b32_e32 v37, v4
	s_delay_alu instid0(VALU_DEP_4)
	v_mad_u64_u32 v[21:22], null, s34, v9, 0
	v_lshlrev_b32_e32 v19, 2, v0
	v_mad_u64_u32 v[25:26], null, s34, v11, 0
	v_and_b32_e32 v35, 0x7c, v6
	s_waitcnt lgkmcnt(0)
	s_and_b32 s29, s7, 0xffff
	s_bfe_u32 s8, s7, 0xb0005
	s_delay_alu instid0(VALU_DEP_4)
	v_mov_b32_e32 v4, v22
	s_add_u32 s73, s29, -1
	s_addc_u32 s74, 0, -1
	v_mov_b32_e32 v6, v26
	s_add_u32 s75, s73, s24
	v_mad_u64_u32 v[7:8], null, s35, v9, v[4:5]
	s_addc_u32 s49, s74, s25
	s_cmp_lt_u32 s13, s6
	v_mad_u64_u32 v[8:9], null, s35, v10, v[5:6]
	s_cselect_b32 s6, 12, 18
	v_dual_mov_b32 v1, v18 :: v_dual_add_nc_u32 v34, 0xc00, v33
	s_delay_alu instid0(VALU_DEP_3)
	v_mad_u64_u32 v[4:5], null, s35, v11, v[6:7]
	s_add_u32 s50, s4, s6
	s_addc_u32 s51, s5, 0
	s_add_i32 s4, s8, -1
	s_bfe_u32 s76, s29, 0x30005
	s_cmp_gt_u32 s4, 6
	v_cmp_gt_u64_e64 s0, s[24:25], v[0:1]
	s_cselect_b32 s77, -1, 0
	s_and_b32 s78, s8, 0x7f8
	v_cmp_lt_u64_e64 s72, 0x180, s[24:25]
	s_cmp_lg_u32 s76, 0
	v_dual_mov_b32 v22, v7 :: v_dual_mov_b32 v5, 0
	v_lshlrev_b64 v[26:27], 5, v[2:3]
	s_mul_i32 s4, s35, s29
	s_mul_hi_u32 s5, s34, s29
	v_cmp_eq_u32_e64 s1, 0, v32
	v_cmp_gt_u32_e64 s3, 2, v0
	v_cmp_gt_u16_e64 s79, s7, 31
	v_mov_b32_e32 v24, v8
	v_mov_b32_e32 v38, v4
	v_lshl_or_b32 v39, v32, 3, 0xc00
	v_mov_b32_e32 v6, 0
	v_mov_b32_e32 v2, 1
	s_cselect_b32 s80, -1, 0
	s_add_i32 s5, s5, s4
	s_mul_i32 s4, s34, s29
	s_mov_b32 s47, 0
	s_lshl_b64 s[52:53], s[34:35], 3
	s_lshl_b64 s[54:55], s[34:35], 5
	s_lshl_b32 s81, s29, 3
	s_lshl_b64 s[42:43], s[4:5], 3
	s_mov_b32 s85, 62
	s_mov_b64 s[56:57], 0
	s_mov_b32 s82, 0
	s_mov_b32 s89, 0
	s_mov_b64 s[58:59], 0
                                        ; implicit-def: $sgpr83
                                        ; implicit-def: $sgpr86
                                        ; implicit-def: $sgpr84
                                        ; implicit-def: $sgpr88
                                        ; implicit-def: $sgpr90
                                        ; implicit-def: $sgpr87
	s_branch .LBB100_12
.LBB100_8:                              ;   in Loop: Header=BB100_12 Depth=1
	s_xor_b32 s89, s89, 1
	s_add_i32 s7, s85, -2
	s_cmp_eq_u32 s85, 0
	s_mov_b32 s5, 0
	s_cselect_b32 s6, -1, 0
	s_mov_b32 s85, s7
.LBB100_9:                              ;   in Loop: Header=BB100_12 Depth=1
	s_and_not1_b32 s7, s22, exec_lo
	s_and_b32 s5, s5, exec_lo
	s_and_not1_b32 s23, s23, exec_lo
	s_or_b32 s22, s7, s5
	s_and_not1_b32 s19, s19, exec_lo
	s_or_not1_b32 s18, s6, exec_lo
.LBB100_10:                             ;   in Loop: Header=BB100_12 Depth=1
	s_or_b32 exec_lo, exec_lo, s4
	s_delay_alu instid0(SALU_CYCLE_1)
	s_and_not1_b32 s4, s87, exec_lo
	s_and_b32 s5, s22, exec_lo
	s_and_not1_b32 s6, s88, exec_lo
	s_or_b32 s87, s4, s5
	s_and_not1_b32 s4, s90, exec_lo
	s_and_b32 s5, s23, exec_lo
	s_and_b32 s7, s19, exec_lo
	s_or_b32 s90, s4, s5
	s_or_b32 s88, s6, s7
	s_or_not1_b32 s22, s18, exec_lo
.LBB100_11:                             ;   in Loop: Header=BB100_12 Depth=1
	s_or_b32 exec_lo, exec_lo, s20
	s_delay_alu instid0(SALU_CYCLE_1)
	s_and_b32 s4, exec_lo, s22
	v_dual_mov_b32 v3, s56 :: v_dual_mov_b32 v4, s57
	s_or_b32 s82, s4, s82
	s_and_not1_b32 s4, s84, exec_lo
	s_and_b32 s5, s87, exec_lo
	s_and_not1_b32 s6, s83, exec_lo
	s_or_b32 s84, s4, s5
	s_and_not1_b32 s4, s86, exec_lo
	s_and_b32 s5, s90, exec_lo
	s_and_b32 s7, s88, exec_lo
	s_or_b32 s86, s4, s5
	s_or_b32 s83, s6, s7
	s_and_not1_b32 exec_lo, exec_lo, s82
	s_cbranch_execz .LBB100_280
.LBB100_12:                             ; =>This Loop Header: Depth=1
                                        ;     Child Loop BB100_20 Depth 2
                                        ;     Child Loop BB100_38 Depth 2
                                        ;     Child Loop BB100_65 Depth 2
                                        ;     Child Loop BB100_69 Depth 2
                                        ;     Child Loop BB100_51 Depth 2
                                        ;     Child Loop BB100_58 Depth 2
                                        ;     Child Loop BB100_78 Depth 2
                                        ;     Child Loop BB100_83 Depth 2
                                        ;     Child Loop BB100_110 Depth 2
                                        ;     Child Loop BB100_95 Depth 2
                                        ;     Child Loop BB100_157 Depth 2
                                        ;     Child Loop BB100_140 Depth 2
                                        ;     Child Loop BB100_204 Depth 2
                                        ;     Child Loop BB100_187 Depth 2
                                        ;     Child Loop BB100_251 Depth 2
                                        ;     Child Loop BB100_234 Depth 2
	ds_load_b128 v[7:10], v18 offset:5120
	s_waitcnt lgkmcnt(0)
	v_readfirstlane_b32 s61, v8
	v_readfirstlane_b32 s60, v7
	s_delay_alu instid0(VALU_DEP_1)
	s_cmp_lg_u64 s[60:61], 0
	s_cbranch_scc1 .LBB100_45
; %bb.13:                               ;   in Loop: Header=BB100_12 Depth=1
	s_and_b32 vcc_lo, exec_lo, s72
	s_cbranch_vccz .LBB100_28
; %bb.14:                               ;   in Loop: Header=BB100_12 Depth=1
	v_cmp_gt_u64_e32 vcc_lo, 0x181, v[9:10]
	s_mov_b32 s6, 0
	s_mov_b32 s4, 0
	s_cbranch_vccz .LBB100_29
; %bb.15:                               ;   in Loop: Header=BB100_12 Depth=1
	v_mov_b32_e32 v3, 0
	v_mov_b32_e32 v4, 0
	s_and_saveexec_b32 s4, s0
	s_cbranch_execz .LBB100_17
; %bb.16:                               ;   in Loop: Header=BB100_12 Depth=1
	global_load_b64 v[3:4], v[15:16], off
.LBB100_17:                             ;   in Loop: Header=BB100_12 Depth=1
	s_or_b32 exec_lo, exec_lo, s4
	s_and_saveexec_b32 s7, s0
	s_cbranch_execz .LBB100_30
; %bb.18:                               ;   in Loop: Header=BB100_12 Depth=1
	global_load_u16 v11, v18, s[50:51]
	s_mov_b32 s10, 0
	s_waitcnt vmcnt(0)
	v_readfirstlane_b32 s4, v11
	s_delay_alu instid0(VALU_DEP_1) | instskip(NEXT) | instid1(SALU_CYCLE_1)
	s_and_b32 s4, 0xffff, s4
	v_add_nc_u32_e32 v12, s4, v0
	s_mul_i32 s5, s53, s4
	s_mul_hi_u32 s8, s52, s4
	s_mul_i32 s9, s52, s4
	s_add_i32 s8, s8, s5
	v_mad_u64_u32 v[7:8], null, s52, v12, s[44:45]
	s_delay_alu instid0(VALU_DEP_1) | instskip(NEXT) | instid1(VALU_DEP_1)
	v_mad_u64_u32 v[9:10], null, s53, v12, v[8:9]
	v_dual_mov_b32 v8, v9 :: v_dual_and_b32 v13, 0xffff, v11
	v_dual_mov_b32 v10, v1 :: v_dual_mov_b32 v9, v0
	s_branch .LBB100_20
.LBB100_19:                             ;   in Loop: Header=BB100_20 Depth=2
	s_or_b32 exec_lo, exec_lo, s5
	v_add_co_u32 v7, vcc_lo, v7, s9
	v_add_co_ci_u32_e32 v8, vcc_lo, s8, v8, vcc_lo
	s_waitcnt vmcnt(0)
	v_dual_mov_b32 v3, v11 :: v_dual_mov_b32 v4, v12
	s_and_not1_b32 exec_lo, exec_lo, s10
	s_cbranch_execz .LBB100_30
.LBB100_20:                             ;   Parent Loop BB100_12 Depth=1
                                        ; =>  This Inner Loop Header: Depth=2
	s_delay_alu instid0(VALU_DEP_1) | instskip(NEXT) | instid1(VALU_DEP_2)
	v_add_co_u32 v9, vcc_lo, v9, v13
	v_add_co_ci_u32_e32 v10, vcc_lo, 0, v10, vcc_lo
	v_mov_b32_e32 v11, 0
	v_mov_b32_e32 v12, 0
	s_mov_b32 s5, exec_lo
	s_delay_alu instid0(VALU_DEP_3)
	v_cmp_le_u64_e32 vcc_lo, s[24:25], v[9:10]
	v_cmpx_gt_u64_e64 s[24:25], v[9:10]
	s_cbranch_execz .LBB100_22
; %bb.21:                               ;   in Loop: Header=BB100_20 Depth=2
	global_load_b64 v[11:12], v[7:8], off
.LBB100_22:                             ;   in Loop: Header=BB100_20 Depth=2
	s_or_b32 exec_lo, exec_lo, s5
	s_waitcnt lgkmcnt(0)
	v_xor_b32_e32 v14, 0x80000000, v4
	v_and_b32_e32 v28, s58, v3
	s_delay_alu instid0(VALU_DEP_2) | instskip(NEXT) | instid1(VALU_DEP_1)
	v_dual_mov_b32 v14, 0 :: v_dual_and_b32 v29, s59, v14
	v_cmp_eq_u64_e64 s4, s[56:57], v[28:29]
	s_delay_alu instid0(VALU_DEP_1) | instskip(SKIP_1) | instid1(SALU_CYCLE_1)
	s_cmp_lg_u32 s4, 0
	s_cselect_b32 s5, -1, 0
	s_and_b32 s5, s1, s5
	s_delay_alu instid0(SALU_CYCLE_1)
	s_and_saveexec_b32 s11, s5
	s_cbranch_execz .LBB100_26
; %bb.23:                               ;   in Loop: Header=BB100_20 Depth=2
	s_mov_b32 s14, exec_lo
	s_bcnt1_i32_b32 s12, s4
	v_mbcnt_lo_u32_b32 v14, s14, 0
	s_mov_b32 s13, exec_lo
                                        ; implicit-def: $vgpr17
	s_delay_alu instid0(VALU_DEP_1)
	v_cmpx_eq_u32_e32 0, v14
	s_cbranch_execz .LBB100_25
; %bb.24:                               ;   in Loop: Header=BB100_20 Depth=2
	s_bcnt1_i32_b32 s5, s14
	s_delay_alu instid0(SALU_CYCLE_1) | instskip(NEXT) | instid1(SALU_CYCLE_1)
	s_mul_i32 s5, s12, s5
	v_mov_b32_e32 v17, s5
	ds_add_rtn_u32 v17, v18, v17 offset:5144
.LBB100_25:                             ;   in Loop: Header=BB100_20 Depth=2
	s_or_b32 exec_lo, exec_lo, s13
	s_waitcnt lgkmcnt(0)
	v_readfirstlane_b32 s5, v17
	s_delay_alu instid0(VALU_DEP_1)
	v_mad_u32_u24 v14, s12, v14, s5
.LBB100_26:                             ;   in Loop: Header=BB100_20 Depth=2
	s_or_b32 exec_lo, exec_lo, s11
	ds_bpermute_b32 v14, v18, v14
	s_and_b32 s5, exec_lo, vcc_lo
	s_delay_alu instid0(SALU_CYCLE_1)
	s_or_b32 s10, s5, s10
	s_and_saveexec_b32 s5, s4
	s_cbranch_execz .LBB100_19
; %bb.27:                               ;   in Loop: Header=BB100_20 Depth=2
	v_and_b32_e32 v17, s4, v37
	s_delay_alu instid0(VALU_DEP_1) | instskip(NEXT) | instid1(VALU_DEP_1)
	v_bcnt_u32_b32 v17, v17, 0
	v_lshlrev_b32_e32 v17, 3, v17
	s_waitcnt lgkmcnt(0)
	s_delay_alu instid0(VALU_DEP_1)
	v_lshl_add_u32 v14, v14, 3, v17
	ds_store_b64 v14, v[3:4]
	s_branch .LBB100_19
.LBB100_28:                             ;   in Loop: Header=BB100_12 Depth=1
	s_mov_b32 s4, 0
                                        ; implicit-def: $sgpr60_sgpr61
	s_cbranch_execnz .LBB100_33
	s_branch .LBB100_43
.LBB100_29:                             ;   in Loop: Header=BB100_12 Depth=1
	s_mov_b64 s[60:61], 0
	s_and_b32 vcc_lo, exec_lo, s6
	s_cbranch_vccnz .LBB100_33
	s_branch .LBB100_43
.LBB100_30:                             ;   in Loop: Header=BB100_12 Depth=1
	s_or_b32 exec_lo, exec_lo, s7
	s_waitcnt vmcnt(0) lgkmcnt(0)
	s_barrier
	buffer_gl0_inv
	s_and_saveexec_b32 s4, s2
	s_cbranch_execz .LBB100_32
; %bb.31:                               ;   in Loop: Header=BB100_12 Depth=1
	ds_load_b32 v3, v18 offset:5144
	s_waitcnt lgkmcnt(0)
	v_ashrrev_i32_e32 v4, 31, v3
	ds_store_b64 v18, v[3:4] offset:5120
.LBB100_32:                             ;   in Loop: Header=BB100_12 Depth=1
	s_or_b32 exec_lo, exec_lo, s4
	s_waitcnt lgkmcnt(0)
	s_mov_b32 s4, -1
	s_barrier
	s_mov_b64 s[60:61], 0
	s_and_b32 vcc_lo, exec_lo, s6
	s_cbranch_vccz .LBB100_43
.LBB100_33:                             ;   in Loop: Header=BB100_12 Depth=1
	v_mov_b32_e32 v3, 0
	v_mov_b32_e32 v4, 0
	s_and_saveexec_b32 s4, s0
	s_cbranch_execz .LBB100_35
; %bb.34:                               ;   in Loop: Header=BB100_12 Depth=1
	global_load_b64 v[3:4], v[15:16], off
.LBB100_35:                             ;   in Loop: Header=BB100_12 Depth=1
	s_or_b32 exec_lo, exec_lo, s4
	s_and_saveexec_b32 s5, s0
	s_cbranch_execz .LBB100_40
; %bb.36:                               ;   in Loop: Header=BB100_12 Depth=1
	global_load_u16 v11, v18, s[50:51]
	s_mov_b32 s9, 0
	v_mov_b32_e32 v13, v33
	s_waitcnt vmcnt(0)
	v_readfirstlane_b32 s4, v11
	v_and_b32_e32 v14, 0xffff, v11
	s_delay_alu instid0(VALU_DEP_2) | instskip(NEXT) | instid1(SALU_CYCLE_1)
	s_and_b32 s4, 0xffff, s4
	v_add_nc_u32_e32 v12, s4, v0
	s_mul_i32 s7, s53, s4
	s_mul_hi_u32 s8, s52, s4
	s_lshl_b32 s6, s4, 3
	s_add_i32 s7, s8, s7
	v_mad_u64_u32 v[7:8], null, s52, v12, s[44:45]
	s_mul_i32 s8, s52, s4
	s_delay_alu instid0(VALU_DEP_1) | instskip(NEXT) | instid1(VALU_DEP_1)
	v_mad_u64_u32 v[9:10], null, s53, v12, v[8:9]
	v_mov_b32_e32 v8, v9
	v_dual_mov_b32 v10, v1 :: v_dual_mov_b32 v9, v0
	s_set_inst_prefetch_distance 0x1
	s_branch .LBB100_38
	.p2align	6
.LBB100_37:                             ;   in Loop: Header=BB100_38 Depth=2
	s_or_b32 exec_lo, exec_lo, s10
	s_delay_alu instid0(SALU_CYCLE_1)
	s_and_b32 s4, exec_lo, vcc_lo
	v_add_co_u32 v7, vcc_lo, v7, s8
	ds_store_b64 v13, v[3:4]
	s_waitcnt vmcnt(0)
	v_mov_b32_e32 v3, v11
	v_dual_mov_b32 v4, v12 :: v_dual_add_nc_u32 v13, s6, v13
	v_add_co_ci_u32_e32 v8, vcc_lo, s7, v8, vcc_lo
	s_or_b32 s9, s4, s9
	s_delay_alu instid0(SALU_CYCLE_1)
	s_and_not1_b32 exec_lo, exec_lo, s9
	s_cbranch_execz .LBB100_40
.LBB100_38:                             ;   Parent Loop BB100_12 Depth=1
                                        ; =>  This Inner Loop Header: Depth=2
	s_delay_alu instid0(VALU_DEP_1) | instskip(NEXT) | instid1(VALU_DEP_2)
	v_add_co_u32 v9, vcc_lo, v9, v14
	v_add_co_ci_u32_e32 v10, vcc_lo, 0, v10, vcc_lo
	v_mov_b32_e32 v11, 0
	v_mov_b32_e32 v12, 0
	s_mov_b32 s10, exec_lo
	s_delay_alu instid0(VALU_DEP_3)
	v_cmp_le_u64_e32 vcc_lo, s[24:25], v[9:10]
	v_cmpx_gt_u64_e64 s[24:25], v[9:10]
	s_cbranch_execz .LBB100_37
; %bb.39:                               ;   in Loop: Header=BB100_38 Depth=2
	global_load_b64 v[11:12], v[7:8], off
	s_branch .LBB100_37
.LBB100_40:                             ;   in Loop: Header=BB100_12 Depth=1
	s_set_inst_prefetch_distance 0x2
	s_or_b32 exec_lo, exec_lo, s5
	s_waitcnt vmcnt(0) lgkmcnt(0)
	s_barrier
	buffer_gl0_inv
	s_and_saveexec_b32 s4, s2
	s_cbranch_execz .LBB100_42
; %bb.41:                               ;   in Loop: Header=BB100_12 Depth=1
	v_dual_mov_b32 v3, s24 :: v_dual_mov_b32 v4, s25
	ds_store_b64 v18, v[3:4] offset:5120
.LBB100_42:                             ;   in Loop: Header=BB100_12 Depth=1
	s_or_b32 exec_lo, exec_lo, s4
	s_mov_b32 s4, -1
	s_waitcnt lgkmcnt(0)
	s_barrier
                                        ; implicit-def: $sgpr60_sgpr61
.LBB100_43:                             ;   in Loop: Header=BB100_12 Depth=1
	s_and_b32 vcc_lo, exec_lo, s4
	s_cbranch_vccz .LBB100_45
; %bb.44:                               ;   in Loop: Header=BB100_12 Depth=1
	buffer_gl0_inv
	ds_load_b64 v[3:4], v18 offset:5120
	s_waitcnt lgkmcnt(0)
	v_readfirstlane_b32 s60, v3
.LBB100_45:                             ;   in Loop: Header=BB100_12 Depth=1
	s_delay_alu instid0(VALU_DEP_1)
	s_cmp_lt_i32 s60, 1
	s_cbranch_scc0 .LBB100_60
; %bb.46:                               ;   in Loop: Header=BB100_12 Depth=1
	global_load_u16 v3, v18, s[50:51]
	s_mov_b32 s5, s25
	s_waitcnt vmcnt(0)
	v_readfirstlane_b32 s4, v3
	s_delay_alu instid0(VALU_DEP_1)
	s_and_b32 s46, s4, 0xffff
	s_mov_b32 s4, s47
	s_lshl_b32 s48, s46, 2
	s_cmp_lg_u64 s[4:5], 0
	s_cbranch_scc0 .LBB100_80
; %bb.47:                               ;   in Loop: Header=BB100_12 Depth=1
	v_cvt_f32_u32_e32 v3, s48
	s_sub_u32 s6, 0, s48
	s_subb_u32 s7, 0, 0
	s_delay_alu instid0(VALU_DEP_1) | instskip(NEXT) | instid1(VALU_DEP_1)
	v_fmac_f32_e64 v3, 0, 0x4f800000
	v_rcp_f32_e32 v3, v3
	s_waitcnt_depctr 0xfff
	v_mul_f32_e32 v3, 0x5f7ffffc, v3
	s_delay_alu instid0(VALU_DEP_1) | instskip(NEXT) | instid1(VALU_DEP_1)
	v_mul_f32_e32 v4, 0x2f800000, v3
	v_trunc_f32_e32 v4, v4
	s_delay_alu instid0(VALU_DEP_1) | instskip(SKIP_1) | instid1(VALU_DEP_2)
	v_fmac_f32_e32 v3, 0xcf800000, v4
	v_cvt_u32_f32_e32 v4, v4
	v_cvt_u32_f32_e32 v3, v3
	s_delay_alu instid0(VALU_DEP_2) | instskip(NEXT) | instid1(VALU_DEP_2)
	v_readfirstlane_b32 s4, v4
	v_readfirstlane_b32 s5, v3
	s_delay_alu instid0(VALU_DEP_2) | instskip(NEXT) | instid1(VALU_DEP_1)
	s_mul_i32 s8, s6, s4
	s_mul_hi_u32 s10, s6, s5
	s_mul_i32 s9, s7, s5
	s_add_i32 s8, s10, s8
	s_mul_i32 s11, s6, s5
	s_add_i32 s8, s8, s9
	s_mul_hi_u32 s10, s5, s11
	s_mul_hi_u32 s12, s4, s11
	s_mul_i32 s9, s4, s11
	s_mul_hi_u32 s11, s5, s8
	s_mul_i32 s5, s5, s8
	s_mul_hi_u32 s13, s4, s8
	s_add_u32 s5, s10, s5
	s_addc_u32 s10, 0, s11
	s_add_u32 s5, s5, s9
	s_mul_i32 s8, s4, s8
	s_addc_u32 s5, s10, s12
	s_addc_u32 s9, s13, 0
	s_add_u32 s5, s5, s8
	s_addc_u32 s8, 0, s9
	v_add_co_u32 v3, s5, v3, s5
	s_delay_alu instid0(VALU_DEP_1) | instskip(SKIP_1) | instid1(VALU_DEP_1)
	s_cmp_lg_u32 s5, 0
	s_addc_u32 s4, s4, s8
	v_readfirstlane_b32 s5, v3
	s_mul_i32 s8, s6, s4
	s_delay_alu instid0(VALU_DEP_1)
	s_mul_hi_u32 s9, s6, s5
	s_mul_i32 s7, s7, s5
	s_add_i32 s8, s9, s8
	s_mul_i32 s6, s6, s5
	s_add_i32 s8, s8, s7
	s_mul_hi_u32 s9, s4, s6
	s_mul_i32 s10, s4, s6
	s_mul_hi_u32 s6, s5, s6
	s_mul_hi_u32 s11, s5, s8
	s_mul_i32 s5, s5, s8
	s_mul_hi_u32 s7, s4, s8
	s_add_u32 s5, s6, s5
	s_addc_u32 s6, 0, s11
	s_add_u32 s5, s5, s10
	s_mul_i32 s8, s4, s8
	s_addc_u32 s5, s6, s9
	s_addc_u32 s6, s7, 0
	s_add_u32 s5, s5, s8
	s_addc_u32 s6, 0, s6
	v_add_co_u32 v3, s5, v3, s5
	s_delay_alu instid0(VALU_DEP_1) | instskip(SKIP_1) | instid1(VALU_DEP_1)
	s_cmp_lg_u32 s5, 0
	s_addc_u32 s4, s4, s6
	v_readfirstlane_b32 s5, v3
	s_mul_i32 s7, s24, s4
	s_mul_hi_u32 s6, s24, s4
	s_mul_hi_u32 s8, s25, s4
	s_mul_i32 s4, s25, s4
	s_mul_hi_u32 s9, s24, s5
	s_mul_hi_u32 s10, s25, s5
	s_mul_i32 s5, s25, s5
	s_add_u32 s7, s9, s7
	s_addc_u32 s6, 0, s6
	s_add_u32 s5, s7, s5
	s_addc_u32 s5, s6, s10
	s_addc_u32 s6, s8, 0
	s_add_u32 s4, s5, s4
	s_addc_u32 s5, 0, s6
	s_mul_hi_u32 s6, s48, s4
	s_mul_i32 s4, s48, s4
	s_mul_i32 s5, s48, s5
	v_sub_co_u32 v3, s4, s24, s4
	s_add_i32 s6, s6, s5
	s_cmp_lg_u32 s4, 0
	s_delay_alu instid0(VALU_DEP_1) | instskip(SKIP_2) | instid1(VALU_DEP_1)
	v_sub_co_u32 v4, s4, v3, s48
	s_subb_u32 s5, s25, s6
	s_cmp_lg_u32 s4, 0
	v_cmp_le_u32_e32 vcc_lo, s48, v4
	v_sub_co_u32 v7, s4, v4, s48
	s_subb_u32 s6, s5, 0
	s_cmp_lg_u32 s4, 0
	v_cndmask_b32_e64 v8, 0, -1, vcc_lo
	s_subb_u32 s4, s6, 0
	s_cmp_eq_u32 s6, 0
	v_mov_b32_e32 v10, s4
	s_cselect_b32 vcc_lo, -1, 0
	s_cmp_eq_u32 s5, 0
	v_cndmask_b32_e32 v8, -1, v8, vcc_lo
	v_cmp_le_u32_e32 vcc_lo, s48, v3
	s_cselect_b32 s4, -1, 0
	v_cndmask_b32_e64 v9, 0, -1, vcc_lo
	s_delay_alu instid0(VALU_DEP_3) | instskip(NEXT) | instid1(VALU_DEP_2)
	v_cmp_ne_u32_e32 vcc_lo, 0, v8
	v_cndmask_b32_e64 v8, -1, v9, s4
	v_cndmask_b32_e32 v9, s6, v10, vcc_lo
	v_cndmask_b32_e32 v7, v4, v7, vcc_lo
	s_delay_alu instid0(VALU_DEP_3) | instskip(NEXT) | instid1(VALU_DEP_3)
	v_cmp_ne_u32_e32 vcc_lo, 0, v8
	v_cndmask_b32_e32 v4, s5, v9, vcc_lo
	s_delay_alu instid0(VALU_DEP_3)
	v_cndmask_b32_e32 v3, v3, v7, vcc_lo
	s_cbranch_execnz .LBB100_49
.LBB100_48:                             ;   in Loop: Header=BB100_12 Depth=1
	v_cvt_f32_u32_e32 v3, s48
	s_sub_i32 s4, 0, s48
	s_delay_alu instid0(VALU_DEP_1) | instskip(SKIP_2) | instid1(VALU_DEP_1)
	v_rcp_iflag_f32_e32 v3, v3
	s_waitcnt_depctr 0xfff
	v_mul_f32_e32 v3, 0x4f7ffffe, v3
	v_cvt_u32_f32_e32 v3, v3
	s_delay_alu instid0(VALU_DEP_1) | instskip(NEXT) | instid1(VALU_DEP_1)
	v_mul_lo_u32 v4, s4, v3
	v_mul_hi_u32 v4, v3, v4
	s_delay_alu instid0(VALU_DEP_1) | instskip(NEXT) | instid1(VALU_DEP_1)
	v_add_nc_u32_e32 v3, v3, v4
	v_mul_hi_u32 v3, s24, v3
	s_delay_alu instid0(VALU_DEP_1) | instskip(NEXT) | instid1(VALU_DEP_1)
	v_mul_lo_u32 v3, v3, s48
	v_sub_nc_u32_e32 v3, s24, v3
	s_delay_alu instid0(VALU_DEP_1) | instskip(SKIP_1) | instid1(VALU_DEP_2)
	v_subrev_nc_u32_e32 v4, s48, v3
	v_cmp_le_u32_e32 vcc_lo, s48, v3
	v_cndmask_b32_e32 v3, v3, v4, vcc_lo
	s_delay_alu instid0(VALU_DEP_1) | instskip(SKIP_1) | instid1(VALU_DEP_2)
	v_subrev_nc_u32_e32 v4, s48, v3
	v_cmp_le_u32_e32 vcc_lo, s48, v3
	v_cndmask_b32_e32 v17, v3, v4, vcc_lo
	s_delay_alu instid0(VALU_DEP_1)
	v_dual_mov_b32 v3, v17 :: v_dual_mov_b32 v4, v18
.LBB100_49:                             ;   in Loop: Header=BB100_12 Depth=1
	v_mov_b32_e32 v7, 0
	v_mov_b32_e32 v8, 0
	s_delay_alu instid0(VALU_DEP_3) | instskip(NEXT) | instid1(VALU_DEP_4)
	v_sub_co_u32 v3, vcc_lo, s24, v3
	v_sub_co_ci_u32_e32 v4, vcc_lo, s25, v4, vcc_lo
	s_delay_alu instid0(VALU_DEP_3)
	v_dual_mov_b32 v10, v8 :: v_dual_mov_b32 v9, v7
	v_dual_mov_b32 v12, v8 :: v_dual_mov_b32 v11, v7
	;; [unrolled: 1-line block ×3, first 2 shown]
	s_mov_b64 s[62:63], 0
	s_mov_b32 s61, exec_lo
	v_cmpx_gt_u64_e64 v[3:4], v[19:20]
	s_cbranch_execz .LBB100_53
; %bb.50:                               ;   in Loop: Header=BB100_12 Depth=1
	v_dual_mov_b32 v29, v20 :: v_dual_mov_b32 v28, v19
	s_mul_i32 s4, s55, s46
	s_mul_hi_u32 s5, s54, s46
	s_and_b32 s91, s85, 0xfe
	s_add_i32 s92, s5, s4
	s_mul_i32 s93, s54, s46
	s_mov_b32 s94, 0
	s_mov_b64 s[64:65], s[44:45]
	s_mov_b64 s[66:67], 0
	;; [unrolled: 1-line block ×4, first 2 shown]
.LBB100_51:                             ;   Parent Loop BB100_12 Depth=1
                                        ; =>  This Inner Loop Header: Depth=2
	v_add_co_u32 v7, vcc_lo, s64, v26
	v_add_co_ci_u32_e32 v8, vcc_lo, s65, v27, vcc_lo
	v_add_co_u32 v9, vcc_lo, s64, v25
	v_add_co_ci_u32_e32 v10, vcc_lo, s65, v38, vcc_lo
	;; [unrolled: 2-line block ×4, first 2 shown]
	s_clause 0x3
	global_load_b64 v[7:8], v[7:8], off
	global_load_b64 v[9:10], v[9:10], off
	;; [unrolled: 1-line block ×4, first 2 shown]
	v_mov_b32_e32 v31, v18
	v_mov_b32_e32 v41, v18
	;; [unrolled: 1-line block ×3, first 2 shown]
	v_add_co_u32 v28, vcc_lo, v28, s48
	v_add_co_ci_u32_e32 v29, vcc_lo, 0, v29, vcc_lo
	s_delay_alu instid0(VALU_DEP_1)
	v_cmp_ge_u64_e32 vcc_lo, v[28:29], v[3:4]
	s_waitcnt vmcnt(3)
	v_xor_b32_e32 v8, 0x80000000, v8
	s_waitcnt vmcnt(2)
	v_xor_b32_e32 v10, 0x80000000, v10
	s_waitcnt vmcnt(1)
	v_and_b32_e32 v48, s58, v11
	v_xor_b32_e32 v12, 0x80000000, v12
	v_and_b32_e32 v44, s58, v7
	v_and_b32_e32 v45, s59, v8
	v_lshrrev_b64 v[7:8], s91, v[7:8]
	s_waitcnt vmcnt(0)
	v_xor_b32_e32 v14, 0x80000000, v14
	v_and_b32_e32 v46, s58, v9
	v_lshrrev_b64 v[8:9], s91, v[9:10]
	v_and_b32_e32 v47, s59, v10
	v_lshrrev_b64 v[9:10], s91, v[11:12]
	v_lshrrev_b64 v[10:11], s91, v[13:14]
	v_and_b32_e32 v17, 3, v7
	v_and_b32_e32 v49, s59, v12
	;; [unrolled: 1-line block ×3, first 2 shown]
	v_cmp_eq_u64_e64 s4, s[56:57], v[44:45]
	v_and_b32_e32 v40, 3, v9
	v_cmp_eq_u64_e64 s8, 0, v[17:18]
	v_and_b32_e32 v50, s58, v13
	v_and_b32_e32 v51, s59, v14
	v_and_b32_e32 v42, 3, v10
	v_cmp_eq_u64_e64 s5, s[56:57], v[46:47]
	v_cmp_eq_u64_e64 s9, 0, v[30:31]
	;; [unrolled: 1-line block ×6, first 2 shown]
	s_and_b32 s8, s4, s8
	v_cmp_eq_u64_e64 s12, 1, v[17:18]
	v_cndmask_b32_e64 v7, 0, 1, s8
	s_and_b32 s8, s5, s9
	v_cmp_eq_u64_e64 s13, 1, v[30:31]
	v_cndmask_b32_e64 v8, 0, 1, s8
	;; [unrolled: 3-line block ×3, first 2 shown]
	s_and_b32 s8, s7, s11
	v_cmp_ne_u32_e64 s9, 0, v8
	v_cndmask_b32_e64 v10, 0, 1, s8
	v_cmp_ne_u32_e64 s8, 0, v7
	v_cmp_ne_u32_e64 s10, 0, v9
	v_cmp_eq_u64_e64 s15, 1, v[42:43]
	s_bcnt1_i32_b32 s9, s9
	v_cmp_ne_u32_e64 s11, 0, v10
	s_bcnt1_i32_b32 s8, s8
	s_bcnt1_i32_b32 s10, s10
	s_add_i32 s8, s9, s8
	v_cmp_eq_u64_e64 s16, 2, v[17:18]
	s_bcnt1_i32_b32 s11, s11
	s_add_i32 s8, s8, s10
	v_cmp_eq_u64_e64 s17, 2, v[30:31]
	s_add_i32 s8, s8, s11
	v_cmp_eq_u64_e64 s18, 2, v[40:41]
	s_add_u32 s70, s70, s8
	s_addc_u32 s71, s71, 0
	s_and_b32 s8, s4, s12
	v_cmp_eq_u64_e64 s19, 2, v[42:43]
	v_cndmask_b32_e64 v9, 0, 1, s8
	s_and_b32 s8, s5, s13
	v_cmp_eq_u64_e64 s20, 3, v[17:18]
	v_cndmask_b32_e64 v10, 0, 1, s8
	;; [unrolled: 3-line block ×3, first 2 shown]
	s_and_b32 s8, s7, s15
	v_cmp_ne_u32_e64 s9, 0, v10
	v_cndmask_b32_e64 v12, 0, 1, s8
	v_cmp_ne_u32_e64 s8, 0, v9
	v_cmp_ne_u32_e64 s10, 0, v11
	v_cmp_eq_u64_e64 s22, 3, v[40:41]
	s_bcnt1_i32_b32 s9, s9
	v_cmp_ne_u32_e64 s11, 0, v12
	s_bcnt1_i32_b32 s8, s8
	s_bcnt1_i32_b32 s10, s10
	s_add_i32 s8, s9, s8
	v_cmp_eq_u64_e64 s23, 3, v[42:43]
	s_bcnt1_i32_b32 s11, s11
	s_add_i32 s8, s8, s10
	v_mov_b32_e32 v7, s70
	s_add_i32 s8, s8, s11
	v_mov_b32_e32 v8, s71
	s_add_u32 s68, s68, s8
	s_addc_u32 s69, s69, 0
	s_and_b32 s8, s4, s16
	s_delay_alu instid0(SALU_CYCLE_1) | instskip(SKIP_1) | instid1(SALU_CYCLE_1)
	v_cndmask_b32_e64 v9, 0, 1, s8
	s_and_b32 s8, s5, s17
	v_cndmask_b32_e64 v10, 0, 1, s8
	s_and_b32 s8, s6, s18
	s_delay_alu instid0(SALU_CYCLE_1) | instskip(SKIP_1) | instid1(VALU_DEP_2)
	v_cndmask_b32_e64 v11, 0, 1, s8
	s_and_b32 s8, s7, s19
	v_cmp_ne_u32_e64 s9, 0, v10
	v_cndmask_b32_e64 v12, 0, 1, s8
	v_cmp_ne_u32_e64 s8, 0, v9
	v_cmp_ne_u32_e64 s10, 0, v11
	s_delay_alu instid0(VALU_DEP_4) | instskip(NEXT) | instid1(VALU_DEP_3)
	s_bcnt1_i32_b32 s9, s9
	v_cmp_ne_u32_e64 s11, 0, v12
	s_delay_alu instid0(VALU_DEP_3) | instskip(NEXT) | instid1(VALU_DEP_2)
	s_bcnt1_i32_b32 s8, s8
	s_bcnt1_i32_b32 s10, s10
	s_add_i32 s8, s9, s8
	s_delay_alu instid0(VALU_DEP_1) | instskip(SKIP_1) | instid1(SALU_CYCLE_1)
	s_bcnt1_i32_b32 s11, s11
	s_add_i32 s8, s8, s10
	s_add_i32 s8, s8, s11
	s_delay_alu instid0(SALU_CYCLE_1) | instskip(SKIP_2) | instid1(SALU_CYCLE_1)
	s_add_u32 s66, s66, s8
	s_addc_u32 s67, s67, 0
	s_and_b32 s4, s4, s20
	v_cndmask_b32_e64 v9, 0, 1, s4
	s_and_b32 s4, s5, s21
	s_delay_alu instid0(SALU_CYCLE_1) | instskip(SKIP_1) | instid1(SALU_CYCLE_1)
	v_cndmask_b32_e64 v10, 0, 1, s4
	s_and_b32 s4, s6, s22
	v_cndmask_b32_e64 v11, 0, 1, s4
	s_and_b32 s4, s7, s23
	s_delay_alu instid0(VALU_DEP_2)
	v_cmp_ne_u32_e64 s5, 0, v10
	v_cndmask_b32_e64 v12, 0, 1, s4
	v_cmp_ne_u32_e64 s4, 0, v9
	v_cmp_ne_u32_e64 s6, 0, v11
	v_mov_b32_e32 v9, s68
	s_bcnt1_i32_b32 s5, s5
	v_cmp_ne_u32_e64 s7, 0, v12
	s_bcnt1_i32_b32 s4, s4
	s_bcnt1_i32_b32 s6, s6
	s_add_i32 s4, s5, s4
	v_mov_b32_e32 v11, s66
	s_bcnt1_i32_b32 s5, s7
	s_add_i32 s4, s4, s6
	v_mov_b32_e32 v10, s69
	s_add_i32 s4, s4, s5
	v_mov_b32_e32 v12, s67
	s_add_u32 s62, s62, s4
	s_addc_u32 s63, s63, 0
	s_delay_alu instid0(SALU_CYCLE_1) | instskip(SKIP_3) | instid1(SALU_CYCLE_1)
	v_dual_mov_b32 v13, s62 :: v_dual_mov_b32 v14, s63
	s_add_u32 s64, s64, s93
	s_addc_u32 s65, s65, s92
	s_or_b32 s94, vcc_lo, s94
	s_and_not1_b32 exec_lo, exec_lo, s94
	s_cbranch_execnz .LBB100_51
; %bb.52:                               ;   in Loop: Header=BB100_12 Depth=1
	s_or_b32 exec_lo, exec_lo, s94
.LBB100_53:                             ;   in Loop: Header=BB100_12 Depth=1
	s_delay_alu instid0(SALU_CYCLE_1) | instskip(SKIP_4) | instid1(VALU_DEP_3)
	s_or_b32 exec_lo, exec_lo, s61
	v_add_co_u32 v3, vcc_lo, v3, v0
	v_add_co_ci_u32_e32 v4, vcc_lo, 0, v4, vcc_lo
	v_mov_b32_e32 v30, 0
	v_mov_b32_e32 v31, 0
	v_cmp_gt_u64_e32 vcc_lo, s[24:25], v[3:4]
	s_and_saveexec_b32 s5, vcc_lo
	s_cbranch_execz .LBB100_55
; %bb.54:                               ;   in Loop: Header=BB100_12 Depth=1
	v_mul_lo_u32 v17, v4, s34
	v_mul_lo_u32 v30, v3, s35
	v_mad_u64_u32 v[28:29], null, v3, s34, 0
	s_delay_alu instid0(VALU_DEP_1) | instskip(NEXT) | instid1(VALU_DEP_1)
	v_add3_u32 v29, v29, v30, v17
	v_lshlrev_b64 v[28:29], 3, v[28:29]
	s_delay_alu instid0(VALU_DEP_1) | instskip(NEXT) | instid1(VALU_DEP_1)
	v_add_co_u32 v28, s4, s44, v28
	v_add_co_ci_u32_e64 v29, s4, s45, v29, s4
	global_load_b64 v[30:31], v[28:29], off
.LBB100_55:                             ;   in Loop: Header=BB100_12 Depth=1
	s_or_b32 exec_lo, exec_lo, s5
	s_and_saveexec_b32 s8, vcc_lo
	s_cbranch_execz .LBB100_62
; %bb.56:                               ;   in Loop: Header=BB100_12 Depth=1
	s_and_b32 s9, s85, 0xfe
	s_mov_b32 s10, 0
	s_branch .LBB100_58
.LBB100_57:                             ;   in Loop: Header=BB100_58 Depth=2
	s_or_b32 exec_lo, exec_lo, s5
	s_waitcnt vmcnt(0)
	v_xor_b32_e32 v31, 0x80000000, v31
	s_and_b32 s6, exec_lo, vcc_lo
	s_delay_alu instid0(SALU_CYCLE_1) | instskip(NEXT) | instid1(VALU_DEP_1)
	s_or_b32 s10, s6, s10
	v_lshrrev_b64 v[40:41], s9, v[30:31]
	v_and_b32_e32 v30, s58, v30
	v_and_b32_e32 v31, s59, v31
	s_delay_alu instid0(VALU_DEP_3) | instskip(NEXT) | instid1(VALU_DEP_2)
	v_and_b32_e32 v17, 3, v40
	v_cmp_eq_u64_e64 s4, s[56:57], v[30:31]
	s_delay_alu instid0(VALU_DEP_2) | instskip(SKIP_3) | instid1(VALU_DEP_4)
	v_cmp_eq_u64_e64 s5, 0, v[17:18]
	v_cmp_eq_u64_e32 vcc_lo, 1, v[17:18]
	v_cmp_eq_u64_e64 s6, 2, v[17:18]
	v_cmp_eq_u64_e64 s7, 3, v[17:18]
	s_and_b32 s5, s4, s5
	s_delay_alu instid0(SALU_CYCLE_1) | instskip(SKIP_1) | instid1(SALU_CYCLE_1)
	v_cndmask_b32_e64 v17, 0, 1, s5
	s_and_b32 s5, s4, vcc_lo
	v_cndmask_b32_e64 v30, 0, 1, s5
	s_and_b32 s5, s4, s6
	s_delay_alu instid0(VALU_DEP_2) | instskip(SKIP_2) | instid1(SALU_CYCLE_1)
	v_cmp_ne_u32_e32 vcc_lo, 0, v17
	v_cndmask_b32_e64 v31, 0, 1, s5
	s_and_b32 s4, s4, s7
	v_cndmask_b32_e64 v40, 0, 1, s4
	v_cmp_ne_u32_e64 s4, 0, v30
	s_bcnt1_i32_b32 s7, vcc_lo
	v_cmp_ne_u32_e64 s5, 0, v31
	v_add_co_u32 v7, vcc_lo, v7, s7
	s_delay_alu instid0(VALU_DEP_3)
	s_bcnt1_i32_b32 s4, s4
	v_cmp_ne_u32_e64 s6, 0, v40
	v_add_co_ci_u32_e32 v8, vcc_lo, 0, v8, vcc_lo
	v_add_co_u32 v9, vcc_lo, v9, s4
	s_bcnt1_i32_b32 s5, s5
	v_add_co_ci_u32_e32 v10, vcc_lo, 0, v10, vcc_lo
	v_add_co_u32 v11, vcc_lo, v11, s5
	s_bcnt1_i32_b32 s4, s6
	v_add_co_ci_u32_e32 v12, vcc_lo, 0, v12, vcc_lo
	v_add_co_u32 v13, vcc_lo, v13, s4
	v_dual_mov_b32 v31, v29 :: v_dual_mov_b32 v30, v28
	v_add_co_ci_u32_e32 v14, vcc_lo, 0, v14, vcc_lo
	s_and_not1_b32 exec_lo, exec_lo, s10
	s_cbranch_execz .LBB100_61
.LBB100_58:                             ;   Parent Loop BB100_12 Depth=1
                                        ; =>  This Inner Loop Header: Depth=2
	v_add_co_u32 v3, vcc_lo, v3, s46
	v_add_co_ci_u32_e32 v4, vcc_lo, 0, v4, vcc_lo
	v_mov_b32_e32 v28, 0
	v_mov_b32_e32 v29, 0
	s_mov_b32 s5, exec_lo
	s_delay_alu instid0(VALU_DEP_3)
	v_cmp_le_u64_e32 vcc_lo, s[24:25], v[3:4]
	v_cmpx_gt_u64_e64 s[24:25], v[3:4]
	s_cbranch_execz .LBB100_57
; %bb.59:                               ;   in Loop: Header=BB100_58 Depth=2
	v_mul_lo_u32 v17, v4, s34
	v_mul_lo_u32 v40, v3, s35
	v_mad_u64_u32 v[28:29], null, v3, s34, 0
	s_delay_alu instid0(VALU_DEP_1) | instskip(NEXT) | instid1(VALU_DEP_1)
	v_add3_u32 v29, v29, v40, v17
	v_lshlrev_b64 v[28:29], 3, v[28:29]
	s_delay_alu instid0(VALU_DEP_1) | instskip(NEXT) | instid1(VALU_DEP_1)
	v_add_co_u32 v28, s4, s44, v28
	v_add_co_ci_u32_e64 v29, s4, s45, v29, s4
	global_load_b64 v[28:29], v[28:29], off
	s_branch .LBB100_57
.LBB100_60:                             ;   in Loop: Header=BB100_12 Depth=1
                                        ; implicit-def: $vgpr13_vgpr14
                                        ; implicit-def: $vgpr9_vgpr10
	s_cbranch_execnz .LBB100_63
	s_branch .LBB100_72
.LBB100_61:                             ;   in Loop: Header=BB100_12 Depth=1
	s_or_b32 exec_lo, exec_lo, s10
.LBB100_62:                             ;   in Loop: Header=BB100_12 Depth=1
	s_delay_alu instid0(SALU_CYCLE_1)
	s_or_b32 exec_lo, exec_lo, s8
	s_branch .LBB100_72
.LBB100_63:                             ;   in Loop: Header=BB100_12 Depth=1
	global_load_u16 v3, v18, s[50:51]
	s_mov_b64 s[62:63], 0
	s_mov_b32 s61, exec_lo
	v_mov_b32_e32 v7, 0
	v_mov_b32_e32 v8, 0
	s_delay_alu instid0(VALU_DEP_1) | instskip(NEXT) | instid1(VALU_DEP_3)
	v_mov_b32_e32 v14, v8
	v_dual_mov_b32 v10, v8 :: v_dual_mov_b32 v9, v7
	v_dual_mov_b32 v12, v8 :: v_dual_mov_b32 v11, v7
	v_mov_b32_e32 v13, v7
	s_waitcnt vmcnt(0)
	v_readfirstlane_b32 s4, v3
	v_and_b32_e32 v28, 0xffff, v3
	s_delay_alu instid0(VALU_DEP_2) | instskip(NEXT) | instid1(SALU_CYCLE_1)
	s_and_b32 s4, 0xffff, s4
	s_lshl_b32 s48, s4, 2
	s_delay_alu instid0(SALU_CYCLE_1) | instskip(SKIP_1) | instid1(VALU_DEP_1)
	v_cvt_f32_u32_e32 v4, s48
	s_sub_i32 s5, 0, s48
	v_rcp_iflag_f32_e32 v4, v4
	s_waitcnt_depctr 0xfff
	v_mul_f32_e32 v4, 0x4f7ffffe, v4
	s_delay_alu instid0(VALU_DEP_1) | instskip(NEXT) | instid1(VALU_DEP_1)
	v_cvt_u32_f32_e32 v4, v4
	v_readfirstlane_b32 s4, v4
	s_delay_alu instid0(VALU_DEP_1) | instskip(NEXT) | instid1(SALU_CYCLE_1)
	s_mul_i32 s5, s5, s4
	s_mul_hi_u32 s5, s4, s5
	s_delay_alu instid0(SALU_CYCLE_1) | instskip(NEXT) | instid1(SALU_CYCLE_1)
	s_add_i32 s4, s4, s5
	s_mul_hi_u32 s4, s60, s4
	s_delay_alu instid0(SALU_CYCLE_1) | instskip(NEXT) | instid1(SALU_CYCLE_1)
	s_mul_i32 s4, s4, s48
	s_sub_i32 s4, s60, s4
	s_delay_alu instid0(SALU_CYCLE_1) | instskip(SKIP_2) | instid1(SALU_CYCLE_1)
	s_sub_i32 s5, s4, s48
	s_cmp_ge_u32 s4, s48
	s_cselect_b32 s4, s5, s4
	s_sub_i32 s5, s4, s48
	s_cmp_ge_u32 s4, s48
	s_cselect_b32 s4, s5, s4
	s_delay_alu instid0(SALU_CYCLE_1) | instskip(NEXT) | instid1(SALU_CYCLE_1)
	s_sub_i32 s46, s60, s4
	v_cmpx_gt_u32_e64 s46, v19
	s_cbranch_execz .LBB100_67
; %bb.64:                               ;   in Loop: Header=BB100_12 Depth=1
	v_dual_mov_b32 v30, v36 :: v_dual_lshlrev_b32 v29, 5, v28
	v_dual_mov_b32 v3, v19 :: v_dual_mov_b32 v4, v20
	s_and_b32 s70, s85, 0xfe
	s_mov_b32 s71, 0
	s_mov_b64 s[64:65], 0
	s_mov_b64 s[66:67], 0
	;; [unrolled: 1-line block ×3, first 2 shown]
.LBB100_65:                             ;   Parent Loop BB100_12 Depth=1
                                        ; =>  This Inner Loop Header: Depth=2
	ds_load_b128 v[7:10], v30
	ds_load_b128 v[11:14], v30 offset:16
	v_mov_b32_e32 v41, v18
	v_mov_b32_e32 v43, v18
	;; [unrolled: 1-line block ×3, first 2 shown]
	v_add_co_u32 v3, vcc_lo, v3, s48
	v_add_co_ci_u32_e32 v4, vcc_lo, 0, v4, vcc_lo
	s_delay_alu instid0(VALU_DEP_1)
	v_cmp_le_u64_e32 vcc_lo, s[46:47], v[3:4]
	s_waitcnt lgkmcnt(1)
	v_xor_b32_e32 v8, 0x80000000, v8
	s_waitcnt lgkmcnt(0)
	v_and_b32_e32 v50, s58, v11
	v_xor_b32_e32 v10, 0x80000000, v10
	v_xor_b32_e32 v12, 0x80000000, v12
	v_and_b32_e32 v46, s58, v7
	v_and_b32_e32 v47, s59, v8
	v_lshrrev_b64 v[7:8], s70, v[7:8]
	v_xor_b32_e32 v14, 0x80000000, v14
	v_and_b32_e32 v48, s58, v9
	v_lshrrev_b64 v[8:9], s70, v[9:10]
	v_and_b32_e32 v49, s59, v10
	v_lshrrev_b64 v[9:10], s70, v[11:12]
	v_lshrrev_b64 v[10:11], s70, v[13:14]
	v_and_b32_e32 v17, 3, v7
	v_and_b32_e32 v51, s59, v12
	;; [unrolled: 1-line block ×3, first 2 shown]
	v_cmp_eq_u64_e64 s4, s[56:57], v[46:47]
	v_and_b32_e32 v42, 3, v9
	v_cmp_eq_u64_e64 s8, 0, v[17:18]
	v_and_b32_e32 v52, s58, v13
	v_and_b32_e32 v53, s59, v14
	;; [unrolled: 1-line block ×3, first 2 shown]
	v_cmp_eq_u64_e64 s5, s[56:57], v[48:49]
	v_cmp_eq_u64_e64 s9, 0, v[40:41]
	;; [unrolled: 1-line block ×6, first 2 shown]
	s_and_b32 s8, s4, s8
	v_cmp_eq_u64_e64 s12, 1, v[17:18]
	v_cndmask_b32_e64 v7, 0, 1, s8
	s_and_b32 s8, s5, s9
	v_cmp_eq_u64_e64 s13, 1, v[40:41]
	v_cndmask_b32_e64 v8, 0, 1, s8
	;; [unrolled: 3-line block ×3, first 2 shown]
	s_and_b32 s8, s7, s11
	v_cmp_ne_u32_e64 s9, 0, v8
	v_cndmask_b32_e64 v10, 0, 1, s8
	v_cmp_ne_u32_e64 s8, 0, v7
	v_cmp_ne_u32_e64 s10, 0, v9
	v_cmp_eq_u64_e64 s15, 1, v[44:45]
	s_bcnt1_i32_b32 s9, s9
	v_cmp_ne_u32_e64 s11, 0, v10
	s_bcnt1_i32_b32 s8, s8
	s_bcnt1_i32_b32 s10, s10
	s_add_i32 s8, s9, s8
	v_cmp_eq_u64_e64 s16, 2, v[17:18]
	s_bcnt1_i32_b32 s11, s11
	s_add_i32 s8, s8, s10
	v_cmp_eq_u64_e64 s17, 2, v[40:41]
	s_add_i32 s8, s8, s11
	v_cmp_eq_u64_e64 s18, 2, v[42:43]
	s_add_u32 s68, s68, s8
	s_addc_u32 s69, s69, 0
	s_and_b32 s8, s4, s12
	v_cmp_eq_u64_e64 s19, 2, v[44:45]
	v_cndmask_b32_e64 v7, 0, 1, s8
	s_and_b32 s8, s5, s13
	v_cmp_eq_u64_e64 s20, 3, v[17:18]
	v_cndmask_b32_e64 v8, 0, 1, s8
	;; [unrolled: 3-line block ×3, first 2 shown]
	s_and_b32 s8, s7, s15
	v_cmp_ne_u32_e64 s9, 0, v8
	v_cndmask_b32_e64 v10, 0, 1, s8
	v_cmp_ne_u32_e64 s8, 0, v7
	v_cmp_ne_u32_e64 s10, 0, v9
	v_cmp_eq_u64_e64 s23, 3, v[44:45]
	s_bcnt1_i32_b32 s9, s9
	v_cmp_ne_u32_e64 s11, 0, v10
	s_bcnt1_i32_b32 s8, s8
	s_bcnt1_i32_b32 s10, s10
	s_add_i32 s8, s9, s8
	v_add_nc_u32_e32 v30, v30, v29
	s_bcnt1_i32_b32 s11, s11
	s_add_i32 s8, s8, s10
	s_delay_alu instid0(SALU_CYCLE_1) | instskip(NEXT) | instid1(SALU_CYCLE_1)
	s_add_i32 s8, s8, s11
	s_add_u32 s66, s66, s8
	s_addc_u32 s67, s67, 0
	s_and_b32 s8, s4, s16
	s_delay_alu instid0(SALU_CYCLE_1) | instskip(SKIP_1) | instid1(SALU_CYCLE_1)
	v_cndmask_b32_e64 v7, 0, 1, s8
	s_and_b32 s8, s5, s17
	v_cndmask_b32_e64 v8, 0, 1, s8
	s_and_b32 s8, s6, s18
	s_delay_alu instid0(SALU_CYCLE_1) | instskip(SKIP_1) | instid1(VALU_DEP_2)
	v_cndmask_b32_e64 v9, 0, 1, s8
	s_and_b32 s8, s7, s19
	v_cmp_ne_u32_e64 s9, 0, v8
	v_cndmask_b32_e64 v10, 0, 1, s8
	v_cmp_ne_u32_e64 s8, 0, v7
	v_cmp_ne_u32_e64 s10, 0, v9
	s_delay_alu instid0(VALU_DEP_4) | instskip(NEXT) | instid1(VALU_DEP_3)
	s_bcnt1_i32_b32 s9, s9
	v_cmp_ne_u32_e64 s11, 0, v10
	s_delay_alu instid0(VALU_DEP_3) | instskip(NEXT) | instid1(VALU_DEP_2)
	s_bcnt1_i32_b32 s8, s8
	s_bcnt1_i32_b32 s10, s10
	s_add_i32 s8, s9, s8
	s_delay_alu instid0(VALU_DEP_1) | instskip(SKIP_1) | instid1(SALU_CYCLE_1)
	s_bcnt1_i32_b32 s11, s11
	s_add_i32 s8, s8, s10
	s_add_i32 s8, s8, s11
	s_delay_alu instid0(SALU_CYCLE_1)
	s_add_u32 s64, s64, s8
	s_addc_u32 s65, s65, 0
	v_mov_b32_e32 v11, s64
	v_cmp_eq_u64_e64 s21, 3, v[40:41]
	s_and_b32 s4, s4, s20
	v_mov_b32_e32 v12, s65
	v_cndmask_b32_e64 v7, 0, 1, s4
	s_delay_alu instid0(VALU_DEP_3) | instskip(NEXT) | instid1(SALU_CYCLE_1)
	s_and_b32 s4, s5, s21
	v_cndmask_b32_e64 v8, 0, 1, s4
	s_and_b32 s4, s6, s22
	s_delay_alu instid0(SALU_CYCLE_1) | instskip(SKIP_1) | instid1(VALU_DEP_2)
	v_cndmask_b32_e64 v9, 0, 1, s4
	s_and_b32 s4, s7, s23
	v_cmp_ne_u32_e64 s5, 0, v8
	v_cndmask_b32_e64 v10, 0, 1, s4
	v_cmp_ne_u32_e64 s4, 0, v7
	v_mov_b32_e32 v7, s68
	v_cmp_ne_u32_e64 s6, 0, v9
	s_bcnt1_i32_b32 s5, s5
	v_cmp_ne_u32_e64 s7, 0, v10
	s_bcnt1_i32_b32 s4, s4
	v_mov_b32_e32 v9, s66
	s_bcnt1_i32_b32 s6, s6
	s_add_i32 s4, s5, s4
	s_bcnt1_i32_b32 s5, s7
	s_add_i32 s4, s4, s6
	v_mov_b32_e32 v8, s69
	s_add_i32 s4, s4, s5
	v_mov_b32_e32 v10, s67
	s_add_u32 s62, s62, s4
	s_addc_u32 s63, s63, 0
	s_delay_alu instid0(SALU_CYCLE_1) | instskip(SKIP_1) | instid1(SALU_CYCLE_1)
	v_dual_mov_b32 v13, s62 :: v_dual_mov_b32 v14, s63
	s_or_b32 s71, vcc_lo, s71
	s_and_not1_b32 exec_lo, exec_lo, s71
	s_cbranch_execnz .LBB100_65
; %bb.66:                               ;   in Loop: Header=BB100_12 Depth=1
	s_or_b32 exec_lo, exec_lo, s71
.LBB100_67:                             ;   in Loop: Header=BB100_12 Depth=1
	s_delay_alu instid0(SALU_CYCLE_1) | instskip(SKIP_2) | instid1(VALU_DEP_1)
	s_or_b32 exec_lo, exec_lo, s61
	v_add_nc_u32_e32 v17, s46, v0
	s_mov_b32 s9, exec_lo
	v_cmpx_gt_u32_e64 s60, v17
	s_cbranch_execz .LBB100_71
; %bb.68:                               ;   in Loop: Header=BB100_12 Depth=1
	v_dual_mov_b32 v3, v17 :: v_dual_lshlrev_b32 v30, 3, v28
	v_dual_mov_b32 v4, v18 :: v_dual_lshlrev_b32 v29, 3, v17
	s_mov_b32 s11, 0
	s_and_b32 s10, s60, 0x7fffffff
	s_and_b32 s13, s85, 0xfe
	s_mov_b32 s12, s11
.LBB100_69:                             ;   Parent Loop BB100_12 Depth=1
                                        ; =>  This Inner Loop Header: Depth=2
	ds_load_b64 v[40:41], v29
	v_add_co_u32 v3, vcc_lo, v3, v28
	v_add_co_ci_u32_e32 v4, vcc_lo, 0, v4, vcc_lo
	v_add_nc_u32_e32 v29, v29, v30
	s_delay_alu instid0(VALU_DEP_2) | instskip(SKIP_3) | instid1(VALU_DEP_2)
	v_cmp_le_u64_e32 vcc_lo, s[10:11], v[3:4]
	s_waitcnt lgkmcnt(0)
	v_xor_b32_e32 v41, 0x80000000, v41
	v_and_b32_e32 v42, s58, v40
	v_and_b32_e32 v43, s59, v41
	v_lshrrev_b64 v[40:41], s13, v[40:41]
	s_delay_alu instid0(VALU_DEP_2) | instskip(NEXT) | instid1(VALU_DEP_2)
	v_cmp_eq_u64_e64 s4, s[56:57], v[42:43]
	v_and_b32_e32 v17, 3, v40
	s_delay_alu instid0(VALU_DEP_1) | instskip(SKIP_3) | instid1(VALU_DEP_4)
	v_cmp_eq_u64_e64 s5, 0, v[17:18]
	v_cmp_eq_u64_e64 s6, 1, v[17:18]
	;; [unrolled: 1-line block ×4, first 2 shown]
	s_and_b32 s5, s4, s5
	s_delay_alu instid0(SALU_CYCLE_1) | instskip(NEXT) | instid1(VALU_DEP_4)
	v_cndmask_b32_e64 v17, 0, 1, s5
	s_and_b32 s5, s4, s6
	s_delay_alu instid0(SALU_CYCLE_1)
	v_cndmask_b32_e64 v31, 0, 1, s5
	s_and_b32 s5, s4, s7
	s_and_b32 s4, s4, s8
	v_cndmask_b32_e64 v40, 0, 1, s5
	v_cndmask_b32_e64 v41, 0, 1, s4
	v_cmp_ne_u32_e64 s4, 0, v17
	v_cmp_ne_u32_e64 s5, 0, v31
	s_delay_alu instid0(VALU_DEP_4) | instskip(NEXT) | instid1(VALU_DEP_4)
	v_cmp_ne_u32_e64 s6, 0, v40
	v_cmp_ne_u32_e64 s7, 0, v41
	s_delay_alu instid0(VALU_DEP_4) | instskip(NEXT) | instid1(VALU_DEP_3)
	s_bcnt1_i32_b32 s4, s4
	s_bcnt1_i32_b32 s5, s5
	v_add_co_u32 v7, s4, v7, s4
	s_delay_alu instid0(VALU_DEP_1)
	v_add_co_ci_u32_e64 v8, s4, 0, v8, s4
	v_add_co_u32 v9, s4, v9, s5
	s_bcnt1_i32_b32 s6, s6
	v_add_co_ci_u32_e64 v10, s4, 0, v10, s4
	v_add_co_u32 v11, s4, v11, s6
	s_bcnt1_i32_b32 s7, s7
	v_add_co_ci_u32_e64 v12, s4, 0, v12, s4
	v_add_co_u32 v13, s4, v13, s7
	s_delay_alu instid0(VALU_DEP_1) | instskip(SKIP_1) | instid1(SALU_CYCLE_1)
	v_add_co_ci_u32_e64 v14, s4, 0, v14, s4
	s_or_b32 s12, vcc_lo, s12
	s_and_not1_b32 exec_lo, exec_lo, s12
	s_cbranch_execnz .LBB100_69
; %bb.70:                               ;   in Loop: Header=BB100_12 Depth=1
	s_or_b32 exec_lo, exec_lo, s12
.LBB100_71:                             ;   in Loop: Header=BB100_12 Depth=1
	s_delay_alu instid0(SALU_CYCLE_1)
	s_or_b32 exec_lo, exec_lo, s9
.LBB100_72:                             ;   in Loop: Header=BB100_12 Depth=1
	s_lshl_b32 s4, s89, 7
	s_and_saveexec_b32 s5, s1
	s_cbranch_execz .LBB100_74
; %bb.73:                               ;   in Loop: Header=BB100_12 Depth=1
	v_or_b32_e32 v3, s4, v35
	s_delay_alu instid0(VALU_DEP_1)
	v_lshlrev_b32_e32 v3, 3, v3
	ds_store_b128 v3, v[7:10] offset:3072
	ds_store_b128 v3, v[11:14] offset:3088
.LBB100_74:                             ;   in Loop: Header=BB100_12 Depth=1
	s_or_b32 exec_lo, exec_lo, s5
	s_waitcnt vmcnt(0) lgkmcnt(0)
	s_barrier
	buffer_gl0_inv
	s_and_saveexec_b32 s5, s33
	s_cbranch_execz .LBB100_85
; %bb.75:                               ;   in Loop: Header=BB100_12 Depth=1
	v_mov_b32_e32 v3, 0
	v_mov_b32_e32 v4, 0
	s_and_not1_b32 vcc_lo, exec_lo, s79
	s_cbranch_vccnz .LBB100_84
; %bb.76:                               ;   in Loop: Header=BB100_12 Depth=1
	v_mov_b32_e32 v3, 0
	v_mov_b32_e32 v4, 0
	s_and_not1_b32 vcc_lo, exec_lo, s77
	s_cbranch_vccnz .LBB100_81
; %bb.77:                               ;   in Loop: Header=BB100_12 Depth=1
	v_lshl_add_u32 v7, s89, 10, v39
	s_mov_b32 s6, 0
	s_set_inst_prefetch_distance 0x1
	.p2align	6
.LBB100_78:                             ;   Parent Loop BB100_12 Depth=1
                                        ; =>  This Inner Loop Header: Depth=2
	ds_load_2addr_b64 v[8:11], v7 offset1:4
	ds_load_2addr_b64 v[28:31], v7 offset0:8 offset1:12
	ds_load_2addr_b64 v[40:43], v7 offset0:16 offset1:20
	s_add_i32 s6, s6, 8
	s_delay_alu instid0(SALU_CYCLE_1) | instskip(SKIP_3) | instid1(VALU_DEP_2)
	s_cmp_eq_u32 s78, s6
	s_waitcnt lgkmcnt(2)
	v_add_co_u32 v3, vcc_lo, v8, v3
	v_add_co_ci_u32_e32 v4, vcc_lo, v9, v4, vcc_lo
	v_add_co_u32 v3, vcc_lo, v10, v3
	s_delay_alu instid0(VALU_DEP_2)
	v_add_co_ci_u32_e32 v4, vcc_lo, v11, v4, vcc_lo
	ds_load_2addr_b64 v[8:11], v7 offset0:24 offset1:28
	s_waitcnt lgkmcnt(2)
	v_add_co_u32 v3, vcc_lo, v28, v3
	v_add_co_ci_u32_e32 v4, vcc_lo, v29, v4, vcc_lo
	v_add_nc_u32_e32 v7, 0x100, v7
	s_delay_alu instid0(VALU_DEP_3) | instskip(NEXT) | instid1(VALU_DEP_3)
	v_add_co_u32 v3, vcc_lo, v30, v3
	v_add_co_ci_u32_e32 v4, vcc_lo, v31, v4, vcc_lo
	s_waitcnt lgkmcnt(1)
	s_delay_alu instid0(VALU_DEP_2) | instskip(NEXT) | instid1(VALU_DEP_2)
	v_add_co_u32 v3, vcc_lo, v40, v3
	v_add_co_ci_u32_e32 v4, vcc_lo, v41, v4, vcc_lo
	s_delay_alu instid0(VALU_DEP_2) | instskip(NEXT) | instid1(VALU_DEP_2)
	v_add_co_u32 v3, vcc_lo, v42, v3
	v_add_co_ci_u32_e32 v4, vcc_lo, v43, v4, vcc_lo
	s_waitcnt lgkmcnt(0)
	s_delay_alu instid0(VALU_DEP_2) | instskip(NEXT) | instid1(VALU_DEP_2)
	v_add_co_u32 v3, vcc_lo, v8, v3
	v_add_co_ci_u32_e32 v4, vcc_lo, v9, v4, vcc_lo
	s_delay_alu instid0(VALU_DEP_2) | instskip(NEXT) | instid1(VALU_DEP_2)
	v_add_co_u32 v3, vcc_lo, v10, v3
	v_add_co_ci_u32_e32 v4, vcc_lo, v11, v4, vcc_lo
	s_cbranch_scc0 .LBB100_78
; %bb.79:                               ;   in Loop: Header=BB100_12 Depth=1
	s_set_inst_prefetch_distance 0x2
	s_mov_b32 s6, s78
	s_and_not1_b32 vcc_lo, exec_lo, s80
	s_cbranch_vccz .LBB100_82
	s_branch .LBB100_84
.LBB100_80:                             ;   in Loop: Header=BB100_12 Depth=1
                                        ; implicit-def: $vgpr3_vgpr4
	s_branch .LBB100_48
.LBB100_81:                             ;   in Loop: Header=BB100_12 Depth=1
	s_mov_b32 s6, 0
	s_and_not1_b32 vcc_lo, exec_lo, s80
	s_cbranch_vccnz .LBB100_84
.LBB100_82:                             ;   in Loop: Header=BB100_12 Depth=1
	s_lshl_b32 s7, s89, 10
	s_lshl_b32 s6, s6, 5
	s_delay_alu instid0(SALU_CYCLE_1)
	v_add3_u32 v7, s7, s6, v39
	s_mov_b32 s6, s76
.LBB100_83:                             ;   Parent Loop BB100_12 Depth=1
                                        ; =>  This Inner Loop Header: Depth=2
	ds_load_b64 v[8:9], v7
	v_add_nc_u32_e32 v7, 32, v7
	s_add_i32 s6, s6, -1
	s_delay_alu instid0(SALU_CYCLE_1)
	s_cmp_lg_u32 s6, 0
	s_waitcnt lgkmcnt(0)
	v_add_co_u32 v3, vcc_lo, v8, v3
	v_add_co_ci_u32_e32 v4, vcc_lo, v9, v4, vcc_lo
	s_cbranch_scc1 .LBB100_83
.LBB100_84:                             ;   in Loop: Header=BB100_12 Depth=1
	v_add_lshl_u32 v7, s4, v32, 3
	ds_store_b64 v7, v[3:4] offset:3072
.LBB100_85:                             ;   in Loop: Header=BB100_12 Depth=1
	s_or_b32 exec_lo, exec_lo, s5
	s_lshl_b32 s4, s4, 3
	s_waitcnt lgkmcnt(0)
	v_mov_b32_e32 v3, s4
	s_barrier
	buffer_gl0_inv
	s_and_b32 s21, s85, 0xfe
	s_mov_b32 s22, -1
	ds_load_b128 v[7:10], v3 offset:3072
	ds_load_b128 v[11:14], v3 offset:3088
	s_lshl_b64 s[8:9], 3, s21
	s_delay_alu instid0(SALU_CYCLE_1)
	s_not_b64 s[12:13], s[8:9]
	s_waitcnt lgkmcnt(1)
	v_readfirstlane_b32 s17, v8
	v_readfirstlane_b32 s16, v7
	;; [unrolled: 1-line block ×4, first 2 shown]
	s_waitcnt lgkmcnt(0)
	v_readfirstlane_b32 s10, v11
	v_readfirstlane_b32 s11, v12
	s_cmp_eq_u64 s[16:17], 1
	v_readfirstlane_b32 s6, v13
	s_cselect_b32 s4, -1, 0
	s_cmp_eq_u64 s[40:41], 1
	v_readfirstlane_b32 s7, v14
	s_cselect_b32 s5, -1, 0
	s_delay_alu instid0(SALU_CYCLE_1) | instskip(NEXT) | instid1(SALU_CYCLE_1)
	s_and_b32 s23, s4, s5
	s_and_b32 vcc_lo, exec_lo, s23
	s_cbranch_vccz .LBB100_100
; %bb.86:                               ;   in Loop: Header=BB100_12 Depth=1
	ds_load_b64 v[3:4], v18 offset:5120
	s_waitcnt lgkmcnt(0)
	s_barrier
	buffer_gl0_inv
	v_readfirstlane_b32 s18, v3
	v_readfirstlane_b32 s19, v4
	s_and_saveexec_b32 s4, s3
	s_cbranch_execz .LBB100_88
; %bb.87:                               ;   in Loop: Header=BB100_12 Depth=1
	v_mov_b32_e32 v17, v18
	ds_store_b64 v34, v[17:18]
.LBB100_88:                             ;   in Loop: Header=BB100_12 Depth=1
	s_or_b32 exec_lo, exec_lo, s4
	s_and_b64 s[56:57], s[56:57], s[12:13]
	s_or_b64 s[58:59], s[58:59], s[8:9]
	s_cmp_eq_u64 s[18:19], 0
	s_waitcnt lgkmcnt(0)
	s_barrier
	buffer_gl0_inv
	s_cbranch_scc1 .LBB100_101
; %bb.89:                               ;   in Loop: Header=BB100_12 Depth=1
	s_add_u32 s20, s73, s18
	s_addc_u32 s5, s74, s19
	s_mov_b32 s4, s47
	s_delay_alu instid0(SALU_CYCLE_1)
	s_cmp_lg_u64 s[4:5], 0
	s_cbranch_scc0 .LBB100_146
; %bb.90:                               ;   in Loop: Header=BB100_12 Depth=1
	v_cvt_f32_u32_e32 v3, s29
	s_sub_u32 s48, 0, s29
	s_subb_u32 s60, 0, 0
	s_delay_alu instid0(VALU_DEP_1) | instskip(NEXT) | instid1(VALU_DEP_1)
	v_fmac_f32_e64 v3, 0, 0x4f800000
	v_rcp_f32_e32 v3, v3
	s_waitcnt_depctr 0xfff
	v_mul_f32_e32 v3, 0x5f7ffffc, v3
	s_delay_alu instid0(VALU_DEP_1) | instskip(NEXT) | instid1(VALU_DEP_1)
	v_mul_f32_e32 v4, 0x2f800000, v3
	v_trunc_f32_e32 v4, v4
	s_delay_alu instid0(VALU_DEP_1) | instskip(SKIP_1) | instid1(VALU_DEP_2)
	v_fmac_f32_e32 v3, 0xcf800000, v4
	v_cvt_u32_f32_e32 v4, v4
	v_cvt_u32_f32_e32 v3, v3
	s_delay_alu instid0(VALU_DEP_2) | instskip(NEXT) | instid1(VALU_DEP_2)
	v_readfirstlane_b32 s4, v4
	v_readfirstlane_b32 s46, v3
	s_delay_alu instid0(VALU_DEP_2) | instskip(NEXT) | instid1(VALU_DEP_1)
	s_mul_i32 s61, s48, s4
	s_mul_hi_u32 s63, s48, s46
	s_mul_i32 s62, s60, s46
	s_add_i32 s61, s63, s61
	s_mul_i32 s64, s48, s46
	s_add_i32 s61, s61, s62
	s_mul_hi_u32 s63, s46, s64
	s_mul_hi_u32 s65, s4, s64
	s_mul_i32 s62, s4, s64
	s_mul_hi_u32 s64, s46, s61
	s_mul_i32 s46, s46, s61
	s_mul_hi_u32 s66, s4, s61
	s_add_u32 s46, s63, s46
	s_addc_u32 s63, 0, s64
	s_add_u32 s46, s46, s62
	s_mul_i32 s61, s4, s61
	s_addc_u32 s46, s63, s65
	s_addc_u32 s62, s66, 0
	s_add_u32 s46, s46, s61
	s_addc_u32 s61, 0, s62
	v_add_co_u32 v3, s46, v3, s46
	s_delay_alu instid0(VALU_DEP_1) | instskip(SKIP_1) | instid1(VALU_DEP_1)
	s_cmp_lg_u32 s46, 0
	s_addc_u32 s4, s4, s61
	v_readfirstlane_b32 s46, v3
	s_mul_i32 s61, s48, s4
	s_delay_alu instid0(VALU_DEP_1)
	s_mul_hi_u32 s62, s48, s46
	s_mul_i32 s60, s60, s46
	s_add_i32 s61, s62, s61
	s_mul_i32 s48, s48, s46
	s_add_i32 s61, s61, s60
	s_mul_hi_u32 s62, s4, s48
	s_mul_i32 s63, s4, s48
	s_mul_hi_u32 s48, s46, s48
	s_mul_hi_u32 s64, s46, s61
	s_mul_i32 s46, s46, s61
	s_mul_hi_u32 s60, s4, s61
	s_add_u32 s46, s48, s46
	s_addc_u32 s48, 0, s64
	s_add_u32 s46, s46, s63
	s_mul_i32 s61, s4, s61
	s_addc_u32 s46, s48, s62
	s_addc_u32 s48, s60, 0
	s_add_u32 s46, s46, s61
	s_addc_u32 s48, 0, s48
	v_add_co_u32 v3, s46, v3, s46
	s_delay_alu instid0(VALU_DEP_1) | instskip(SKIP_1) | instid1(VALU_DEP_1)
	s_cmp_lg_u32 s46, 0
	s_addc_u32 s4, s4, s48
	v_readfirstlane_b32 s46, v3
	s_mul_i32 s60, s20, s4
	s_mul_hi_u32 s48, s20, s4
	s_mul_hi_u32 s61, s5, s4
	s_mul_i32 s4, s5, s4
	s_mul_hi_u32 s62, s20, s46
	s_mul_hi_u32 s63, s5, s46
	s_mul_i32 s46, s5, s46
	s_add_u32 s60, s62, s60
	s_addc_u32 s48, 0, s48
	s_add_u32 s46, s60, s46
	s_addc_u32 s46, s48, s63
	s_addc_u32 s48, s61, 0
	s_add_u32 s4, s46, s4
	s_addc_u32 s46, 0, s48
	s_mul_hi_u32 s48, s29, s4
	s_mul_i32 s4, s29, s4
	s_mul_i32 s46, s29, s46
	v_sub_co_u32 v3, s4, s20, s4
	s_add_i32 s48, s48, s46
	s_cmp_lg_u32 s4, 0
	s_delay_alu instid0(VALU_DEP_1) | instskip(SKIP_2) | instid1(VALU_DEP_1)
	v_sub_co_u32 v4, s4, v3, s29
	s_subb_u32 s46, s5, s48
	s_cmp_lg_u32 s4, 0
	v_cmp_le_u32_e32 vcc_lo, s29, v4
	v_sub_co_u32 v5, s4, v4, s29
	s_subb_u32 s48, s46, 0
	s_cmp_lg_u32 s4, 0
	v_cndmask_b32_e64 v6, 0, -1, vcc_lo
	s_subb_u32 s4, s48, 0
	s_cmp_eq_u32 s48, 0
	v_mov_b32_e32 v8, s4
	s_cselect_b32 vcc_lo, -1, 0
	s_cmp_eq_u32 s46, 0
	v_cndmask_b32_e32 v6, -1, v6, vcc_lo
	v_cmp_le_u32_e32 vcc_lo, s29, v3
	s_cselect_b32 s4, -1, 0
	v_cndmask_b32_e64 v7, 0, -1, vcc_lo
	s_delay_alu instid0(VALU_DEP_3) | instskip(NEXT) | instid1(VALU_DEP_2)
	v_cmp_ne_u32_e32 vcc_lo, 0, v6
	v_cndmask_b32_e64 v6, -1, v7, s4
	v_cndmask_b32_e32 v7, s48, v8, vcc_lo
	v_cndmask_b32_e32 v5, v4, v5, vcc_lo
	s_delay_alu instid0(VALU_DEP_3) | instskip(NEXT) | instid1(VALU_DEP_3)
	v_cmp_ne_u32_e32 vcc_lo, 0, v6
	v_cndmask_b32_e32 v4, s46, v7, vcc_lo
	s_delay_alu instid0(VALU_DEP_3)
	v_cndmask_b32_e32 v3, v3, v5, vcc_lo
	s_cbranch_execnz .LBB100_92
.LBB100_91:                             ;   in Loop: Header=BB100_12 Depth=1
	v_cvt_f32_u32_e32 v3, s29
	s_sub_i32 s4, 0, s29
	s_delay_alu instid0(VALU_DEP_1) | instskip(SKIP_2) | instid1(VALU_DEP_1)
	v_rcp_iflag_f32_e32 v3, v3
	s_waitcnt_depctr 0xfff
	v_mul_f32_e32 v3, 0x4f7ffffe, v3
	v_cvt_u32_f32_e32 v3, v3
	s_delay_alu instid0(VALU_DEP_1) | instskip(NEXT) | instid1(VALU_DEP_1)
	v_mul_lo_u32 v4, s4, v3
	v_mul_hi_u32 v4, v3, v4
	s_delay_alu instid0(VALU_DEP_1) | instskip(NEXT) | instid1(VALU_DEP_1)
	v_add_nc_u32_e32 v3, v3, v4
	v_mul_hi_u32 v3, s20, v3
	s_delay_alu instid0(VALU_DEP_1) | instskip(NEXT) | instid1(VALU_DEP_1)
	v_mul_lo_u32 v3, v3, s29
	v_sub_nc_u32_e32 v3, s20, v3
	s_delay_alu instid0(VALU_DEP_1) | instskip(SKIP_1) | instid1(VALU_DEP_2)
	v_subrev_nc_u32_e32 v4, s29, v3
	v_cmp_le_u32_e32 vcc_lo, s29, v3
	v_cndmask_b32_e32 v3, v3, v4, vcc_lo
	s_delay_alu instid0(VALU_DEP_1) | instskip(SKIP_1) | instid1(VALU_DEP_2)
	v_subrev_nc_u32_e32 v4, s29, v3
	v_cmp_le_u32_e32 vcc_lo, s29, v3
	v_cndmask_b32_e32 v17, v3, v4, vcc_lo
	s_delay_alu instid0(VALU_DEP_1)
	v_dual_mov_b32 v3, v17 :: v_dual_mov_b32 v4, v18
.LBB100_92:                             ;   in Loop: Header=BB100_12 Depth=1
	s_delay_alu instid0(VALU_DEP_1) | instskip(NEXT) | instid1(VALU_DEP_2)
	v_sub_co_u32 v7, vcc_lo, s20, v3
	v_sub_co_ci_u32_e32 v8, vcc_lo, s5, v4, vcc_lo
	s_mov_b32 s4, 0
	s_mov_b32 s5, exec_lo
                                        ; implicit-def: $vgpr5_vgpr6
	s_delay_alu instid0(VALU_DEP_1)
	v_cmpx_gt_u64_e64 v[7:8], v[0:1]
	s_cbranch_execz .LBB100_103
; %bb.93:                               ;   in Loop: Header=BB100_12 Depth=1
	v_mov_b32_e32 v11, v33
	v_dual_mov_b32 v10, v1 :: v_dual_mov_b32 v9, v0
	s_mov_b32 s20, 0
                                        ; implicit-def: $sgpr4
	s_set_inst_prefetch_distance 0x1
	s_branch .LBB100_95
	.p2align	6
.LBB100_94:                             ;   in Loop: Header=BB100_95 Depth=2
	s_or_b32 exec_lo, exec_lo, s46
	s_waitcnt lgkmcnt(0)
	s_barrier
	buffer_gl0_inv
	ds_load_b128 v[3:6], v18 offset:3072
	v_add_co_u32 v9, vcc_lo, v9, s29
	v_add_co_ci_u32_e32 v10, vcc_lo, 0, v10, vcc_lo
	v_add_nc_u32_e32 v11, s81, v11
	s_waitcnt lgkmcnt(0)
	s_barrier
	s_delay_alu instid0(VALU_DEP_2) | instskip(SKIP_3) | instid1(VALU_DEP_1)
	v_cmp_ge_u64_e32 vcc_lo, v[9:10], v[7:8]
	buffer_gl0_inv
	v_readfirstlane_b32 s61, v4
	v_readfirstlane_b32 s60, v3
	s_cmp_lg_u64 s[60:61], 0
	s_cselect_b32 s46, -1, 0
	s_delay_alu instid0(SALU_CYCLE_1) | instskip(NEXT) | instid1(SALU_CYCLE_1)
	s_or_b32 s48, vcc_lo, s46
	s_and_b32 s48, exec_lo, s48
	s_delay_alu instid0(SALU_CYCLE_1) | instskip(SKIP_2) | instid1(SALU_CYCLE_1)
	s_or_b32 s20, s48, s20
	s_and_not1_b32 s4, s4, exec_lo
	s_and_b32 s46, s46, exec_lo
	s_or_b32 s4, s4, s46
	s_and_not1_b32 exec_lo, exec_lo, s20
	s_cbranch_execz .LBB100_102
.LBB100_95:                             ;   Parent Loop BB100_12 Depth=1
                                        ; =>  This Inner Loop Header: Depth=2
	s_delay_alu instid0(VALU_DEP_1)
	v_cmp_gt_u64_e32 vcc_lo, s[18:19], v[9:10]
	v_mov_b32_e32 v4, 0
	v_mov_b32_e32 v5, 0
	s_and_saveexec_b32 s46, vcc_lo
	s_cbranch_execz .LBB100_97
; %bb.96:                               ;   in Loop: Header=BB100_95 Depth=2
	ds_load_b64 v[4:5], v11
.LBB100_97:                             ;   in Loop: Header=BB100_95 Depth=2
	s_or_b32 exec_lo, exec_lo, s46
	s_and_saveexec_b32 s46, vcc_lo
	s_cbranch_execz .LBB100_94
; %bb.98:                               ;   in Loop: Header=BB100_95 Depth=2
	s_waitcnt lgkmcnt(0)
	v_xor_b32_e32 v3, 0x80000000, v5
	v_and_b32_e32 v12, s58, v4
	s_delay_alu instid0(VALU_DEP_2) | instskip(NEXT) | instid1(VALU_DEP_1)
	v_and_b32_e32 v13, s59, v3
	v_cmp_eq_u64_e32 vcc_lo, s[56:57], v[12:13]
	s_and_b32 exec_lo, exec_lo, vcc_lo
	s_cbranch_execz .LBB100_94
; %bb.99:                               ;   in Loop: Header=BB100_95 Depth=2
	v_mov_b32_e32 v3, v18
	ds_store_b128 v18, v[2:5] offset:3072
	s_branch .LBB100_94
.LBB100_100:                            ;   in Loop: Header=BB100_12 Depth=1
	s_mov_b32 s4, -1
                                        ; implicit-def: $sgpr5
                                        ; implicit-def: $sgpr19
                                        ; implicit-def: $sgpr18
	s_branch .LBB100_117
.LBB100_101:                            ;   in Loop: Header=BB100_12 Depth=1
	s_mov_b32 s5, -1
	s_mov_b32 s4, 0
                                        ; implicit-def: $sgpr18
                                        ; implicit-def: $vgpr5_vgpr6
	s_mov_b32 s19, s5
	s_cbranch_execnz .LBB100_104
	s_branch .LBB100_117
.LBB100_102:                            ;   in Loop: Header=BB100_12 Depth=1
	s_set_inst_prefetch_distance 0x2
	s_or_b32 exec_lo, exec_lo, s20
	s_delay_alu instid0(SALU_CYCLE_1)
	s_and_b32 s4, s4, exec_lo
.LBB100_103:                            ;   in Loop: Header=BB100_12 Depth=1
	s_or_b32 exec_lo, exec_lo, s5
	s_mov_b32 s18, -1
	s_mov_b32 s5, 0
	s_delay_alu instid0(SALU_CYCLE_1)
	s_mov_b32 s19, s5
	s_branch .LBB100_117
.LBB100_104:                            ;   in Loop: Header=BB100_12 Depth=1
	s_mov_b32 s48, s47
	s_delay_alu instid0(SALU_CYCLE_1)
	s_cmp_lg_u64 s[48:49], 0
	s_cbranch_scc0 .LBB100_147
; %bb.105:                              ;   in Loop: Header=BB100_12 Depth=1
	v_cvt_f32_u32_e32 v3, s29
	s_sub_u32 s18, 0, s29
	s_subb_u32 s19, 0, 0
	s_delay_alu instid0(VALU_DEP_1) | instskip(NEXT) | instid1(VALU_DEP_1)
	v_fmac_f32_e64 v3, 0, 0x4f800000
	v_rcp_f32_e32 v3, v3
	s_waitcnt_depctr 0xfff
	v_mul_f32_e32 v3, 0x5f7ffffc, v3
	s_delay_alu instid0(VALU_DEP_1) | instskip(NEXT) | instid1(VALU_DEP_1)
	v_mul_f32_e32 v4, 0x2f800000, v3
	v_trunc_f32_e32 v4, v4
	s_delay_alu instid0(VALU_DEP_1) | instskip(SKIP_1) | instid1(VALU_DEP_2)
	v_fmac_f32_e32 v3, 0xcf800000, v4
	v_cvt_u32_f32_e32 v4, v4
	v_cvt_u32_f32_e32 v3, v3
	s_delay_alu instid0(VALU_DEP_2) | instskip(NEXT) | instid1(VALU_DEP_2)
	v_readfirstlane_b32 s4, v4
	v_readfirstlane_b32 s5, v3
	s_delay_alu instid0(VALU_DEP_2) | instskip(NEXT) | instid1(VALU_DEP_1)
	s_mul_i32 s20, s18, s4
	s_mul_hi_u32 s48, s18, s5
	s_mul_i32 s46, s19, s5
	s_add_i32 s20, s48, s20
	s_mul_i32 s60, s18, s5
	s_add_i32 s20, s20, s46
	s_mul_hi_u32 s48, s5, s60
	s_mul_hi_u32 s61, s4, s60
	s_mul_i32 s46, s4, s60
	s_mul_hi_u32 s60, s5, s20
	s_mul_i32 s5, s5, s20
	s_mul_hi_u32 s62, s4, s20
	s_add_u32 s5, s48, s5
	s_addc_u32 s48, 0, s60
	s_add_u32 s5, s5, s46
	s_mul_i32 s20, s4, s20
	s_addc_u32 s5, s48, s61
	s_addc_u32 s46, s62, 0
	s_add_u32 s5, s5, s20
	s_addc_u32 s20, 0, s46
	v_add_co_u32 v3, s5, v3, s5
	s_delay_alu instid0(VALU_DEP_1) | instskip(SKIP_1) | instid1(VALU_DEP_1)
	s_cmp_lg_u32 s5, 0
	s_addc_u32 s4, s4, s20
	v_readfirstlane_b32 s5, v3
	s_mul_i32 s20, s18, s4
	s_delay_alu instid0(VALU_DEP_1)
	s_mul_hi_u32 s46, s18, s5
	s_mul_i32 s19, s19, s5
	s_add_i32 s20, s46, s20
	s_mul_i32 s18, s18, s5
	s_add_i32 s20, s20, s19
	s_mul_hi_u32 s46, s4, s18
	s_mul_i32 s48, s4, s18
	s_mul_hi_u32 s18, s5, s18
	s_mul_hi_u32 s60, s5, s20
	s_mul_i32 s5, s5, s20
	s_mul_hi_u32 s19, s4, s20
	s_add_u32 s5, s18, s5
	s_addc_u32 s18, 0, s60
	s_add_u32 s5, s5, s48
	s_mul_i32 s20, s4, s20
	s_addc_u32 s5, s18, s46
	s_addc_u32 s18, s19, 0
	s_add_u32 s5, s5, s20
	s_addc_u32 s18, 0, s18
	v_add_co_u32 v3, s5, v3, s5
	s_delay_alu instid0(VALU_DEP_1) | instskip(SKIP_1) | instid1(VALU_DEP_1)
	s_cmp_lg_u32 s5, 0
	s_addc_u32 s4, s4, s18
	v_readfirstlane_b32 s5, v3
	s_mul_i32 s19, s75, s4
	s_mul_hi_u32 s18, s75, s4
	s_mul_hi_u32 s20, s49, s4
	s_mul_i32 s4, s49, s4
	s_mul_hi_u32 s46, s75, s5
	s_mul_hi_u32 s48, s49, s5
	s_mul_i32 s5, s49, s5
	s_add_u32 s19, s46, s19
	s_addc_u32 s18, 0, s18
	s_add_u32 s5, s19, s5
	s_addc_u32 s5, s18, s48
	s_addc_u32 s18, s20, 0
	s_add_u32 s4, s5, s4
	s_addc_u32 s5, 0, s18
	s_mul_hi_u32 s18, s29, s4
	s_mul_i32 s4, s29, s4
	s_mul_i32 s5, s29, s5
	v_sub_co_u32 v3, s4, s75, s4
	s_add_i32 s18, s18, s5
	s_cmp_lg_u32 s4, 0
	s_delay_alu instid0(VALU_DEP_1) | instskip(SKIP_2) | instid1(VALU_DEP_1)
	v_sub_co_u32 v4, s4, v3, s29
	s_subb_u32 s5, s49, s18
	s_cmp_lg_u32 s4, 0
	v_cmp_le_u32_e32 vcc_lo, s29, v4
	v_sub_co_u32 v5, s4, v4, s29
	s_subb_u32 s18, s5, 0
	s_cmp_lg_u32 s4, 0
	v_cndmask_b32_e64 v6, 0, -1, vcc_lo
	s_subb_u32 s4, s18, 0
	s_cmp_eq_u32 s18, 0
	v_mov_b32_e32 v8, s4
	s_cselect_b32 vcc_lo, -1, 0
	s_cmp_eq_u32 s5, 0
	v_cndmask_b32_e32 v6, -1, v6, vcc_lo
	v_cmp_le_u32_e32 vcc_lo, s29, v3
	s_cselect_b32 s4, -1, 0
	v_cndmask_b32_e64 v7, 0, -1, vcc_lo
	s_delay_alu instid0(VALU_DEP_3) | instskip(NEXT) | instid1(VALU_DEP_2)
	v_cmp_ne_u32_e32 vcc_lo, 0, v6
	v_cndmask_b32_e64 v6, -1, v7, s4
	v_cndmask_b32_e32 v7, s18, v8, vcc_lo
	v_cndmask_b32_e32 v5, v4, v5, vcc_lo
	s_delay_alu instid0(VALU_DEP_3) | instskip(NEXT) | instid1(VALU_DEP_3)
	v_cmp_ne_u32_e32 vcc_lo, 0, v6
	v_cndmask_b32_e32 v4, s5, v7, vcc_lo
	s_delay_alu instid0(VALU_DEP_3)
	v_cndmask_b32_e32 v3, v3, v5, vcc_lo
	s_cbranch_execnz .LBB100_107
.LBB100_106:                            ;   in Loop: Header=BB100_12 Depth=1
	v_cvt_f32_u32_e32 v3, s29
	s_sub_i32 s4, 0, s29
	s_delay_alu instid0(VALU_DEP_1) | instskip(SKIP_2) | instid1(VALU_DEP_1)
	v_rcp_iflag_f32_e32 v3, v3
	s_waitcnt_depctr 0xfff
	v_mul_f32_e32 v3, 0x4f7ffffe, v3
	v_cvt_u32_f32_e32 v3, v3
	s_delay_alu instid0(VALU_DEP_1) | instskip(NEXT) | instid1(VALU_DEP_1)
	v_mul_lo_u32 v4, s4, v3
	v_mul_hi_u32 v4, v3, v4
	s_delay_alu instid0(VALU_DEP_1) | instskip(NEXT) | instid1(VALU_DEP_1)
	v_add_nc_u32_e32 v3, v3, v4
	v_mul_hi_u32 v3, s75, v3
	s_delay_alu instid0(VALU_DEP_1) | instskip(NEXT) | instid1(VALU_DEP_1)
	v_mul_lo_u32 v3, v3, s29
	v_sub_nc_u32_e32 v3, s75, v3
	s_delay_alu instid0(VALU_DEP_1) | instskip(SKIP_1) | instid1(VALU_DEP_2)
	v_subrev_nc_u32_e32 v4, s29, v3
	v_cmp_le_u32_e32 vcc_lo, s29, v3
	v_cndmask_b32_e32 v3, v3, v4, vcc_lo
	s_delay_alu instid0(VALU_DEP_1) | instskip(SKIP_1) | instid1(VALU_DEP_2)
	v_subrev_nc_u32_e32 v4, s29, v3
	v_cmp_le_u32_e32 vcc_lo, s29, v3
	v_cndmask_b32_e32 v17, v3, v4, vcc_lo
	s_delay_alu instid0(VALU_DEP_1)
	v_dual_mov_b32 v3, v17 :: v_dual_mov_b32 v4, v18
.LBB100_107:                            ;   in Loop: Header=BB100_12 Depth=1
	s_delay_alu instid0(VALU_DEP_1) | instskip(NEXT) | instid1(VALU_DEP_2)
	v_sub_co_u32 v7, vcc_lo, s75, v3
	v_sub_co_ci_u32_e32 v8, vcc_lo, s49, v4, vcc_lo
	s_mov_b32 s4, 0
	s_mov_b32 s5, exec_lo
                                        ; implicit-def: $vgpr5_vgpr6
	s_delay_alu instid0(VALU_DEP_1)
	v_cmpx_gt_u64_e64 v[7:8], v[0:1]
	s_cbranch_execz .LBB100_116
; %bb.108:                              ;   in Loop: Header=BB100_12 Depth=1
	v_dual_mov_b32 v9, v15 :: v_dual_mov_b32 v10, v16
	v_dual_mov_b32 v12, v1 :: v_dual_mov_b32 v11, v0
	s_mov_b32 s18, 0
                                        ; implicit-def: $sgpr4
	s_set_inst_prefetch_distance 0x1
	s_branch .LBB100_110
	.p2align	6
.LBB100_109:                            ;   in Loop: Header=BB100_110 Depth=2
	s_or_b32 exec_lo, exec_lo, s19
	s_waitcnt vmcnt(0) lgkmcnt(0)
	s_barrier
	buffer_gl0_inv
	ds_load_b128 v[3:6], v18 offset:3072
	v_add_co_u32 v11, vcc_lo, v11, s29
	v_add_co_ci_u32_e32 v12, vcc_lo, 0, v12, vcc_lo
	s_waitcnt lgkmcnt(0)
	s_barrier
	buffer_gl0_inv
	v_cmp_ge_u64_e32 vcc_lo, v[11:12], v[7:8]
	v_readfirstlane_b32 s61, v4
	v_readfirstlane_b32 s60, v3
	s_delay_alu instid0(VALU_DEP_1) | instskip(SKIP_1) | instid1(SALU_CYCLE_1)
	s_cmp_lg_u64 s[60:61], 0
	s_cselect_b32 s19, -1, 0
	s_or_b32 s20, vcc_lo, s19
	v_add_co_u32 v9, vcc_lo, v9, s42
	s_and_b32 s20, exec_lo, s20
	v_add_co_ci_u32_e32 v10, vcc_lo, s43, v10, vcc_lo
	s_or_b32 s18, s20, s18
	s_and_not1_b32 s4, s4, exec_lo
	s_and_b32 s19, s19, exec_lo
	s_delay_alu instid0(SALU_CYCLE_1)
	s_or_b32 s4, s4, s19
	s_and_not1_b32 exec_lo, exec_lo, s18
	s_cbranch_execz .LBB100_115
.LBB100_110:                            ;   Parent Loop BB100_12 Depth=1
                                        ; =>  This Inner Loop Header: Depth=2
	s_delay_alu instid0(VALU_DEP_1)
	v_cmp_gt_u64_e32 vcc_lo, s[24:25], v[11:12]
	v_mov_b32_e32 v4, 0
	v_mov_b32_e32 v5, 0
	s_and_saveexec_b32 s19, vcc_lo
	s_cbranch_execz .LBB100_112
; %bb.111:                              ;   in Loop: Header=BB100_110 Depth=2
	global_load_b64 v[4:5], v[9:10], off
.LBB100_112:                            ;   in Loop: Header=BB100_110 Depth=2
	s_or_b32 exec_lo, exec_lo, s19
	s_and_saveexec_b32 s19, vcc_lo
	s_cbranch_execz .LBB100_109
; %bb.113:                              ;   in Loop: Header=BB100_110 Depth=2
	s_waitcnt vmcnt(0)
	v_xor_b32_e32 v3, 0x80000000, v5
	v_and_b32_e32 v13, s58, v4
	s_delay_alu instid0(VALU_DEP_2) | instskip(NEXT) | instid1(VALU_DEP_1)
	v_and_b32_e32 v14, s59, v3
	v_cmp_eq_u64_e32 vcc_lo, s[56:57], v[13:14]
	s_and_b32 exec_lo, exec_lo, vcc_lo
	s_cbranch_execz .LBB100_109
; %bb.114:                              ;   in Loop: Header=BB100_110 Depth=2
	v_mov_b32_e32 v3, v18
	ds_store_b128 v18, v[2:5] offset:3072
	s_branch .LBB100_109
.LBB100_115:                            ;   in Loop: Header=BB100_12 Depth=1
	s_set_inst_prefetch_distance 0x2
	s_or_b32 exec_lo, exec_lo, s18
	s_delay_alu instid0(SALU_CYCLE_1)
	s_and_b32 s4, s4, exec_lo
.LBB100_116:                            ;   in Loop: Header=BB100_12 Depth=1
	s_or_b32 exec_lo, exec_lo, s5
	s_mov_b32 s19, -1
	s_mov_b32 s5, 0
	s_mov_b32 s18, 0
.LBB100_117:                            ;   in Loop: Header=BB100_12 Depth=1
	s_and_not1_b32 s20, s87, exec_lo
	s_and_b32 s5, s5, exec_lo
	s_and_b32 s19, s19, exec_lo
	s_or_b32 s87, s20, s5
	s_and_not1_b32 s5, s90, exec_lo
	s_and_not1_b32 s20, s88, exec_lo
	s_and_b32 s18, s18, exec_lo
	s_or_b32 s90, s5, s19
	s_or_b32 s88, s20, s18
	s_and_saveexec_b32 s20, s4
	s_cbranch_execz .LBB100_11
; %bb.118:                              ;   in Loop: Header=BB100_12 Depth=1
	s_xor_b32 s4, s23, -1
	s_mov_b32 s48, 1
	s_and_not1_b32 vcc_lo, exec_lo, s4
	s_cbranch_vccnz .LBB100_129
; %bb.119:                              ;   in Loop: Header=BB100_12 Depth=1
	v_cmp_gt_u64_e64 s4, s[40:41], s[16:17]
	s_mov_b32 s22, -1
                                        ; implicit-def: $sgpr48
                                        ; implicit-def: $sgpr18_sgpr19
	s_delay_alu instid0(VALU_DEP_1)
	s_and_b32 vcc_lo, exec_lo, s4
                                        ; implicit-def: $sgpr4_sgpr5
	s_cbranch_vccnz .LBB100_125
; %bb.120:                              ;   in Loop: Header=BB100_12 Depth=1
	ds_load_b64 v[3:4], v18 offset:5120
	s_waitcnt lgkmcnt(0)
	v_cmp_ne_u64_e32 vcc_lo, 0, v[3:4]
	s_cbranch_vccnz .LBB100_124
; %bb.121:                              ;   in Loop: Header=BB100_12 Depth=1
	s_and_saveexec_b32 s4, s2
	s_cbranch_execz .LBB100_123
; %bb.122:                              ;   in Loop: Header=BB100_12 Depth=1
	v_dual_mov_b32 v3, s16 :: v_dual_mov_b32 v4, s17
	ds_store_b64 v18, v[3:4] offset:5128
.LBB100_123:                            ;   in Loop: Header=BB100_12 Depth=1
	s_or_b32 exec_lo, exec_lo, s4
	s_waitcnt lgkmcnt(0)
	s_barrier
	buffer_gl0_inv
.LBB100_124:                            ;   in Loop: Header=BB100_12 Depth=1
	s_and_b64 s[4:5], s[56:57], s[12:13]
	s_or_b64 s[18:19], s[58:59], s[8:9]
	s_mov_b32 s22, 0
	s_mov_b32 s48, 8
.LBB100_125:                            ;   in Loop: Header=BB100_12 Depth=1
	s_and_not1_b32 vcc_lo, exec_lo, s22
	s_cbranch_vccnz .LBB100_127
; %bb.126:                              ;   in Loop: Header=BB100_12 Depth=1
	s_sub_u32 s40, s40, s16
	s_subb_u32 s41, s41, s17
	s_mov_b32 s22, -1
	s_mov_b32 s48, 0
	s_mov_b64 s[4:5], s[56:57]
	s_mov_b64 s[18:19], s[58:59]
.LBB100_127:                            ;   in Loop: Header=BB100_12 Depth=1
	s_delay_alu instid0(SALU_CYCLE_1)
	s_mov_b64 s[58:59], s[18:19]
	s_mov_b64 s[56:57], s[4:5]
	s_and_b32 vcc_lo, exec_lo, s22
	s_mov_b32 s18, -1
	s_cbranch_vccnz .LBB100_130
.LBB100_128:                            ;   in Loop: Header=BB100_12 Depth=1
	s_mov_b32 s5, -1
                                        ; implicit-def: $sgpr19
                                        ; implicit-def: $sgpr23
                                        ; implicit-def: $sgpr22
	s_delay_alu instid0(SALU_CYCLE_1) | instskip(NEXT) | instid1(SALU_CYCLE_1)
	s_and_saveexec_b32 s4, s5
	s_xor_b32 s4, exec_lo, s4
	s_cbranch_execz .LBB100_10
	s_branch .LBB100_276
.LBB100_129:                            ;   in Loop: Header=BB100_12 Depth=1
	s_mov_b64 s[40:41], 1
	s_mov_b32 s18, -1
	s_branch .LBB100_128
.LBB100_130:                            ;   in Loop: Header=BB100_12 Depth=1
	s_cmp_eq_u64 s[14:15], 1
	s_cselect_b32 s4, -1, 0
	s_cmp_eq_u64 s[40:41], 1
	s_cselect_b32 s5, -1, 0
	s_delay_alu instid0(SALU_CYCLE_1)
	s_and_b32 s60, s4, s5
	s_mov_b32 s4, -1
	s_and_b32 vcc_lo, exec_lo, s60
	s_cbranch_vccz .LBB100_145
; %bb.131:                              ;   in Loop: Header=BB100_12 Depth=1
	ds_load_b64 v[3:4], v18 offset:5120
	s_waitcnt lgkmcnt(0)
	s_barrier
	buffer_gl0_inv
	v_readfirstlane_b32 s16, v3
	v_readfirstlane_b32 s17, v4
	s_and_saveexec_b32 s4, s3
	s_cbranch_execz .LBB100_133
; %bb.132:                              ;   in Loop: Header=BB100_12 Depth=1
	v_mov_b32_e32 v17, v18
	ds_store_b64 v34, v[17:18]
.LBB100_133:                            ;   in Loop: Header=BB100_12 Depth=1
	s_or_b32 exec_lo, exec_lo, s4
	s_lshl_b64 s[4:5], 1, s21
	s_and_b64 s[22:23], s[56:57], s[12:13]
	s_or_b64 s[58:59], s[58:59], s[8:9]
	s_or_b64 s[56:57], s[22:23], s[4:5]
	s_cmp_eq_u64 s[16:17], 0
	s_waitcnt lgkmcnt(0)
	s_barrier
	buffer_gl0_inv
	s_cbranch_scc1 .LBB100_148
; %bb.134:                              ;   in Loop: Header=BB100_12 Depth=1
	s_add_u32 s19, s73, s16
	s_addc_u32 s5, s74, s17
	s_mov_b32 s4, s47
	s_delay_alu instid0(SALU_CYCLE_1)
	s_cmp_lg_u64 s[4:5], 0
	s_cbranch_scc0 .LBB100_193
; %bb.135:                              ;   in Loop: Header=BB100_12 Depth=1
	v_cvt_f32_u32_e32 v3, s29
	s_sub_u32 s23, 0, s29
	s_subb_u32 s46, 0, 0
	s_delay_alu instid0(VALU_DEP_1) | instskip(NEXT) | instid1(VALU_DEP_1)
	v_fmac_f32_e64 v3, 0, 0x4f800000
	v_rcp_f32_e32 v3, v3
	s_waitcnt_depctr 0xfff
	v_mul_f32_e32 v3, 0x5f7ffffc, v3
	s_delay_alu instid0(VALU_DEP_1) | instskip(NEXT) | instid1(VALU_DEP_1)
	v_mul_f32_e32 v4, 0x2f800000, v3
	v_trunc_f32_e32 v4, v4
	s_delay_alu instid0(VALU_DEP_1) | instskip(SKIP_1) | instid1(VALU_DEP_2)
	v_fmac_f32_e32 v3, 0xcf800000, v4
	v_cvt_u32_f32_e32 v4, v4
	v_cvt_u32_f32_e32 v3, v3
	s_delay_alu instid0(VALU_DEP_2) | instskip(NEXT) | instid1(VALU_DEP_2)
	v_readfirstlane_b32 s4, v4
	v_readfirstlane_b32 s22, v3
	s_delay_alu instid0(VALU_DEP_2) | instskip(NEXT) | instid1(VALU_DEP_1)
	s_mul_i32 s48, s23, s4
	s_mul_hi_u32 s62, s23, s22
	s_mul_i32 s61, s46, s22
	s_add_i32 s48, s62, s48
	s_mul_i32 s63, s23, s22
	s_add_i32 s48, s48, s61
	s_mul_hi_u32 s62, s22, s63
	s_mul_hi_u32 s64, s4, s63
	s_mul_i32 s61, s4, s63
	s_mul_hi_u32 s63, s22, s48
	s_mul_i32 s22, s22, s48
	s_mul_hi_u32 s65, s4, s48
	s_add_u32 s22, s62, s22
	s_addc_u32 s62, 0, s63
	s_add_u32 s22, s22, s61
	s_mul_i32 s48, s4, s48
	s_addc_u32 s22, s62, s64
	s_addc_u32 s61, s65, 0
	s_add_u32 s22, s22, s48
	s_addc_u32 s48, 0, s61
	v_add_co_u32 v3, s22, v3, s22
	s_delay_alu instid0(VALU_DEP_1) | instskip(SKIP_1) | instid1(VALU_DEP_1)
	s_cmp_lg_u32 s22, 0
	s_addc_u32 s4, s4, s48
	v_readfirstlane_b32 s22, v3
	s_mul_i32 s48, s23, s4
	s_delay_alu instid0(VALU_DEP_1)
	s_mul_hi_u32 s61, s23, s22
	s_mul_i32 s46, s46, s22
	s_add_i32 s48, s61, s48
	s_mul_i32 s23, s23, s22
	s_add_i32 s48, s48, s46
	s_mul_hi_u32 s61, s4, s23
	s_mul_i32 s62, s4, s23
	s_mul_hi_u32 s23, s22, s23
	s_mul_hi_u32 s63, s22, s48
	s_mul_i32 s22, s22, s48
	s_mul_hi_u32 s46, s4, s48
	s_add_u32 s22, s23, s22
	s_addc_u32 s23, 0, s63
	s_add_u32 s22, s22, s62
	s_mul_i32 s48, s4, s48
	s_addc_u32 s22, s23, s61
	s_addc_u32 s23, s46, 0
	s_add_u32 s22, s22, s48
	s_addc_u32 s23, 0, s23
	v_add_co_u32 v3, s22, v3, s22
	s_delay_alu instid0(VALU_DEP_1) | instskip(SKIP_1) | instid1(VALU_DEP_1)
	s_cmp_lg_u32 s22, 0
	s_addc_u32 s4, s4, s23
	v_readfirstlane_b32 s22, v3
	s_mul_i32 s46, s19, s4
	s_mul_hi_u32 s23, s19, s4
	s_mul_hi_u32 s48, s5, s4
	s_mul_i32 s4, s5, s4
	s_mul_hi_u32 s61, s19, s22
	s_mul_hi_u32 s62, s5, s22
	s_mul_i32 s22, s5, s22
	s_add_u32 s46, s61, s46
	s_addc_u32 s23, 0, s23
	s_add_u32 s22, s46, s22
	s_addc_u32 s22, s23, s62
	s_addc_u32 s23, s48, 0
	s_add_u32 s4, s22, s4
	s_addc_u32 s22, 0, s23
	s_mul_hi_u32 s23, s29, s4
	s_mul_i32 s4, s29, s4
	s_mul_i32 s22, s29, s22
	v_sub_co_u32 v3, s4, s19, s4
	s_add_i32 s23, s23, s22
	s_cmp_lg_u32 s4, 0
	s_delay_alu instid0(VALU_DEP_1) | instskip(SKIP_2) | instid1(VALU_DEP_1)
	v_sub_co_u32 v4, s4, v3, s29
	s_subb_u32 s22, s5, s23
	s_cmp_lg_u32 s4, 0
	v_cmp_le_u32_e32 vcc_lo, s29, v4
	v_sub_co_u32 v5, s4, v4, s29
	s_subb_u32 s23, s22, 0
	s_cmp_lg_u32 s4, 0
	v_cndmask_b32_e64 v6, 0, -1, vcc_lo
	s_subb_u32 s4, s23, 0
	s_cmp_eq_u32 s23, 0
	v_mov_b32_e32 v8, s4
	s_cselect_b32 vcc_lo, -1, 0
	s_cmp_eq_u32 s22, 0
	v_cndmask_b32_e32 v6, -1, v6, vcc_lo
	v_cmp_le_u32_e32 vcc_lo, s29, v3
	s_cselect_b32 s4, -1, 0
	v_cndmask_b32_e64 v7, 0, -1, vcc_lo
	s_delay_alu instid0(VALU_DEP_3) | instskip(NEXT) | instid1(VALU_DEP_2)
	v_cmp_ne_u32_e32 vcc_lo, 0, v6
	v_cndmask_b32_e64 v6, -1, v7, s4
	v_cndmask_b32_e32 v7, s23, v8, vcc_lo
	v_cndmask_b32_e32 v5, v4, v5, vcc_lo
	s_delay_alu instid0(VALU_DEP_3) | instskip(NEXT) | instid1(VALU_DEP_3)
	v_cmp_ne_u32_e32 vcc_lo, 0, v6
	v_cndmask_b32_e32 v4, s22, v7, vcc_lo
	s_delay_alu instid0(VALU_DEP_3)
	v_cndmask_b32_e32 v3, v3, v5, vcc_lo
	s_cbranch_execnz .LBB100_137
.LBB100_136:                            ;   in Loop: Header=BB100_12 Depth=1
	v_cvt_f32_u32_e32 v3, s29
	s_sub_i32 s4, 0, s29
	s_delay_alu instid0(VALU_DEP_1) | instskip(SKIP_2) | instid1(VALU_DEP_1)
	v_rcp_iflag_f32_e32 v3, v3
	s_waitcnt_depctr 0xfff
	v_mul_f32_e32 v3, 0x4f7ffffe, v3
	v_cvt_u32_f32_e32 v3, v3
	s_delay_alu instid0(VALU_DEP_1) | instskip(NEXT) | instid1(VALU_DEP_1)
	v_mul_lo_u32 v4, s4, v3
	v_mul_hi_u32 v4, v3, v4
	s_delay_alu instid0(VALU_DEP_1) | instskip(NEXT) | instid1(VALU_DEP_1)
	v_add_nc_u32_e32 v3, v3, v4
	v_mul_hi_u32 v3, s19, v3
	s_delay_alu instid0(VALU_DEP_1) | instskip(NEXT) | instid1(VALU_DEP_1)
	v_mul_lo_u32 v3, v3, s29
	v_sub_nc_u32_e32 v3, s19, v3
	s_delay_alu instid0(VALU_DEP_1) | instskip(SKIP_1) | instid1(VALU_DEP_2)
	v_subrev_nc_u32_e32 v4, s29, v3
	v_cmp_le_u32_e32 vcc_lo, s29, v3
	v_cndmask_b32_e32 v3, v3, v4, vcc_lo
	s_delay_alu instid0(VALU_DEP_1) | instskip(SKIP_1) | instid1(VALU_DEP_2)
	v_subrev_nc_u32_e32 v4, s29, v3
	v_cmp_le_u32_e32 vcc_lo, s29, v3
	v_cndmask_b32_e32 v17, v3, v4, vcc_lo
	s_delay_alu instid0(VALU_DEP_1)
	v_dual_mov_b32 v3, v17 :: v_dual_mov_b32 v4, v18
.LBB100_137:                            ;   in Loop: Header=BB100_12 Depth=1
	s_delay_alu instid0(VALU_DEP_1) | instskip(NEXT) | instid1(VALU_DEP_2)
	v_sub_co_u32 v7, vcc_lo, s19, v3
	v_sub_co_ci_u32_e32 v8, vcc_lo, s5, v4, vcc_lo
	s_mov_b32 s4, 0
	s_mov_b32 s5, exec_lo
                                        ; implicit-def: $vgpr5_vgpr6
	s_delay_alu instid0(VALU_DEP_1)
	v_cmpx_gt_u64_e64 v[7:8], v[0:1]
	s_cbranch_execz .LBB100_150
; %bb.138:                              ;   in Loop: Header=BB100_12 Depth=1
	v_mov_b32_e32 v11, v33
	v_dual_mov_b32 v10, v1 :: v_dual_mov_b32 v9, v0
	s_mov_b32 s19, 0
                                        ; implicit-def: $sgpr4
	s_set_inst_prefetch_distance 0x1
	s_branch .LBB100_140
	.p2align	6
.LBB100_139:                            ;   in Loop: Header=BB100_140 Depth=2
	s_or_b32 exec_lo, exec_lo, s22
	s_waitcnt lgkmcnt(0)
	s_barrier
	buffer_gl0_inv
	ds_load_b128 v[3:6], v18 offset:3072
	v_add_co_u32 v9, vcc_lo, v9, s29
	v_add_co_ci_u32_e32 v10, vcc_lo, 0, v10, vcc_lo
	v_add_nc_u32_e32 v11, s81, v11
	s_waitcnt lgkmcnt(0)
	s_barrier
	s_delay_alu instid0(VALU_DEP_2) | instskip(SKIP_3) | instid1(VALU_DEP_1)
	v_cmp_ge_u64_e32 vcc_lo, v[9:10], v[7:8]
	buffer_gl0_inv
	v_readfirstlane_b32 s23, v4
	v_readfirstlane_b32 s22, v3
	s_cmp_lg_u64 s[22:23], 0
	s_cselect_b32 s22, -1, 0
	s_delay_alu instid0(SALU_CYCLE_1) | instskip(NEXT) | instid1(SALU_CYCLE_1)
	s_or_b32 s23, vcc_lo, s22
	s_and_b32 s23, exec_lo, s23
	s_delay_alu instid0(SALU_CYCLE_1) | instskip(SKIP_2) | instid1(SALU_CYCLE_1)
	s_or_b32 s19, s23, s19
	s_and_not1_b32 s4, s4, exec_lo
	s_and_b32 s22, s22, exec_lo
	s_or_b32 s4, s4, s22
	s_and_not1_b32 exec_lo, exec_lo, s19
	s_cbranch_execz .LBB100_149
.LBB100_140:                            ;   Parent Loop BB100_12 Depth=1
                                        ; =>  This Inner Loop Header: Depth=2
	s_delay_alu instid0(VALU_DEP_1)
	v_cmp_gt_u64_e32 vcc_lo, s[16:17], v[9:10]
	v_mov_b32_e32 v4, 0
	v_mov_b32_e32 v5, 0
	s_and_saveexec_b32 s22, vcc_lo
	s_cbranch_execz .LBB100_142
; %bb.141:                              ;   in Loop: Header=BB100_140 Depth=2
	ds_load_b64 v[4:5], v11
.LBB100_142:                            ;   in Loop: Header=BB100_140 Depth=2
	s_or_b32 exec_lo, exec_lo, s22
	s_and_saveexec_b32 s22, vcc_lo
	s_cbranch_execz .LBB100_139
; %bb.143:                              ;   in Loop: Header=BB100_140 Depth=2
	s_waitcnt lgkmcnt(0)
	v_xor_b32_e32 v3, 0x80000000, v5
	v_and_b32_e32 v12, s58, v4
	s_delay_alu instid0(VALU_DEP_2) | instskip(NEXT) | instid1(VALU_DEP_1)
	v_and_b32_e32 v13, s59, v3
	v_cmp_eq_u64_e32 vcc_lo, s[56:57], v[12:13]
	s_and_b32 exec_lo, exec_lo, vcc_lo
	s_cbranch_execz .LBB100_139
; %bb.144:                              ;   in Loop: Header=BB100_140 Depth=2
	v_mov_b32_e32 v3, v18
	ds_store_b128 v18, v[2:5] offset:3072
	s_branch .LBB100_139
.LBB100_145:                            ;   in Loop: Header=BB100_12 Depth=1
                                        ; implicit-def: $sgpr22
                                        ; implicit-def: $sgpr23
                                        ; implicit-def: $sgpr19
	s_branch .LBB100_164
.LBB100_146:                            ;   in Loop: Header=BB100_12 Depth=1
                                        ; implicit-def: $vgpr3_vgpr4
	s_branch .LBB100_91
.LBB100_147:                            ;   in Loop: Header=BB100_12 Depth=1
                                        ; implicit-def: $vgpr3_vgpr4
	s_branch .LBB100_106
.LBB100_148:                            ;   in Loop: Header=BB100_12 Depth=1
	s_mov_b32 s22, -1
	s_mov_b32 s4, 0
                                        ; implicit-def: $sgpr19
                                        ; implicit-def: $vgpr5_vgpr6
	s_mov_b32 s23, s22
	s_cbranch_execnz .LBB100_151
	s_branch .LBB100_164
.LBB100_149:                            ;   in Loop: Header=BB100_12 Depth=1
	s_set_inst_prefetch_distance 0x2
	s_or_b32 exec_lo, exec_lo, s19
	s_delay_alu instid0(SALU_CYCLE_1)
	s_and_b32 s4, s4, exec_lo
.LBB100_150:                            ;   in Loop: Header=BB100_12 Depth=1
	s_or_b32 exec_lo, exec_lo, s5
	s_mov_b32 s19, -1
	s_mov_b32 s22, 0
	s_delay_alu instid0(SALU_CYCLE_1)
	s_mov_b32 s23, s22
	s_branch .LBB100_164
.LBB100_151:                            ;   in Loop: Header=BB100_12 Depth=1
	s_mov_b32 s48, s47
	s_delay_alu instid0(SALU_CYCLE_1)
	s_cmp_lg_u64 s[48:49], 0
	s_cbranch_scc0 .LBB100_194
; %bb.152:                              ;   in Loop: Header=BB100_12 Depth=1
	v_cvt_f32_u32_e32 v3, s29
	s_sub_u32 s16, 0, s29
	s_subb_u32 s17, 0, 0
	s_delay_alu instid0(VALU_DEP_1) | instskip(NEXT) | instid1(VALU_DEP_1)
	v_fmac_f32_e64 v3, 0, 0x4f800000
	v_rcp_f32_e32 v3, v3
	s_waitcnt_depctr 0xfff
	v_mul_f32_e32 v3, 0x5f7ffffc, v3
	s_delay_alu instid0(VALU_DEP_1) | instskip(NEXT) | instid1(VALU_DEP_1)
	v_mul_f32_e32 v4, 0x2f800000, v3
	v_trunc_f32_e32 v4, v4
	s_delay_alu instid0(VALU_DEP_1) | instskip(SKIP_1) | instid1(VALU_DEP_2)
	v_fmac_f32_e32 v3, 0xcf800000, v4
	v_cvt_u32_f32_e32 v4, v4
	v_cvt_u32_f32_e32 v3, v3
	s_delay_alu instid0(VALU_DEP_2) | instskip(NEXT) | instid1(VALU_DEP_2)
	v_readfirstlane_b32 s4, v4
	v_readfirstlane_b32 s5, v3
	s_delay_alu instid0(VALU_DEP_2) | instskip(NEXT) | instid1(VALU_DEP_1)
	s_mul_i32 s19, s16, s4
	s_mul_hi_u32 s23, s16, s5
	s_mul_i32 s22, s17, s5
	s_add_i32 s19, s23, s19
	s_mul_i32 s46, s16, s5
	s_add_i32 s19, s19, s22
	s_mul_hi_u32 s23, s5, s46
	s_mul_hi_u32 s48, s4, s46
	s_mul_i32 s22, s4, s46
	s_mul_hi_u32 s46, s5, s19
	s_mul_i32 s5, s5, s19
	s_mul_hi_u32 s61, s4, s19
	s_add_u32 s5, s23, s5
	s_addc_u32 s23, 0, s46
	s_add_u32 s5, s5, s22
	s_mul_i32 s19, s4, s19
	s_addc_u32 s5, s23, s48
	s_addc_u32 s22, s61, 0
	s_add_u32 s5, s5, s19
	s_addc_u32 s19, 0, s22
	v_add_co_u32 v3, s5, v3, s5
	s_delay_alu instid0(VALU_DEP_1) | instskip(SKIP_1) | instid1(VALU_DEP_1)
	s_cmp_lg_u32 s5, 0
	s_addc_u32 s4, s4, s19
	v_readfirstlane_b32 s5, v3
	s_mul_i32 s19, s16, s4
	s_delay_alu instid0(VALU_DEP_1)
	s_mul_hi_u32 s22, s16, s5
	s_mul_i32 s17, s17, s5
	s_add_i32 s19, s22, s19
	s_mul_i32 s16, s16, s5
	s_add_i32 s19, s19, s17
	s_mul_hi_u32 s22, s4, s16
	s_mul_i32 s23, s4, s16
	s_mul_hi_u32 s16, s5, s16
	s_mul_hi_u32 s46, s5, s19
	s_mul_i32 s5, s5, s19
	s_mul_hi_u32 s17, s4, s19
	s_add_u32 s5, s16, s5
	s_addc_u32 s16, 0, s46
	s_add_u32 s5, s5, s23
	s_mul_i32 s19, s4, s19
	s_addc_u32 s5, s16, s22
	s_addc_u32 s16, s17, 0
	s_add_u32 s5, s5, s19
	s_addc_u32 s16, 0, s16
	v_add_co_u32 v3, s5, v3, s5
	s_delay_alu instid0(VALU_DEP_1) | instskip(SKIP_1) | instid1(VALU_DEP_1)
	s_cmp_lg_u32 s5, 0
	s_addc_u32 s4, s4, s16
	v_readfirstlane_b32 s5, v3
	s_mul_i32 s17, s75, s4
	s_mul_hi_u32 s16, s75, s4
	s_mul_hi_u32 s19, s49, s4
	s_mul_i32 s4, s49, s4
	s_mul_hi_u32 s22, s75, s5
	s_mul_hi_u32 s23, s49, s5
	s_mul_i32 s5, s49, s5
	s_add_u32 s17, s22, s17
	s_addc_u32 s16, 0, s16
	s_add_u32 s5, s17, s5
	s_addc_u32 s5, s16, s23
	s_addc_u32 s16, s19, 0
	s_add_u32 s4, s5, s4
	s_addc_u32 s5, 0, s16
	s_mul_hi_u32 s16, s29, s4
	s_mul_i32 s4, s29, s4
	s_mul_i32 s5, s29, s5
	v_sub_co_u32 v3, s4, s75, s4
	s_add_i32 s16, s16, s5
	s_cmp_lg_u32 s4, 0
	s_delay_alu instid0(VALU_DEP_1) | instskip(SKIP_2) | instid1(VALU_DEP_1)
	v_sub_co_u32 v4, s4, v3, s29
	s_subb_u32 s5, s49, s16
	s_cmp_lg_u32 s4, 0
	v_cmp_le_u32_e32 vcc_lo, s29, v4
	v_sub_co_u32 v5, s4, v4, s29
	s_subb_u32 s16, s5, 0
	s_cmp_lg_u32 s4, 0
	v_cndmask_b32_e64 v6, 0, -1, vcc_lo
	s_subb_u32 s4, s16, 0
	s_cmp_eq_u32 s16, 0
	v_mov_b32_e32 v8, s4
	s_cselect_b32 vcc_lo, -1, 0
	s_cmp_eq_u32 s5, 0
	v_cndmask_b32_e32 v6, -1, v6, vcc_lo
	v_cmp_le_u32_e32 vcc_lo, s29, v3
	s_cselect_b32 s4, -1, 0
	v_cndmask_b32_e64 v7, 0, -1, vcc_lo
	s_delay_alu instid0(VALU_DEP_3) | instskip(NEXT) | instid1(VALU_DEP_2)
	v_cmp_ne_u32_e32 vcc_lo, 0, v6
	v_cndmask_b32_e64 v6, -1, v7, s4
	v_cndmask_b32_e32 v7, s16, v8, vcc_lo
	v_cndmask_b32_e32 v5, v4, v5, vcc_lo
	s_delay_alu instid0(VALU_DEP_3) | instskip(NEXT) | instid1(VALU_DEP_3)
	v_cmp_ne_u32_e32 vcc_lo, 0, v6
	v_cndmask_b32_e32 v4, s5, v7, vcc_lo
	s_delay_alu instid0(VALU_DEP_3)
	v_cndmask_b32_e32 v3, v3, v5, vcc_lo
	s_cbranch_execnz .LBB100_154
.LBB100_153:                            ;   in Loop: Header=BB100_12 Depth=1
	v_cvt_f32_u32_e32 v3, s29
	s_sub_i32 s4, 0, s29
	s_delay_alu instid0(VALU_DEP_1) | instskip(SKIP_2) | instid1(VALU_DEP_1)
	v_rcp_iflag_f32_e32 v3, v3
	s_waitcnt_depctr 0xfff
	v_mul_f32_e32 v3, 0x4f7ffffe, v3
	v_cvt_u32_f32_e32 v3, v3
	s_delay_alu instid0(VALU_DEP_1) | instskip(NEXT) | instid1(VALU_DEP_1)
	v_mul_lo_u32 v4, s4, v3
	v_mul_hi_u32 v4, v3, v4
	s_delay_alu instid0(VALU_DEP_1) | instskip(NEXT) | instid1(VALU_DEP_1)
	v_add_nc_u32_e32 v3, v3, v4
	v_mul_hi_u32 v3, s75, v3
	s_delay_alu instid0(VALU_DEP_1) | instskip(NEXT) | instid1(VALU_DEP_1)
	v_mul_lo_u32 v3, v3, s29
	v_sub_nc_u32_e32 v3, s75, v3
	s_delay_alu instid0(VALU_DEP_1) | instskip(SKIP_1) | instid1(VALU_DEP_2)
	v_subrev_nc_u32_e32 v4, s29, v3
	v_cmp_le_u32_e32 vcc_lo, s29, v3
	v_cndmask_b32_e32 v3, v3, v4, vcc_lo
	s_delay_alu instid0(VALU_DEP_1) | instskip(SKIP_1) | instid1(VALU_DEP_2)
	v_subrev_nc_u32_e32 v4, s29, v3
	v_cmp_le_u32_e32 vcc_lo, s29, v3
	v_cndmask_b32_e32 v17, v3, v4, vcc_lo
	s_delay_alu instid0(VALU_DEP_1)
	v_dual_mov_b32 v3, v17 :: v_dual_mov_b32 v4, v18
.LBB100_154:                            ;   in Loop: Header=BB100_12 Depth=1
	s_delay_alu instid0(VALU_DEP_1) | instskip(NEXT) | instid1(VALU_DEP_2)
	v_sub_co_u32 v7, vcc_lo, s75, v3
	v_sub_co_ci_u32_e32 v8, vcc_lo, s49, v4, vcc_lo
	s_mov_b32 s4, 0
	s_mov_b32 s5, exec_lo
                                        ; implicit-def: $vgpr5_vgpr6
	s_delay_alu instid0(VALU_DEP_1)
	v_cmpx_gt_u64_e64 v[7:8], v[0:1]
	s_cbranch_execz .LBB100_163
; %bb.155:                              ;   in Loop: Header=BB100_12 Depth=1
	v_dual_mov_b32 v9, v15 :: v_dual_mov_b32 v10, v16
	v_dual_mov_b32 v12, v1 :: v_dual_mov_b32 v11, v0
	s_mov_b32 s16, 0
                                        ; implicit-def: $sgpr4
	s_set_inst_prefetch_distance 0x1
	s_branch .LBB100_157
	.p2align	6
.LBB100_156:                            ;   in Loop: Header=BB100_157 Depth=2
	s_or_b32 exec_lo, exec_lo, s17
	s_waitcnt vmcnt(0) lgkmcnt(0)
	s_barrier
	buffer_gl0_inv
	ds_load_b128 v[3:6], v18 offset:3072
	v_add_co_u32 v11, vcc_lo, v11, s29
	v_add_co_ci_u32_e32 v12, vcc_lo, 0, v12, vcc_lo
	s_waitcnt lgkmcnt(0)
	s_barrier
	buffer_gl0_inv
	v_cmp_ge_u64_e32 vcc_lo, v[11:12], v[7:8]
	v_readfirstlane_b32 s23, v4
	v_readfirstlane_b32 s22, v3
	s_delay_alu instid0(VALU_DEP_1) | instskip(SKIP_1) | instid1(SALU_CYCLE_1)
	s_cmp_lg_u64 s[22:23], 0
	s_cselect_b32 s17, -1, 0
	s_or_b32 s19, vcc_lo, s17
	v_add_co_u32 v9, vcc_lo, v9, s42
	s_and_b32 s19, exec_lo, s19
	v_add_co_ci_u32_e32 v10, vcc_lo, s43, v10, vcc_lo
	s_or_b32 s16, s19, s16
	s_and_not1_b32 s4, s4, exec_lo
	s_and_b32 s17, s17, exec_lo
	s_delay_alu instid0(SALU_CYCLE_1)
	s_or_b32 s4, s4, s17
	s_and_not1_b32 exec_lo, exec_lo, s16
	s_cbranch_execz .LBB100_162
.LBB100_157:                            ;   Parent Loop BB100_12 Depth=1
                                        ; =>  This Inner Loop Header: Depth=2
	s_delay_alu instid0(VALU_DEP_1)
	v_cmp_gt_u64_e32 vcc_lo, s[24:25], v[11:12]
	v_mov_b32_e32 v4, 0
	v_mov_b32_e32 v5, 0
	s_and_saveexec_b32 s17, vcc_lo
	s_cbranch_execz .LBB100_159
; %bb.158:                              ;   in Loop: Header=BB100_157 Depth=2
	global_load_b64 v[4:5], v[9:10], off
.LBB100_159:                            ;   in Loop: Header=BB100_157 Depth=2
	s_or_b32 exec_lo, exec_lo, s17
	s_and_saveexec_b32 s17, vcc_lo
	s_cbranch_execz .LBB100_156
; %bb.160:                              ;   in Loop: Header=BB100_157 Depth=2
	s_waitcnt vmcnt(0)
	v_xor_b32_e32 v3, 0x80000000, v5
	v_and_b32_e32 v13, s58, v4
	s_delay_alu instid0(VALU_DEP_2) | instskip(NEXT) | instid1(VALU_DEP_1)
	v_and_b32_e32 v14, s59, v3
	v_cmp_eq_u64_e32 vcc_lo, s[56:57], v[13:14]
	s_and_b32 exec_lo, exec_lo, vcc_lo
	s_cbranch_execz .LBB100_156
; %bb.161:                              ;   in Loop: Header=BB100_157 Depth=2
	v_mov_b32_e32 v3, v18
	ds_store_b128 v18, v[2:5] offset:3072
	s_branch .LBB100_156
.LBB100_162:                            ;   in Loop: Header=BB100_12 Depth=1
	s_set_inst_prefetch_distance 0x2
	s_or_b32 exec_lo, exec_lo, s16
	s_delay_alu instid0(SALU_CYCLE_1)
	s_and_b32 s4, s4, exec_lo
.LBB100_163:                            ;   in Loop: Header=BB100_12 Depth=1
	s_or_b32 exec_lo, exec_lo, s5
	s_mov_b32 s23, -1
	s_mov_b32 s22, 0
	s_mov_b32 s19, 0
.LBB100_164:                            ;   in Loop: Header=BB100_12 Depth=1
	s_mov_b32 s5, 0
                                        ; implicit-def: $sgpr48
	s_and_saveexec_b32 s46, s4
	s_cbranch_execz .LBB100_275
; %bb.165:                              ;   in Loop: Header=BB100_12 Depth=1
	s_xor_b32 s4, s60, -1
	s_mov_b32 s48, 1
	s_and_not1_b32 vcc_lo, exec_lo, s4
	s_cbranch_vccnz .LBB100_176
; %bb.166:                              ;   in Loop: Header=BB100_12 Depth=1
	v_cmp_gt_u64_e64 s4, s[40:41], s[14:15]
	s_mov_b32 s60, -1
                                        ; implicit-def: $sgpr48
                                        ; implicit-def: $sgpr16_sgpr17
	s_delay_alu instid0(VALU_DEP_1)
	s_and_b32 vcc_lo, exec_lo, s4
                                        ; implicit-def: $sgpr4_sgpr5
	s_cbranch_vccnz .LBB100_172
; %bb.167:                              ;   in Loop: Header=BB100_12 Depth=1
	ds_load_b64 v[3:4], v18 offset:5120
	s_waitcnt lgkmcnt(0)
	v_cmp_ne_u64_e32 vcc_lo, 0, v[3:4]
	s_cbranch_vccnz .LBB100_171
; %bb.168:                              ;   in Loop: Header=BB100_12 Depth=1
	s_and_saveexec_b32 s4, s2
	s_cbranch_execz .LBB100_170
; %bb.169:                              ;   in Loop: Header=BB100_12 Depth=1
	v_dual_mov_b32 v3, s14 :: v_dual_mov_b32 v4, s15
	ds_store_b64 v18, v[3:4] offset:5128
.LBB100_170:                            ;   in Loop: Header=BB100_12 Depth=1
	s_or_b32 exec_lo, exec_lo, s4
	s_waitcnt lgkmcnt(0)
	s_barrier
	buffer_gl0_inv
.LBB100_171:                            ;   in Loop: Header=BB100_12 Depth=1
	s_lshl_b64 s[4:5], 1, s21
	s_and_b64 s[16:17], s[56:57], s[12:13]
	s_mov_b32 s60, 0
	s_or_b64 s[4:5], s[16:17], s[4:5]
	s_or_b64 s[16:17], s[58:59], s[8:9]
	s_mov_b32 s48, 8
.LBB100_172:                            ;   in Loop: Header=BB100_12 Depth=1
	s_and_not1_b32 vcc_lo, exec_lo, s60
	s_cbranch_vccnz .LBB100_174
; %bb.173:                              ;   in Loop: Header=BB100_12 Depth=1
	s_sub_u32 s40, s40, s14
	s_subb_u32 s41, s41, s15
	s_mov_b32 s60, -1
	s_mov_b32 s48, 0
	s_mov_b64 s[4:5], s[56:57]
	s_mov_b64 s[16:17], s[58:59]
.LBB100_174:                            ;   in Loop: Header=BB100_12 Depth=1
	s_delay_alu instid0(SALU_CYCLE_1)
	s_mov_b64 s[58:59], s[16:17]
	s_mov_b64 s[56:57], s[4:5]
	s_and_not1_b32 vcc_lo, exec_lo, s60
	s_mov_b32 s5, -1
	s_cbranch_vccz .LBB100_177
.LBB100_175:                            ;   in Loop: Header=BB100_12 Depth=1
                                        ; implicit-def: $sgpr17
                                        ; implicit-def: $sgpr60
                                        ; implicit-def: $sgpr16
	s_branch .LBB100_274
.LBB100_176:                            ;   in Loop: Header=BB100_12 Depth=1
	s_mov_b64 s[40:41], 1
	s_mov_b32 s5, -1
	s_cbranch_execnz .LBB100_175
.LBB100_177:                            ;   in Loop: Header=BB100_12 Depth=1
	s_cmp_eq_u64 s[10:11], 1
	s_cselect_b32 s4, -1, 0
	s_cmp_eq_u64 s[40:41], 1
	s_cselect_b32 s5, -1, 0
	s_delay_alu instid0(SALU_CYCLE_1)
	s_and_b32 s62, s4, s5
	s_mov_b32 s4, -1
	s_and_b32 vcc_lo, exec_lo, s62
	s_cbranch_vccz .LBB100_192
; %bb.178:                              ;   in Loop: Header=BB100_12 Depth=1
	ds_load_b64 v[3:4], v18 offset:5120
	s_waitcnt lgkmcnt(0)
	s_barrier
	buffer_gl0_inv
	v_readfirstlane_b32 s14, v3
	v_readfirstlane_b32 s15, v4
	s_and_saveexec_b32 s4, s3
	s_cbranch_execz .LBB100_180
; %bb.179:                              ;   in Loop: Header=BB100_12 Depth=1
	v_mov_b32_e32 v17, v18
	ds_store_b64 v34, v[17:18]
.LBB100_180:                            ;   in Loop: Header=BB100_12 Depth=1
	s_or_b32 exec_lo, exec_lo, s4
	s_lshl_b64 s[4:5], 2, s21
	s_and_b64 s[16:17], s[56:57], s[12:13]
	s_or_b64 s[58:59], s[58:59], s[8:9]
	s_or_b64 s[56:57], s[16:17], s[4:5]
	s_cmp_eq_u64 s[14:15], 0
	s_waitcnt lgkmcnt(0)
	s_barrier
	buffer_gl0_inv
	s_cbranch_scc1 .LBB100_195
; %bb.181:                              ;   in Loop: Header=BB100_12 Depth=1
	s_add_u32 s16, s73, s14
	s_addc_u32 s5, s74, s15
	s_mov_b32 s4, s47
	s_delay_alu instid0(SALU_CYCLE_1)
	s_cmp_lg_u64 s[4:5], 0
	s_cbranch_scc0 .LBB100_240
; %bb.182:                              ;   in Loop: Header=BB100_12 Depth=1
	v_cvt_f32_u32_e32 v3, s29
	s_sub_u32 s48, 0, s29
	s_subb_u32 s60, 0, 0
	s_delay_alu instid0(VALU_DEP_1) | instskip(NEXT) | instid1(VALU_DEP_1)
	v_fmac_f32_e64 v3, 0, 0x4f800000
	v_rcp_f32_e32 v3, v3
	s_waitcnt_depctr 0xfff
	v_mul_f32_e32 v3, 0x5f7ffffc, v3
	s_delay_alu instid0(VALU_DEP_1) | instskip(NEXT) | instid1(VALU_DEP_1)
	v_mul_f32_e32 v4, 0x2f800000, v3
	v_trunc_f32_e32 v4, v4
	s_delay_alu instid0(VALU_DEP_1) | instskip(SKIP_1) | instid1(VALU_DEP_2)
	v_fmac_f32_e32 v3, 0xcf800000, v4
	v_cvt_u32_f32_e32 v4, v4
	v_cvt_u32_f32_e32 v3, v3
	s_delay_alu instid0(VALU_DEP_2) | instskip(NEXT) | instid1(VALU_DEP_2)
	v_readfirstlane_b32 s4, v4
	v_readfirstlane_b32 s17, v3
	s_delay_alu instid0(VALU_DEP_2) | instskip(NEXT) | instid1(VALU_DEP_1)
	s_mul_i32 s61, s48, s4
	s_mul_hi_u32 s64, s48, s17
	s_mul_i32 s63, s60, s17
	s_add_i32 s61, s64, s61
	s_mul_i32 s65, s48, s17
	s_add_i32 s61, s61, s63
	s_mul_hi_u32 s64, s17, s65
	s_mul_hi_u32 s66, s4, s65
	s_mul_i32 s63, s4, s65
	s_mul_hi_u32 s65, s17, s61
	s_mul_i32 s17, s17, s61
	s_mul_hi_u32 s67, s4, s61
	s_add_u32 s17, s64, s17
	s_addc_u32 s64, 0, s65
	s_add_u32 s17, s17, s63
	s_mul_i32 s61, s4, s61
	s_addc_u32 s17, s64, s66
	s_addc_u32 s63, s67, 0
	s_add_u32 s17, s17, s61
	s_addc_u32 s61, 0, s63
	v_add_co_u32 v3, s17, v3, s17
	s_delay_alu instid0(VALU_DEP_1) | instskip(SKIP_1) | instid1(VALU_DEP_1)
	s_cmp_lg_u32 s17, 0
	s_addc_u32 s4, s4, s61
	v_readfirstlane_b32 s17, v3
	s_mul_i32 s61, s48, s4
	s_delay_alu instid0(VALU_DEP_1)
	s_mul_hi_u32 s63, s48, s17
	s_mul_i32 s60, s60, s17
	s_add_i32 s61, s63, s61
	s_mul_i32 s48, s48, s17
	s_add_i32 s61, s61, s60
	s_mul_hi_u32 s63, s4, s48
	s_mul_i32 s64, s4, s48
	s_mul_hi_u32 s48, s17, s48
	s_mul_hi_u32 s65, s17, s61
	s_mul_i32 s17, s17, s61
	s_mul_hi_u32 s60, s4, s61
	s_add_u32 s17, s48, s17
	s_addc_u32 s48, 0, s65
	s_add_u32 s17, s17, s64
	s_mul_i32 s61, s4, s61
	s_addc_u32 s17, s48, s63
	s_addc_u32 s48, s60, 0
	s_add_u32 s17, s17, s61
	s_addc_u32 s48, 0, s48
	v_add_co_u32 v3, s17, v3, s17
	s_delay_alu instid0(VALU_DEP_1) | instskip(SKIP_1) | instid1(VALU_DEP_1)
	s_cmp_lg_u32 s17, 0
	s_addc_u32 s4, s4, s48
	v_readfirstlane_b32 s17, v3
	s_mul_i32 s60, s16, s4
	s_mul_hi_u32 s48, s16, s4
	s_mul_hi_u32 s61, s5, s4
	s_mul_i32 s4, s5, s4
	s_mul_hi_u32 s63, s16, s17
	s_mul_hi_u32 s64, s5, s17
	s_mul_i32 s17, s5, s17
	s_add_u32 s60, s63, s60
	s_addc_u32 s48, 0, s48
	s_add_u32 s17, s60, s17
	s_addc_u32 s17, s48, s64
	s_addc_u32 s48, s61, 0
	s_add_u32 s4, s17, s4
	s_addc_u32 s17, 0, s48
	s_mul_hi_u32 s48, s29, s4
	s_mul_i32 s4, s29, s4
	s_mul_i32 s17, s29, s17
	v_sub_co_u32 v3, s4, s16, s4
	s_add_i32 s48, s48, s17
	s_cmp_lg_u32 s4, 0
	s_delay_alu instid0(VALU_DEP_1) | instskip(SKIP_2) | instid1(VALU_DEP_1)
	v_sub_co_u32 v4, s4, v3, s29
	s_subb_u32 s17, s5, s48
	s_cmp_lg_u32 s4, 0
	v_cmp_le_u32_e32 vcc_lo, s29, v4
	v_sub_co_u32 v5, s4, v4, s29
	s_subb_u32 s48, s17, 0
	s_cmp_lg_u32 s4, 0
	v_cndmask_b32_e64 v6, 0, -1, vcc_lo
	s_subb_u32 s4, s48, 0
	s_cmp_eq_u32 s48, 0
	v_mov_b32_e32 v8, s4
	s_cselect_b32 vcc_lo, -1, 0
	s_cmp_eq_u32 s17, 0
	v_cndmask_b32_e32 v6, -1, v6, vcc_lo
	v_cmp_le_u32_e32 vcc_lo, s29, v3
	s_cselect_b32 s4, -1, 0
	v_cndmask_b32_e64 v7, 0, -1, vcc_lo
	s_delay_alu instid0(VALU_DEP_3) | instskip(NEXT) | instid1(VALU_DEP_2)
	v_cmp_ne_u32_e32 vcc_lo, 0, v6
	v_cndmask_b32_e64 v6, -1, v7, s4
	v_cndmask_b32_e32 v7, s48, v8, vcc_lo
	v_cndmask_b32_e32 v5, v4, v5, vcc_lo
	s_delay_alu instid0(VALU_DEP_3) | instskip(NEXT) | instid1(VALU_DEP_3)
	v_cmp_ne_u32_e32 vcc_lo, 0, v6
	v_cndmask_b32_e32 v4, s17, v7, vcc_lo
	s_delay_alu instid0(VALU_DEP_3)
	v_cndmask_b32_e32 v3, v3, v5, vcc_lo
	s_cbranch_execnz .LBB100_184
.LBB100_183:                            ;   in Loop: Header=BB100_12 Depth=1
	v_cvt_f32_u32_e32 v3, s29
	s_sub_i32 s4, 0, s29
	s_delay_alu instid0(VALU_DEP_1) | instskip(SKIP_2) | instid1(VALU_DEP_1)
	v_rcp_iflag_f32_e32 v3, v3
	s_waitcnt_depctr 0xfff
	v_mul_f32_e32 v3, 0x4f7ffffe, v3
	v_cvt_u32_f32_e32 v3, v3
	s_delay_alu instid0(VALU_DEP_1) | instskip(NEXT) | instid1(VALU_DEP_1)
	v_mul_lo_u32 v4, s4, v3
	v_mul_hi_u32 v4, v3, v4
	s_delay_alu instid0(VALU_DEP_1) | instskip(NEXT) | instid1(VALU_DEP_1)
	v_add_nc_u32_e32 v3, v3, v4
	v_mul_hi_u32 v3, s16, v3
	s_delay_alu instid0(VALU_DEP_1) | instskip(NEXT) | instid1(VALU_DEP_1)
	v_mul_lo_u32 v3, v3, s29
	v_sub_nc_u32_e32 v3, s16, v3
	s_delay_alu instid0(VALU_DEP_1) | instskip(SKIP_1) | instid1(VALU_DEP_2)
	v_subrev_nc_u32_e32 v4, s29, v3
	v_cmp_le_u32_e32 vcc_lo, s29, v3
	v_cndmask_b32_e32 v3, v3, v4, vcc_lo
	s_delay_alu instid0(VALU_DEP_1) | instskip(SKIP_1) | instid1(VALU_DEP_2)
	v_subrev_nc_u32_e32 v4, s29, v3
	v_cmp_le_u32_e32 vcc_lo, s29, v3
	v_cndmask_b32_e32 v17, v3, v4, vcc_lo
	s_delay_alu instid0(VALU_DEP_1)
	v_dual_mov_b32 v3, v17 :: v_dual_mov_b32 v4, v18
.LBB100_184:                            ;   in Loop: Header=BB100_12 Depth=1
	s_delay_alu instid0(VALU_DEP_1) | instskip(NEXT) | instid1(VALU_DEP_2)
	v_sub_co_u32 v7, vcc_lo, s16, v3
	v_sub_co_ci_u32_e32 v8, vcc_lo, s5, v4, vcc_lo
	s_mov_b32 s4, 0
	s_mov_b32 s5, exec_lo
                                        ; implicit-def: $vgpr5_vgpr6
	s_delay_alu instid0(VALU_DEP_1)
	v_cmpx_gt_u64_e64 v[7:8], v[0:1]
	s_cbranch_execz .LBB100_197
; %bb.185:                              ;   in Loop: Header=BB100_12 Depth=1
	v_mov_b32_e32 v11, v33
	v_dual_mov_b32 v10, v1 :: v_dual_mov_b32 v9, v0
	s_mov_b32 s16, 0
                                        ; implicit-def: $sgpr4
	s_set_inst_prefetch_distance 0x1
	s_branch .LBB100_187
	.p2align	6
.LBB100_186:                            ;   in Loop: Header=BB100_187 Depth=2
	s_or_b32 exec_lo, exec_lo, s17
	s_waitcnt lgkmcnt(0)
	s_barrier
	buffer_gl0_inv
	ds_load_b128 v[3:6], v18 offset:3072
	v_add_co_u32 v9, vcc_lo, v9, s29
	v_add_co_ci_u32_e32 v10, vcc_lo, 0, v10, vcc_lo
	v_add_nc_u32_e32 v11, s81, v11
	s_waitcnt lgkmcnt(0)
	s_barrier
	s_delay_alu instid0(VALU_DEP_2) | instskip(SKIP_3) | instid1(VALU_DEP_1)
	v_cmp_ge_u64_e32 vcc_lo, v[9:10], v[7:8]
	buffer_gl0_inv
	v_readfirstlane_b32 s61, v4
	v_readfirstlane_b32 s60, v3
	s_cmp_lg_u64 s[60:61], 0
	s_cselect_b32 s17, -1, 0
	s_delay_alu instid0(SALU_CYCLE_1) | instskip(NEXT) | instid1(SALU_CYCLE_1)
	s_or_b32 s48, vcc_lo, s17
	s_and_b32 s48, exec_lo, s48
	s_delay_alu instid0(SALU_CYCLE_1) | instskip(SKIP_2) | instid1(SALU_CYCLE_1)
	s_or_b32 s16, s48, s16
	s_and_not1_b32 s4, s4, exec_lo
	s_and_b32 s17, s17, exec_lo
	s_or_b32 s4, s4, s17
	s_and_not1_b32 exec_lo, exec_lo, s16
	s_cbranch_execz .LBB100_196
.LBB100_187:                            ;   Parent Loop BB100_12 Depth=1
                                        ; =>  This Inner Loop Header: Depth=2
	s_delay_alu instid0(VALU_DEP_1)
	v_cmp_gt_u64_e32 vcc_lo, s[14:15], v[9:10]
	v_mov_b32_e32 v4, 0
	v_mov_b32_e32 v5, 0
	s_and_saveexec_b32 s17, vcc_lo
	s_cbranch_execz .LBB100_189
; %bb.188:                              ;   in Loop: Header=BB100_187 Depth=2
	ds_load_b64 v[4:5], v11
.LBB100_189:                            ;   in Loop: Header=BB100_187 Depth=2
	s_or_b32 exec_lo, exec_lo, s17
	s_and_saveexec_b32 s17, vcc_lo
	s_cbranch_execz .LBB100_186
; %bb.190:                              ;   in Loop: Header=BB100_187 Depth=2
	s_waitcnt lgkmcnt(0)
	v_xor_b32_e32 v3, 0x80000000, v5
	v_and_b32_e32 v12, s58, v4
	s_delay_alu instid0(VALU_DEP_2) | instskip(NEXT) | instid1(VALU_DEP_1)
	v_and_b32_e32 v13, s59, v3
	v_cmp_eq_u64_e32 vcc_lo, s[56:57], v[12:13]
	s_and_b32 exec_lo, exec_lo, vcc_lo
	s_cbranch_execz .LBB100_186
; %bb.191:                              ;   in Loop: Header=BB100_187 Depth=2
	v_mov_b32_e32 v3, v18
	ds_store_b128 v18, v[2:5] offset:3072
	s_branch .LBB100_186
.LBB100_192:                            ;   in Loop: Header=BB100_12 Depth=1
                                        ; implicit-def: $sgpr16
                                        ; implicit-def: $sgpr60
                                        ; implicit-def: $sgpr17
	s_branch .LBB100_211
.LBB100_193:                            ;   in Loop: Header=BB100_12 Depth=1
                                        ; implicit-def: $vgpr3_vgpr4
	s_branch .LBB100_136
.LBB100_194:                            ;   in Loop: Header=BB100_12 Depth=1
                                        ; implicit-def: $vgpr3_vgpr4
	s_branch .LBB100_153
.LBB100_195:                            ;   in Loop: Header=BB100_12 Depth=1
	s_mov_b32 s16, -1
	s_mov_b32 s4, 0
                                        ; implicit-def: $sgpr17
                                        ; implicit-def: $vgpr5_vgpr6
	s_mov_b32 s60, s16
	s_cbranch_execnz .LBB100_198
	s_branch .LBB100_211
.LBB100_196:                            ;   in Loop: Header=BB100_12 Depth=1
	s_set_inst_prefetch_distance 0x2
	s_or_b32 exec_lo, exec_lo, s16
	s_delay_alu instid0(SALU_CYCLE_1)
	s_and_b32 s4, s4, exec_lo
.LBB100_197:                            ;   in Loop: Header=BB100_12 Depth=1
	s_or_b32 exec_lo, exec_lo, s5
	s_mov_b32 s17, -1
	s_mov_b32 s16, 0
	s_delay_alu instid0(SALU_CYCLE_1)
	s_mov_b32 s60, s16
	s_branch .LBB100_211
.LBB100_198:                            ;   in Loop: Header=BB100_12 Depth=1
	s_mov_b32 s48, s47
	s_delay_alu instid0(SALU_CYCLE_1)
	s_cmp_lg_u64 s[48:49], 0
	s_cbranch_scc0 .LBB100_241
; %bb.199:                              ;   in Loop: Header=BB100_12 Depth=1
	v_cvt_f32_u32_e32 v3, s29
	s_sub_u32 s14, 0, s29
	s_subb_u32 s15, 0, 0
	s_delay_alu instid0(VALU_DEP_1) | instskip(NEXT) | instid1(VALU_DEP_1)
	v_fmac_f32_e64 v3, 0, 0x4f800000
	v_rcp_f32_e32 v3, v3
	s_waitcnt_depctr 0xfff
	v_mul_f32_e32 v3, 0x5f7ffffc, v3
	s_delay_alu instid0(VALU_DEP_1) | instskip(NEXT) | instid1(VALU_DEP_1)
	v_mul_f32_e32 v4, 0x2f800000, v3
	v_trunc_f32_e32 v4, v4
	s_delay_alu instid0(VALU_DEP_1) | instskip(SKIP_1) | instid1(VALU_DEP_2)
	v_fmac_f32_e32 v3, 0xcf800000, v4
	v_cvt_u32_f32_e32 v4, v4
	v_cvt_u32_f32_e32 v3, v3
	s_delay_alu instid0(VALU_DEP_2) | instskip(NEXT) | instid1(VALU_DEP_2)
	v_readfirstlane_b32 s4, v4
	v_readfirstlane_b32 s5, v3
	s_delay_alu instid0(VALU_DEP_2) | instskip(NEXT) | instid1(VALU_DEP_1)
	s_mul_i32 s16, s14, s4
	s_mul_hi_u32 s48, s14, s5
	s_mul_i32 s17, s15, s5
	s_add_i32 s16, s48, s16
	s_mul_i32 s60, s14, s5
	s_add_i32 s16, s16, s17
	s_mul_hi_u32 s48, s5, s60
	s_mul_hi_u32 s61, s4, s60
	s_mul_i32 s17, s4, s60
	s_mul_hi_u32 s60, s5, s16
	s_mul_i32 s5, s5, s16
	s_mul_hi_u32 s63, s4, s16
	s_add_u32 s5, s48, s5
	s_addc_u32 s48, 0, s60
	s_add_u32 s5, s5, s17
	s_mul_i32 s16, s4, s16
	s_addc_u32 s5, s48, s61
	s_addc_u32 s17, s63, 0
	s_add_u32 s5, s5, s16
	s_addc_u32 s16, 0, s17
	v_add_co_u32 v3, s5, v3, s5
	s_delay_alu instid0(VALU_DEP_1) | instskip(SKIP_1) | instid1(VALU_DEP_1)
	s_cmp_lg_u32 s5, 0
	s_addc_u32 s4, s4, s16
	v_readfirstlane_b32 s5, v3
	s_mul_i32 s16, s14, s4
	s_delay_alu instid0(VALU_DEP_1)
	s_mul_hi_u32 s17, s14, s5
	s_mul_i32 s15, s15, s5
	s_add_i32 s16, s17, s16
	s_mul_i32 s14, s14, s5
	s_add_i32 s16, s16, s15
	s_mul_hi_u32 s17, s4, s14
	s_mul_i32 s48, s4, s14
	s_mul_hi_u32 s14, s5, s14
	s_mul_hi_u32 s60, s5, s16
	s_mul_i32 s5, s5, s16
	s_mul_hi_u32 s15, s4, s16
	s_add_u32 s5, s14, s5
	s_addc_u32 s14, 0, s60
	s_add_u32 s5, s5, s48
	s_mul_i32 s16, s4, s16
	s_addc_u32 s5, s14, s17
	s_addc_u32 s14, s15, 0
	s_add_u32 s5, s5, s16
	s_addc_u32 s14, 0, s14
	v_add_co_u32 v3, s5, v3, s5
	s_delay_alu instid0(VALU_DEP_1) | instskip(SKIP_1) | instid1(VALU_DEP_1)
	s_cmp_lg_u32 s5, 0
	s_addc_u32 s4, s4, s14
	v_readfirstlane_b32 s5, v3
	s_mul_i32 s15, s75, s4
	s_mul_hi_u32 s14, s75, s4
	s_mul_hi_u32 s16, s49, s4
	s_mul_i32 s4, s49, s4
	s_mul_hi_u32 s17, s75, s5
	s_mul_hi_u32 s48, s49, s5
	s_mul_i32 s5, s49, s5
	s_add_u32 s15, s17, s15
	s_addc_u32 s14, 0, s14
	s_add_u32 s5, s15, s5
	s_addc_u32 s5, s14, s48
	s_addc_u32 s14, s16, 0
	s_add_u32 s4, s5, s4
	s_addc_u32 s5, 0, s14
	s_mul_hi_u32 s14, s29, s4
	s_mul_i32 s4, s29, s4
	s_mul_i32 s5, s29, s5
	v_sub_co_u32 v3, s4, s75, s4
	s_add_i32 s14, s14, s5
	s_cmp_lg_u32 s4, 0
	s_delay_alu instid0(VALU_DEP_1) | instskip(SKIP_2) | instid1(VALU_DEP_1)
	v_sub_co_u32 v4, s4, v3, s29
	s_subb_u32 s5, s49, s14
	s_cmp_lg_u32 s4, 0
	v_cmp_le_u32_e32 vcc_lo, s29, v4
	v_sub_co_u32 v5, s4, v4, s29
	s_subb_u32 s14, s5, 0
	s_cmp_lg_u32 s4, 0
	v_cndmask_b32_e64 v6, 0, -1, vcc_lo
	s_subb_u32 s4, s14, 0
	s_cmp_eq_u32 s14, 0
	v_mov_b32_e32 v8, s4
	s_cselect_b32 vcc_lo, -1, 0
	s_cmp_eq_u32 s5, 0
	v_cndmask_b32_e32 v6, -1, v6, vcc_lo
	v_cmp_le_u32_e32 vcc_lo, s29, v3
	s_cselect_b32 s4, -1, 0
	v_cndmask_b32_e64 v7, 0, -1, vcc_lo
	s_delay_alu instid0(VALU_DEP_3) | instskip(NEXT) | instid1(VALU_DEP_2)
	v_cmp_ne_u32_e32 vcc_lo, 0, v6
	v_cndmask_b32_e64 v6, -1, v7, s4
	v_cndmask_b32_e32 v7, s14, v8, vcc_lo
	v_cndmask_b32_e32 v5, v4, v5, vcc_lo
	s_delay_alu instid0(VALU_DEP_3) | instskip(NEXT) | instid1(VALU_DEP_3)
	v_cmp_ne_u32_e32 vcc_lo, 0, v6
	v_cndmask_b32_e32 v4, s5, v7, vcc_lo
	s_delay_alu instid0(VALU_DEP_3)
	v_cndmask_b32_e32 v3, v3, v5, vcc_lo
	s_cbranch_execnz .LBB100_201
.LBB100_200:                            ;   in Loop: Header=BB100_12 Depth=1
	v_cvt_f32_u32_e32 v3, s29
	s_sub_i32 s4, 0, s29
	s_delay_alu instid0(VALU_DEP_1) | instskip(SKIP_2) | instid1(VALU_DEP_1)
	v_rcp_iflag_f32_e32 v3, v3
	s_waitcnt_depctr 0xfff
	v_mul_f32_e32 v3, 0x4f7ffffe, v3
	v_cvt_u32_f32_e32 v3, v3
	s_delay_alu instid0(VALU_DEP_1) | instskip(NEXT) | instid1(VALU_DEP_1)
	v_mul_lo_u32 v4, s4, v3
	v_mul_hi_u32 v4, v3, v4
	s_delay_alu instid0(VALU_DEP_1) | instskip(NEXT) | instid1(VALU_DEP_1)
	v_add_nc_u32_e32 v3, v3, v4
	v_mul_hi_u32 v3, s75, v3
	s_delay_alu instid0(VALU_DEP_1) | instskip(NEXT) | instid1(VALU_DEP_1)
	v_mul_lo_u32 v3, v3, s29
	v_sub_nc_u32_e32 v3, s75, v3
	s_delay_alu instid0(VALU_DEP_1) | instskip(SKIP_1) | instid1(VALU_DEP_2)
	v_subrev_nc_u32_e32 v4, s29, v3
	v_cmp_le_u32_e32 vcc_lo, s29, v3
	v_cndmask_b32_e32 v3, v3, v4, vcc_lo
	s_delay_alu instid0(VALU_DEP_1) | instskip(SKIP_1) | instid1(VALU_DEP_2)
	v_subrev_nc_u32_e32 v4, s29, v3
	v_cmp_le_u32_e32 vcc_lo, s29, v3
	v_cndmask_b32_e32 v17, v3, v4, vcc_lo
	s_delay_alu instid0(VALU_DEP_1)
	v_dual_mov_b32 v3, v17 :: v_dual_mov_b32 v4, v18
.LBB100_201:                            ;   in Loop: Header=BB100_12 Depth=1
	s_delay_alu instid0(VALU_DEP_1) | instskip(NEXT) | instid1(VALU_DEP_2)
	v_sub_co_u32 v7, vcc_lo, s75, v3
	v_sub_co_ci_u32_e32 v8, vcc_lo, s49, v4, vcc_lo
	s_mov_b32 s4, 0
	s_mov_b32 s5, exec_lo
                                        ; implicit-def: $vgpr5_vgpr6
	s_delay_alu instid0(VALU_DEP_1)
	v_cmpx_gt_u64_e64 v[7:8], v[0:1]
	s_cbranch_execz .LBB100_210
; %bb.202:                              ;   in Loop: Header=BB100_12 Depth=1
	v_dual_mov_b32 v9, v15 :: v_dual_mov_b32 v10, v16
	v_dual_mov_b32 v12, v1 :: v_dual_mov_b32 v11, v0
	s_mov_b32 s14, 0
                                        ; implicit-def: $sgpr4
	s_set_inst_prefetch_distance 0x1
	s_branch .LBB100_204
	.p2align	6
.LBB100_203:                            ;   in Loop: Header=BB100_204 Depth=2
	s_or_b32 exec_lo, exec_lo, s15
	s_waitcnt vmcnt(0) lgkmcnt(0)
	s_barrier
	buffer_gl0_inv
	ds_load_b128 v[3:6], v18 offset:3072
	v_add_co_u32 v11, vcc_lo, v11, s29
	v_add_co_ci_u32_e32 v12, vcc_lo, 0, v12, vcc_lo
	s_waitcnt lgkmcnt(0)
	s_barrier
	buffer_gl0_inv
	v_cmp_ge_u64_e32 vcc_lo, v[11:12], v[7:8]
	v_readfirstlane_b32 s17, v4
	v_readfirstlane_b32 s16, v3
	s_delay_alu instid0(VALU_DEP_1) | instskip(SKIP_1) | instid1(SALU_CYCLE_1)
	s_cmp_lg_u64 s[16:17], 0
	s_cselect_b32 s15, -1, 0
	s_or_b32 s16, vcc_lo, s15
	v_add_co_u32 v9, vcc_lo, v9, s42
	s_and_b32 s16, exec_lo, s16
	v_add_co_ci_u32_e32 v10, vcc_lo, s43, v10, vcc_lo
	s_or_b32 s14, s16, s14
	s_and_not1_b32 s4, s4, exec_lo
	s_and_b32 s15, s15, exec_lo
	s_delay_alu instid0(SALU_CYCLE_1)
	s_or_b32 s4, s4, s15
	s_and_not1_b32 exec_lo, exec_lo, s14
	s_cbranch_execz .LBB100_209
.LBB100_204:                            ;   Parent Loop BB100_12 Depth=1
                                        ; =>  This Inner Loop Header: Depth=2
	s_delay_alu instid0(VALU_DEP_1)
	v_cmp_gt_u64_e32 vcc_lo, s[24:25], v[11:12]
	v_mov_b32_e32 v4, 0
	v_mov_b32_e32 v5, 0
	s_and_saveexec_b32 s15, vcc_lo
	s_cbranch_execz .LBB100_206
; %bb.205:                              ;   in Loop: Header=BB100_204 Depth=2
	global_load_b64 v[4:5], v[9:10], off
.LBB100_206:                            ;   in Loop: Header=BB100_204 Depth=2
	s_or_b32 exec_lo, exec_lo, s15
	s_and_saveexec_b32 s15, vcc_lo
	s_cbranch_execz .LBB100_203
; %bb.207:                              ;   in Loop: Header=BB100_204 Depth=2
	s_waitcnt vmcnt(0)
	v_xor_b32_e32 v3, 0x80000000, v5
	v_and_b32_e32 v13, s58, v4
	s_delay_alu instid0(VALU_DEP_2) | instskip(NEXT) | instid1(VALU_DEP_1)
	v_and_b32_e32 v14, s59, v3
	v_cmp_eq_u64_e32 vcc_lo, s[56:57], v[13:14]
	s_and_b32 exec_lo, exec_lo, vcc_lo
	s_cbranch_execz .LBB100_203
; %bb.208:                              ;   in Loop: Header=BB100_204 Depth=2
	v_mov_b32_e32 v3, v18
	ds_store_b128 v18, v[2:5] offset:3072
	s_branch .LBB100_203
.LBB100_209:                            ;   in Loop: Header=BB100_12 Depth=1
	s_set_inst_prefetch_distance 0x2
	s_or_b32 exec_lo, exec_lo, s14
	s_delay_alu instid0(SALU_CYCLE_1)
	s_and_b32 s4, s4, exec_lo
.LBB100_210:                            ;   in Loop: Header=BB100_12 Depth=1
	s_or_b32 exec_lo, exec_lo, s5
	s_mov_b32 s60, -1
	s_mov_b32 s16, 0
	s_mov_b32 s17, 0
.LBB100_211:                            ;   in Loop: Header=BB100_12 Depth=1
	s_mov_b32 s5, 0
                                        ; implicit-def: $sgpr48
	s_and_saveexec_b32 s61, s4
	s_cbranch_execz .LBB100_273
; %bb.212:                              ;   in Loop: Header=BB100_12 Depth=1
	s_xor_b32 s4, s62, -1
	s_mov_b32 s48, 1
	s_and_not1_b32 vcc_lo, exec_lo, s4
	s_cbranch_vccnz .LBB100_223
; %bb.213:                              ;   in Loop: Header=BB100_12 Depth=1
	v_cmp_gt_u64_e64 s4, s[40:41], s[10:11]
	s_mov_b32 s62, -1
                                        ; implicit-def: $sgpr48
                                        ; implicit-def: $sgpr14_sgpr15
	s_delay_alu instid0(VALU_DEP_1)
	s_and_b32 vcc_lo, exec_lo, s4
                                        ; implicit-def: $sgpr4_sgpr5
	s_cbranch_vccnz .LBB100_219
; %bb.214:                              ;   in Loop: Header=BB100_12 Depth=1
	ds_load_b64 v[3:4], v18 offset:5120
	s_waitcnt lgkmcnt(0)
	v_cmp_ne_u64_e32 vcc_lo, 0, v[3:4]
	s_cbranch_vccnz .LBB100_218
; %bb.215:                              ;   in Loop: Header=BB100_12 Depth=1
	s_and_saveexec_b32 s4, s2
	s_cbranch_execz .LBB100_217
; %bb.216:                              ;   in Loop: Header=BB100_12 Depth=1
	v_dual_mov_b32 v3, s10 :: v_dual_mov_b32 v4, s11
	ds_store_b64 v18, v[3:4] offset:5128
.LBB100_217:                            ;   in Loop: Header=BB100_12 Depth=1
	s_or_b32 exec_lo, exec_lo, s4
	s_waitcnt lgkmcnt(0)
	s_barrier
	buffer_gl0_inv
.LBB100_218:                            ;   in Loop: Header=BB100_12 Depth=1
	s_lshl_b64 s[4:5], 2, s21
	s_and_b64 s[12:13], s[56:57], s[12:13]
	s_or_b64 s[14:15], s[58:59], s[8:9]
	s_or_b64 s[4:5], s[12:13], s[4:5]
	s_mov_b32 s62, 0
	s_mov_b32 s48, 8
.LBB100_219:                            ;   in Loop: Header=BB100_12 Depth=1
	s_and_not1_b32 vcc_lo, exec_lo, s62
	s_cbranch_vccnz .LBB100_221
; %bb.220:                              ;   in Loop: Header=BB100_12 Depth=1
	s_sub_u32 s40, s40, s10
	s_subb_u32 s41, s41, s11
	s_mov_b32 s62, -1
	s_mov_b32 s48, 0
	s_mov_b64 s[4:5], s[56:57]
	s_mov_b64 s[14:15], s[58:59]
.LBB100_221:                            ;   in Loop: Header=BB100_12 Depth=1
	s_delay_alu instid0(SALU_CYCLE_1)
	s_mov_b64 s[58:59], s[14:15]
	s_mov_b64 s[56:57], s[4:5]
	s_and_not1_b32 vcc_lo, exec_lo, s62
	s_mov_b32 s10, -1
	s_cbranch_vccz .LBB100_224
.LBB100_222:                            ;   in Loop: Header=BB100_12 Depth=1
                                        ; implicit-def: $sgpr13
                                        ; implicit-def: $sgpr15
                                        ; implicit-def: $sgpr14
	s_branch .LBB100_272
.LBB100_223:                            ;   in Loop: Header=BB100_12 Depth=1
	s_mov_b64 s[40:41], 1
	s_mov_b32 s10, -1
	s_cbranch_execnz .LBB100_222
.LBB100_224:                            ;   in Loop: Header=BB100_12 Depth=1
	s_cmp_eq_u64 s[6:7], 1
	s_mov_b32 s21, -1
	s_cselect_b32 s4, -1, 0
	s_cmp_eq_u64 s[40:41], 1
	s_cselect_b32 s5, -1, 0
	s_delay_alu instid0(SALU_CYCLE_1) | instskip(NEXT) | instid1(SALU_CYCLE_1)
	s_and_b32 s12, s4, s5
	s_and_b32 vcc_lo, exec_lo, s12
	s_cbranch_vccz .LBB100_239
; %bb.225:                              ;   in Loop: Header=BB100_12 Depth=1
	ds_load_b64 v[3:4], v18 offset:5120
	s_waitcnt lgkmcnt(0)
	s_barrier
	buffer_gl0_inv
	v_readfirstlane_b32 s10, v3
	v_readfirstlane_b32 s11, v4
	s_and_saveexec_b32 s4, s3
	s_cbranch_execz .LBB100_227
; %bb.226:                              ;   in Loop: Header=BB100_12 Depth=1
	v_mov_b32_e32 v17, v18
	ds_store_b64 v34, v[17:18]
.LBB100_227:                            ;   in Loop: Header=BB100_12 Depth=1
	s_or_b32 exec_lo, exec_lo, s4
	s_or_b64 s[56:57], s[56:57], s[8:9]
	s_or_b64 s[58:59], s[58:59], s[8:9]
	s_cmp_eq_u64 s[10:11], 0
	s_waitcnt lgkmcnt(0)
	s_barrier
	buffer_gl0_inv
	s_cbranch_scc1 .LBB100_242
; %bb.228:                              ;   in Loop: Header=BB100_12 Depth=1
	s_add_u32 s13, s73, s10
	s_addc_u32 s5, s74, s11
	s_mov_b32 s4, s47
	s_delay_alu instid0(SALU_CYCLE_1)
	s_cmp_lg_u64 s[4:5], 0
	s_cbranch_scc0 .LBB100_278
; %bb.229:                              ;   in Loop: Header=BB100_12 Depth=1
	v_cvt_f32_u32_e32 v3, s29
	s_sub_u32 s15, 0, s29
	s_subb_u32 s21, 0, 0
	s_delay_alu instid0(VALU_DEP_1) | instskip(NEXT) | instid1(VALU_DEP_1)
	v_fmac_f32_e64 v3, 0, 0x4f800000
	v_rcp_f32_e32 v3, v3
	s_waitcnt_depctr 0xfff
	v_mul_f32_e32 v3, 0x5f7ffffc, v3
	s_delay_alu instid0(VALU_DEP_1) | instskip(NEXT) | instid1(VALU_DEP_1)
	v_mul_f32_e32 v4, 0x2f800000, v3
	v_trunc_f32_e32 v4, v4
	s_delay_alu instid0(VALU_DEP_1) | instskip(SKIP_1) | instid1(VALU_DEP_2)
	v_fmac_f32_e32 v3, 0xcf800000, v4
	v_cvt_u32_f32_e32 v4, v4
	v_cvt_u32_f32_e32 v3, v3
	s_delay_alu instid0(VALU_DEP_2) | instskip(NEXT) | instid1(VALU_DEP_2)
	v_readfirstlane_b32 s4, v4
	v_readfirstlane_b32 s14, v3
	s_delay_alu instid0(VALU_DEP_2) | instskip(NEXT) | instid1(VALU_DEP_1)
	s_mul_i32 s48, s15, s4
	s_mul_hi_u32 s63, s15, s14
	s_mul_i32 s62, s21, s14
	s_add_i32 s48, s63, s48
	s_mul_i32 s64, s15, s14
	s_add_i32 s48, s48, s62
	s_mul_hi_u32 s63, s14, s64
	s_mul_hi_u32 s65, s4, s64
	s_mul_i32 s62, s4, s64
	s_mul_hi_u32 s64, s14, s48
	s_mul_i32 s14, s14, s48
	s_mul_hi_u32 s66, s4, s48
	s_add_u32 s14, s63, s14
	s_addc_u32 s63, 0, s64
	s_add_u32 s14, s14, s62
	s_mul_i32 s48, s4, s48
	s_addc_u32 s14, s63, s65
	s_addc_u32 s62, s66, 0
	s_add_u32 s14, s14, s48
	s_addc_u32 s48, 0, s62
	v_add_co_u32 v3, s14, v3, s14
	s_delay_alu instid0(VALU_DEP_1) | instskip(SKIP_1) | instid1(VALU_DEP_1)
	s_cmp_lg_u32 s14, 0
	s_addc_u32 s4, s4, s48
	v_readfirstlane_b32 s14, v3
	s_mul_i32 s48, s15, s4
	s_delay_alu instid0(VALU_DEP_1)
	s_mul_hi_u32 s62, s15, s14
	s_mul_i32 s21, s21, s14
	s_add_i32 s48, s62, s48
	s_mul_i32 s15, s15, s14
	s_add_i32 s48, s48, s21
	s_mul_hi_u32 s62, s4, s15
	s_mul_i32 s63, s4, s15
	s_mul_hi_u32 s15, s14, s15
	s_mul_hi_u32 s64, s14, s48
	s_mul_i32 s14, s14, s48
	s_mul_hi_u32 s21, s4, s48
	s_add_u32 s14, s15, s14
	s_addc_u32 s15, 0, s64
	s_add_u32 s14, s14, s63
	s_mul_i32 s48, s4, s48
	s_addc_u32 s14, s15, s62
	s_addc_u32 s15, s21, 0
	s_add_u32 s14, s14, s48
	s_addc_u32 s15, 0, s15
	v_add_co_u32 v3, s14, v3, s14
	s_delay_alu instid0(VALU_DEP_1) | instskip(SKIP_1) | instid1(VALU_DEP_1)
	s_cmp_lg_u32 s14, 0
	s_addc_u32 s4, s4, s15
	v_readfirstlane_b32 s14, v3
	s_mul_i32 s21, s13, s4
	s_mul_hi_u32 s15, s13, s4
	s_mul_hi_u32 s48, s5, s4
	s_mul_i32 s4, s5, s4
	s_mul_hi_u32 s62, s13, s14
	s_mul_hi_u32 s63, s5, s14
	s_mul_i32 s14, s5, s14
	s_add_u32 s21, s62, s21
	s_addc_u32 s15, 0, s15
	s_add_u32 s14, s21, s14
	s_addc_u32 s14, s15, s63
	s_addc_u32 s15, s48, 0
	s_add_u32 s4, s14, s4
	s_addc_u32 s14, 0, s15
	s_mul_hi_u32 s15, s29, s4
	s_mul_i32 s4, s29, s4
	s_mul_i32 s14, s29, s14
	v_sub_co_u32 v3, s4, s13, s4
	s_add_i32 s15, s15, s14
	s_cmp_lg_u32 s4, 0
	s_delay_alu instid0(VALU_DEP_1) | instskip(SKIP_2) | instid1(VALU_DEP_1)
	v_sub_co_u32 v4, s4, v3, s29
	s_subb_u32 s14, s5, s15
	s_cmp_lg_u32 s4, 0
	v_cmp_le_u32_e32 vcc_lo, s29, v4
	v_sub_co_u32 v5, s4, v4, s29
	s_subb_u32 s15, s14, 0
	s_cmp_lg_u32 s4, 0
	v_cndmask_b32_e64 v6, 0, -1, vcc_lo
	s_subb_u32 s4, s15, 0
	s_cmp_eq_u32 s15, 0
	v_mov_b32_e32 v8, s4
	s_cselect_b32 vcc_lo, -1, 0
	s_cmp_eq_u32 s14, 0
	v_cndmask_b32_e32 v6, -1, v6, vcc_lo
	v_cmp_le_u32_e32 vcc_lo, s29, v3
	s_cselect_b32 s4, -1, 0
	v_cndmask_b32_e64 v7, 0, -1, vcc_lo
	s_delay_alu instid0(VALU_DEP_3) | instskip(NEXT) | instid1(VALU_DEP_2)
	v_cmp_ne_u32_e32 vcc_lo, 0, v6
	v_cndmask_b32_e64 v6, -1, v7, s4
	v_cndmask_b32_e32 v7, s15, v8, vcc_lo
	v_cndmask_b32_e32 v5, v4, v5, vcc_lo
	s_delay_alu instid0(VALU_DEP_3) | instskip(NEXT) | instid1(VALU_DEP_3)
	v_cmp_ne_u32_e32 vcc_lo, 0, v6
	v_cndmask_b32_e32 v4, s14, v7, vcc_lo
	s_delay_alu instid0(VALU_DEP_3)
	v_cndmask_b32_e32 v3, v3, v5, vcc_lo
	s_cbranch_execnz .LBB100_231
.LBB100_230:                            ;   in Loop: Header=BB100_12 Depth=1
	v_cvt_f32_u32_e32 v3, s29
	s_sub_i32 s4, 0, s29
	s_delay_alu instid0(VALU_DEP_1) | instskip(SKIP_2) | instid1(VALU_DEP_1)
	v_rcp_iflag_f32_e32 v3, v3
	s_waitcnt_depctr 0xfff
	v_mul_f32_e32 v3, 0x4f7ffffe, v3
	v_cvt_u32_f32_e32 v3, v3
	s_delay_alu instid0(VALU_DEP_1) | instskip(NEXT) | instid1(VALU_DEP_1)
	v_mul_lo_u32 v4, s4, v3
	v_mul_hi_u32 v4, v3, v4
	s_delay_alu instid0(VALU_DEP_1) | instskip(NEXT) | instid1(VALU_DEP_1)
	v_add_nc_u32_e32 v3, v3, v4
	v_mul_hi_u32 v3, s13, v3
	s_delay_alu instid0(VALU_DEP_1) | instskip(NEXT) | instid1(VALU_DEP_1)
	v_mul_lo_u32 v3, v3, s29
	v_sub_nc_u32_e32 v3, s13, v3
	s_delay_alu instid0(VALU_DEP_1) | instskip(SKIP_1) | instid1(VALU_DEP_2)
	v_subrev_nc_u32_e32 v4, s29, v3
	v_cmp_le_u32_e32 vcc_lo, s29, v3
	v_cndmask_b32_e32 v3, v3, v4, vcc_lo
	s_delay_alu instid0(VALU_DEP_1) | instskip(SKIP_1) | instid1(VALU_DEP_2)
	v_subrev_nc_u32_e32 v4, s29, v3
	v_cmp_le_u32_e32 vcc_lo, s29, v3
	v_cndmask_b32_e32 v17, v3, v4, vcc_lo
	s_delay_alu instid0(VALU_DEP_1)
	v_dual_mov_b32 v3, v17 :: v_dual_mov_b32 v4, v18
.LBB100_231:                            ;   in Loop: Header=BB100_12 Depth=1
	s_delay_alu instid0(VALU_DEP_1) | instskip(NEXT) | instid1(VALU_DEP_2)
	v_sub_co_u32 v7, vcc_lo, s13, v3
	v_sub_co_ci_u32_e32 v8, vcc_lo, s5, v4, vcc_lo
	s_mov_b32 s21, 0
	s_mov_b32 s4, exec_lo
                                        ; implicit-def: $vgpr5_vgpr6
	s_delay_alu instid0(VALU_DEP_1)
	v_cmpx_gt_u64_e64 v[7:8], v[0:1]
	s_cbranch_execz .LBB100_244
; %bb.232:                              ;   in Loop: Header=BB100_12 Depth=1
	v_mov_b32_e32 v11, v33
	v_dual_mov_b32 v10, v1 :: v_dual_mov_b32 v9, v0
	s_mov_b32 s13, 0
                                        ; implicit-def: $sgpr5
	s_set_inst_prefetch_distance 0x1
	s_branch .LBB100_234
	.p2align	6
.LBB100_233:                            ;   in Loop: Header=BB100_234 Depth=2
	s_or_b32 exec_lo, exec_lo, s14
	s_waitcnt lgkmcnt(0)
	s_barrier
	buffer_gl0_inv
	ds_load_b128 v[3:6], v18 offset:3072
	v_add_co_u32 v9, vcc_lo, v9, s29
	v_add_co_ci_u32_e32 v10, vcc_lo, 0, v10, vcc_lo
	v_add_nc_u32_e32 v11, s81, v11
	s_waitcnt lgkmcnt(0)
	s_barrier
	s_delay_alu instid0(VALU_DEP_2) | instskip(SKIP_3) | instid1(VALU_DEP_1)
	v_cmp_ge_u64_e32 vcc_lo, v[9:10], v[7:8]
	buffer_gl0_inv
	v_readfirstlane_b32 s15, v4
	v_readfirstlane_b32 s14, v3
	s_cmp_lg_u64 s[14:15], 0
	s_cselect_b32 s14, -1, 0
	s_delay_alu instid0(SALU_CYCLE_1) | instskip(NEXT) | instid1(SALU_CYCLE_1)
	s_or_b32 s15, vcc_lo, s14
	s_and_b32 s15, exec_lo, s15
	s_delay_alu instid0(SALU_CYCLE_1) | instskip(SKIP_2) | instid1(SALU_CYCLE_1)
	s_or_b32 s13, s15, s13
	s_and_not1_b32 s5, s5, exec_lo
	s_and_b32 s14, s14, exec_lo
	s_or_b32 s5, s5, s14
	s_and_not1_b32 exec_lo, exec_lo, s13
	s_cbranch_execz .LBB100_243
.LBB100_234:                            ;   Parent Loop BB100_12 Depth=1
                                        ; =>  This Inner Loop Header: Depth=2
	s_delay_alu instid0(VALU_DEP_1)
	v_cmp_gt_u64_e32 vcc_lo, s[10:11], v[9:10]
	v_mov_b32_e32 v4, 0
	v_mov_b32_e32 v5, 0
	s_and_saveexec_b32 s14, vcc_lo
	s_cbranch_execz .LBB100_236
; %bb.235:                              ;   in Loop: Header=BB100_234 Depth=2
	ds_load_b64 v[4:5], v11
.LBB100_236:                            ;   in Loop: Header=BB100_234 Depth=2
	s_or_b32 exec_lo, exec_lo, s14
	s_and_saveexec_b32 s14, vcc_lo
	s_cbranch_execz .LBB100_233
; %bb.237:                              ;   in Loop: Header=BB100_234 Depth=2
	s_waitcnt lgkmcnt(0)
	v_xor_b32_e32 v3, 0x80000000, v5
	v_and_b32_e32 v12, s58, v4
	s_delay_alu instid0(VALU_DEP_2) | instskip(NEXT) | instid1(VALU_DEP_1)
	v_and_b32_e32 v13, s59, v3
	v_cmp_eq_u64_e32 vcc_lo, s[56:57], v[12:13]
	s_and_b32 exec_lo, exec_lo, vcc_lo
	s_cbranch_execz .LBB100_233
; %bb.238:                              ;   in Loop: Header=BB100_234 Depth=2
	v_mov_b32_e32 v3, v18
	ds_store_b128 v18, v[2:5] offset:3072
	s_branch .LBB100_233
.LBB100_239:                            ;   in Loop: Header=BB100_12 Depth=1
                                        ; implicit-def: $sgpr13
                                        ; implicit-def: $sgpr15
                                        ; implicit-def: $sgpr14
	s_branch .LBB100_258
.LBB100_240:                            ;   in Loop: Header=BB100_12 Depth=1
                                        ; implicit-def: $vgpr3_vgpr4
	s_branch .LBB100_183
.LBB100_241:                            ;   in Loop: Header=BB100_12 Depth=1
                                        ; implicit-def: $vgpr3_vgpr4
	s_branch .LBB100_200
.LBB100_242:                            ;   in Loop: Header=BB100_12 Depth=1
	s_mov_b32 s13, -1
	s_mov_b32 s21, 0
                                        ; implicit-def: $sgpr14
                                        ; implicit-def: $vgpr5_vgpr6
	s_mov_b32 s15, s13
	s_cbranch_execnz .LBB100_245
	s_branch .LBB100_258
.LBB100_243:                            ;   in Loop: Header=BB100_12 Depth=1
	s_set_inst_prefetch_distance 0x2
	s_or_b32 exec_lo, exec_lo, s13
	s_delay_alu instid0(SALU_CYCLE_1)
	s_and_b32 s21, s5, exec_lo
.LBB100_244:                            ;   in Loop: Header=BB100_12 Depth=1
	s_or_b32 exec_lo, exec_lo, s4
	s_mov_b32 s14, -1
	s_mov_b32 s13, 0
	s_delay_alu instid0(SALU_CYCLE_1)
	s_mov_b32 s15, s13
	s_branch .LBB100_258
.LBB100_245:                            ;   in Loop: Header=BB100_12 Depth=1
	s_mov_b32 s48, s47
	s_delay_alu instid0(SALU_CYCLE_1)
	s_cmp_lg_u64 s[48:49], 0
	s_cbranch_scc0 .LBB100_279
; %bb.246:                              ;   in Loop: Header=BB100_12 Depth=1
	v_cvt_f32_u32_e32 v3, s29
	s_sub_u32 s10, 0, s29
	s_subb_u32 s11, 0, 0
	s_delay_alu instid0(VALU_DEP_1) | instskip(NEXT) | instid1(VALU_DEP_1)
	v_fmac_f32_e64 v3, 0, 0x4f800000
	v_rcp_f32_e32 v3, v3
	s_waitcnt_depctr 0xfff
	v_mul_f32_e32 v3, 0x5f7ffffc, v3
	s_delay_alu instid0(VALU_DEP_1) | instskip(NEXT) | instid1(VALU_DEP_1)
	v_mul_f32_e32 v4, 0x2f800000, v3
	v_trunc_f32_e32 v4, v4
	s_delay_alu instid0(VALU_DEP_1) | instskip(SKIP_1) | instid1(VALU_DEP_2)
	v_fmac_f32_e32 v3, 0xcf800000, v4
	v_cvt_u32_f32_e32 v4, v4
	v_cvt_u32_f32_e32 v3, v3
	s_delay_alu instid0(VALU_DEP_2) | instskip(NEXT) | instid1(VALU_DEP_2)
	v_readfirstlane_b32 s4, v4
	v_readfirstlane_b32 s5, v3
	s_delay_alu instid0(VALU_DEP_2) | instskip(NEXT) | instid1(VALU_DEP_1)
	s_mul_i32 s13, s10, s4
	s_mul_hi_u32 s15, s10, s5
	s_mul_i32 s14, s11, s5
	s_add_i32 s13, s15, s13
	s_mul_i32 s21, s10, s5
	s_add_i32 s13, s13, s14
	s_mul_hi_u32 s15, s5, s21
	s_mul_hi_u32 s48, s4, s21
	s_mul_i32 s14, s4, s21
	s_mul_hi_u32 s21, s5, s13
	s_mul_i32 s5, s5, s13
	s_mul_hi_u32 s62, s4, s13
	s_add_u32 s5, s15, s5
	s_addc_u32 s15, 0, s21
	s_add_u32 s5, s5, s14
	s_mul_i32 s13, s4, s13
	s_addc_u32 s5, s15, s48
	s_addc_u32 s14, s62, 0
	s_add_u32 s5, s5, s13
	s_addc_u32 s13, 0, s14
	v_add_co_u32 v3, s5, v3, s5
	s_delay_alu instid0(VALU_DEP_1) | instskip(SKIP_1) | instid1(VALU_DEP_1)
	s_cmp_lg_u32 s5, 0
	s_addc_u32 s4, s4, s13
	v_readfirstlane_b32 s5, v3
	s_mul_i32 s13, s10, s4
	s_delay_alu instid0(VALU_DEP_1)
	s_mul_hi_u32 s14, s10, s5
	s_mul_i32 s11, s11, s5
	s_add_i32 s13, s14, s13
	s_mul_i32 s10, s10, s5
	s_add_i32 s13, s13, s11
	s_mul_hi_u32 s14, s4, s10
	s_mul_i32 s15, s4, s10
	s_mul_hi_u32 s10, s5, s10
	s_mul_hi_u32 s21, s5, s13
	s_mul_i32 s5, s5, s13
	s_mul_hi_u32 s11, s4, s13
	s_add_u32 s5, s10, s5
	s_addc_u32 s10, 0, s21
	s_add_u32 s5, s5, s15
	s_mul_i32 s13, s4, s13
	s_addc_u32 s5, s10, s14
	s_addc_u32 s10, s11, 0
	s_add_u32 s5, s5, s13
	s_addc_u32 s10, 0, s10
	v_add_co_u32 v3, s5, v3, s5
	s_delay_alu instid0(VALU_DEP_1) | instskip(SKIP_1) | instid1(VALU_DEP_1)
	s_cmp_lg_u32 s5, 0
	s_addc_u32 s4, s4, s10
	v_readfirstlane_b32 s5, v3
	s_mul_i32 s11, s75, s4
	s_mul_hi_u32 s10, s75, s4
	s_mul_hi_u32 s13, s49, s4
	s_mul_i32 s4, s49, s4
	s_mul_hi_u32 s14, s75, s5
	s_mul_hi_u32 s15, s49, s5
	s_mul_i32 s5, s49, s5
	s_add_u32 s11, s14, s11
	s_addc_u32 s10, 0, s10
	s_add_u32 s5, s11, s5
	s_addc_u32 s5, s10, s15
	s_addc_u32 s10, s13, 0
	s_add_u32 s4, s5, s4
	s_addc_u32 s5, 0, s10
	s_mul_hi_u32 s10, s29, s4
	s_mul_i32 s4, s29, s4
	s_mul_i32 s5, s29, s5
	v_sub_co_u32 v3, s4, s75, s4
	s_add_i32 s10, s10, s5
	s_cmp_lg_u32 s4, 0
	s_delay_alu instid0(VALU_DEP_1) | instskip(SKIP_2) | instid1(VALU_DEP_1)
	v_sub_co_u32 v4, s4, v3, s29
	s_subb_u32 s5, s49, s10
	s_cmp_lg_u32 s4, 0
	v_cmp_le_u32_e32 vcc_lo, s29, v4
	v_sub_co_u32 v5, s4, v4, s29
	s_subb_u32 s10, s5, 0
	s_cmp_lg_u32 s4, 0
	v_cndmask_b32_e64 v6, 0, -1, vcc_lo
	s_subb_u32 s4, s10, 0
	s_cmp_eq_u32 s10, 0
	v_mov_b32_e32 v8, s4
	s_cselect_b32 vcc_lo, -1, 0
	s_cmp_eq_u32 s5, 0
	v_cndmask_b32_e32 v6, -1, v6, vcc_lo
	v_cmp_le_u32_e32 vcc_lo, s29, v3
	s_cselect_b32 s4, -1, 0
	v_cndmask_b32_e64 v7, 0, -1, vcc_lo
	s_delay_alu instid0(VALU_DEP_3) | instskip(NEXT) | instid1(VALU_DEP_2)
	v_cmp_ne_u32_e32 vcc_lo, 0, v6
	v_cndmask_b32_e64 v6, -1, v7, s4
	v_cndmask_b32_e32 v7, s10, v8, vcc_lo
	v_cndmask_b32_e32 v5, v4, v5, vcc_lo
	s_delay_alu instid0(VALU_DEP_3) | instskip(NEXT) | instid1(VALU_DEP_3)
	v_cmp_ne_u32_e32 vcc_lo, 0, v6
	v_cndmask_b32_e32 v4, s5, v7, vcc_lo
	s_delay_alu instid0(VALU_DEP_3)
	v_cndmask_b32_e32 v3, v3, v5, vcc_lo
	s_cbranch_execnz .LBB100_248
.LBB100_247:                            ;   in Loop: Header=BB100_12 Depth=1
	v_cvt_f32_u32_e32 v3, s29
	s_sub_i32 s4, 0, s29
	s_delay_alu instid0(VALU_DEP_1) | instskip(SKIP_2) | instid1(VALU_DEP_1)
	v_rcp_iflag_f32_e32 v3, v3
	s_waitcnt_depctr 0xfff
	v_mul_f32_e32 v3, 0x4f7ffffe, v3
	v_cvt_u32_f32_e32 v3, v3
	s_delay_alu instid0(VALU_DEP_1) | instskip(NEXT) | instid1(VALU_DEP_1)
	v_mul_lo_u32 v4, s4, v3
	v_mul_hi_u32 v4, v3, v4
	s_delay_alu instid0(VALU_DEP_1) | instskip(NEXT) | instid1(VALU_DEP_1)
	v_add_nc_u32_e32 v3, v3, v4
	v_mul_hi_u32 v3, s75, v3
	s_delay_alu instid0(VALU_DEP_1) | instskip(NEXT) | instid1(VALU_DEP_1)
	v_mul_lo_u32 v3, v3, s29
	v_sub_nc_u32_e32 v3, s75, v3
	s_delay_alu instid0(VALU_DEP_1) | instskip(SKIP_1) | instid1(VALU_DEP_2)
	v_subrev_nc_u32_e32 v4, s29, v3
	v_cmp_le_u32_e32 vcc_lo, s29, v3
	v_cndmask_b32_e32 v3, v3, v4, vcc_lo
	s_delay_alu instid0(VALU_DEP_1) | instskip(SKIP_1) | instid1(VALU_DEP_2)
	v_subrev_nc_u32_e32 v4, s29, v3
	v_cmp_le_u32_e32 vcc_lo, s29, v3
	v_cndmask_b32_e32 v17, v3, v4, vcc_lo
	s_delay_alu instid0(VALU_DEP_1)
	v_dual_mov_b32 v3, v17 :: v_dual_mov_b32 v4, v18
.LBB100_248:                            ;   in Loop: Header=BB100_12 Depth=1
	s_delay_alu instid0(VALU_DEP_1) | instskip(NEXT) | instid1(VALU_DEP_2)
	v_sub_co_u32 v7, vcc_lo, s75, v3
	v_sub_co_ci_u32_e32 v8, vcc_lo, s49, v4, vcc_lo
	s_mov_b32 s21, 0
	s_mov_b32 s4, exec_lo
                                        ; implicit-def: $vgpr5_vgpr6
	s_delay_alu instid0(VALU_DEP_1)
	v_cmpx_gt_u64_e64 v[7:8], v[0:1]
	s_cbranch_execz .LBB100_257
; %bb.249:                              ;   in Loop: Header=BB100_12 Depth=1
	v_dual_mov_b32 v9, v15 :: v_dual_mov_b32 v10, v16
	v_dual_mov_b32 v12, v1 :: v_dual_mov_b32 v11, v0
	s_mov_b32 s10, 0
                                        ; implicit-def: $sgpr5
	s_set_inst_prefetch_distance 0x1
	s_branch .LBB100_251
	.p2align	6
.LBB100_250:                            ;   in Loop: Header=BB100_251 Depth=2
	s_or_b32 exec_lo, exec_lo, s11
	s_waitcnt vmcnt(0) lgkmcnt(0)
	s_barrier
	buffer_gl0_inv
	ds_load_b128 v[3:6], v18 offset:3072
	v_add_co_u32 v11, vcc_lo, v11, s29
	v_add_co_ci_u32_e32 v12, vcc_lo, 0, v12, vcc_lo
	s_waitcnt lgkmcnt(0)
	s_barrier
	buffer_gl0_inv
	v_cmp_ge_u64_e32 vcc_lo, v[11:12], v[7:8]
	v_readfirstlane_b32 s15, v4
	v_readfirstlane_b32 s14, v3
	s_delay_alu instid0(VALU_DEP_1) | instskip(SKIP_1) | instid1(SALU_CYCLE_1)
	s_cmp_lg_u64 s[14:15], 0
	s_cselect_b32 s11, -1, 0
	s_or_b32 s13, vcc_lo, s11
	v_add_co_u32 v9, vcc_lo, v9, s42
	s_and_b32 s13, exec_lo, s13
	v_add_co_ci_u32_e32 v10, vcc_lo, s43, v10, vcc_lo
	s_or_b32 s10, s13, s10
	s_and_not1_b32 s5, s5, exec_lo
	s_and_b32 s11, s11, exec_lo
	s_delay_alu instid0(SALU_CYCLE_1)
	s_or_b32 s5, s5, s11
	s_and_not1_b32 exec_lo, exec_lo, s10
	s_cbranch_execz .LBB100_256
.LBB100_251:                            ;   Parent Loop BB100_12 Depth=1
                                        ; =>  This Inner Loop Header: Depth=2
	s_delay_alu instid0(VALU_DEP_1)
	v_cmp_gt_u64_e32 vcc_lo, s[24:25], v[11:12]
	v_mov_b32_e32 v4, 0
	v_mov_b32_e32 v5, 0
	s_and_saveexec_b32 s11, vcc_lo
	s_cbranch_execz .LBB100_253
; %bb.252:                              ;   in Loop: Header=BB100_251 Depth=2
	global_load_b64 v[4:5], v[9:10], off
.LBB100_253:                            ;   in Loop: Header=BB100_251 Depth=2
	s_or_b32 exec_lo, exec_lo, s11
	s_and_saveexec_b32 s11, vcc_lo
	s_cbranch_execz .LBB100_250
; %bb.254:                              ;   in Loop: Header=BB100_251 Depth=2
	s_waitcnt vmcnt(0)
	v_xor_b32_e32 v3, 0x80000000, v5
	v_and_b32_e32 v13, s58, v4
	s_delay_alu instid0(VALU_DEP_2) | instskip(NEXT) | instid1(VALU_DEP_1)
	v_and_b32_e32 v14, s59, v3
	v_cmp_eq_u64_e32 vcc_lo, s[56:57], v[13:14]
	s_and_b32 exec_lo, exec_lo, vcc_lo
	s_cbranch_execz .LBB100_250
; %bb.255:                              ;   in Loop: Header=BB100_251 Depth=2
	v_mov_b32_e32 v3, v18
	ds_store_b128 v18, v[2:5] offset:3072
	s_branch .LBB100_250
.LBB100_256:                            ;   in Loop: Header=BB100_12 Depth=1
	s_set_inst_prefetch_distance 0x2
	s_or_b32 exec_lo, exec_lo, s10
	s_delay_alu instid0(SALU_CYCLE_1)
	s_and_b32 s21, s5, exec_lo
.LBB100_257:                            ;   in Loop: Header=BB100_12 Depth=1
	s_or_b32 exec_lo, exec_lo, s4
	s_mov_b32 s15, -1
	s_mov_b32 s13, 0
	s_mov_b32 s14, 0
.LBB100_258:                            ;   in Loop: Header=BB100_12 Depth=1
	s_mov_b32 s10, 0
                                        ; implicit-def: $sgpr48
                                        ; implicit-def: $sgpr4_sgpr5
	s_and_saveexec_b32 s62, s21
	s_cbranch_execz .LBB100_271
; %bb.259:                              ;   in Loop: Header=BB100_12 Depth=1
	s_xor_b32 s10, s12, -1
	s_mov_b64 s[4:5], 1
	s_and_not1_b32 vcc_lo, exec_lo, s10
	s_mov_b32 s48, 1
	s_cbranch_vccnz .LBB100_270
; %bb.260:                              ;   in Loop: Header=BB100_12 Depth=1
	v_cmp_gt_u64_e64 s4, s[40:41], s[6:7]
	s_delay_alu instid0(VALU_DEP_1)
	s_and_b32 vcc_lo, exec_lo, s4
	s_cbranch_vccnz .LBB100_266
; %bb.261:                              ;   in Loop: Header=BB100_12 Depth=1
	ds_load_b64 v[3:4], v18 offset:5120
	s_waitcnt lgkmcnt(0)
	v_cmp_ne_u64_e32 vcc_lo, 0, v[3:4]
	s_cbranch_vccnz .LBB100_265
; %bb.262:                              ;   in Loop: Header=BB100_12 Depth=1
	s_and_saveexec_b32 s4, s2
	s_cbranch_execz .LBB100_264
; %bb.263:                              ;   in Loop: Header=BB100_12 Depth=1
	v_dual_mov_b32 v3, s6 :: v_dual_mov_b32 v4, s7
	ds_store_b64 v18, v[3:4] offset:5128
.LBB100_264:                            ;   in Loop: Header=BB100_12 Depth=1
	s_or_b32 exec_lo, exec_lo, s4
	s_waitcnt lgkmcnt(0)
	s_barrier
	buffer_gl0_inv
.LBB100_265:                            ;   in Loop: Header=BB100_12 Depth=1
	s_or_b64 s[10:11], s[56:57], s[8:9]
	s_or_b64 s[8:9], s[58:59], s[8:9]
	s_mov_b32 s4, 0
	s_mov_b32 s48, 8
	s_branch .LBB100_267
.LBB100_266:                            ;   in Loop: Header=BB100_12 Depth=1
	s_mov_b32 s4, -1
                                        ; implicit-def: $sgpr48
                                        ; implicit-def: $sgpr10_sgpr11
                                        ; implicit-def: $sgpr8_sgpr9
.LBB100_267:                            ;   in Loop: Header=BB100_12 Depth=1
	s_delay_alu instid0(SALU_CYCLE_1)
	s_and_not1_b32 vcc_lo, exec_lo, s4
	s_cbranch_vccnz .LBB100_269
; %bb.268:                              ;   in Loop: Header=BB100_12 Depth=1
	s_sub_u32 s40, s40, s6
	s_subb_u32 s41, s41, s7
	s_mov_b32 s48, 8
	s_mov_b64 s[10:11], s[56:57]
	s_mov_b64 s[8:9], s[58:59]
.LBB100_269:                            ;   in Loop: Header=BB100_12 Depth=1
	s_mov_b64 s[4:5], s[40:41]
	s_mov_b64 s[56:57], s[10:11]
	;; [unrolled: 1-line block ×3, first 2 shown]
.LBB100_270:                            ;   in Loop: Header=BB100_12 Depth=1
	s_mov_b32 s10, exec_lo
.LBB100_271:                            ;   in Loop: Header=BB100_12 Depth=1
	s_or_b32 exec_lo, exec_lo, s62
	s_mov_b64 s[40:41], s[4:5]
.LBB100_272:                            ;   in Loop: Header=BB100_12 Depth=1
	s_and_not1_b32 s4, s16, exec_lo
	s_and_b32 s5, s13, exec_lo
	s_and_not1_b32 s6, s17, exec_lo
	s_or_b32 s16, s4, s5
	s_and_not1_b32 s4, s60, exec_lo
	s_and_b32 s5, s15, exec_lo
	s_and_b32 s7, s14, exec_lo
	s_or_b32 s60, s4, s5
	s_or_b32 s17, s6, s7
	s_and_b32 s5, s10, exec_lo
.LBB100_273:                            ;   in Loop: Header=BB100_12 Depth=1
	s_or_b32 exec_lo, exec_lo, s61
.LBB100_274:                            ;   in Loop: Header=BB100_12 Depth=1
	s_delay_alu instid0(SALU_CYCLE_1)
	s_and_not1_b32 s4, s22, exec_lo
	s_and_b32 s6, s16, exec_lo
	s_and_not1_b32 s7, s19, exec_lo
	s_or_b32 s22, s4, s6
	s_and_not1_b32 s4, s23, exec_lo
	s_and_b32 s6, s60, exec_lo
	s_and_b32 s8, s17, exec_lo
	s_or_b32 s23, s4, s6
	s_or_b32 s19, s7, s8
	s_and_b32 s5, s5, exec_lo
.LBB100_275:                            ;   in Loop: Header=BB100_12 Depth=1
	s_or_b32 exec_lo, exec_lo, s46
	s_and_saveexec_b32 s4, s5
	s_delay_alu instid0(SALU_CYCLE_1)
	s_xor_b32 s4, exec_lo, s4
	s_cbranch_execz .LBB100_10
.LBB100_276:                            ;   in Loop: Header=BB100_12 Depth=1
	s_and_b32 s5, s48, -9
	s_delay_alu instid0(SALU_CYCLE_1)
	s_cmp_eq_u32 s5, 0
	s_cbranch_scc1 .LBB100_8
; %bb.277:                              ;   in Loop: Header=BB100_12 Depth=1
	s_mov_b32 s5, -1
	s_mov_b32 s6, -1
                                        ; implicit-def: $sgpr58_sgpr59
                                        ; implicit-def: $sgpr40_sgpr41
                                        ; implicit-def: $sgpr85
                                        ; implicit-def: $sgpr89
	s_branch .LBB100_9
.LBB100_278:                            ;   in Loop: Header=BB100_12 Depth=1
                                        ; implicit-def: $vgpr3_vgpr4
	s_branch .LBB100_230
.LBB100_279:                            ;   in Loop: Header=BB100_12 Depth=1
                                        ; implicit-def: $vgpr3_vgpr4
	s_branch .LBB100_247
.LBB100_280:
	s_or_b32 exec_lo, exec_lo, s82
	s_xor_b32 s4, s86, -1
	s_xor_b32 s1, s83, -1
	;; [unrolled: 1-line block ×3, first 2 shown]
	s_mov_b32 s2, 0
	s_and_saveexec_b32 s5, s1
	s_delay_alu instid0(SALU_CYCLE_1)
	s_xor_b32 s1, exec_lo, s5
	s_cbranch_execz .LBB100_294
; %bb.281:
	s_and_saveexec_b32 s2, s4
	s_delay_alu instid0(SALU_CYCLE_1)
	s_xor_b32 s2, exec_lo, s2
	s_cbranch_execz .LBB100_292
; %bb.282:
	s_and_saveexec_b32 s4, s3
	s_delay_alu instid0(SALU_CYCLE_1)
	s_xor_b32 s3, exec_lo, s4
; %bb.283:
	v_xor_b32_e32 v4, 0x80000000, v4
	s_delay_alu instid0(VALU_DEP_1)
	v_dual_mov_b32 v6, v4 :: v_dual_mov_b32 v5, v3
; %bb.284:
	s_or_b32 exec_lo, exec_lo, s3
	s_mul_i32 s3, s39, s28
	s_mul_hi_u32 s5, s38, s28
	s_mul_i32 s4, s38, s28
	s_add_i32 s5, s5, s3
	v_mov_b32_e32 v2, 0
	s_lshl_b64 s[4:5], s[4:5], 3
	s_delay_alu instid0(SALU_CYCLE_1)
	s_add_u32 s4, s36, s4
	s_addc_u32 s5, s37, s5
	global_store_b64 v2, v[5:6], s[4:5]
	s_and_saveexec_b32 s3, s0
	s_cbranch_execz .LBB100_291
; %bb.285:
	s_mov_b32 s4, 0
                                        ; implicit-def: $sgpr5
                                        ; implicit-def: $sgpr7
                                        ; implicit-def: $sgpr6
	s_set_inst_prefetch_distance 0x1
	s_branch .LBB100_287
	.p2align	6
.LBB100_286:                            ;   in Loop: Header=BB100_287 Depth=1
	s_or_b32 exec_lo, exec_lo, s8
	s_delay_alu instid0(SALU_CYCLE_1) | instskip(NEXT) | instid1(SALU_CYCLE_1)
	s_and_b32 s0, exec_lo, s7
	s_or_b32 s4, s0, s4
	s_and_not1_b32 s0, s5, exec_lo
	s_and_b32 s5, s6, exec_lo
	s_delay_alu instid0(SALU_CYCLE_1)
	s_or_b32 s5, s0, s5
	s_and_not1_b32 exec_lo, exec_lo, s4
	s_cbranch_execz .LBB100_289
.LBB100_287:                            ; =>This Inner Loop Header: Depth=1
	global_load_b64 v[2:3], v[15:16], off
	s_or_b32 s6, s6, exec_lo
	s_or_b32 s7, s7, exec_lo
	s_waitcnt vmcnt(0)
	v_cmp_ne_u64_e32 vcc_lo, v[2:3], v[5:6]
	v_dual_mov_b32 v3, v1 :: v_dual_mov_b32 v2, v0
                                        ; implicit-def: $vgpr0_vgpr1
	s_and_saveexec_b32 s8, vcc_lo
	s_cbranch_execz .LBB100_286
; %bb.288:                              ;   in Loop: Header=BB100_287 Depth=1
	s_delay_alu instid0(VALU_DEP_1) | instskip(NEXT) | instid1(VALU_DEP_2)
	v_add_co_u32 v0, vcc_lo, v2, s29
	v_add_co_ci_u32_e32 v1, vcc_lo, 0, v3, vcc_lo
	v_add_co_u32 v15, s0, v15, s42
	s_delay_alu instid0(VALU_DEP_1) | instskip(NEXT) | instid1(VALU_DEP_3)
	v_add_co_ci_u32_e64 v16, s0, s43, v16, s0
	v_cmp_le_u64_e32 vcc_lo, s[24:25], v[0:1]
	s_and_not1_b32 s0, s7, exec_lo
	s_and_not1_b32 s6, s6, exec_lo
	s_and_b32 s7, vcc_lo, exec_lo
	s_delay_alu instid0(SALU_CYCLE_1)
	s_or_b32 s7, s0, s7
	s_branch .LBB100_286
.LBB100_289:
	s_set_inst_prefetch_distance 0x2
	s_or_b32 exec_lo, exec_lo, s4
	s_and_saveexec_b32 s0, s5
	s_delay_alu instid0(SALU_CYCLE_1)
	s_xor_b32 s0, exec_lo, s0
	s_cbranch_execz .LBB100_291
; %bb.290:
	s_mul_i32 s0, s31, s28
	s_mul_hi_u32 s5, s30, s28
	s_mul_i32 s4, s30, s28
	s_add_i32 s5, s5, s0
	v_mov_b32_e32 v0, 0
	s_lshl_b64 s[4:5], s[4:5], 3
	s_delay_alu instid0(SALU_CYCLE_1)
	s_add_u32 s4, s26, s4
	s_addc_u32 s5, s27, s5
	global_store_b64 v0, v[2:3], s[4:5]
.LBB100_291:
	s_or_b32 exec_lo, exec_lo, s3
.LBB100_292:
	s_or_saveexec_b32 s0, s2
	s_mov_b32 s2, 0
	s_xor_b32 exec_lo, exec_lo, s0
	s_cbranch_execnz .LBB100_300
.LBB100_293:
	s_or_b32 exec_lo, exec_lo, s0
	s_delay_alu instid0(SALU_CYCLE_1)
	s_and_b32 s2, s2, exec_lo
.LBB100_294:
	s_and_not1_saveexec_b32 s0, s1
	s_cbranch_execnz .LBB100_298
; %bb.295:
	s_or_b32 exec_lo, exec_lo, s0
	s_and_saveexec_b32 s0, s2
.LBB100_296:
	; divergent unreachable
.LBB100_297:
	s_nop 0
	s_sendmsg sendmsg(MSG_DEALLOC_VGPRS)
	s_endpgm
.LBB100_298:
	s_cbranch_execnz .LBB100_302
; %bb.299:
	s_or_b32 s2, s2, exec_lo
	s_or_b32 exec_lo, exec_lo, s0
	s_and_saveexec_b32 s0, s2
	s_cbranch_execnz .LBB100_296
	s_branch .LBB100_297
.LBB100_300:
	s_cbranch_execnz .LBB100_304
; %bb.301:
	s_mov_b32 s2, exec_lo
	s_branch .LBB100_293
.LBB100_302:
	s_trap 2
	s_sendmsg_rtn_b32 s0, sendmsg(MSG_RTN_GET_DOORBELL)
	s_mov_b32 ttmp2, m0
	s_waitcnt lgkmcnt(0)
	s_and_b32 s0, s0, 0x3ff
	s_delay_alu instid0(SALU_CYCLE_1) | instskip(NEXT) | instid1(SALU_CYCLE_1)
	s_bitset1_b32 s0, 10
	s_mov_b32 m0, s0
	s_sendmsg sendmsg(MSG_INTERRUPT)
	s_mov_b32 m0, ttmp2
.LBB100_303:                            ; =>This Inner Loop Header: Depth=1
	s_sethalt 5
	s_branch .LBB100_303
.LBB100_304:
	s_trap 2
	s_sendmsg_rtn_b32 s0, sendmsg(MSG_RTN_GET_DOORBELL)
	s_mov_b32 ttmp2, m0
	s_waitcnt lgkmcnt(0)
	s_and_b32 s0, s0, 0x3ff
	s_delay_alu instid0(SALU_CYCLE_1) | instskip(NEXT) | instid1(SALU_CYCLE_1)
	s_bitset1_b32 s0, 10
	s_mov_b32 m0, s0
	s_sendmsg sendmsg(MSG_INTERRUPT)
	s_mov_b32 m0, ttmp2
.LBB100_305:                            ; =>This Inner Loop Header: Depth=1
	s_sethalt 5
	s_branch .LBB100_305
	.section	.rodata,"a",@progbits
	.p2align	6, 0x0
	.amdhsa_kernel _ZN2at6native12_GLOBAL__N_112gatherMedianIlmLi1EEEvNS_4cuda6detail10TensorInfoIT_T0_EENS5_IlS7_EENS5_IKS6_S7_EES7_S7_S7_b
		.amdhsa_group_segment_fixed_size 5152
		.amdhsa_private_segment_fixed_size 0
		.amdhsa_kernarg_size 1536
		.amdhsa_user_sgpr_count 13
		.amdhsa_user_sgpr_dispatch_ptr 0
		.amdhsa_user_sgpr_queue_ptr 0
		.amdhsa_user_sgpr_kernarg_segment_ptr 1
		.amdhsa_user_sgpr_dispatch_id 0
		.amdhsa_user_sgpr_private_segment_size 0
		.amdhsa_wavefront_size32 1
		.amdhsa_uses_dynamic_stack 0
		.amdhsa_enable_private_segment 0
		.amdhsa_system_sgpr_workgroup_id_x 1
		.amdhsa_system_sgpr_workgroup_id_y 1
		.amdhsa_system_sgpr_workgroup_id_z 1
		.amdhsa_system_sgpr_workgroup_info 0
		.amdhsa_system_vgpr_workitem_id 0
		.amdhsa_next_free_vgpr 54
		.amdhsa_next_free_sgpr 95
		.amdhsa_reserve_vcc 1
		.amdhsa_float_round_mode_32 0
		.amdhsa_float_round_mode_16_64 0
		.amdhsa_float_denorm_mode_32 3
		.amdhsa_float_denorm_mode_16_64 3
		.amdhsa_dx10_clamp 1
		.amdhsa_ieee_mode 1
		.amdhsa_fp16_overflow 0
		.amdhsa_workgroup_processor_mode 1
		.amdhsa_memory_ordered 1
		.amdhsa_forward_progress 0
		.amdhsa_shared_vgpr_count 0
		.amdhsa_exception_fp_ieee_invalid_op 0
		.amdhsa_exception_fp_denorm_src 0
		.amdhsa_exception_fp_ieee_div_zero 0
		.amdhsa_exception_fp_ieee_overflow 0
		.amdhsa_exception_fp_ieee_underflow 0
		.amdhsa_exception_fp_ieee_inexact 0
		.amdhsa_exception_int_div_zero 0
	.end_amdhsa_kernel
	.section	.text._ZN2at6native12_GLOBAL__N_112gatherMedianIlmLi1EEEvNS_4cuda6detail10TensorInfoIT_T0_EENS5_IlS7_EENS5_IKS6_S7_EES7_S7_S7_b,"axG",@progbits,_ZN2at6native12_GLOBAL__N_112gatherMedianIlmLi1EEEvNS_4cuda6detail10TensorInfoIT_T0_EENS5_IlS7_EENS5_IKS6_S7_EES7_S7_S7_b,comdat
.Lfunc_end100:
	.size	_ZN2at6native12_GLOBAL__N_112gatherMedianIlmLi1EEEvNS_4cuda6detail10TensorInfoIT_T0_EENS5_IlS7_EENS5_IKS6_S7_EES7_S7_S7_b, .Lfunc_end100-_ZN2at6native12_GLOBAL__N_112gatherMedianIlmLi1EEEvNS_4cuda6detail10TensorInfoIT_T0_EENS5_IlS7_EENS5_IKS6_S7_EES7_S7_S7_b
                                        ; -- End function
	.section	.AMDGPU.csdata,"",@progbits
; Kernel info:
; codeLenInByte = 16632
; NumSgprs: 97
; NumVgprs: 54
; ScratchSize: 0
; MemoryBound: 0
; FloatMode: 240
; IeeeMode: 1
; LDSByteSize: 5152 bytes/workgroup (compile time only)
; SGPRBlocks: 12
; VGPRBlocks: 6
; NumSGPRsForWavesPerEU: 97
; NumVGPRsForWavesPerEU: 54
; Occupancy: 16
; WaveLimiterHint : 1
; COMPUTE_PGM_RSRC2:SCRATCH_EN: 0
; COMPUTE_PGM_RSRC2:USER_SGPR: 13
; COMPUTE_PGM_RSRC2:TRAP_HANDLER: 0
; COMPUTE_PGM_RSRC2:TGID_X_EN: 1
; COMPUTE_PGM_RSRC2:TGID_Y_EN: 1
; COMPUTE_PGM_RSRC2:TGID_Z_EN: 1
; COMPUTE_PGM_RSRC2:TIDIG_COMP_CNT: 0
	.section	.text._ZN2at6native12_GLOBAL__N_112gatherMedianIlmLi2EEEvNS_4cuda6detail10TensorInfoIT_T0_EENS5_IlS7_EENS5_IKS6_S7_EES7_S7_S7_b,"axG",@progbits,_ZN2at6native12_GLOBAL__N_112gatherMedianIlmLi2EEEvNS_4cuda6detail10TensorInfoIT_T0_EENS5_IlS7_EENS5_IKS6_S7_EES7_S7_S7_b,comdat
	.globl	_ZN2at6native12_GLOBAL__N_112gatherMedianIlmLi2EEEvNS_4cuda6detail10TensorInfoIT_T0_EENS5_IlS7_EENS5_IKS6_S7_EES7_S7_S7_b ; -- Begin function _ZN2at6native12_GLOBAL__N_112gatherMedianIlmLi2EEEvNS_4cuda6detail10TensorInfoIT_T0_EENS5_IlS7_EENS5_IKS6_S7_EES7_S7_S7_b
	.p2align	8
	.type	_ZN2at6native12_GLOBAL__N_112gatherMedianIlmLi2EEEvNS_4cuda6detail10TensorInfoIT_T0_EENS5_IlS7_EENS5_IKS6_S7_EES7_S7_S7_b,@function
_ZN2at6native12_GLOBAL__N_112gatherMedianIlmLi2EEEvNS_4cuda6detail10TensorInfoIT_T0_EENS5_IlS7_EENS5_IKS6_S7_EES7_S7_S7_b: ; @_ZN2at6native12_GLOBAL__N_112gatherMedianIlmLi2EEEvNS_4cuda6detail10TensorInfoIT_T0_EENS5_IlS7_EENS5_IKS6_S7_EES7_S7_S7_b
; %bb.0:
	s_clause 0x1
	s_load_b64 s[8:9], s[0:1], 0x500
	s_load_b128 s[24:27], s[0:1], 0x4e0
	s_add_u32 s10, s0, 0x500
	s_addc_u32 s11, s1, 0
	s_mov_b32 s35, 0
	s_waitcnt lgkmcnt(0)
	s_mul_i32 s2, s9, s15
	s_delay_alu instid0(SALU_CYCLE_1) | instskip(NEXT) | instid1(SALU_CYCLE_1)
	s_add_i32 s2, s2, s14
	s_mul_i32 s2, s2, s8
	s_delay_alu instid0(SALU_CYCLE_1) | instskip(NEXT) | instid1(SALU_CYCLE_1)
	s_add_i32 s34, s2, s13
	v_cmp_ge_u64_e64 s2, s[34:35], s[26:27]
	s_delay_alu instid0(VALU_DEP_1)
	s_and_b32 vcc_lo, exec_lo, s2
	s_cbranch_vccnz .LBB101_303
; %bb.1:
	s_clause 0x2
	s_load_b64 s[44:45], s[0:1], 0x10
	s_load_b64 s[14:15], s[0:1], 0x350
	;; [unrolled: 1-line block ×3, first 2 shown]
	s_mov_b64 s[40:41], 0
	s_mov_b64 s[46:47], 0
	s_waitcnt lgkmcnt(0)
	v_cmp_lt_u64_e64 s2, s[34:35], s[44:45]
	s_delay_alu instid0(VALU_DEP_1)
	s_and_b32 vcc_lo, exec_lo, s2
	s_cbranch_vccz .LBB101_292
; %bb.2:
	s_load_b64 s[42:43], s[0:1], 0x4f0
	v_cmp_lt_u64_e64 s2, s[34:35], s[26:27]
	s_delay_alu instid0(VALU_DEP_1)
	s_and_b32 vcc_lo, exec_lo, s2
	s_cbranch_vccz .LBB101_293
.LBB101_3:
	v_cmp_lt_u64_e64 s2, s[34:35], s[14:15]
	s_mov_b64 s[16:17], 0
	s_delay_alu instid0(VALU_DEP_1)
	s_and_b32 vcc_lo, exec_lo, s2
	s_cbranch_vccz .LBB101_294
.LBB101_4:
	v_cmp_eq_u32_e64 s2, 0, v0
	s_delay_alu instid0(VALU_DEP_1)
	s_and_saveexec_b32 s3, s2
	s_cbranch_execz .LBB101_6
.LBB101_5:
	v_mov_b32_e32 v1, 0
	s_waitcnt_depctr 0xfff
	v_mov_b32_e32 v2, v1
	ds_store_b64 v1, v[1:2] offset:5136
.LBB101_6:
	s_or_b32 exec_lo, exec_lo, s3
	v_mov_b32_e32 v1, 0
	s_waitcnt lgkmcnt(0)
	s_barrier
	buffer_gl0_inv
	s_barrier
	buffer_gl0_inv
	ds_load_b64 v[1:2], v1 offset:5136
	s_clause 0x1
	s_load_b32 s3, s[0:1], 0x4f8
	s_load_b64 s[18:19], s[0:1], 0x340
	s_mov_b64 s[52:53], s[24:25]
	s_waitcnt lgkmcnt(0)
	v_readfirstlane_b32 s4, v1
	v_readfirstlane_b32 s5, v2
	s_bitcmp1_b32 s3, 0
	s_cselect_b32 s3, -1, 0
	s_delay_alu instid0(VALU_DEP_1) | instskip(NEXT) | instid1(VALU_DEP_1)
	v_cmp_lt_i64_e64 s6, s[4:5], 1
	s_or_b32 s3, s3, s6
	s_delay_alu instid0(SALU_CYCLE_1)
	s_and_not1_b32 vcc_lo, exec_lo, s3
	s_cbranch_vccnz .LBB101_8
; %bb.7:
	s_not_b64 s[4:5], s[4:5]
	s_delay_alu instid0(SALU_CYCLE_1) | instskip(SKIP_1) | instid1(SALU_CYCLE_1)
	s_add_u32 s4, s4, s24
	s_addc_u32 s5, s5, s25
	s_lshr_b64 s[4:5], s[4:5], 1
	s_delay_alu instid0(SALU_CYCLE_1)
	s_add_u32 s52, s4, 1
	s_addc_u32 s53, s5, 0
.LBB101_8:
	s_clause 0x2
	s_load_b64 s[48:49], s[0:1], 0x1a0
	s_load_b64 s[50:51], s[0:1], 0x0
	s_load_b128 s[4:7], s[0:1], 0x410
	s_and_saveexec_b32 s3, s2
	s_cbranch_execz .LBB101_10
; %bb.9:
	v_dual_mov_b32 v1, 0 :: v_dual_mov_b32 v4, s25
	s_delay_alu instid0(VALU_DEP_1)
	v_dual_mov_b32 v3, s24 :: v_dual_mov_b32 v2, v1
	ds_store_b32 v1, v1 offset:5144
	ds_store_b128 v1, v[1:4] offset:5120
.LBB101_10:
	s_or_b32 exec_lo, exec_lo, s3
	s_mul_i32 s3, s16, s15
	s_mul_hi_u32 s9, s16, s14
	s_mul_i32 s12, s16, s14
	s_add_i32 s9, s9, s3
	s_sub_u32 s3, s34, s12
	s_clause 0x1
	s_load_b128 s[28:31], s[0:1], 0x270
	s_load_b128 s[36:39], s[0:1], 0xd0
	s_waitcnt lgkmcnt(0)
	s_mul_i32 s0, s3, s7
	s_mul_hi_u32 s1, s3, s6
	s_subb_u32 s7, 0, s9
	s_add_i32 s9, s1, s0
	s_mul_i32 s0, s16, s5
	s_mul_hi_u32 s1, s16, s4
	s_mul_i32 s7, s7, s6
	s_add_i32 s1, s1, s0
	s_mul_i32 s0, s16, s4
	v_mad_u64_u32 v[2:3], null, v0, s42, 0
	s_lshl_b64 s[0:1], s[0:1], 3
	s_add_i32 s5, s9, s7
	s_mul_i32 s4, s3, s6
	s_add_u32 s3, s18, s0
	s_addc_u32 s6, s19, s1
	s_lshl_b64 s[0:1], s[4:5], 3
	s_barrier
	buffer_gl0_inv
	s_load_b32 s4, s[10:11], 0xc
	v_mad_u64_u32 v[4:5], null, v0, s43, v[3:4]
	v_mbcnt_lo_u32_b32 v25, -1, 0
	v_mov_b32_e32 v16, 0
	s_add_u32 s33, s3, s0
	v_cmp_gt_u32_e32 vcc_lo, 32, v0
	s_addc_u32 s35, s6, s1
	v_cmp_gt_i32_e64 s3, 4, v25
	v_mov_b32_e32 v3, v4
	v_dual_mov_b32 v1, v16 :: v_dual_lshlrev_b32 v26, 3, v0
	v_cmp_lt_u64_e64 s74, 0x180, s[24:25]
	s_delay_alu instid0(VALU_DEP_4) | instskip(NEXT) | instid1(VALU_DEP_3)
	s_and_b32 s47, vcc_lo, s3
	v_lshlrev_b64 v[2:3], 3, v[2:3]
	s_delay_alu instid0(VALU_DEP_3)
	v_cmp_gt_u64_e64 s0, s[24:25], v[0:1]
	v_mov_b32_e32 v5, 0
	v_cmp_eq_u32_e64 s1, 0, v25
	v_cmp_gt_u32_e64 s3, 2, v0
	v_dual_mov_b32 v20, v16 :: v_dual_add_nc_u32 v27, 0xc00, v26
	s_waitcnt lgkmcnt(0)
	s_and_b32 s41, s4, 0xffff
	s_bfe_u32 s5, s4, 0xb0005
	s_add_u32 s75, s41, -1
	s_addc_u32 s76, 0, -1
	v_add_co_u32 v17, vcc_lo, s33, v2
	v_lshrrev_b32_e32 v2, 3, v0
	s_add_u32 s77, s75, s24
	s_addc_u32 s57, s76, s25
	s_cmp_lt_u32 s13, s8
	v_add_co_ci_u32_e32 v18, vcc_lo, s35, v3, vcc_lo
	s_cselect_b32 s6, 12, 18
	v_and_b32_e32 v28, 0x7c, v2
	v_lshlrev_b64 v[2:3], v25, -1
	s_add_u32 s58, s10, s6
	s_addc_u32 s59, s11, 0
	s_add_i32 s6, s5, -1
	s_bfe_u32 s78, s41, 0x30005
	s_cmp_gt_u32 s6, 6
	v_dual_mov_b32 v6, 0 :: v_dual_lshlrev_b32 v19, 2, v0
	v_not_b32_e32 v29, v2
	s_cselect_b32 s79, -1, 0
	s_and_b32 s80, s5, 0x7f8
	v_cmp_gt_u16_e64 s81, s4, 31
	v_lshlrev_b32_e32 v30, 5, v0
	v_lshl_or_b32 v31, v25, 3, 0xc00
	v_mov_b32_e32 v2, 1
	s_cmp_lg_u32 s78, 0
	s_mov_b32 s55, 0
	s_cselect_b32 s82, -1, 0
	s_lshl_b32 s83, s41, 3
	s_mov_b32 s87, 62
	s_mov_b64 s[60:61], 0
	s_mov_b32 s84, 0
	s_mov_b32 s91, 0
	s_mov_b64 s[62:63], 0
                                        ; implicit-def: $sgpr85
                                        ; implicit-def: $sgpr88
                                        ; implicit-def: $sgpr86
                                        ; implicit-def: $sgpr90
                                        ; implicit-def: $sgpr92
                                        ; implicit-def: $sgpr89
	s_branch .LBB101_15
.LBB101_11:                             ;   in Loop: Header=BB101_15 Depth=1
	s_xor_b32 s91, s91, 1
	s_add_i32 s7, s87, -2
	s_cmp_eq_u32 s87, 0
	s_mov_b32 s5, 0
	s_cselect_b32 s6, -1, 0
	s_mov_b32 s87, s7
.LBB101_12:                             ;   in Loop: Header=BB101_15 Depth=1
	s_and_not1_b32 s7, s22, exec_lo
	s_and_b32 s5, s5, exec_lo
	s_and_not1_b32 s23, s23, exec_lo
	s_or_b32 s22, s7, s5
	s_and_not1_b32 s19, s19, exec_lo
	s_or_not1_b32 s18, s6, exec_lo
.LBB101_13:                             ;   in Loop: Header=BB101_15 Depth=1
	s_or_b32 exec_lo, exec_lo, s4
	s_delay_alu instid0(SALU_CYCLE_1)
	s_and_not1_b32 s4, s89, exec_lo
	s_and_b32 s5, s22, exec_lo
	s_and_not1_b32 s6, s90, exec_lo
	s_or_b32 s89, s4, s5
	s_and_not1_b32 s4, s92, exec_lo
	s_and_b32 s5, s23, exec_lo
	s_and_b32 s7, s19, exec_lo
	s_or_b32 s92, s4, s5
	s_or_b32 s90, s6, s7
	s_or_not1_b32 s22, s18, exec_lo
.LBB101_14:                             ;   in Loop: Header=BB101_15 Depth=1
	s_or_b32 exec_lo, exec_lo, s20
	s_delay_alu instid0(SALU_CYCLE_1)
	s_and_b32 s4, exec_lo, s22
	v_dual_mov_b32 v3, s60 :: v_dual_mov_b32 v4, s61
	s_or_b32 s84, s4, s84
	s_and_not1_b32 s4, s86, exec_lo
	s_and_b32 s5, s89, exec_lo
	s_and_not1_b32 s6, s85, exec_lo
	s_or_b32 s86, s4, s5
	s_and_not1_b32 s4, s88, exec_lo
	s_and_b32 s5, s92, exec_lo
	s_and_b32 s7, s90, exec_lo
	s_or_b32 s88, s4, s5
	s_or_b32 s85, s6, s7
	s_and_not1_b32 exec_lo, exec_lo, s84
	s_cbranch_execz .LBB101_283
.LBB101_15:                             ; =>This Loop Header: Depth=1
                                        ;     Child Loop BB101_23 Depth 2
                                        ;     Child Loop BB101_41 Depth 2
	;; [unrolled: 1-line block ×16, first 2 shown]
	ds_load_b128 v[7:10], v16 offset:5120
	s_waitcnt lgkmcnt(0)
	v_readfirstlane_b32 s65, v8
	v_readfirstlane_b32 s64, v7
	s_delay_alu instid0(VALU_DEP_1)
	s_cmp_lg_u64 s[64:65], 0
	s_cbranch_scc1 .LBB101_48
; %bb.16:                               ;   in Loop: Header=BB101_15 Depth=1
	s_and_b32 vcc_lo, exec_lo, s74
	s_cbranch_vccz .LBB101_31
; %bb.17:                               ;   in Loop: Header=BB101_15 Depth=1
	v_cmp_gt_u64_e32 vcc_lo, 0x181, v[9:10]
	s_mov_b32 s6, 0
	s_mov_b32 s4, 0
	s_cbranch_vccz .LBB101_32
; %bb.18:                               ;   in Loop: Header=BB101_15 Depth=1
	v_mov_b32_e32 v3, 0
	v_mov_b32_e32 v4, 0
	s_and_saveexec_b32 s4, s0
	s_cbranch_execz .LBB101_20
; %bb.19:                               ;   in Loop: Header=BB101_15 Depth=1
	global_load_b64 v[3:4], v[17:18], off
.LBB101_20:                             ;   in Loop: Header=BB101_15 Depth=1
	s_or_b32 exec_lo, exec_lo, s4
	s_and_saveexec_b32 s7, s0
	s_cbranch_execz .LBB101_33
; %bb.21:                               ;   in Loop: Header=BB101_15 Depth=1
	global_load_u16 v7, v16, s[58:59]
	s_mov_b32 s8, 0
	s_waitcnt vmcnt(0)
	v_dual_mov_b32 v8, v1 :: v_dual_and_b32 v11, 0xffff, v7
	v_mov_b32_e32 v7, v0
	s_branch .LBB101_23
.LBB101_22:                             ;   in Loop: Header=BB101_23 Depth=2
	s_or_b32 exec_lo, exec_lo, s5
	s_waitcnt vmcnt(0)
	v_dual_mov_b32 v3, v9 :: v_dual_mov_b32 v4, v10
	s_and_not1_b32 exec_lo, exec_lo, s8
	s_cbranch_execz .LBB101_33
.LBB101_23:                             ;   Parent Loop BB101_15 Depth=1
                                        ; =>  This Inner Loop Header: Depth=2
	s_delay_alu instid0(VALU_DEP_1) | instskip(NEXT) | instid1(VALU_DEP_3)
	v_add_co_u32 v7, vcc_lo, v7, v11
	v_add_co_ci_u32_e32 v8, vcc_lo, 0, v8, vcc_lo
	v_mov_b32_e32 v9, 0
	v_mov_b32_e32 v10, 0
	s_mov_b32 s5, exec_lo
	s_delay_alu instid0(VALU_DEP_3)
	v_cmp_le_u64_e32 vcc_lo, s[24:25], v[7:8]
	v_cmpx_gt_u64_e64 s[24:25], v[7:8]
	s_cbranch_execz .LBB101_25
; %bb.24:                               ;   in Loop: Header=BB101_23 Depth=2
	s_waitcnt lgkmcnt(0)
	v_mul_lo_u32 v12, v8, s42
	v_mul_lo_u32 v13, v7, s43
	v_mad_u64_u32 v[9:10], null, v7, s42, 0
	s_delay_alu instid0(VALU_DEP_1) | instskip(NEXT) | instid1(VALU_DEP_1)
	v_add3_u32 v10, v10, v13, v12
	v_lshlrev_b64 v[9:10], 3, v[9:10]
	s_delay_alu instid0(VALU_DEP_1) | instskip(NEXT) | instid1(VALU_DEP_1)
	v_add_co_u32 v9, s4, s33, v9
	v_add_co_ci_u32_e64 v10, s4, s35, v10, s4
	global_load_b64 v[9:10], v[9:10], off
.LBB101_25:                             ;   in Loop: Header=BB101_23 Depth=2
	s_or_b32 exec_lo, exec_lo, s5
	s_waitcnt lgkmcnt(0)
	v_xor_b32_e32 v12, 0x80000000, v4
	s_delay_alu instid0(VALU_DEP_1) | instskip(SKIP_1) | instid1(VALU_DEP_1)
	v_and_b32_e32 v13, s63, v12
	v_and_b32_e32 v12, s62, v3
	v_cmp_eq_u64_e64 s4, s[60:61], v[12:13]
	v_mov_b32_e32 v12, 0
	s_delay_alu instid0(VALU_DEP_2) | instskip(SKIP_1) | instid1(SALU_CYCLE_1)
	s_cmp_lg_u32 s4, 0
	s_cselect_b32 s5, -1, 0
	s_and_b32 s5, s1, s5
	s_delay_alu instid0(SALU_CYCLE_1)
	s_and_saveexec_b32 s9, s5
	s_cbranch_execz .LBB101_29
; %bb.26:                               ;   in Loop: Header=BB101_23 Depth=2
	s_mov_b32 s12, exec_lo
	s_bcnt1_i32_b32 s10, s4
	v_mbcnt_lo_u32_b32 v12, s12, 0
	s_mov_b32 s11, exec_lo
                                        ; implicit-def: $vgpr13
	s_delay_alu instid0(VALU_DEP_1)
	v_cmpx_eq_u32_e32 0, v12
	s_cbranch_execz .LBB101_28
; %bb.27:                               ;   in Loop: Header=BB101_23 Depth=2
	s_bcnt1_i32_b32 s5, s12
	s_delay_alu instid0(SALU_CYCLE_1) | instskip(NEXT) | instid1(SALU_CYCLE_1)
	s_mul_i32 s5, s10, s5
	v_mov_b32_e32 v13, s5
	ds_add_rtn_u32 v13, v16, v13 offset:5144
.LBB101_28:                             ;   in Loop: Header=BB101_23 Depth=2
	s_or_b32 exec_lo, exec_lo, s11
	s_waitcnt lgkmcnt(0)
	v_readfirstlane_b32 s5, v13
	s_delay_alu instid0(VALU_DEP_1)
	v_mad_u32_u24 v12, s10, v12, s5
.LBB101_29:                             ;   in Loop: Header=BB101_23 Depth=2
	s_or_b32 exec_lo, exec_lo, s9
	ds_bpermute_b32 v12, v16, v12
	s_and_b32 s5, exec_lo, vcc_lo
	s_delay_alu instid0(SALU_CYCLE_1)
	s_or_b32 s8, s5, s8
	s_and_saveexec_b32 s5, s4
	s_cbranch_execz .LBB101_22
; %bb.30:                               ;   in Loop: Header=BB101_23 Depth=2
	v_and_b32_e32 v13, s4, v29
	s_delay_alu instid0(VALU_DEP_1) | instskip(NEXT) | instid1(VALU_DEP_1)
	v_bcnt_u32_b32 v13, v13, 0
	v_lshlrev_b32_e32 v13, 3, v13
	s_waitcnt lgkmcnt(0)
	s_delay_alu instid0(VALU_DEP_1)
	v_lshl_add_u32 v12, v12, 3, v13
	ds_store_b64 v12, v[3:4]
	s_branch .LBB101_22
.LBB101_31:                             ;   in Loop: Header=BB101_15 Depth=1
	s_mov_b32 s4, 0
                                        ; implicit-def: $sgpr64_sgpr65
	s_cbranch_execnz .LBB101_36
	s_branch .LBB101_46
.LBB101_32:                             ;   in Loop: Header=BB101_15 Depth=1
	s_mov_b64 s[64:65], 0
	s_and_b32 vcc_lo, exec_lo, s6
	s_cbranch_vccnz .LBB101_36
	s_branch .LBB101_46
.LBB101_33:                             ;   in Loop: Header=BB101_15 Depth=1
	s_or_b32 exec_lo, exec_lo, s7
	s_waitcnt vmcnt(0) lgkmcnt(0)
	s_barrier
	buffer_gl0_inv
	s_and_saveexec_b32 s4, s2
	s_cbranch_execz .LBB101_35
; %bb.34:                               ;   in Loop: Header=BB101_15 Depth=1
	ds_load_b32 v3, v16 offset:5144
	s_waitcnt lgkmcnt(0)
	v_ashrrev_i32_e32 v4, 31, v3
	ds_store_b64 v16, v[3:4] offset:5120
.LBB101_35:                             ;   in Loop: Header=BB101_15 Depth=1
	s_or_b32 exec_lo, exec_lo, s4
	s_waitcnt lgkmcnt(0)
	s_mov_b32 s4, -1
	s_barrier
	s_mov_b64 s[64:65], 0
	s_and_b32 vcc_lo, exec_lo, s6
	s_cbranch_vccz .LBB101_46
.LBB101_36:                             ;   in Loop: Header=BB101_15 Depth=1
	v_mov_b32_e32 v3, 0
	v_mov_b32_e32 v4, 0
	s_and_saveexec_b32 s4, s0
	s_cbranch_execz .LBB101_38
; %bb.37:                               ;   in Loop: Header=BB101_15 Depth=1
	global_load_b64 v[3:4], v[17:18], off
.LBB101_38:                             ;   in Loop: Header=BB101_15 Depth=1
	s_or_b32 exec_lo, exec_lo, s4
	s_and_saveexec_b32 s5, s0
	s_cbranch_execz .LBB101_43
; %bb.39:                               ;   in Loop: Header=BB101_15 Depth=1
	global_load_u16 v7, v16, s[58:59]
	s_mov_b32 s6, 0
	s_waitcnt vmcnt(0)
	v_dual_mov_b32 v12, v26 :: v_dual_and_b32 v11, 0xffff, v7
	v_dual_mov_b32 v8, v1 :: v_dual_mov_b32 v7, v0
	s_delay_alu instid0(VALU_DEP_2)
	v_lshlrev_b32_e32 v13, 3, v11
	s_set_inst_prefetch_distance 0x1
	s_branch .LBB101_41
	.p2align	6
.LBB101_40:                             ;   in Loop: Header=BB101_41 Depth=2
	s_or_b32 exec_lo, exec_lo, s7
	ds_store_b64 v12, v[3:4]
	s_waitcnt vmcnt(0)
	v_dual_mov_b32 v3, v9 :: v_dual_add_nc_u32 v12, v12, v13
	v_mov_b32_e32 v4, v10
	s_and_b32 s4, exec_lo, vcc_lo
	s_delay_alu instid0(SALU_CYCLE_1) | instskip(NEXT) | instid1(SALU_CYCLE_1)
	s_or_b32 s6, s4, s6
	s_and_not1_b32 exec_lo, exec_lo, s6
	s_cbranch_execz .LBB101_43
.LBB101_41:                             ;   Parent Loop BB101_15 Depth=1
                                        ; =>  This Inner Loop Header: Depth=2
	s_delay_alu instid0(VALU_DEP_2) | instskip(SKIP_4) | instid1(VALU_DEP_3)
	v_add_co_u32 v7, vcc_lo, v7, v11
	v_add_co_ci_u32_e32 v8, vcc_lo, 0, v8, vcc_lo
	v_mov_b32_e32 v9, 0
	v_mov_b32_e32 v10, 0
	s_mov_b32 s7, exec_lo
	v_cmp_le_u64_e32 vcc_lo, s[24:25], v[7:8]
	v_cmpx_gt_u64_e64 s[24:25], v[7:8]
	s_cbranch_execz .LBB101_40
; %bb.42:                               ;   in Loop: Header=BB101_41 Depth=2
	v_mul_lo_u32 v14, v8, s42
	v_mul_lo_u32 v15, v7, s43
	v_mad_u64_u32 v[9:10], null, v7, s42, 0
	s_delay_alu instid0(VALU_DEP_1) | instskip(NEXT) | instid1(VALU_DEP_1)
	v_add3_u32 v10, v10, v15, v14
	v_lshlrev_b64 v[9:10], 3, v[9:10]
	s_delay_alu instid0(VALU_DEP_1) | instskip(NEXT) | instid1(VALU_DEP_1)
	v_add_co_u32 v9, s4, s33, v9
	v_add_co_ci_u32_e64 v10, s4, s35, v10, s4
	global_load_b64 v[9:10], v[9:10], off
	s_branch .LBB101_40
.LBB101_43:                             ;   in Loop: Header=BB101_15 Depth=1
	s_set_inst_prefetch_distance 0x2
	s_or_b32 exec_lo, exec_lo, s5
	s_waitcnt vmcnt(0) lgkmcnt(0)
	s_barrier
	buffer_gl0_inv
	s_and_saveexec_b32 s4, s2
	s_cbranch_execz .LBB101_45
; %bb.44:                               ;   in Loop: Header=BB101_15 Depth=1
	v_dual_mov_b32 v3, s24 :: v_dual_mov_b32 v4, s25
	ds_store_b64 v16, v[3:4] offset:5120
.LBB101_45:                             ;   in Loop: Header=BB101_15 Depth=1
	s_or_b32 exec_lo, exec_lo, s4
	s_mov_b32 s4, -1
	s_waitcnt lgkmcnt(0)
	s_barrier
                                        ; implicit-def: $sgpr64_sgpr65
.LBB101_46:                             ;   in Loop: Header=BB101_15 Depth=1
	s_and_b32 vcc_lo, exec_lo, s4
	s_cbranch_vccz .LBB101_48
; %bb.47:                               ;   in Loop: Header=BB101_15 Depth=1
	buffer_gl0_inv
	ds_load_b64 v[3:4], v16 offset:5120
	s_waitcnt lgkmcnt(0)
	v_readfirstlane_b32 s64, v3
.LBB101_48:                             ;   in Loop: Header=BB101_15 Depth=1
	s_delay_alu instid0(VALU_DEP_1)
	s_cmp_lt_i32 s64, 1
	s_cbranch_scc0 .LBB101_63
; %bb.49:                               ;   in Loop: Header=BB101_15 Depth=1
	global_load_u16 v23, v16, s[58:59]
	s_mov_b32 s5, s25
	s_waitcnt vmcnt(0)
	v_readfirstlane_b32 s4, v23
	s_delay_alu instid0(VALU_DEP_1)
	s_and_b32 s6, 0xffff, s4
	s_mov_b32 s4, s55
	s_lshl_b32 s54, s6, 2
	s_cmp_lg_u64 s[4:5], 0
	s_cbranch_scc0 .LBB101_83
; %bb.50:                               ;   in Loop: Header=BB101_15 Depth=1
	v_cvt_f32_u32_e32 v3, s54
	s_sub_u32 s6, 0, s54
	s_subb_u32 s7, 0, 0
	s_delay_alu instid0(VALU_DEP_1) | instskip(NEXT) | instid1(VALU_DEP_1)
	v_fmac_f32_e64 v3, 0, 0x4f800000
	v_rcp_f32_e32 v3, v3
	s_waitcnt_depctr 0xfff
	v_mul_f32_e32 v3, 0x5f7ffffc, v3
	s_delay_alu instid0(VALU_DEP_1) | instskip(NEXT) | instid1(VALU_DEP_1)
	v_mul_f32_e32 v4, 0x2f800000, v3
	v_trunc_f32_e32 v4, v4
	s_delay_alu instid0(VALU_DEP_1) | instskip(SKIP_1) | instid1(VALU_DEP_2)
	v_fmac_f32_e32 v3, 0xcf800000, v4
	v_cvt_u32_f32_e32 v4, v4
	v_cvt_u32_f32_e32 v3, v3
	s_delay_alu instid0(VALU_DEP_2) | instskip(NEXT) | instid1(VALU_DEP_2)
	v_readfirstlane_b32 s4, v4
	v_readfirstlane_b32 s5, v3
	s_delay_alu instid0(VALU_DEP_2) | instskip(NEXT) | instid1(VALU_DEP_1)
	s_mul_i32 s8, s6, s4
	s_mul_hi_u32 s10, s6, s5
	s_mul_i32 s9, s7, s5
	s_add_i32 s8, s10, s8
	s_mul_i32 s11, s6, s5
	s_add_i32 s8, s8, s9
	s_mul_hi_u32 s10, s5, s11
	s_mul_hi_u32 s12, s4, s11
	s_mul_i32 s9, s4, s11
	s_mul_hi_u32 s11, s5, s8
	s_mul_i32 s5, s5, s8
	s_mul_hi_u32 s13, s4, s8
	s_add_u32 s5, s10, s5
	s_addc_u32 s10, 0, s11
	s_add_u32 s5, s5, s9
	s_mul_i32 s8, s4, s8
	s_addc_u32 s5, s10, s12
	s_addc_u32 s9, s13, 0
	s_add_u32 s5, s5, s8
	s_addc_u32 s8, 0, s9
	v_add_co_u32 v3, s5, v3, s5
	s_delay_alu instid0(VALU_DEP_1) | instskip(SKIP_1) | instid1(VALU_DEP_1)
	s_cmp_lg_u32 s5, 0
	s_addc_u32 s4, s4, s8
	v_readfirstlane_b32 s5, v3
	s_mul_i32 s8, s6, s4
	s_delay_alu instid0(VALU_DEP_1)
	s_mul_hi_u32 s9, s6, s5
	s_mul_i32 s7, s7, s5
	s_add_i32 s8, s9, s8
	s_mul_i32 s6, s6, s5
	s_add_i32 s8, s8, s7
	s_mul_hi_u32 s9, s4, s6
	s_mul_i32 s10, s4, s6
	s_mul_hi_u32 s6, s5, s6
	s_mul_hi_u32 s11, s5, s8
	s_mul_i32 s5, s5, s8
	s_mul_hi_u32 s7, s4, s8
	s_add_u32 s5, s6, s5
	s_addc_u32 s6, 0, s11
	s_add_u32 s5, s5, s10
	s_mul_i32 s8, s4, s8
	s_addc_u32 s5, s6, s9
	s_addc_u32 s6, s7, 0
	s_add_u32 s5, s5, s8
	s_addc_u32 s6, 0, s6
	v_add_co_u32 v3, s5, v3, s5
	s_delay_alu instid0(VALU_DEP_1) | instskip(SKIP_1) | instid1(VALU_DEP_1)
	s_cmp_lg_u32 s5, 0
	s_addc_u32 s4, s4, s6
	v_readfirstlane_b32 s5, v3
	s_mul_i32 s7, s24, s4
	s_mul_hi_u32 s6, s24, s4
	s_mul_hi_u32 s8, s25, s4
	s_mul_i32 s4, s25, s4
	s_mul_hi_u32 s9, s24, s5
	s_mul_hi_u32 s10, s25, s5
	s_mul_i32 s5, s25, s5
	s_add_u32 s7, s9, s7
	s_addc_u32 s6, 0, s6
	s_add_u32 s5, s7, s5
	s_addc_u32 s5, s6, s10
	s_addc_u32 s6, s8, 0
	s_add_u32 s4, s5, s4
	s_addc_u32 s5, 0, s6
	s_mul_hi_u32 s6, s54, s4
	s_mul_i32 s4, s54, s4
	s_mul_i32 s5, s54, s5
	v_sub_co_u32 v3, s4, s24, s4
	s_add_i32 s6, s6, s5
	s_cmp_lg_u32 s4, 0
	s_delay_alu instid0(VALU_DEP_1) | instskip(SKIP_2) | instid1(VALU_DEP_1)
	v_sub_co_u32 v4, s4, v3, s54
	s_subb_u32 s5, s25, s6
	s_cmp_lg_u32 s4, 0
	v_cmp_le_u32_e32 vcc_lo, s54, v4
	v_sub_co_u32 v7, s4, v4, s54
	s_subb_u32 s6, s5, 0
	s_cmp_lg_u32 s4, 0
	v_cndmask_b32_e64 v8, 0, -1, vcc_lo
	s_subb_u32 s4, s6, 0
	s_cmp_eq_u32 s6, 0
	v_mov_b32_e32 v10, s4
	s_cselect_b32 vcc_lo, -1, 0
	s_cmp_eq_u32 s5, 0
	v_cndmask_b32_e32 v8, -1, v8, vcc_lo
	v_cmp_le_u32_e32 vcc_lo, s54, v3
	s_cselect_b32 s4, -1, 0
	v_cndmask_b32_e64 v9, 0, -1, vcc_lo
	s_delay_alu instid0(VALU_DEP_3) | instskip(NEXT) | instid1(VALU_DEP_2)
	v_cmp_ne_u32_e32 vcc_lo, 0, v8
	v_cndmask_b32_e64 v8, -1, v9, s4
	v_cndmask_b32_e32 v9, s6, v10, vcc_lo
	v_cndmask_b32_e32 v7, v4, v7, vcc_lo
	s_delay_alu instid0(VALU_DEP_3) | instskip(NEXT) | instid1(VALU_DEP_3)
	v_cmp_ne_u32_e32 vcc_lo, 0, v8
	v_cndmask_b32_e32 v4, s5, v9, vcc_lo
	s_delay_alu instid0(VALU_DEP_3)
	v_cndmask_b32_e32 v3, v3, v7, vcc_lo
	s_cbranch_execnz .LBB101_52
.LBB101_51:                             ;   in Loop: Header=BB101_15 Depth=1
	v_cvt_f32_u32_e32 v3, s54
	s_sub_i32 s4, 0, s54
	s_delay_alu instid0(VALU_DEP_1) | instskip(SKIP_2) | instid1(VALU_DEP_1)
	v_rcp_iflag_f32_e32 v3, v3
	s_waitcnt_depctr 0xfff
	v_mul_f32_e32 v3, 0x4f7ffffe, v3
	v_cvt_u32_f32_e32 v3, v3
	s_delay_alu instid0(VALU_DEP_1) | instskip(NEXT) | instid1(VALU_DEP_1)
	v_mul_lo_u32 v4, s4, v3
	v_mul_hi_u32 v4, v3, v4
	s_delay_alu instid0(VALU_DEP_1) | instskip(NEXT) | instid1(VALU_DEP_1)
	v_add_nc_u32_e32 v3, v3, v4
	v_mul_hi_u32 v3, s24, v3
	s_delay_alu instid0(VALU_DEP_1) | instskip(NEXT) | instid1(VALU_DEP_1)
	v_mul_lo_u32 v3, v3, s54
	v_sub_nc_u32_e32 v3, s24, v3
	s_delay_alu instid0(VALU_DEP_1) | instskip(SKIP_1) | instid1(VALU_DEP_2)
	v_subrev_nc_u32_e32 v4, s54, v3
	v_cmp_le_u32_e32 vcc_lo, s54, v3
	v_cndmask_b32_e32 v3, v3, v4, vcc_lo
	s_delay_alu instid0(VALU_DEP_1) | instskip(SKIP_1) | instid1(VALU_DEP_2)
	v_subrev_nc_u32_e32 v4, s54, v3
	v_cmp_le_u32_e32 vcc_lo, s54, v3
	v_cndmask_b32_e32 v15, v3, v4, vcc_lo
	s_delay_alu instid0(VALU_DEP_1)
	v_dual_mov_b32 v3, v15 :: v_dual_mov_b32 v4, v16
.LBB101_52:                             ;   in Loop: Header=BB101_15 Depth=1
	v_mov_b32_e32 v7, 0
	v_mov_b32_e32 v8, 0
	s_delay_alu instid0(VALU_DEP_3) | instskip(NEXT) | instid1(VALU_DEP_4)
	v_sub_co_u32 v3, vcc_lo, s24, v3
	v_sub_co_ci_u32_e32 v4, vcc_lo, s25, v4, vcc_lo
	s_delay_alu instid0(VALU_DEP_3)
	v_dual_mov_b32 v10, v8 :: v_dual_mov_b32 v9, v7
	v_dual_mov_b32 v12, v8 :: v_dual_mov_b32 v11, v7
	;; [unrolled: 1-line block ×3, first 2 shown]
	s_mov_b64 s[66:67], 0
	s_mov_b32 s56, exec_lo
	v_cmpx_gt_u64_e64 v[3:4], v[19:20]
	s_cbranch_execz .LBB101_56
; %bb.53:                               ;   in Loop: Header=BB101_15 Depth=1
	v_dual_mov_b32 v22, v20 :: v_dual_mov_b32 v21, v19
	s_and_b32 s65, s87, 0xfe
	s_mov_b32 s93, 0
	s_mov_b64 s[68:69], 0
	s_mov_b64 s[70:71], 0
	;; [unrolled: 1-line block ×3, first 2 shown]
.LBB101_54:                             ;   Parent Loop BB101_15 Depth=1
                                        ; =>  This Inner Loop Header: Depth=2
	v_mul_lo_u32 v9, v22, s42
	v_mul_lo_u32 v10, v21, s43
	v_mad_u64_u32 v[7:8], null, v21, s42, 0
	s_lshl_b64 s[4:5], s[42:43], 3
	s_delay_alu instid0(VALU_DEP_1) | instskip(NEXT) | instid1(VALU_DEP_1)
	v_add3_u32 v8, v8, v10, v9
	v_lshlrev_b64 v[7:8], 3, v[7:8]
	s_delay_alu instid0(VALU_DEP_1) | instskip(NEXT) | instid1(VALU_DEP_2)
	v_add_co_u32 v7, vcc_lo, s33, v7
	v_add_co_ci_u32_e32 v8, vcc_lo, s35, v8, vcc_lo
	s_delay_alu instid0(VALU_DEP_2) | instskip(NEXT) | instid1(VALU_DEP_2)
	v_add_co_u32 v9, vcc_lo, v7, s4
	v_add_co_ci_u32_e32 v10, vcc_lo, s5, v8, vcc_lo
	global_load_b64 v[7:8], v[7:8], off
	v_add_co_u32 v11, vcc_lo, v9, s4
	v_add_co_ci_u32_e32 v12, vcc_lo, s5, v10, vcc_lo
	s_clause 0x1
	global_load_b64 v[9:10], v[9:10], off
	global_load_b64 v[13:14], v[11:12], off
	v_add_co_u32 v11, vcc_lo, v11, s4
	v_add_co_ci_u32_e32 v12, vcc_lo, s5, v12, vcc_lo
	v_mov_b32_e32 v33, v16
	v_mov_b32_e32 v35, v16
	;; [unrolled: 1-line block ×3, first 2 shown]
	global_load_b64 v[11:12], v[11:12], off
	v_add_co_u32 v21, vcc_lo, v21, s54
	v_add_co_ci_u32_e32 v22, vcc_lo, 0, v22, vcc_lo
	s_delay_alu instid0(VALU_DEP_1) | instskip(SKIP_3) | instid1(VALU_DEP_2)
	v_cmp_ge_u64_e32 vcc_lo, v[21:22], v[3:4]
	s_waitcnt vmcnt(3)
	v_xor_b32_e32 v8, 0x80000000, v8
	v_and_b32_e32 v38, s62, v7
	v_and_b32_e32 v39, s63, v8
	s_waitcnt vmcnt(2)
	v_xor_b32_e32 v10, 0x80000000, v10
	s_waitcnt vmcnt(1)
	v_xor_b32_e32 v14, 0x80000000, v14
	v_lshrrev_b64 v[7:8], s65, v[7:8]
	v_and_b32_e32 v40, s62, v9
	v_cmp_eq_u64_e64 s4, s[60:61], v[38:39]
	v_lshrrev_b64 v[38:39], s65, v[9:10]
	v_and_b32_e32 v8, s62, v13
	v_and_b32_e32 v9, s63, v14
	;; [unrolled: 1-line block ×3, first 2 shown]
	s_waitcnt vmcnt(0)
	v_xor_b32_e32 v12, 0x80000000, v12
	v_and_b32_e32 v15, 3, v7
	v_lshrrev_b64 v[13:14], s65, v[13:14]
	v_and_b32_e32 v32, 3, v38
	v_cmp_eq_u64_e64 s10, s[60:61], v[8:9]
	v_lshrrev_b64 v[9:10], s65, v[11:12]
	v_cmp_eq_u64_e64 s5, s[60:61], v[40:41]
	v_cmp_eq_u64_e64 s6, 0, v[15:16]
	;; [unrolled: 1-line block ×3, first 2 shown]
	v_and_b32_e32 v34, 3, v13
	v_and_b32_e32 v7, s62, v11
	;; [unrolled: 1-line block ×4, first 2 shown]
	s_and_b32 s6, s4, s6
	v_cmp_eq_u64_e64 s15, 0, v[34:35]
	s_and_b32 s11, s5, s11
	v_cndmask_b32_e64 v10, 0, 1, s6
	v_cmp_eq_u64_e64 s6, s[60:61], v[7:8]
	v_cndmask_b32_e64 v7, 0, 1, s11
	v_cmp_eq_u64_e64 s11, 0, v[36:37]
	s_and_b32 s15, s10, s15
	v_cmp_ne_u32_e64 s19, 0, v10
	v_cmp_eq_u64_e64 s7, 1, v[15:16]
	v_cmp_ne_u32_e64 s23, 0, v7
	v_cndmask_b32_e64 v7, 0, 1, s15
	s_and_b32 s11, s6, s11
	s_bcnt1_i32_b32 s15, s19
	v_cndmask_b32_e64 v8, 0, 1, s11
	s_bcnt1_i32_b32 s19, s23
	v_cmp_ne_u32_e64 s11, 0, v7
	s_add_i32 s19, s19, s15
	v_cmp_eq_u64_e64 s12, 1, v[32:33]
	v_cmp_ne_u32_e64 s15, 0, v8
	v_cmp_eq_u64_e64 s16, 1, v[34:35]
	s_bcnt1_i32_b32 s11, s11
	v_cmp_eq_u64_e64 s20, 1, v[36:37]
	s_add_i32 s11, s19, s11
	s_bcnt1_i32_b32 s15, s15
	v_cmp_eq_u64_e64 s8, 2, v[15:16]
	s_add_i32 s11, s11, s15
	v_cmp_eq_u64_e64 s13, 2, v[32:33]
	s_add_u32 s72, s72, s11
	s_addc_u32 s73, s73, 0
	s_and_b32 s7, s4, s7
	v_cmp_eq_u64_e64 s17, 2, v[34:35]
	v_cndmask_b32_e64 v7, 0, 1, s7
	s_and_b32 s7, s5, s12
	v_cmp_eq_u64_e64 s21, 2, v[36:37]
	v_cndmask_b32_e64 v8, 0, 1, s7
	;; [unrolled: 3-line block ×3, first 2 shown]
	s_and_b32 s7, s6, s20
	v_cmp_ne_u32_e64 s11, 0, v8
	v_cndmask_b32_e64 v10, 0, 1, s7
	v_cmp_ne_u32_e64 s7, 0, v7
	v_cmp_ne_u32_e64 s12, 0, v9
	v_cmp_eq_u64_e64 s22, 3, v[36:37]
	s_bcnt1_i32_b32 s11, s11
	v_cmp_ne_u32_e64 s15, 0, v10
	s_bcnt1_i32_b32 s7, s7
	s_bcnt1_i32_b32 s12, s12
	s_add_i32 s7, s11, s7
	s_delay_alu instid0(VALU_DEP_1) | instskip(SKIP_1) | instid1(SALU_CYCLE_1)
	s_bcnt1_i32_b32 s15, s15
	s_add_i32 s7, s7, s12
	s_add_i32 s7, s7, s15
	s_delay_alu instid0(SALU_CYCLE_1) | instskip(SKIP_2) | instid1(SALU_CYCLE_1)
	s_add_u32 s70, s70, s7
	s_addc_u32 s71, s71, 0
	s_and_b32 s7, s4, s8
	v_cndmask_b32_e64 v7, 0, 1, s7
	s_and_b32 s7, s5, s13
	s_delay_alu instid0(SALU_CYCLE_1) | instskip(SKIP_1) | instid1(SALU_CYCLE_1)
	v_cndmask_b32_e64 v8, 0, 1, s7
	s_and_b32 s7, s10, s17
	v_cndmask_b32_e64 v9, 0, 1, s7
	s_and_b32 s7, s6, s21
	s_delay_alu instid0(VALU_DEP_2) | instskip(SKIP_3) | instid1(VALU_DEP_4)
	v_cmp_ne_u32_e64 s8, 0, v8
	v_cndmask_b32_e64 v10, 0, 1, s7
	v_cmp_ne_u32_e64 s7, 0, v7
	v_cmp_ne_u32_e64 s11, 0, v9
	s_bcnt1_i32_b32 s8, s8
	s_delay_alu instid0(VALU_DEP_3) | instskip(NEXT) | instid1(VALU_DEP_3)
	v_cmp_ne_u32_e64 s12, 0, v10
	s_bcnt1_i32_b32 s7, s7
	s_delay_alu instid0(VALU_DEP_2) | instskip(SKIP_1) | instid1(VALU_DEP_1)
	s_bcnt1_i32_b32 s11, s11
	s_add_i32 s7, s8, s7
	s_bcnt1_i32_b32 s12, s12
	s_add_i32 s7, s7, s11
	s_delay_alu instid0(SALU_CYCLE_1) | instskip(NEXT) | instid1(SALU_CYCLE_1)
	s_add_i32 s7, s7, s12
	s_add_u32 s68, s68, s7
	s_addc_u32 s69, s69, 0
	s_delay_alu instid0(SALU_CYCLE_1) | instskip(SKIP_2) | instid1(VALU_DEP_2)
	v_dual_mov_b32 v11, s68 :: v_dual_mov_b32 v12, s69
	v_cmp_eq_u64_e64 s9, 3, v[15:16]
	v_cmp_eq_u64_e64 s18, 3, v[34:35]
	s_and_b32 s4, s4, s9
	s_delay_alu instid0(SALU_CYCLE_1) | instskip(SKIP_1) | instid1(SALU_CYCLE_1)
	v_cndmask_b32_e64 v7, 0, 1, s4
	s_and_b32 s4, s5, s14
	v_cndmask_b32_e64 v8, 0, 1, s4
	s_delay_alu instid0(VALU_DEP_3) | instskip(NEXT) | instid1(SALU_CYCLE_1)
	s_and_b32 s4, s10, s18
	v_cndmask_b32_e64 v9, 0, 1, s4
	s_and_b32 s4, s6, s22
	s_delay_alu instid0(VALU_DEP_2)
	v_cmp_ne_u32_e64 s5, 0, v8
	v_cndmask_b32_e64 v10, 0, 1, s4
	v_cmp_ne_u32_e64 s4, 0, v7
	v_cmp_ne_u32_e64 s6, 0, v9
	v_mov_b32_e32 v7, s72
	s_bcnt1_i32_b32 s5, s5
	v_cmp_ne_u32_e64 s7, 0, v10
	s_bcnt1_i32_b32 s4, s4
	s_bcnt1_i32_b32 s6, s6
	s_add_i32 s4, s5, s4
	v_mov_b32_e32 v9, s70
	s_bcnt1_i32_b32 s5, s7
	s_add_i32 s4, s4, s6
	v_mov_b32_e32 v8, s73
	s_add_i32 s4, s4, s5
	v_mov_b32_e32 v10, s71
	s_add_u32 s66, s66, s4
	s_addc_u32 s67, s67, 0
	s_delay_alu instid0(SALU_CYCLE_1) | instskip(SKIP_1) | instid1(SALU_CYCLE_1)
	v_dual_mov_b32 v13, s66 :: v_dual_mov_b32 v14, s67
	s_or_b32 s93, vcc_lo, s93
	s_and_not1_b32 exec_lo, exec_lo, s93
	s_cbranch_execnz .LBB101_54
; %bb.55:                               ;   in Loop: Header=BB101_15 Depth=1
	s_or_b32 exec_lo, exec_lo, s93
.LBB101_56:                             ;   in Loop: Header=BB101_15 Depth=1
	s_delay_alu instid0(SALU_CYCLE_1) | instskip(SKIP_4) | instid1(VALU_DEP_3)
	s_or_b32 exec_lo, exec_lo, s56
	v_add_co_u32 v3, vcc_lo, v3, v0
	v_add_co_ci_u32_e32 v4, vcc_lo, 0, v4, vcc_lo
	v_dual_mov_b32 v23, 0 :: v_dual_and_b32 v32, 0xffff, v23
	v_mov_b32_e32 v24, 0
	v_cmp_gt_u64_e32 vcc_lo, s[24:25], v[3:4]
	s_and_saveexec_b32 s5, vcc_lo
	s_cbranch_execz .LBB101_58
; %bb.57:                               ;   in Loop: Header=BB101_15 Depth=1
	v_mul_lo_u32 v15, v4, s42
	v_mul_lo_u32 v23, v3, s43
	v_mad_u64_u32 v[21:22], null, v3, s42, 0
	s_delay_alu instid0(VALU_DEP_1) | instskip(NEXT) | instid1(VALU_DEP_1)
	v_add3_u32 v22, v22, v23, v15
	v_lshlrev_b64 v[21:22], 3, v[21:22]
	s_delay_alu instid0(VALU_DEP_1) | instskip(NEXT) | instid1(VALU_DEP_1)
	v_add_co_u32 v21, s4, s33, v21
	v_add_co_ci_u32_e64 v22, s4, s35, v22, s4
	global_load_b64 v[23:24], v[21:22], off
.LBB101_58:                             ;   in Loop: Header=BB101_15 Depth=1
	s_or_b32 exec_lo, exec_lo, s5
	s_and_saveexec_b32 s8, vcc_lo
	s_cbranch_execz .LBB101_65
; %bb.59:                               ;   in Loop: Header=BB101_15 Depth=1
	s_and_b32 s9, s87, 0xfe
	s_mov_b32 s10, 0
	s_branch .LBB101_61
.LBB101_60:                             ;   in Loop: Header=BB101_61 Depth=2
	s_or_b32 exec_lo, exec_lo, s5
	s_waitcnt vmcnt(0)
	v_xor_b32_e32 v24, 0x80000000, v24
	s_and_b32 s6, exec_lo, vcc_lo
	s_delay_alu instid0(SALU_CYCLE_1) | instskip(NEXT) | instid1(VALU_DEP_1)
	s_or_b32 s10, s6, s10
	v_lshrrev_b64 v[33:34], s9, v[23:24]
	v_and_b32_e32 v23, s62, v23
	v_and_b32_e32 v24, s63, v24
	s_delay_alu instid0(VALU_DEP_3) | instskip(NEXT) | instid1(VALU_DEP_2)
	v_and_b32_e32 v15, 3, v33
	v_cmp_eq_u64_e64 s4, s[60:61], v[23:24]
	s_delay_alu instid0(VALU_DEP_2) | instskip(SKIP_3) | instid1(VALU_DEP_4)
	v_cmp_eq_u64_e64 s5, 0, v[15:16]
	v_cmp_eq_u64_e32 vcc_lo, 1, v[15:16]
	v_cmp_eq_u64_e64 s6, 2, v[15:16]
	v_cmp_eq_u64_e64 s7, 3, v[15:16]
	s_and_b32 s5, s4, s5
	s_delay_alu instid0(SALU_CYCLE_1) | instskip(SKIP_1) | instid1(SALU_CYCLE_1)
	v_cndmask_b32_e64 v15, 0, 1, s5
	s_and_b32 s5, s4, vcc_lo
	v_cndmask_b32_e64 v23, 0, 1, s5
	s_and_b32 s5, s4, s6
	s_delay_alu instid0(VALU_DEP_2) | instskip(SKIP_2) | instid1(SALU_CYCLE_1)
	v_cmp_ne_u32_e32 vcc_lo, 0, v15
	v_cndmask_b32_e64 v24, 0, 1, s5
	s_and_b32 s4, s4, s7
	v_cndmask_b32_e64 v33, 0, 1, s4
	v_cmp_ne_u32_e64 s4, 0, v23
	s_bcnt1_i32_b32 s7, vcc_lo
	v_cmp_ne_u32_e64 s5, 0, v24
	v_mov_b32_e32 v24, v22
	v_add_co_u32 v7, vcc_lo, v7, s7
	s_bcnt1_i32_b32 s4, s4
	v_cmp_ne_u32_e64 s6, 0, v33
	v_add_co_ci_u32_e32 v8, vcc_lo, 0, v8, vcc_lo
	v_add_co_u32 v9, vcc_lo, v9, s4
	s_bcnt1_i32_b32 s5, s5
	v_add_co_ci_u32_e32 v10, vcc_lo, 0, v10, vcc_lo
	v_add_co_u32 v11, vcc_lo, v11, s5
	s_bcnt1_i32_b32 s4, s6
	v_add_co_ci_u32_e32 v12, vcc_lo, 0, v12, vcc_lo
	v_add_co_u32 v13, vcc_lo, v13, s4
	v_add_co_ci_u32_e32 v14, vcc_lo, 0, v14, vcc_lo
	v_mov_b32_e32 v23, v21
	s_and_not1_b32 exec_lo, exec_lo, s10
	s_cbranch_execz .LBB101_64
.LBB101_61:                             ;   Parent Loop BB101_15 Depth=1
                                        ; =>  This Inner Loop Header: Depth=2
	v_add_co_u32 v3, vcc_lo, v3, v32
	v_add_co_ci_u32_e32 v4, vcc_lo, 0, v4, vcc_lo
	v_mov_b32_e32 v21, 0
	v_mov_b32_e32 v22, 0
	s_mov_b32 s5, exec_lo
	s_delay_alu instid0(VALU_DEP_3)
	v_cmp_le_u64_e32 vcc_lo, s[24:25], v[3:4]
	v_cmpx_gt_u64_e64 s[24:25], v[3:4]
	s_cbranch_execz .LBB101_60
; %bb.62:                               ;   in Loop: Header=BB101_61 Depth=2
	v_mul_lo_u32 v15, v4, s42
	v_mul_lo_u32 v33, v3, s43
	v_mad_u64_u32 v[21:22], null, v3, s42, 0
	s_delay_alu instid0(VALU_DEP_1) | instskip(NEXT) | instid1(VALU_DEP_1)
	v_add3_u32 v22, v22, v33, v15
	v_lshlrev_b64 v[21:22], 3, v[21:22]
	s_delay_alu instid0(VALU_DEP_1) | instskip(NEXT) | instid1(VALU_DEP_1)
	v_add_co_u32 v21, s4, s33, v21
	v_add_co_ci_u32_e64 v22, s4, s35, v22, s4
	global_load_b64 v[21:22], v[21:22], off
	s_branch .LBB101_60
.LBB101_63:                             ;   in Loop: Header=BB101_15 Depth=1
                                        ; implicit-def: $vgpr13_vgpr14
                                        ; implicit-def: $vgpr9_vgpr10
	s_cbranch_execnz .LBB101_66
	s_branch .LBB101_75
.LBB101_64:                             ;   in Loop: Header=BB101_15 Depth=1
	s_or_b32 exec_lo, exec_lo, s10
.LBB101_65:                             ;   in Loop: Header=BB101_15 Depth=1
	s_delay_alu instid0(SALU_CYCLE_1)
	s_or_b32 exec_lo, exec_lo, s8
	s_branch .LBB101_75
.LBB101_66:                             ;   in Loop: Header=BB101_15 Depth=1
	global_load_u16 v3, v16, s[58:59]
	s_mov_b64 s[66:67], 0
	s_mov_b32 s65, exec_lo
	v_mov_b32_e32 v7, 0
	s_waitcnt vmcnt(0)
	v_dual_mov_b32 v8, 0 :: v_dual_and_b32 v21, 0xffff, v3
	v_readfirstlane_b32 s4, v3
	s_delay_alu instid0(VALU_DEP_2) | instskip(SKIP_1) | instid1(VALU_DEP_3)
	v_dual_mov_b32 v10, v8 :: v_dual_mov_b32 v9, v7
	v_dual_mov_b32 v12, v8 :: v_dual_mov_b32 v11, v7
	s_and_b32 s4, 0xffff, s4
	v_dual_mov_b32 v14, v8 :: v_dual_mov_b32 v13, v7
	s_lshl_b32 s56, s4, 2
	s_delay_alu instid0(SALU_CYCLE_1) | instskip(SKIP_1) | instid1(VALU_DEP_1)
	v_cvt_f32_u32_e32 v4, s56
	s_sub_i32 s5, 0, s56
	v_rcp_iflag_f32_e32 v4, v4
	s_waitcnt_depctr 0xfff
	v_mul_f32_e32 v4, 0x4f7ffffe, v4
	s_delay_alu instid0(VALU_DEP_1) | instskip(NEXT) | instid1(VALU_DEP_1)
	v_cvt_u32_f32_e32 v4, v4
	v_readfirstlane_b32 s4, v4
	s_delay_alu instid0(VALU_DEP_1) | instskip(NEXT) | instid1(SALU_CYCLE_1)
	s_mul_i32 s5, s5, s4
	s_mul_hi_u32 s5, s4, s5
	s_delay_alu instid0(SALU_CYCLE_1) | instskip(NEXT) | instid1(SALU_CYCLE_1)
	s_add_i32 s4, s4, s5
	s_mul_hi_u32 s4, s64, s4
	s_delay_alu instid0(SALU_CYCLE_1) | instskip(NEXT) | instid1(SALU_CYCLE_1)
	s_mul_i32 s4, s4, s56
	s_sub_i32 s4, s64, s4
	s_delay_alu instid0(SALU_CYCLE_1) | instskip(SKIP_2) | instid1(SALU_CYCLE_1)
	s_sub_i32 s5, s4, s56
	s_cmp_ge_u32 s4, s56
	s_cselect_b32 s4, s5, s4
	s_sub_i32 s5, s4, s56
	s_cmp_ge_u32 s4, s56
	s_cselect_b32 s4, s5, s4
	s_delay_alu instid0(SALU_CYCLE_1) | instskip(NEXT) | instid1(SALU_CYCLE_1)
	s_sub_i32 s54, s64, s4
	v_cmpx_gt_u32_e64 s54, v19
	s_cbranch_execz .LBB101_70
; %bb.67:                               ;   in Loop: Header=BB101_15 Depth=1
	v_dual_mov_b32 v23, v30 :: v_dual_lshlrev_b32 v22, 5, v21
	v_dual_mov_b32 v3, v19 :: v_dual_mov_b32 v4, v20
	s_and_b32 s93, s87, 0xfe
	s_mov_b32 s94, 0
	s_mov_b64 s[68:69], 0
	s_mov_b64 s[70:71], 0
	;; [unrolled: 1-line block ×3, first 2 shown]
.LBB101_68:                             ;   Parent Loop BB101_15 Depth=1
                                        ; =>  This Inner Loop Header: Depth=2
	ds_load_b128 v[7:10], v23
	ds_load_b128 v[11:14], v23 offset:16
	v_mov_b32_e32 v33, v16
	v_mov_b32_e32 v35, v16
	;; [unrolled: 1-line block ×3, first 2 shown]
	v_add_co_u32 v3, vcc_lo, v3, s56
	v_add_co_ci_u32_e32 v4, vcc_lo, 0, v4, vcc_lo
	s_delay_alu instid0(VALU_DEP_1)
	v_cmp_le_u64_e32 vcc_lo, s[54:55], v[3:4]
	s_waitcnt lgkmcnt(1)
	v_xor_b32_e32 v8, 0x80000000, v8
	s_waitcnt lgkmcnt(0)
	v_and_b32_e32 v42, s62, v11
	v_xor_b32_e32 v10, 0x80000000, v10
	v_xor_b32_e32 v12, 0x80000000, v12
	v_and_b32_e32 v38, s62, v7
	v_and_b32_e32 v39, s63, v8
	v_lshrrev_b64 v[7:8], s93, v[7:8]
	v_xor_b32_e32 v14, 0x80000000, v14
	v_and_b32_e32 v40, s62, v9
	v_lshrrev_b64 v[8:9], s93, v[9:10]
	v_and_b32_e32 v41, s63, v10
	v_lshrrev_b64 v[9:10], s93, v[11:12]
	v_lshrrev_b64 v[10:11], s93, v[13:14]
	v_and_b32_e32 v15, 3, v7
	v_and_b32_e32 v43, s63, v12
	;; [unrolled: 1-line block ×3, first 2 shown]
	v_cmp_eq_u64_e64 s4, s[60:61], v[38:39]
	v_and_b32_e32 v34, 3, v9
	v_cmp_eq_u64_e64 s8, 0, v[15:16]
	v_and_b32_e32 v44, s62, v13
	v_and_b32_e32 v45, s63, v14
	;; [unrolled: 1-line block ×3, first 2 shown]
	v_cmp_eq_u64_e64 s5, s[60:61], v[40:41]
	v_cmp_eq_u64_e64 s9, 0, v[32:33]
	;; [unrolled: 1-line block ×6, first 2 shown]
	s_and_b32 s8, s4, s8
	v_cmp_eq_u64_e64 s12, 1, v[15:16]
	v_cndmask_b32_e64 v7, 0, 1, s8
	s_and_b32 s8, s5, s9
	v_cmp_eq_u64_e64 s13, 1, v[32:33]
	v_cndmask_b32_e64 v8, 0, 1, s8
	;; [unrolled: 3-line block ×3, first 2 shown]
	s_and_b32 s8, s7, s11
	v_cmp_ne_u32_e64 s9, 0, v8
	v_cndmask_b32_e64 v10, 0, 1, s8
	v_cmp_ne_u32_e64 s8, 0, v7
	v_cmp_ne_u32_e64 s10, 0, v9
	v_cmp_eq_u64_e64 s15, 1, v[36:37]
	s_bcnt1_i32_b32 s9, s9
	v_cmp_ne_u32_e64 s11, 0, v10
	s_bcnt1_i32_b32 s8, s8
	s_bcnt1_i32_b32 s10, s10
	s_add_i32 s8, s9, s8
	v_cmp_eq_u64_e64 s16, 2, v[15:16]
	s_bcnt1_i32_b32 s11, s11
	s_add_i32 s8, s8, s10
	v_cmp_eq_u64_e64 s17, 2, v[32:33]
	s_add_i32 s8, s8, s11
	v_cmp_eq_u64_e64 s18, 2, v[34:35]
	s_add_u32 s72, s72, s8
	s_addc_u32 s73, s73, 0
	s_and_b32 s8, s4, s12
	v_cmp_eq_u64_e64 s19, 2, v[36:37]
	v_cndmask_b32_e64 v7, 0, 1, s8
	s_and_b32 s8, s5, s13
	v_cmp_eq_u64_e64 s20, 3, v[15:16]
	v_cndmask_b32_e64 v8, 0, 1, s8
	;; [unrolled: 3-line block ×3, first 2 shown]
	s_and_b32 s8, s7, s15
	v_cmp_ne_u32_e64 s9, 0, v8
	v_cndmask_b32_e64 v10, 0, 1, s8
	v_cmp_ne_u32_e64 s8, 0, v7
	v_cmp_ne_u32_e64 s10, 0, v9
	v_cmp_eq_u64_e64 s23, 3, v[36:37]
	s_bcnt1_i32_b32 s9, s9
	v_cmp_ne_u32_e64 s11, 0, v10
	s_bcnt1_i32_b32 s8, s8
	s_bcnt1_i32_b32 s10, s10
	s_add_i32 s8, s9, s8
	v_add_nc_u32_e32 v23, v23, v22
	s_bcnt1_i32_b32 s11, s11
	s_add_i32 s8, s8, s10
	s_delay_alu instid0(SALU_CYCLE_1) | instskip(NEXT) | instid1(SALU_CYCLE_1)
	s_add_i32 s8, s8, s11
	s_add_u32 s70, s70, s8
	s_addc_u32 s71, s71, 0
	s_and_b32 s8, s4, s16
	s_delay_alu instid0(SALU_CYCLE_1) | instskip(SKIP_1) | instid1(SALU_CYCLE_1)
	v_cndmask_b32_e64 v7, 0, 1, s8
	s_and_b32 s8, s5, s17
	v_cndmask_b32_e64 v8, 0, 1, s8
	s_and_b32 s8, s6, s18
	s_delay_alu instid0(SALU_CYCLE_1) | instskip(SKIP_1) | instid1(VALU_DEP_2)
	v_cndmask_b32_e64 v9, 0, 1, s8
	s_and_b32 s8, s7, s19
	v_cmp_ne_u32_e64 s9, 0, v8
	v_cndmask_b32_e64 v10, 0, 1, s8
	v_cmp_ne_u32_e64 s8, 0, v7
	v_cmp_ne_u32_e64 s10, 0, v9
	s_delay_alu instid0(VALU_DEP_4) | instskip(NEXT) | instid1(VALU_DEP_3)
	s_bcnt1_i32_b32 s9, s9
	v_cmp_ne_u32_e64 s11, 0, v10
	s_delay_alu instid0(VALU_DEP_3) | instskip(NEXT) | instid1(VALU_DEP_2)
	s_bcnt1_i32_b32 s8, s8
	s_bcnt1_i32_b32 s10, s10
	s_add_i32 s8, s9, s8
	s_delay_alu instid0(VALU_DEP_1) | instskip(SKIP_1) | instid1(SALU_CYCLE_1)
	s_bcnt1_i32_b32 s11, s11
	s_add_i32 s8, s8, s10
	s_add_i32 s8, s8, s11
	s_delay_alu instid0(SALU_CYCLE_1)
	s_add_u32 s68, s68, s8
	s_addc_u32 s69, s69, 0
	v_mov_b32_e32 v11, s68
	v_cmp_eq_u64_e64 s22, 3, v[34:35]
	s_and_b32 s4, s4, s20
	v_mov_b32_e32 v12, s69
	v_cndmask_b32_e64 v7, 0, 1, s4
	s_and_b32 s4, s5, s21
	s_delay_alu instid0(SALU_CYCLE_1) | instskip(SKIP_1) | instid1(SALU_CYCLE_1)
	v_cndmask_b32_e64 v8, 0, 1, s4
	s_and_b32 s4, s6, s22
	v_cndmask_b32_e64 v9, 0, 1, s4
	s_and_b32 s4, s7, s23
	s_delay_alu instid0(VALU_DEP_2) | instskip(SKIP_4) | instid1(VALU_DEP_4)
	v_cmp_ne_u32_e64 s5, 0, v8
	v_cndmask_b32_e64 v10, 0, 1, s4
	v_cmp_ne_u32_e64 s4, 0, v7
	v_cmp_ne_u32_e64 s6, 0, v9
	v_dual_mov_b32 v7, s72 :: v_dual_mov_b32 v8, s73
	v_cmp_ne_u32_e64 s7, 0, v10
	s_delay_alu instid0(VALU_DEP_4)
	s_bcnt1_i32_b32 s4, s4
	s_bcnt1_i32_b32 s5, s5
	;; [unrolled: 1-line block ×3, first 2 shown]
	s_add_i32 s4, s5, s4
	s_bcnt1_i32_b32 s5, s7
	s_add_i32 s4, s4, s6
	v_mov_b32_e32 v9, s70
	s_add_i32 s4, s4, s5
	v_mov_b32_e32 v10, s71
	s_add_u32 s66, s66, s4
	s_addc_u32 s67, s67, 0
	s_delay_alu instid0(SALU_CYCLE_1) | instskip(SKIP_1) | instid1(SALU_CYCLE_1)
	v_dual_mov_b32 v13, s66 :: v_dual_mov_b32 v14, s67
	s_or_b32 s94, vcc_lo, s94
	s_and_not1_b32 exec_lo, exec_lo, s94
	s_cbranch_execnz .LBB101_68
; %bb.69:                               ;   in Loop: Header=BB101_15 Depth=1
	s_or_b32 exec_lo, exec_lo, s94
.LBB101_70:                             ;   in Loop: Header=BB101_15 Depth=1
	s_delay_alu instid0(SALU_CYCLE_1) | instskip(SKIP_2) | instid1(VALU_DEP_1)
	s_or_b32 exec_lo, exec_lo, s65
	v_add_nc_u32_e32 v15, s54, v0
	s_mov_b32 s9, exec_lo
	v_cmpx_gt_u32_e64 s64, v15
	s_cbranch_execz .LBB101_74
; %bb.71:                               ;   in Loop: Header=BB101_15 Depth=1
	v_dual_mov_b32 v3, v15 :: v_dual_lshlrev_b32 v22, 3, v15
	v_dual_mov_b32 v4, v16 :: v_dual_lshlrev_b32 v23, 3, v21
	s_mov_b32 s11, 0
	s_and_b32 s10, s64, 0x7fffffff
	s_and_b32 s13, s87, 0xfe
	s_mov_b32 s12, s11
.LBB101_72:                             ;   Parent Loop BB101_15 Depth=1
                                        ; =>  This Inner Loop Header: Depth=2
	ds_load_b64 v[32:33], v22
	v_add_co_u32 v3, vcc_lo, v3, v21
	v_add_co_ci_u32_e32 v4, vcc_lo, 0, v4, vcc_lo
	v_add_nc_u32_e32 v22, v22, v23
	s_delay_alu instid0(VALU_DEP_2) | instskip(SKIP_3) | instid1(VALU_DEP_2)
	v_cmp_le_u64_e32 vcc_lo, s[10:11], v[3:4]
	s_waitcnt lgkmcnt(0)
	v_xor_b32_e32 v33, 0x80000000, v33
	v_and_b32_e32 v34, s62, v32
	v_and_b32_e32 v35, s63, v33
	v_lshrrev_b64 v[32:33], s13, v[32:33]
	s_delay_alu instid0(VALU_DEP_2) | instskip(NEXT) | instid1(VALU_DEP_2)
	v_cmp_eq_u64_e64 s4, s[60:61], v[34:35]
	v_and_b32_e32 v15, 3, v32
	s_delay_alu instid0(VALU_DEP_1) | instskip(SKIP_3) | instid1(VALU_DEP_4)
	v_cmp_eq_u64_e64 s5, 0, v[15:16]
	v_cmp_eq_u64_e64 s6, 1, v[15:16]
	v_cmp_eq_u64_e64 s7, 2, v[15:16]
	v_cmp_eq_u64_e64 s8, 3, v[15:16]
	s_and_b32 s5, s4, s5
	s_delay_alu instid0(SALU_CYCLE_1) | instskip(NEXT) | instid1(VALU_DEP_4)
	v_cndmask_b32_e64 v15, 0, 1, s5
	s_and_b32 s5, s4, s6
	s_delay_alu instid0(SALU_CYCLE_1)
	v_cndmask_b32_e64 v24, 0, 1, s5
	s_and_b32 s5, s4, s7
	s_and_b32 s4, s4, s8
	v_cndmask_b32_e64 v32, 0, 1, s5
	v_cndmask_b32_e64 v33, 0, 1, s4
	v_cmp_ne_u32_e64 s4, 0, v15
	v_cmp_ne_u32_e64 s5, 0, v24
	s_delay_alu instid0(VALU_DEP_4) | instskip(NEXT) | instid1(VALU_DEP_4)
	v_cmp_ne_u32_e64 s6, 0, v32
	v_cmp_ne_u32_e64 s7, 0, v33
	s_delay_alu instid0(VALU_DEP_4) | instskip(NEXT) | instid1(VALU_DEP_3)
	s_bcnt1_i32_b32 s4, s4
	s_bcnt1_i32_b32 s5, s5
	v_add_co_u32 v7, s4, v7, s4
	s_delay_alu instid0(VALU_DEP_1)
	v_add_co_ci_u32_e64 v8, s4, 0, v8, s4
	v_add_co_u32 v9, s4, v9, s5
	s_bcnt1_i32_b32 s6, s6
	v_add_co_ci_u32_e64 v10, s4, 0, v10, s4
	v_add_co_u32 v11, s4, v11, s6
	s_bcnt1_i32_b32 s7, s7
	v_add_co_ci_u32_e64 v12, s4, 0, v12, s4
	v_add_co_u32 v13, s4, v13, s7
	s_delay_alu instid0(VALU_DEP_1) | instskip(SKIP_1) | instid1(SALU_CYCLE_1)
	v_add_co_ci_u32_e64 v14, s4, 0, v14, s4
	s_or_b32 s12, vcc_lo, s12
	s_and_not1_b32 exec_lo, exec_lo, s12
	s_cbranch_execnz .LBB101_72
; %bb.73:                               ;   in Loop: Header=BB101_15 Depth=1
	s_or_b32 exec_lo, exec_lo, s12
.LBB101_74:                             ;   in Loop: Header=BB101_15 Depth=1
	s_delay_alu instid0(SALU_CYCLE_1)
	s_or_b32 exec_lo, exec_lo, s9
.LBB101_75:                             ;   in Loop: Header=BB101_15 Depth=1
	s_lshl_b32 s4, s91, 7
	s_and_saveexec_b32 s5, s1
	s_cbranch_execz .LBB101_77
; %bb.76:                               ;   in Loop: Header=BB101_15 Depth=1
	v_or_b32_e32 v3, s4, v28
	s_delay_alu instid0(VALU_DEP_1)
	v_lshlrev_b32_e32 v3, 3, v3
	ds_store_b128 v3, v[7:10] offset:3072
	ds_store_b128 v3, v[11:14] offset:3088
.LBB101_77:                             ;   in Loop: Header=BB101_15 Depth=1
	s_or_b32 exec_lo, exec_lo, s5
	s_waitcnt vmcnt(0) lgkmcnt(0)
	s_barrier
	buffer_gl0_inv
	s_and_saveexec_b32 s5, s47
	s_cbranch_execz .LBB101_88
; %bb.78:                               ;   in Loop: Header=BB101_15 Depth=1
	v_mov_b32_e32 v3, 0
	v_mov_b32_e32 v4, 0
	s_and_not1_b32 vcc_lo, exec_lo, s81
	s_cbranch_vccnz .LBB101_87
; %bb.79:                               ;   in Loop: Header=BB101_15 Depth=1
	v_mov_b32_e32 v3, 0
	v_mov_b32_e32 v4, 0
	s_and_not1_b32 vcc_lo, exec_lo, s79
	s_cbranch_vccnz .LBB101_84
; %bb.80:                               ;   in Loop: Header=BB101_15 Depth=1
	v_lshl_add_u32 v7, s91, 10, v31
	s_mov_b32 s6, 0
	s_set_inst_prefetch_distance 0x1
	.p2align	6
.LBB101_81:                             ;   Parent Loop BB101_15 Depth=1
                                        ; =>  This Inner Loop Header: Depth=2
	ds_load_2addr_b64 v[8:11], v7 offset1:4
	ds_load_2addr_b64 v[12:15], v7 offset0:8 offset1:12
	ds_load_2addr_b64 v[21:24], v7 offset0:16 offset1:20
	s_add_i32 s6, s6, 8
	s_delay_alu instid0(SALU_CYCLE_1) | instskip(SKIP_3) | instid1(VALU_DEP_2)
	s_cmp_eq_u32 s80, s6
	s_waitcnt lgkmcnt(2)
	v_add_co_u32 v3, vcc_lo, v8, v3
	v_add_co_ci_u32_e32 v4, vcc_lo, v9, v4, vcc_lo
	v_add_co_u32 v3, vcc_lo, v10, v3
	s_delay_alu instid0(VALU_DEP_2)
	v_add_co_ci_u32_e32 v4, vcc_lo, v11, v4, vcc_lo
	ds_load_2addr_b64 v[8:11], v7 offset0:24 offset1:28
	s_waitcnt lgkmcnt(2)
	v_add_co_u32 v3, vcc_lo, v12, v3
	v_add_co_ci_u32_e32 v4, vcc_lo, v13, v4, vcc_lo
	v_add_nc_u32_e32 v7, 0x100, v7
	s_delay_alu instid0(VALU_DEP_3) | instskip(NEXT) | instid1(VALU_DEP_3)
	v_add_co_u32 v3, vcc_lo, v14, v3
	v_add_co_ci_u32_e32 v4, vcc_lo, v15, v4, vcc_lo
	s_waitcnt lgkmcnt(1)
	s_delay_alu instid0(VALU_DEP_2) | instskip(NEXT) | instid1(VALU_DEP_2)
	v_add_co_u32 v3, vcc_lo, v21, v3
	v_add_co_ci_u32_e32 v4, vcc_lo, v22, v4, vcc_lo
	s_delay_alu instid0(VALU_DEP_2) | instskip(NEXT) | instid1(VALU_DEP_2)
	v_add_co_u32 v3, vcc_lo, v23, v3
	v_add_co_ci_u32_e32 v4, vcc_lo, v24, v4, vcc_lo
	s_waitcnt lgkmcnt(0)
	s_delay_alu instid0(VALU_DEP_2) | instskip(NEXT) | instid1(VALU_DEP_2)
	v_add_co_u32 v3, vcc_lo, v8, v3
	v_add_co_ci_u32_e32 v4, vcc_lo, v9, v4, vcc_lo
	s_delay_alu instid0(VALU_DEP_2) | instskip(NEXT) | instid1(VALU_DEP_2)
	v_add_co_u32 v3, vcc_lo, v10, v3
	v_add_co_ci_u32_e32 v4, vcc_lo, v11, v4, vcc_lo
	s_cbranch_scc0 .LBB101_81
; %bb.82:                               ;   in Loop: Header=BB101_15 Depth=1
	s_set_inst_prefetch_distance 0x2
	s_mov_b32 s6, s80
	s_and_not1_b32 vcc_lo, exec_lo, s82
	s_cbranch_vccz .LBB101_85
	s_branch .LBB101_87
.LBB101_83:                             ;   in Loop: Header=BB101_15 Depth=1
                                        ; implicit-def: $vgpr3_vgpr4
	s_branch .LBB101_51
.LBB101_84:                             ;   in Loop: Header=BB101_15 Depth=1
	s_mov_b32 s6, 0
	s_and_not1_b32 vcc_lo, exec_lo, s82
	s_cbranch_vccnz .LBB101_87
.LBB101_85:                             ;   in Loop: Header=BB101_15 Depth=1
	s_lshl_b32 s7, s91, 10
	s_lshl_b32 s6, s6, 5
	s_delay_alu instid0(SALU_CYCLE_1)
	v_add3_u32 v7, s7, s6, v31
	s_mov_b32 s6, s78
.LBB101_86:                             ;   Parent Loop BB101_15 Depth=1
                                        ; =>  This Inner Loop Header: Depth=2
	ds_load_b64 v[8:9], v7
	v_add_nc_u32_e32 v7, 32, v7
	s_add_i32 s6, s6, -1
	s_delay_alu instid0(SALU_CYCLE_1)
	s_cmp_lg_u32 s6, 0
	s_waitcnt lgkmcnt(0)
	v_add_co_u32 v3, vcc_lo, v8, v3
	v_add_co_ci_u32_e32 v4, vcc_lo, v9, v4, vcc_lo
	s_cbranch_scc1 .LBB101_86
.LBB101_87:                             ;   in Loop: Header=BB101_15 Depth=1
	v_add_lshl_u32 v7, s4, v25, 3
	ds_store_b64 v7, v[3:4] offset:3072
.LBB101_88:                             ;   in Loop: Header=BB101_15 Depth=1
	s_or_b32 exec_lo, exec_lo, s5
	s_lshl_b32 s4, s4, 3
	s_waitcnt lgkmcnt(0)
	v_mov_b32_e32 v3, s4
	s_barrier
	buffer_gl0_inv
	s_and_b32 s21, s87, 0xfe
	s_mov_b32 s22, -1
	ds_load_b128 v[7:10], v3 offset:3072
	ds_load_b128 v[11:14], v3 offset:3088
	s_lshl_b64 s[8:9], 3, s21
	s_delay_alu instid0(SALU_CYCLE_1)
	s_not_b64 s[12:13], s[8:9]
	s_waitcnt lgkmcnt(1)
	v_readfirstlane_b32 s17, v8
	v_readfirstlane_b32 s16, v7
	;; [unrolled: 1-line block ×4, first 2 shown]
	s_waitcnt lgkmcnt(0)
	v_readfirstlane_b32 s10, v11
	v_readfirstlane_b32 s11, v12
	s_cmp_eq_u64 s[16:17], 1
	v_readfirstlane_b32 s6, v13
	s_cselect_b32 s4, -1, 0
	s_cmp_eq_u64 s[52:53], 1
	v_readfirstlane_b32 s7, v14
	s_cselect_b32 s5, -1, 0
	s_delay_alu instid0(SALU_CYCLE_1) | instskip(NEXT) | instid1(SALU_CYCLE_1)
	s_and_b32 s23, s4, s5
	s_and_b32 vcc_lo, exec_lo, s23
	s_cbranch_vccz .LBB101_103
; %bb.89:                               ;   in Loop: Header=BB101_15 Depth=1
	ds_load_b64 v[3:4], v16 offset:5120
	s_waitcnt lgkmcnt(0)
	s_barrier
	buffer_gl0_inv
	v_readfirstlane_b32 s18, v3
	v_readfirstlane_b32 s19, v4
	s_and_saveexec_b32 s4, s3
	s_cbranch_execz .LBB101_91
; %bb.90:                               ;   in Loop: Header=BB101_15 Depth=1
	v_mov_b32_e32 v15, v16
	ds_store_b64 v27, v[15:16]
.LBB101_91:                             ;   in Loop: Header=BB101_15 Depth=1
	s_or_b32 exec_lo, exec_lo, s4
	s_and_b64 s[60:61], s[60:61], s[12:13]
	s_or_b64 s[62:63], s[62:63], s[8:9]
	s_cmp_eq_u64 s[18:19], 0
	s_waitcnt lgkmcnt(0)
	s_barrier
	buffer_gl0_inv
	s_cbranch_scc1 .LBB101_104
; %bb.92:                               ;   in Loop: Header=BB101_15 Depth=1
	s_add_u32 s20, s75, s18
	s_addc_u32 s5, s76, s19
	s_mov_b32 s4, s55
	s_delay_alu instid0(SALU_CYCLE_1)
	s_cmp_lg_u64 s[4:5], 0
	s_cbranch_scc0 .LBB101_149
; %bb.93:                               ;   in Loop: Header=BB101_15 Depth=1
	v_cvt_f32_u32_e32 v3, s41
	s_sub_u32 s56, 0, s41
	s_subb_u32 s64, 0, 0
	s_delay_alu instid0(VALU_DEP_1) | instskip(NEXT) | instid1(VALU_DEP_1)
	v_fmac_f32_e64 v3, 0, 0x4f800000
	v_rcp_f32_e32 v3, v3
	s_waitcnt_depctr 0xfff
	v_mul_f32_e32 v3, 0x5f7ffffc, v3
	s_delay_alu instid0(VALU_DEP_1) | instskip(NEXT) | instid1(VALU_DEP_1)
	v_mul_f32_e32 v4, 0x2f800000, v3
	v_trunc_f32_e32 v4, v4
	s_delay_alu instid0(VALU_DEP_1) | instskip(SKIP_1) | instid1(VALU_DEP_2)
	v_fmac_f32_e32 v3, 0xcf800000, v4
	v_cvt_u32_f32_e32 v4, v4
	v_cvt_u32_f32_e32 v3, v3
	s_delay_alu instid0(VALU_DEP_2) | instskip(NEXT) | instid1(VALU_DEP_2)
	v_readfirstlane_b32 s4, v4
	v_readfirstlane_b32 s54, v3
	s_delay_alu instid0(VALU_DEP_2) | instskip(NEXT) | instid1(VALU_DEP_1)
	s_mul_i32 s65, s56, s4
	s_mul_hi_u32 s67, s56, s54
	s_mul_i32 s66, s64, s54
	s_add_i32 s65, s67, s65
	s_mul_i32 s68, s56, s54
	s_add_i32 s65, s65, s66
	s_mul_hi_u32 s67, s54, s68
	s_mul_hi_u32 s69, s4, s68
	s_mul_i32 s66, s4, s68
	s_mul_hi_u32 s68, s54, s65
	s_mul_i32 s54, s54, s65
	s_mul_hi_u32 s70, s4, s65
	s_add_u32 s54, s67, s54
	s_addc_u32 s67, 0, s68
	s_add_u32 s54, s54, s66
	s_mul_i32 s65, s4, s65
	s_addc_u32 s54, s67, s69
	s_addc_u32 s66, s70, 0
	s_add_u32 s54, s54, s65
	s_addc_u32 s65, 0, s66
	v_add_co_u32 v3, s54, v3, s54
	s_delay_alu instid0(VALU_DEP_1) | instskip(SKIP_1) | instid1(VALU_DEP_1)
	s_cmp_lg_u32 s54, 0
	s_addc_u32 s4, s4, s65
	v_readfirstlane_b32 s54, v3
	s_mul_i32 s65, s56, s4
	s_delay_alu instid0(VALU_DEP_1)
	s_mul_hi_u32 s66, s56, s54
	s_mul_i32 s64, s64, s54
	s_add_i32 s65, s66, s65
	s_mul_i32 s56, s56, s54
	s_add_i32 s65, s65, s64
	s_mul_hi_u32 s66, s4, s56
	s_mul_i32 s67, s4, s56
	s_mul_hi_u32 s56, s54, s56
	s_mul_hi_u32 s68, s54, s65
	s_mul_i32 s54, s54, s65
	s_mul_hi_u32 s64, s4, s65
	s_add_u32 s54, s56, s54
	s_addc_u32 s56, 0, s68
	s_add_u32 s54, s54, s67
	s_mul_i32 s65, s4, s65
	s_addc_u32 s54, s56, s66
	s_addc_u32 s56, s64, 0
	s_add_u32 s54, s54, s65
	s_addc_u32 s56, 0, s56
	v_add_co_u32 v3, s54, v3, s54
	s_delay_alu instid0(VALU_DEP_1) | instskip(SKIP_1) | instid1(VALU_DEP_1)
	s_cmp_lg_u32 s54, 0
	s_addc_u32 s4, s4, s56
	v_readfirstlane_b32 s54, v3
	s_mul_i32 s64, s20, s4
	s_mul_hi_u32 s56, s20, s4
	s_mul_hi_u32 s65, s5, s4
	s_mul_i32 s4, s5, s4
	s_mul_hi_u32 s66, s20, s54
	s_mul_hi_u32 s67, s5, s54
	s_mul_i32 s54, s5, s54
	s_add_u32 s64, s66, s64
	s_addc_u32 s56, 0, s56
	s_add_u32 s54, s64, s54
	s_addc_u32 s54, s56, s67
	s_addc_u32 s56, s65, 0
	s_add_u32 s4, s54, s4
	s_addc_u32 s54, 0, s56
	s_mul_hi_u32 s56, s41, s4
	s_mul_i32 s4, s41, s4
	s_mul_i32 s54, s41, s54
	v_sub_co_u32 v3, s4, s20, s4
	s_add_i32 s56, s56, s54
	s_cmp_lg_u32 s4, 0
	s_delay_alu instid0(VALU_DEP_1) | instskip(SKIP_2) | instid1(VALU_DEP_1)
	v_sub_co_u32 v4, s4, v3, s41
	s_subb_u32 s54, s5, s56
	s_cmp_lg_u32 s4, 0
	v_cmp_le_u32_e32 vcc_lo, s41, v4
	v_sub_co_u32 v5, s4, v4, s41
	s_subb_u32 s56, s54, 0
	s_cmp_lg_u32 s4, 0
	v_cndmask_b32_e64 v6, 0, -1, vcc_lo
	s_subb_u32 s4, s56, 0
	s_cmp_eq_u32 s56, 0
	v_mov_b32_e32 v8, s4
	s_cselect_b32 vcc_lo, -1, 0
	s_cmp_eq_u32 s54, 0
	v_cndmask_b32_e32 v6, -1, v6, vcc_lo
	v_cmp_le_u32_e32 vcc_lo, s41, v3
	s_cselect_b32 s4, -1, 0
	v_cndmask_b32_e64 v7, 0, -1, vcc_lo
	s_delay_alu instid0(VALU_DEP_3) | instskip(NEXT) | instid1(VALU_DEP_2)
	v_cmp_ne_u32_e32 vcc_lo, 0, v6
	v_cndmask_b32_e64 v6, -1, v7, s4
	v_cndmask_b32_e32 v7, s56, v8, vcc_lo
	v_cndmask_b32_e32 v5, v4, v5, vcc_lo
	s_delay_alu instid0(VALU_DEP_3) | instskip(NEXT) | instid1(VALU_DEP_3)
	v_cmp_ne_u32_e32 vcc_lo, 0, v6
	v_cndmask_b32_e32 v4, s54, v7, vcc_lo
	s_delay_alu instid0(VALU_DEP_3)
	v_cndmask_b32_e32 v3, v3, v5, vcc_lo
	s_cbranch_execnz .LBB101_95
.LBB101_94:                             ;   in Loop: Header=BB101_15 Depth=1
	v_cvt_f32_u32_e32 v3, s41
	s_sub_i32 s4, 0, s41
	s_delay_alu instid0(VALU_DEP_1) | instskip(SKIP_2) | instid1(VALU_DEP_1)
	v_rcp_iflag_f32_e32 v3, v3
	s_waitcnt_depctr 0xfff
	v_mul_f32_e32 v3, 0x4f7ffffe, v3
	v_cvt_u32_f32_e32 v3, v3
	s_delay_alu instid0(VALU_DEP_1) | instskip(NEXT) | instid1(VALU_DEP_1)
	v_mul_lo_u32 v4, s4, v3
	v_mul_hi_u32 v4, v3, v4
	s_delay_alu instid0(VALU_DEP_1) | instskip(NEXT) | instid1(VALU_DEP_1)
	v_add_nc_u32_e32 v3, v3, v4
	v_mul_hi_u32 v3, s20, v3
	s_delay_alu instid0(VALU_DEP_1) | instskip(NEXT) | instid1(VALU_DEP_1)
	v_mul_lo_u32 v3, v3, s41
	v_sub_nc_u32_e32 v3, s20, v3
	s_delay_alu instid0(VALU_DEP_1) | instskip(SKIP_1) | instid1(VALU_DEP_2)
	v_subrev_nc_u32_e32 v4, s41, v3
	v_cmp_le_u32_e32 vcc_lo, s41, v3
	v_cndmask_b32_e32 v3, v3, v4, vcc_lo
	s_delay_alu instid0(VALU_DEP_1) | instskip(SKIP_1) | instid1(VALU_DEP_2)
	v_subrev_nc_u32_e32 v4, s41, v3
	v_cmp_le_u32_e32 vcc_lo, s41, v3
	v_cndmask_b32_e32 v15, v3, v4, vcc_lo
	s_delay_alu instid0(VALU_DEP_1)
	v_dual_mov_b32 v3, v15 :: v_dual_mov_b32 v4, v16
.LBB101_95:                             ;   in Loop: Header=BB101_15 Depth=1
	s_delay_alu instid0(VALU_DEP_1) | instskip(NEXT) | instid1(VALU_DEP_2)
	v_sub_co_u32 v7, vcc_lo, s20, v3
	v_sub_co_ci_u32_e32 v8, vcc_lo, s5, v4, vcc_lo
	s_mov_b32 s4, 0
	s_mov_b32 s5, exec_lo
                                        ; implicit-def: $vgpr5_vgpr6
	s_delay_alu instid0(VALU_DEP_1)
	v_cmpx_gt_u64_e64 v[7:8], v[0:1]
	s_cbranch_execz .LBB101_106
; %bb.96:                               ;   in Loop: Header=BB101_15 Depth=1
	v_dual_mov_b32 v11, v26 :: v_dual_mov_b32 v10, v1
	v_mov_b32_e32 v9, v0
	s_mov_b32 s20, 0
                                        ; implicit-def: $sgpr4
	s_set_inst_prefetch_distance 0x1
	s_branch .LBB101_98
	.p2align	6
.LBB101_97:                             ;   in Loop: Header=BB101_98 Depth=2
	s_or_b32 exec_lo, exec_lo, s54
	s_waitcnt lgkmcnt(0)
	s_barrier
	buffer_gl0_inv
	ds_load_b128 v[3:6], v16 offset:3072
	v_add_co_u32 v9, vcc_lo, v9, s41
	v_add_co_ci_u32_e32 v10, vcc_lo, 0, v10, vcc_lo
	v_add_nc_u32_e32 v11, s83, v11
	s_waitcnt lgkmcnt(0)
	s_barrier
	s_delay_alu instid0(VALU_DEP_2) | instskip(SKIP_3) | instid1(VALU_DEP_1)
	v_cmp_ge_u64_e32 vcc_lo, v[9:10], v[7:8]
	buffer_gl0_inv
	v_readfirstlane_b32 s65, v4
	v_readfirstlane_b32 s64, v3
	s_cmp_lg_u64 s[64:65], 0
	s_cselect_b32 s54, -1, 0
	s_delay_alu instid0(SALU_CYCLE_1) | instskip(NEXT) | instid1(SALU_CYCLE_1)
	s_or_b32 s56, vcc_lo, s54
	s_and_b32 s56, exec_lo, s56
	s_delay_alu instid0(SALU_CYCLE_1) | instskip(SKIP_2) | instid1(SALU_CYCLE_1)
	s_or_b32 s20, s56, s20
	s_and_not1_b32 s4, s4, exec_lo
	s_and_b32 s54, s54, exec_lo
	s_or_b32 s4, s4, s54
	s_and_not1_b32 exec_lo, exec_lo, s20
	s_cbranch_execz .LBB101_105
.LBB101_98:                             ;   Parent Loop BB101_15 Depth=1
                                        ; =>  This Inner Loop Header: Depth=2
	s_delay_alu instid0(VALU_DEP_1)
	v_cmp_gt_u64_e32 vcc_lo, s[18:19], v[9:10]
	v_mov_b32_e32 v4, 0
	v_mov_b32_e32 v5, 0
	s_and_saveexec_b32 s54, vcc_lo
	s_cbranch_execz .LBB101_100
; %bb.99:                               ;   in Loop: Header=BB101_98 Depth=2
	ds_load_b64 v[4:5], v11
.LBB101_100:                            ;   in Loop: Header=BB101_98 Depth=2
	s_or_b32 exec_lo, exec_lo, s54
	s_and_saveexec_b32 s54, vcc_lo
	s_cbranch_execz .LBB101_97
; %bb.101:                              ;   in Loop: Header=BB101_98 Depth=2
	s_waitcnt lgkmcnt(0)
	v_xor_b32_e32 v3, 0x80000000, v5
	v_and_b32_e32 v12, s62, v4
	s_delay_alu instid0(VALU_DEP_2) | instskip(NEXT) | instid1(VALU_DEP_1)
	v_and_b32_e32 v13, s63, v3
	v_cmp_eq_u64_e32 vcc_lo, s[60:61], v[12:13]
	s_and_b32 exec_lo, exec_lo, vcc_lo
	s_cbranch_execz .LBB101_97
; %bb.102:                              ;   in Loop: Header=BB101_98 Depth=2
	v_mov_b32_e32 v3, v16
	ds_store_b128 v16, v[2:5] offset:3072
	s_branch .LBB101_97
.LBB101_103:                            ;   in Loop: Header=BB101_15 Depth=1
	s_mov_b32 s4, -1
                                        ; implicit-def: $sgpr5
                                        ; implicit-def: $sgpr19
                                        ; implicit-def: $sgpr18
	s_branch .LBB101_120
.LBB101_104:                            ;   in Loop: Header=BB101_15 Depth=1
	s_mov_b32 s5, -1
	s_mov_b32 s4, 0
                                        ; implicit-def: $sgpr18
                                        ; implicit-def: $vgpr5_vgpr6
	s_mov_b32 s19, s5
	s_cbranch_execnz .LBB101_107
	s_branch .LBB101_120
.LBB101_105:                            ;   in Loop: Header=BB101_15 Depth=1
	s_set_inst_prefetch_distance 0x2
	s_or_b32 exec_lo, exec_lo, s20
	s_delay_alu instid0(SALU_CYCLE_1)
	s_and_b32 s4, s4, exec_lo
.LBB101_106:                            ;   in Loop: Header=BB101_15 Depth=1
	s_or_b32 exec_lo, exec_lo, s5
	s_mov_b32 s18, -1
	s_mov_b32 s5, 0
	s_delay_alu instid0(SALU_CYCLE_1)
	s_mov_b32 s19, s5
	s_branch .LBB101_120
.LBB101_107:                            ;   in Loop: Header=BB101_15 Depth=1
	s_mov_b32 s56, s55
	s_delay_alu instid0(SALU_CYCLE_1)
	s_cmp_lg_u64 s[56:57], 0
	s_cbranch_scc0 .LBB101_150
; %bb.108:                              ;   in Loop: Header=BB101_15 Depth=1
	v_cvt_f32_u32_e32 v3, s41
	s_sub_u32 s18, 0, s41
	s_subb_u32 s19, 0, 0
	s_delay_alu instid0(VALU_DEP_1) | instskip(NEXT) | instid1(VALU_DEP_1)
	v_fmac_f32_e64 v3, 0, 0x4f800000
	v_rcp_f32_e32 v3, v3
	s_waitcnt_depctr 0xfff
	v_mul_f32_e32 v3, 0x5f7ffffc, v3
	s_delay_alu instid0(VALU_DEP_1) | instskip(NEXT) | instid1(VALU_DEP_1)
	v_mul_f32_e32 v4, 0x2f800000, v3
	v_trunc_f32_e32 v4, v4
	s_delay_alu instid0(VALU_DEP_1) | instskip(SKIP_1) | instid1(VALU_DEP_2)
	v_fmac_f32_e32 v3, 0xcf800000, v4
	v_cvt_u32_f32_e32 v4, v4
	v_cvt_u32_f32_e32 v3, v3
	s_delay_alu instid0(VALU_DEP_2) | instskip(NEXT) | instid1(VALU_DEP_2)
	v_readfirstlane_b32 s4, v4
	v_readfirstlane_b32 s5, v3
	s_delay_alu instid0(VALU_DEP_2) | instskip(NEXT) | instid1(VALU_DEP_1)
	s_mul_i32 s20, s18, s4
	s_mul_hi_u32 s56, s18, s5
	s_mul_i32 s54, s19, s5
	s_add_i32 s20, s56, s20
	s_mul_i32 s64, s18, s5
	s_add_i32 s20, s20, s54
	s_mul_hi_u32 s56, s5, s64
	s_mul_hi_u32 s65, s4, s64
	s_mul_i32 s54, s4, s64
	s_mul_hi_u32 s64, s5, s20
	s_mul_i32 s5, s5, s20
	s_mul_hi_u32 s66, s4, s20
	s_add_u32 s5, s56, s5
	s_addc_u32 s56, 0, s64
	s_add_u32 s5, s5, s54
	s_mul_i32 s20, s4, s20
	s_addc_u32 s5, s56, s65
	s_addc_u32 s54, s66, 0
	s_add_u32 s5, s5, s20
	s_addc_u32 s20, 0, s54
	v_add_co_u32 v3, s5, v3, s5
	s_delay_alu instid0(VALU_DEP_1) | instskip(SKIP_1) | instid1(VALU_DEP_1)
	s_cmp_lg_u32 s5, 0
	s_addc_u32 s4, s4, s20
	v_readfirstlane_b32 s5, v3
	s_mul_i32 s20, s18, s4
	s_delay_alu instid0(VALU_DEP_1)
	s_mul_hi_u32 s54, s18, s5
	s_mul_i32 s19, s19, s5
	s_add_i32 s20, s54, s20
	s_mul_i32 s18, s18, s5
	s_add_i32 s20, s20, s19
	s_mul_hi_u32 s54, s4, s18
	s_mul_i32 s56, s4, s18
	s_mul_hi_u32 s18, s5, s18
	s_mul_hi_u32 s64, s5, s20
	s_mul_i32 s5, s5, s20
	s_mul_hi_u32 s19, s4, s20
	s_add_u32 s5, s18, s5
	s_addc_u32 s18, 0, s64
	s_add_u32 s5, s5, s56
	s_mul_i32 s20, s4, s20
	s_addc_u32 s5, s18, s54
	s_addc_u32 s18, s19, 0
	s_add_u32 s5, s5, s20
	s_addc_u32 s18, 0, s18
	v_add_co_u32 v3, s5, v3, s5
	s_delay_alu instid0(VALU_DEP_1) | instskip(SKIP_1) | instid1(VALU_DEP_1)
	s_cmp_lg_u32 s5, 0
	s_addc_u32 s4, s4, s18
	v_readfirstlane_b32 s5, v3
	s_mul_i32 s19, s77, s4
	s_mul_hi_u32 s18, s77, s4
	s_mul_hi_u32 s20, s57, s4
	s_mul_i32 s4, s57, s4
	s_mul_hi_u32 s54, s77, s5
	s_mul_hi_u32 s56, s57, s5
	s_mul_i32 s5, s57, s5
	s_add_u32 s19, s54, s19
	s_addc_u32 s18, 0, s18
	s_add_u32 s5, s19, s5
	s_addc_u32 s5, s18, s56
	s_addc_u32 s18, s20, 0
	s_add_u32 s4, s5, s4
	s_addc_u32 s5, 0, s18
	s_mul_hi_u32 s18, s41, s4
	s_mul_i32 s4, s41, s4
	s_mul_i32 s5, s41, s5
	v_sub_co_u32 v3, s4, s77, s4
	s_add_i32 s18, s18, s5
	s_cmp_lg_u32 s4, 0
	s_delay_alu instid0(VALU_DEP_1) | instskip(SKIP_2) | instid1(VALU_DEP_1)
	v_sub_co_u32 v4, s4, v3, s41
	s_subb_u32 s5, s57, s18
	s_cmp_lg_u32 s4, 0
	v_cmp_le_u32_e32 vcc_lo, s41, v4
	v_sub_co_u32 v5, s4, v4, s41
	s_subb_u32 s18, s5, 0
	s_cmp_lg_u32 s4, 0
	v_cndmask_b32_e64 v6, 0, -1, vcc_lo
	s_subb_u32 s4, s18, 0
	s_cmp_eq_u32 s18, 0
	v_mov_b32_e32 v8, s4
	s_cselect_b32 vcc_lo, -1, 0
	s_cmp_eq_u32 s5, 0
	v_cndmask_b32_e32 v6, -1, v6, vcc_lo
	v_cmp_le_u32_e32 vcc_lo, s41, v3
	s_cselect_b32 s4, -1, 0
	v_cndmask_b32_e64 v7, 0, -1, vcc_lo
	s_delay_alu instid0(VALU_DEP_3) | instskip(NEXT) | instid1(VALU_DEP_2)
	v_cmp_ne_u32_e32 vcc_lo, 0, v6
	v_cndmask_b32_e64 v6, -1, v7, s4
	v_cndmask_b32_e32 v7, s18, v8, vcc_lo
	v_cndmask_b32_e32 v5, v4, v5, vcc_lo
	s_delay_alu instid0(VALU_DEP_3) | instskip(NEXT) | instid1(VALU_DEP_3)
	v_cmp_ne_u32_e32 vcc_lo, 0, v6
	v_cndmask_b32_e32 v4, s5, v7, vcc_lo
	s_delay_alu instid0(VALU_DEP_3)
	v_cndmask_b32_e32 v3, v3, v5, vcc_lo
	s_cbranch_execnz .LBB101_110
.LBB101_109:                            ;   in Loop: Header=BB101_15 Depth=1
	v_cvt_f32_u32_e32 v3, s41
	s_sub_i32 s4, 0, s41
	s_delay_alu instid0(VALU_DEP_1) | instskip(SKIP_2) | instid1(VALU_DEP_1)
	v_rcp_iflag_f32_e32 v3, v3
	s_waitcnt_depctr 0xfff
	v_mul_f32_e32 v3, 0x4f7ffffe, v3
	v_cvt_u32_f32_e32 v3, v3
	s_delay_alu instid0(VALU_DEP_1) | instskip(NEXT) | instid1(VALU_DEP_1)
	v_mul_lo_u32 v4, s4, v3
	v_mul_hi_u32 v4, v3, v4
	s_delay_alu instid0(VALU_DEP_1) | instskip(NEXT) | instid1(VALU_DEP_1)
	v_add_nc_u32_e32 v3, v3, v4
	v_mul_hi_u32 v3, s77, v3
	s_delay_alu instid0(VALU_DEP_1) | instskip(NEXT) | instid1(VALU_DEP_1)
	v_mul_lo_u32 v3, v3, s41
	v_sub_nc_u32_e32 v3, s77, v3
	s_delay_alu instid0(VALU_DEP_1) | instskip(SKIP_1) | instid1(VALU_DEP_2)
	v_subrev_nc_u32_e32 v4, s41, v3
	v_cmp_le_u32_e32 vcc_lo, s41, v3
	v_cndmask_b32_e32 v3, v3, v4, vcc_lo
	s_delay_alu instid0(VALU_DEP_1) | instskip(SKIP_1) | instid1(VALU_DEP_2)
	v_subrev_nc_u32_e32 v4, s41, v3
	v_cmp_le_u32_e32 vcc_lo, s41, v3
	v_cndmask_b32_e32 v15, v3, v4, vcc_lo
	s_delay_alu instid0(VALU_DEP_1)
	v_dual_mov_b32 v3, v15 :: v_dual_mov_b32 v4, v16
.LBB101_110:                            ;   in Loop: Header=BB101_15 Depth=1
	s_delay_alu instid0(VALU_DEP_1) | instskip(NEXT) | instid1(VALU_DEP_2)
	v_sub_co_u32 v7, vcc_lo, s77, v3
	v_sub_co_ci_u32_e32 v8, vcc_lo, s57, v4, vcc_lo
	s_mov_b32 s4, 0
	s_mov_b32 s5, exec_lo
                                        ; implicit-def: $vgpr5_vgpr6
	s_delay_alu instid0(VALU_DEP_1)
	v_cmpx_gt_u64_e64 v[7:8], v[0:1]
	s_cbranch_execz .LBB101_119
; %bb.111:                              ;   in Loop: Header=BB101_15 Depth=1
	v_dual_mov_b32 v10, v1 :: v_dual_mov_b32 v9, v0
	s_mov_b32 s19, 0
                                        ; implicit-def: $sgpr18
	s_branch .LBB101_113
.LBB101_112:                            ;   in Loop: Header=BB101_113 Depth=2
	s_or_b32 exec_lo, exec_lo, s4
	s_waitcnt vmcnt(0) lgkmcnt(0)
	s_barrier
	buffer_gl0_inv
	ds_load_b128 v[3:6], v16 offset:3072
	v_add_co_u32 v9, vcc_lo, v9, s41
	v_add_co_ci_u32_e32 v10, vcc_lo, 0, v10, vcc_lo
	s_waitcnt lgkmcnt(0)
	s_barrier
	buffer_gl0_inv
	v_cmp_ge_u64_e32 vcc_lo, v[9:10], v[7:8]
	v_readfirstlane_b32 s65, v4
	v_readfirstlane_b32 s64, v3
	s_delay_alu instid0(VALU_DEP_1) | instskip(SKIP_1) | instid1(SALU_CYCLE_1)
	s_cmp_lg_u64 s[64:65], 0
	s_cselect_b32 s4, -1, 0
	s_or_b32 s20, vcc_lo, s4
	s_delay_alu instid0(SALU_CYCLE_1) | instskip(NEXT) | instid1(SALU_CYCLE_1)
	s_and_b32 s20, exec_lo, s20
	s_or_b32 s19, s20, s19
	s_and_not1_b32 s18, s18, exec_lo
	s_and_b32 s4, s4, exec_lo
	s_delay_alu instid0(SALU_CYCLE_1)
	s_or_b32 s18, s18, s4
	s_and_not1_b32 exec_lo, exec_lo, s19
	s_cbranch_execz .LBB101_118
.LBB101_113:                            ;   Parent Loop BB101_15 Depth=1
                                        ; =>  This Inner Loop Header: Depth=2
	s_delay_alu instid0(VALU_DEP_1)
	v_cmp_gt_u64_e32 vcc_lo, s[24:25], v[9:10]
	v_mov_b32_e32 v4, 0
	v_mov_b32_e32 v5, 0
	s_and_saveexec_b32 s20, vcc_lo
	s_cbranch_execz .LBB101_115
; %bb.114:                              ;   in Loop: Header=BB101_113 Depth=2
	v_mul_lo_u32 v5, v10, s42
	v_mul_lo_u32 v6, v9, s43
	v_mad_u64_u32 v[3:4], null, v9, s42, 0
	s_delay_alu instid0(VALU_DEP_1) | instskip(NEXT) | instid1(VALU_DEP_1)
	v_add3_u32 v4, v4, v6, v5
	v_lshlrev_b64 v[3:4], 3, v[3:4]
	s_delay_alu instid0(VALU_DEP_1) | instskip(NEXT) | instid1(VALU_DEP_1)
	v_add_co_u32 v3, s4, s33, v3
	v_add_co_ci_u32_e64 v4, s4, s35, v4, s4
	global_load_b64 v[4:5], v[3:4], off
.LBB101_115:                            ;   in Loop: Header=BB101_113 Depth=2
	s_or_b32 exec_lo, exec_lo, s20
	s_and_saveexec_b32 s4, vcc_lo
	s_cbranch_execz .LBB101_112
; %bb.116:                              ;   in Loop: Header=BB101_113 Depth=2
	s_waitcnt vmcnt(0)
	v_xor_b32_e32 v3, 0x80000000, v5
	v_and_b32_e32 v11, s62, v4
	s_delay_alu instid0(VALU_DEP_2) | instskip(NEXT) | instid1(VALU_DEP_1)
	v_and_b32_e32 v12, s63, v3
	v_cmp_eq_u64_e32 vcc_lo, s[60:61], v[11:12]
	s_and_b32 exec_lo, exec_lo, vcc_lo
	s_cbranch_execz .LBB101_112
; %bb.117:                              ;   in Loop: Header=BB101_113 Depth=2
	v_mov_b32_e32 v3, v16
	ds_store_b128 v16, v[2:5] offset:3072
	s_branch .LBB101_112
.LBB101_118:                            ;   in Loop: Header=BB101_15 Depth=1
	s_or_b32 exec_lo, exec_lo, s19
	s_delay_alu instid0(SALU_CYCLE_1)
	s_and_b32 s4, s18, exec_lo
.LBB101_119:                            ;   in Loop: Header=BB101_15 Depth=1
	s_or_b32 exec_lo, exec_lo, s5
	s_mov_b32 s19, -1
	s_mov_b32 s5, 0
	s_mov_b32 s18, 0
.LBB101_120:                            ;   in Loop: Header=BB101_15 Depth=1
	s_and_not1_b32 s20, s89, exec_lo
	s_and_b32 s5, s5, exec_lo
	s_and_b32 s19, s19, exec_lo
	s_or_b32 s89, s20, s5
	s_and_not1_b32 s5, s92, exec_lo
	s_and_not1_b32 s20, s90, exec_lo
	s_and_b32 s18, s18, exec_lo
	s_or_b32 s92, s5, s19
	s_or_b32 s90, s20, s18
	s_and_saveexec_b32 s20, s4
	s_cbranch_execz .LBB101_14
; %bb.121:                              ;   in Loop: Header=BB101_15 Depth=1
	s_xor_b32 s4, s23, -1
	s_mov_b32 s56, 1
	s_and_not1_b32 vcc_lo, exec_lo, s4
	s_cbranch_vccnz .LBB101_132
; %bb.122:                              ;   in Loop: Header=BB101_15 Depth=1
	v_cmp_gt_u64_e64 s4, s[52:53], s[16:17]
	s_mov_b32 s22, -1
                                        ; implicit-def: $sgpr56
                                        ; implicit-def: $sgpr18_sgpr19
	s_delay_alu instid0(VALU_DEP_1)
	s_and_b32 vcc_lo, exec_lo, s4
                                        ; implicit-def: $sgpr4_sgpr5
	s_cbranch_vccnz .LBB101_128
; %bb.123:                              ;   in Loop: Header=BB101_15 Depth=1
	ds_load_b64 v[3:4], v16 offset:5120
	s_waitcnt lgkmcnt(0)
	v_cmp_ne_u64_e32 vcc_lo, 0, v[3:4]
	s_cbranch_vccnz .LBB101_127
; %bb.124:                              ;   in Loop: Header=BB101_15 Depth=1
	s_and_saveexec_b32 s4, s2
	s_cbranch_execz .LBB101_126
; %bb.125:                              ;   in Loop: Header=BB101_15 Depth=1
	v_dual_mov_b32 v3, s16 :: v_dual_mov_b32 v4, s17
	ds_store_b64 v16, v[3:4] offset:5128
.LBB101_126:                            ;   in Loop: Header=BB101_15 Depth=1
	s_or_b32 exec_lo, exec_lo, s4
	s_waitcnt lgkmcnt(0)
	s_barrier
	buffer_gl0_inv
.LBB101_127:                            ;   in Loop: Header=BB101_15 Depth=1
	s_and_b64 s[4:5], s[60:61], s[12:13]
	s_or_b64 s[18:19], s[62:63], s[8:9]
	s_mov_b32 s22, 0
	s_mov_b32 s56, 8
.LBB101_128:                            ;   in Loop: Header=BB101_15 Depth=1
	s_and_not1_b32 vcc_lo, exec_lo, s22
	s_cbranch_vccnz .LBB101_130
; %bb.129:                              ;   in Loop: Header=BB101_15 Depth=1
	s_sub_u32 s52, s52, s16
	s_subb_u32 s53, s53, s17
	s_mov_b32 s22, -1
	s_mov_b32 s56, 0
	s_mov_b64 s[4:5], s[60:61]
	s_mov_b64 s[18:19], s[62:63]
.LBB101_130:                            ;   in Loop: Header=BB101_15 Depth=1
	s_delay_alu instid0(SALU_CYCLE_1)
	s_mov_b64 s[62:63], s[18:19]
	s_mov_b64 s[60:61], s[4:5]
	s_and_b32 vcc_lo, exec_lo, s22
	s_mov_b32 s18, -1
	s_cbranch_vccnz .LBB101_133
.LBB101_131:                            ;   in Loop: Header=BB101_15 Depth=1
	s_mov_b32 s5, -1
                                        ; implicit-def: $sgpr19
                                        ; implicit-def: $sgpr23
                                        ; implicit-def: $sgpr22
	s_delay_alu instid0(SALU_CYCLE_1) | instskip(NEXT) | instid1(SALU_CYCLE_1)
	s_and_saveexec_b32 s4, s5
	s_xor_b32 s4, exec_lo, s4
	s_cbranch_execz .LBB101_13
	s_branch .LBB101_279
.LBB101_132:                            ;   in Loop: Header=BB101_15 Depth=1
	s_mov_b64 s[52:53], 1
	s_mov_b32 s18, -1
	s_branch .LBB101_131
.LBB101_133:                            ;   in Loop: Header=BB101_15 Depth=1
	s_cmp_eq_u64 s[14:15], 1
	s_cselect_b32 s4, -1, 0
	s_cmp_eq_u64 s[52:53], 1
	s_cselect_b32 s5, -1, 0
	s_delay_alu instid0(SALU_CYCLE_1)
	s_and_b32 s64, s4, s5
	s_mov_b32 s4, -1
	s_and_b32 vcc_lo, exec_lo, s64
	s_cbranch_vccz .LBB101_148
; %bb.134:                              ;   in Loop: Header=BB101_15 Depth=1
	ds_load_b64 v[3:4], v16 offset:5120
	s_waitcnt lgkmcnt(0)
	s_barrier
	buffer_gl0_inv
	v_readfirstlane_b32 s16, v3
	v_readfirstlane_b32 s17, v4
	s_and_saveexec_b32 s4, s3
	s_cbranch_execz .LBB101_136
; %bb.135:                              ;   in Loop: Header=BB101_15 Depth=1
	v_mov_b32_e32 v15, v16
	ds_store_b64 v27, v[15:16]
.LBB101_136:                            ;   in Loop: Header=BB101_15 Depth=1
	s_or_b32 exec_lo, exec_lo, s4
	s_lshl_b64 s[4:5], 1, s21
	s_and_b64 s[22:23], s[60:61], s[12:13]
	s_or_b64 s[62:63], s[62:63], s[8:9]
	s_or_b64 s[60:61], s[22:23], s[4:5]
	s_cmp_eq_u64 s[16:17], 0
	s_waitcnt lgkmcnt(0)
	s_barrier
	buffer_gl0_inv
	s_cbranch_scc1 .LBB101_151
; %bb.137:                              ;   in Loop: Header=BB101_15 Depth=1
	s_add_u32 s19, s75, s16
	s_addc_u32 s5, s76, s17
	s_mov_b32 s4, s55
	s_delay_alu instid0(SALU_CYCLE_1)
	s_cmp_lg_u64 s[4:5], 0
	s_cbranch_scc0 .LBB101_196
; %bb.138:                              ;   in Loop: Header=BB101_15 Depth=1
	v_cvt_f32_u32_e32 v3, s41
	s_sub_u32 s23, 0, s41
	s_subb_u32 s54, 0, 0
	s_delay_alu instid0(VALU_DEP_1) | instskip(NEXT) | instid1(VALU_DEP_1)
	v_fmac_f32_e64 v3, 0, 0x4f800000
	v_rcp_f32_e32 v3, v3
	s_waitcnt_depctr 0xfff
	v_mul_f32_e32 v3, 0x5f7ffffc, v3
	s_delay_alu instid0(VALU_DEP_1) | instskip(NEXT) | instid1(VALU_DEP_1)
	v_mul_f32_e32 v4, 0x2f800000, v3
	v_trunc_f32_e32 v4, v4
	s_delay_alu instid0(VALU_DEP_1) | instskip(SKIP_1) | instid1(VALU_DEP_2)
	v_fmac_f32_e32 v3, 0xcf800000, v4
	v_cvt_u32_f32_e32 v4, v4
	v_cvt_u32_f32_e32 v3, v3
	s_delay_alu instid0(VALU_DEP_2) | instskip(NEXT) | instid1(VALU_DEP_2)
	v_readfirstlane_b32 s4, v4
	v_readfirstlane_b32 s22, v3
	s_delay_alu instid0(VALU_DEP_2) | instskip(NEXT) | instid1(VALU_DEP_1)
	s_mul_i32 s56, s23, s4
	s_mul_hi_u32 s66, s23, s22
	s_mul_i32 s65, s54, s22
	s_add_i32 s56, s66, s56
	s_mul_i32 s67, s23, s22
	s_add_i32 s56, s56, s65
	s_mul_hi_u32 s66, s22, s67
	s_mul_hi_u32 s68, s4, s67
	s_mul_i32 s65, s4, s67
	s_mul_hi_u32 s67, s22, s56
	s_mul_i32 s22, s22, s56
	s_mul_hi_u32 s69, s4, s56
	s_add_u32 s22, s66, s22
	s_addc_u32 s66, 0, s67
	s_add_u32 s22, s22, s65
	s_mul_i32 s56, s4, s56
	s_addc_u32 s22, s66, s68
	s_addc_u32 s65, s69, 0
	s_add_u32 s22, s22, s56
	s_addc_u32 s56, 0, s65
	v_add_co_u32 v3, s22, v3, s22
	s_delay_alu instid0(VALU_DEP_1) | instskip(SKIP_1) | instid1(VALU_DEP_1)
	s_cmp_lg_u32 s22, 0
	s_addc_u32 s4, s4, s56
	v_readfirstlane_b32 s22, v3
	s_mul_i32 s56, s23, s4
	s_delay_alu instid0(VALU_DEP_1)
	s_mul_hi_u32 s65, s23, s22
	s_mul_i32 s54, s54, s22
	s_add_i32 s56, s65, s56
	s_mul_i32 s23, s23, s22
	s_add_i32 s56, s56, s54
	s_mul_hi_u32 s65, s4, s23
	s_mul_i32 s66, s4, s23
	s_mul_hi_u32 s23, s22, s23
	s_mul_hi_u32 s67, s22, s56
	s_mul_i32 s22, s22, s56
	s_mul_hi_u32 s54, s4, s56
	s_add_u32 s22, s23, s22
	s_addc_u32 s23, 0, s67
	s_add_u32 s22, s22, s66
	s_mul_i32 s56, s4, s56
	s_addc_u32 s22, s23, s65
	s_addc_u32 s23, s54, 0
	s_add_u32 s22, s22, s56
	s_addc_u32 s23, 0, s23
	v_add_co_u32 v3, s22, v3, s22
	s_delay_alu instid0(VALU_DEP_1) | instskip(SKIP_1) | instid1(VALU_DEP_1)
	s_cmp_lg_u32 s22, 0
	s_addc_u32 s4, s4, s23
	v_readfirstlane_b32 s22, v3
	s_mul_i32 s54, s19, s4
	s_mul_hi_u32 s23, s19, s4
	s_mul_hi_u32 s56, s5, s4
	s_mul_i32 s4, s5, s4
	s_mul_hi_u32 s65, s19, s22
	s_mul_hi_u32 s66, s5, s22
	s_mul_i32 s22, s5, s22
	s_add_u32 s54, s65, s54
	s_addc_u32 s23, 0, s23
	s_add_u32 s22, s54, s22
	s_addc_u32 s22, s23, s66
	s_addc_u32 s23, s56, 0
	s_add_u32 s4, s22, s4
	s_addc_u32 s22, 0, s23
	s_mul_hi_u32 s23, s41, s4
	s_mul_i32 s4, s41, s4
	s_mul_i32 s22, s41, s22
	v_sub_co_u32 v3, s4, s19, s4
	s_add_i32 s23, s23, s22
	s_cmp_lg_u32 s4, 0
	s_delay_alu instid0(VALU_DEP_1) | instskip(SKIP_2) | instid1(VALU_DEP_1)
	v_sub_co_u32 v4, s4, v3, s41
	s_subb_u32 s22, s5, s23
	s_cmp_lg_u32 s4, 0
	v_cmp_le_u32_e32 vcc_lo, s41, v4
	v_sub_co_u32 v5, s4, v4, s41
	s_subb_u32 s23, s22, 0
	s_cmp_lg_u32 s4, 0
	v_cndmask_b32_e64 v6, 0, -1, vcc_lo
	s_subb_u32 s4, s23, 0
	s_cmp_eq_u32 s23, 0
	v_mov_b32_e32 v8, s4
	s_cselect_b32 vcc_lo, -1, 0
	s_cmp_eq_u32 s22, 0
	v_cndmask_b32_e32 v6, -1, v6, vcc_lo
	v_cmp_le_u32_e32 vcc_lo, s41, v3
	s_cselect_b32 s4, -1, 0
	v_cndmask_b32_e64 v7, 0, -1, vcc_lo
	s_delay_alu instid0(VALU_DEP_3) | instskip(NEXT) | instid1(VALU_DEP_2)
	v_cmp_ne_u32_e32 vcc_lo, 0, v6
	v_cndmask_b32_e64 v6, -1, v7, s4
	v_cndmask_b32_e32 v7, s23, v8, vcc_lo
	v_cndmask_b32_e32 v5, v4, v5, vcc_lo
	s_delay_alu instid0(VALU_DEP_3) | instskip(NEXT) | instid1(VALU_DEP_3)
	v_cmp_ne_u32_e32 vcc_lo, 0, v6
	v_cndmask_b32_e32 v4, s22, v7, vcc_lo
	s_delay_alu instid0(VALU_DEP_3)
	v_cndmask_b32_e32 v3, v3, v5, vcc_lo
	s_cbranch_execnz .LBB101_140
.LBB101_139:                            ;   in Loop: Header=BB101_15 Depth=1
	v_cvt_f32_u32_e32 v3, s41
	s_sub_i32 s4, 0, s41
	s_delay_alu instid0(VALU_DEP_1) | instskip(SKIP_2) | instid1(VALU_DEP_1)
	v_rcp_iflag_f32_e32 v3, v3
	s_waitcnt_depctr 0xfff
	v_mul_f32_e32 v3, 0x4f7ffffe, v3
	v_cvt_u32_f32_e32 v3, v3
	s_delay_alu instid0(VALU_DEP_1) | instskip(NEXT) | instid1(VALU_DEP_1)
	v_mul_lo_u32 v4, s4, v3
	v_mul_hi_u32 v4, v3, v4
	s_delay_alu instid0(VALU_DEP_1) | instskip(NEXT) | instid1(VALU_DEP_1)
	v_add_nc_u32_e32 v3, v3, v4
	v_mul_hi_u32 v3, s19, v3
	s_delay_alu instid0(VALU_DEP_1) | instskip(NEXT) | instid1(VALU_DEP_1)
	v_mul_lo_u32 v3, v3, s41
	v_sub_nc_u32_e32 v3, s19, v3
	s_delay_alu instid0(VALU_DEP_1) | instskip(SKIP_1) | instid1(VALU_DEP_2)
	v_subrev_nc_u32_e32 v4, s41, v3
	v_cmp_le_u32_e32 vcc_lo, s41, v3
	v_cndmask_b32_e32 v3, v3, v4, vcc_lo
	s_delay_alu instid0(VALU_DEP_1) | instskip(SKIP_1) | instid1(VALU_DEP_2)
	v_subrev_nc_u32_e32 v4, s41, v3
	v_cmp_le_u32_e32 vcc_lo, s41, v3
	v_cndmask_b32_e32 v15, v3, v4, vcc_lo
	s_delay_alu instid0(VALU_DEP_1)
	v_dual_mov_b32 v3, v15 :: v_dual_mov_b32 v4, v16
.LBB101_140:                            ;   in Loop: Header=BB101_15 Depth=1
	s_delay_alu instid0(VALU_DEP_1) | instskip(NEXT) | instid1(VALU_DEP_2)
	v_sub_co_u32 v7, vcc_lo, s19, v3
	v_sub_co_ci_u32_e32 v8, vcc_lo, s5, v4, vcc_lo
	s_mov_b32 s4, 0
	s_mov_b32 s5, exec_lo
                                        ; implicit-def: $vgpr5_vgpr6
	s_delay_alu instid0(VALU_DEP_1)
	v_cmpx_gt_u64_e64 v[7:8], v[0:1]
	s_cbranch_execz .LBB101_153
; %bb.141:                              ;   in Loop: Header=BB101_15 Depth=1
	v_dual_mov_b32 v11, v26 :: v_dual_mov_b32 v10, v1
	v_mov_b32_e32 v9, v0
	s_mov_b32 s19, 0
                                        ; implicit-def: $sgpr4
	s_set_inst_prefetch_distance 0x1
	s_branch .LBB101_143
	.p2align	6
.LBB101_142:                            ;   in Loop: Header=BB101_143 Depth=2
	s_or_b32 exec_lo, exec_lo, s22
	s_waitcnt lgkmcnt(0)
	s_barrier
	buffer_gl0_inv
	ds_load_b128 v[3:6], v16 offset:3072
	v_add_co_u32 v9, vcc_lo, v9, s41
	v_add_co_ci_u32_e32 v10, vcc_lo, 0, v10, vcc_lo
	v_add_nc_u32_e32 v11, s83, v11
	s_waitcnt lgkmcnt(0)
	s_barrier
	s_delay_alu instid0(VALU_DEP_2) | instskip(SKIP_3) | instid1(VALU_DEP_1)
	v_cmp_ge_u64_e32 vcc_lo, v[9:10], v[7:8]
	buffer_gl0_inv
	v_readfirstlane_b32 s23, v4
	v_readfirstlane_b32 s22, v3
	s_cmp_lg_u64 s[22:23], 0
	s_cselect_b32 s22, -1, 0
	s_delay_alu instid0(SALU_CYCLE_1) | instskip(NEXT) | instid1(SALU_CYCLE_1)
	s_or_b32 s23, vcc_lo, s22
	s_and_b32 s23, exec_lo, s23
	s_delay_alu instid0(SALU_CYCLE_1) | instskip(SKIP_2) | instid1(SALU_CYCLE_1)
	s_or_b32 s19, s23, s19
	s_and_not1_b32 s4, s4, exec_lo
	s_and_b32 s22, s22, exec_lo
	s_or_b32 s4, s4, s22
	s_and_not1_b32 exec_lo, exec_lo, s19
	s_cbranch_execz .LBB101_152
.LBB101_143:                            ;   Parent Loop BB101_15 Depth=1
                                        ; =>  This Inner Loop Header: Depth=2
	s_delay_alu instid0(VALU_DEP_1)
	v_cmp_gt_u64_e32 vcc_lo, s[16:17], v[9:10]
	v_mov_b32_e32 v4, 0
	v_mov_b32_e32 v5, 0
	s_and_saveexec_b32 s22, vcc_lo
	s_cbranch_execz .LBB101_145
; %bb.144:                              ;   in Loop: Header=BB101_143 Depth=2
	ds_load_b64 v[4:5], v11
.LBB101_145:                            ;   in Loop: Header=BB101_143 Depth=2
	s_or_b32 exec_lo, exec_lo, s22
	s_and_saveexec_b32 s22, vcc_lo
	s_cbranch_execz .LBB101_142
; %bb.146:                              ;   in Loop: Header=BB101_143 Depth=2
	s_waitcnt lgkmcnt(0)
	v_xor_b32_e32 v3, 0x80000000, v5
	v_and_b32_e32 v12, s62, v4
	s_delay_alu instid0(VALU_DEP_2) | instskip(NEXT) | instid1(VALU_DEP_1)
	v_and_b32_e32 v13, s63, v3
	v_cmp_eq_u64_e32 vcc_lo, s[60:61], v[12:13]
	s_and_b32 exec_lo, exec_lo, vcc_lo
	s_cbranch_execz .LBB101_142
; %bb.147:                              ;   in Loop: Header=BB101_143 Depth=2
	v_mov_b32_e32 v3, v16
	ds_store_b128 v16, v[2:5] offset:3072
	s_branch .LBB101_142
.LBB101_148:                            ;   in Loop: Header=BB101_15 Depth=1
                                        ; implicit-def: $sgpr22
                                        ; implicit-def: $sgpr23
                                        ; implicit-def: $sgpr19
	s_branch .LBB101_167
.LBB101_149:                            ;   in Loop: Header=BB101_15 Depth=1
                                        ; implicit-def: $vgpr3_vgpr4
	s_branch .LBB101_94
.LBB101_150:                            ;   in Loop: Header=BB101_15 Depth=1
                                        ; implicit-def: $vgpr3_vgpr4
	s_branch .LBB101_109
.LBB101_151:                            ;   in Loop: Header=BB101_15 Depth=1
	s_mov_b32 s22, -1
	s_mov_b32 s4, 0
                                        ; implicit-def: $sgpr19
                                        ; implicit-def: $vgpr5_vgpr6
	s_mov_b32 s23, s22
	s_cbranch_execnz .LBB101_154
	s_branch .LBB101_167
.LBB101_152:                            ;   in Loop: Header=BB101_15 Depth=1
	s_set_inst_prefetch_distance 0x2
	s_or_b32 exec_lo, exec_lo, s19
	s_delay_alu instid0(SALU_CYCLE_1)
	s_and_b32 s4, s4, exec_lo
.LBB101_153:                            ;   in Loop: Header=BB101_15 Depth=1
	s_or_b32 exec_lo, exec_lo, s5
	s_mov_b32 s19, -1
	s_mov_b32 s22, 0
	s_delay_alu instid0(SALU_CYCLE_1)
	s_mov_b32 s23, s22
	s_branch .LBB101_167
.LBB101_154:                            ;   in Loop: Header=BB101_15 Depth=1
	s_mov_b32 s56, s55
	s_delay_alu instid0(SALU_CYCLE_1)
	s_cmp_lg_u64 s[56:57], 0
	s_cbranch_scc0 .LBB101_197
; %bb.155:                              ;   in Loop: Header=BB101_15 Depth=1
	v_cvt_f32_u32_e32 v3, s41
	s_sub_u32 s16, 0, s41
	s_subb_u32 s17, 0, 0
	s_delay_alu instid0(VALU_DEP_1) | instskip(NEXT) | instid1(VALU_DEP_1)
	v_fmac_f32_e64 v3, 0, 0x4f800000
	v_rcp_f32_e32 v3, v3
	s_waitcnt_depctr 0xfff
	v_mul_f32_e32 v3, 0x5f7ffffc, v3
	s_delay_alu instid0(VALU_DEP_1) | instskip(NEXT) | instid1(VALU_DEP_1)
	v_mul_f32_e32 v4, 0x2f800000, v3
	v_trunc_f32_e32 v4, v4
	s_delay_alu instid0(VALU_DEP_1) | instskip(SKIP_1) | instid1(VALU_DEP_2)
	v_fmac_f32_e32 v3, 0xcf800000, v4
	v_cvt_u32_f32_e32 v4, v4
	v_cvt_u32_f32_e32 v3, v3
	s_delay_alu instid0(VALU_DEP_2) | instskip(NEXT) | instid1(VALU_DEP_2)
	v_readfirstlane_b32 s4, v4
	v_readfirstlane_b32 s5, v3
	s_delay_alu instid0(VALU_DEP_2) | instskip(NEXT) | instid1(VALU_DEP_1)
	s_mul_i32 s19, s16, s4
	s_mul_hi_u32 s23, s16, s5
	s_mul_i32 s22, s17, s5
	s_add_i32 s19, s23, s19
	s_mul_i32 s54, s16, s5
	s_add_i32 s19, s19, s22
	s_mul_hi_u32 s23, s5, s54
	s_mul_hi_u32 s56, s4, s54
	s_mul_i32 s22, s4, s54
	s_mul_hi_u32 s54, s5, s19
	s_mul_i32 s5, s5, s19
	s_mul_hi_u32 s65, s4, s19
	s_add_u32 s5, s23, s5
	s_addc_u32 s23, 0, s54
	s_add_u32 s5, s5, s22
	s_mul_i32 s19, s4, s19
	s_addc_u32 s5, s23, s56
	s_addc_u32 s22, s65, 0
	s_add_u32 s5, s5, s19
	s_addc_u32 s19, 0, s22
	v_add_co_u32 v3, s5, v3, s5
	s_delay_alu instid0(VALU_DEP_1) | instskip(SKIP_1) | instid1(VALU_DEP_1)
	s_cmp_lg_u32 s5, 0
	s_addc_u32 s4, s4, s19
	v_readfirstlane_b32 s5, v3
	s_mul_i32 s19, s16, s4
	s_delay_alu instid0(VALU_DEP_1)
	s_mul_hi_u32 s22, s16, s5
	s_mul_i32 s17, s17, s5
	s_add_i32 s19, s22, s19
	s_mul_i32 s16, s16, s5
	s_add_i32 s19, s19, s17
	s_mul_hi_u32 s22, s4, s16
	s_mul_i32 s23, s4, s16
	s_mul_hi_u32 s16, s5, s16
	s_mul_hi_u32 s54, s5, s19
	s_mul_i32 s5, s5, s19
	s_mul_hi_u32 s17, s4, s19
	s_add_u32 s5, s16, s5
	s_addc_u32 s16, 0, s54
	s_add_u32 s5, s5, s23
	s_mul_i32 s19, s4, s19
	s_addc_u32 s5, s16, s22
	s_addc_u32 s16, s17, 0
	s_add_u32 s5, s5, s19
	s_addc_u32 s16, 0, s16
	v_add_co_u32 v3, s5, v3, s5
	s_delay_alu instid0(VALU_DEP_1) | instskip(SKIP_1) | instid1(VALU_DEP_1)
	s_cmp_lg_u32 s5, 0
	s_addc_u32 s4, s4, s16
	v_readfirstlane_b32 s5, v3
	s_mul_i32 s17, s77, s4
	s_mul_hi_u32 s16, s77, s4
	s_mul_hi_u32 s19, s57, s4
	s_mul_i32 s4, s57, s4
	s_mul_hi_u32 s22, s77, s5
	s_mul_hi_u32 s23, s57, s5
	s_mul_i32 s5, s57, s5
	s_add_u32 s17, s22, s17
	s_addc_u32 s16, 0, s16
	s_add_u32 s5, s17, s5
	s_addc_u32 s5, s16, s23
	s_addc_u32 s16, s19, 0
	s_add_u32 s4, s5, s4
	s_addc_u32 s5, 0, s16
	s_mul_hi_u32 s16, s41, s4
	s_mul_i32 s4, s41, s4
	s_mul_i32 s5, s41, s5
	v_sub_co_u32 v3, s4, s77, s4
	s_add_i32 s16, s16, s5
	s_cmp_lg_u32 s4, 0
	s_delay_alu instid0(VALU_DEP_1) | instskip(SKIP_2) | instid1(VALU_DEP_1)
	v_sub_co_u32 v4, s4, v3, s41
	s_subb_u32 s5, s57, s16
	s_cmp_lg_u32 s4, 0
	v_cmp_le_u32_e32 vcc_lo, s41, v4
	v_sub_co_u32 v5, s4, v4, s41
	s_subb_u32 s16, s5, 0
	s_cmp_lg_u32 s4, 0
	v_cndmask_b32_e64 v6, 0, -1, vcc_lo
	s_subb_u32 s4, s16, 0
	s_cmp_eq_u32 s16, 0
	v_mov_b32_e32 v8, s4
	s_cselect_b32 vcc_lo, -1, 0
	s_cmp_eq_u32 s5, 0
	v_cndmask_b32_e32 v6, -1, v6, vcc_lo
	v_cmp_le_u32_e32 vcc_lo, s41, v3
	s_cselect_b32 s4, -1, 0
	v_cndmask_b32_e64 v7, 0, -1, vcc_lo
	s_delay_alu instid0(VALU_DEP_3) | instskip(NEXT) | instid1(VALU_DEP_2)
	v_cmp_ne_u32_e32 vcc_lo, 0, v6
	v_cndmask_b32_e64 v6, -1, v7, s4
	v_cndmask_b32_e32 v7, s16, v8, vcc_lo
	v_cndmask_b32_e32 v5, v4, v5, vcc_lo
	s_delay_alu instid0(VALU_DEP_3) | instskip(NEXT) | instid1(VALU_DEP_3)
	v_cmp_ne_u32_e32 vcc_lo, 0, v6
	v_cndmask_b32_e32 v4, s5, v7, vcc_lo
	s_delay_alu instid0(VALU_DEP_3)
	v_cndmask_b32_e32 v3, v3, v5, vcc_lo
	s_cbranch_execnz .LBB101_157
.LBB101_156:                            ;   in Loop: Header=BB101_15 Depth=1
	v_cvt_f32_u32_e32 v3, s41
	s_sub_i32 s4, 0, s41
	s_delay_alu instid0(VALU_DEP_1) | instskip(SKIP_2) | instid1(VALU_DEP_1)
	v_rcp_iflag_f32_e32 v3, v3
	s_waitcnt_depctr 0xfff
	v_mul_f32_e32 v3, 0x4f7ffffe, v3
	v_cvt_u32_f32_e32 v3, v3
	s_delay_alu instid0(VALU_DEP_1) | instskip(NEXT) | instid1(VALU_DEP_1)
	v_mul_lo_u32 v4, s4, v3
	v_mul_hi_u32 v4, v3, v4
	s_delay_alu instid0(VALU_DEP_1) | instskip(NEXT) | instid1(VALU_DEP_1)
	v_add_nc_u32_e32 v3, v3, v4
	v_mul_hi_u32 v3, s77, v3
	s_delay_alu instid0(VALU_DEP_1) | instskip(NEXT) | instid1(VALU_DEP_1)
	v_mul_lo_u32 v3, v3, s41
	v_sub_nc_u32_e32 v3, s77, v3
	s_delay_alu instid0(VALU_DEP_1) | instskip(SKIP_1) | instid1(VALU_DEP_2)
	v_subrev_nc_u32_e32 v4, s41, v3
	v_cmp_le_u32_e32 vcc_lo, s41, v3
	v_cndmask_b32_e32 v3, v3, v4, vcc_lo
	s_delay_alu instid0(VALU_DEP_1) | instskip(SKIP_1) | instid1(VALU_DEP_2)
	v_subrev_nc_u32_e32 v4, s41, v3
	v_cmp_le_u32_e32 vcc_lo, s41, v3
	v_cndmask_b32_e32 v15, v3, v4, vcc_lo
	s_delay_alu instid0(VALU_DEP_1)
	v_dual_mov_b32 v3, v15 :: v_dual_mov_b32 v4, v16
.LBB101_157:                            ;   in Loop: Header=BB101_15 Depth=1
	s_delay_alu instid0(VALU_DEP_1) | instskip(NEXT) | instid1(VALU_DEP_2)
	v_sub_co_u32 v7, vcc_lo, s77, v3
	v_sub_co_ci_u32_e32 v8, vcc_lo, s57, v4, vcc_lo
	s_mov_b32 s4, 0
	s_mov_b32 s5, exec_lo
                                        ; implicit-def: $vgpr5_vgpr6
	s_delay_alu instid0(VALU_DEP_1)
	v_cmpx_gt_u64_e64 v[7:8], v[0:1]
	s_cbranch_execz .LBB101_166
; %bb.158:                              ;   in Loop: Header=BB101_15 Depth=1
	v_dual_mov_b32 v10, v1 :: v_dual_mov_b32 v9, v0
	s_mov_b32 s17, 0
                                        ; implicit-def: $sgpr16
	s_branch .LBB101_160
.LBB101_159:                            ;   in Loop: Header=BB101_160 Depth=2
	s_or_b32 exec_lo, exec_lo, s4
	s_waitcnt vmcnt(0) lgkmcnt(0)
	s_barrier
	buffer_gl0_inv
	ds_load_b128 v[3:6], v16 offset:3072
	v_add_co_u32 v9, vcc_lo, v9, s41
	v_add_co_ci_u32_e32 v10, vcc_lo, 0, v10, vcc_lo
	s_waitcnt lgkmcnt(0)
	s_barrier
	buffer_gl0_inv
	v_cmp_ge_u64_e32 vcc_lo, v[9:10], v[7:8]
	v_readfirstlane_b32 s23, v4
	v_readfirstlane_b32 s22, v3
	s_delay_alu instid0(VALU_DEP_1) | instskip(SKIP_1) | instid1(SALU_CYCLE_1)
	s_cmp_lg_u64 s[22:23], 0
	s_cselect_b32 s4, -1, 0
	s_or_b32 s19, vcc_lo, s4
	s_delay_alu instid0(SALU_CYCLE_1) | instskip(NEXT) | instid1(SALU_CYCLE_1)
	s_and_b32 s19, exec_lo, s19
	s_or_b32 s17, s19, s17
	s_and_not1_b32 s16, s16, exec_lo
	s_and_b32 s4, s4, exec_lo
	s_delay_alu instid0(SALU_CYCLE_1)
	s_or_b32 s16, s16, s4
	s_and_not1_b32 exec_lo, exec_lo, s17
	s_cbranch_execz .LBB101_165
.LBB101_160:                            ;   Parent Loop BB101_15 Depth=1
                                        ; =>  This Inner Loop Header: Depth=2
	s_delay_alu instid0(VALU_DEP_1)
	v_cmp_gt_u64_e32 vcc_lo, s[24:25], v[9:10]
	v_mov_b32_e32 v4, 0
	v_mov_b32_e32 v5, 0
	s_and_saveexec_b32 s19, vcc_lo
	s_cbranch_execz .LBB101_162
; %bb.161:                              ;   in Loop: Header=BB101_160 Depth=2
	v_mul_lo_u32 v5, v10, s42
	v_mul_lo_u32 v6, v9, s43
	v_mad_u64_u32 v[3:4], null, v9, s42, 0
	s_delay_alu instid0(VALU_DEP_1) | instskip(NEXT) | instid1(VALU_DEP_1)
	v_add3_u32 v4, v4, v6, v5
	v_lshlrev_b64 v[3:4], 3, v[3:4]
	s_delay_alu instid0(VALU_DEP_1) | instskip(NEXT) | instid1(VALU_DEP_1)
	v_add_co_u32 v3, s4, s33, v3
	v_add_co_ci_u32_e64 v4, s4, s35, v4, s4
	global_load_b64 v[4:5], v[3:4], off
.LBB101_162:                            ;   in Loop: Header=BB101_160 Depth=2
	s_or_b32 exec_lo, exec_lo, s19
	s_and_saveexec_b32 s4, vcc_lo
	s_cbranch_execz .LBB101_159
; %bb.163:                              ;   in Loop: Header=BB101_160 Depth=2
	s_waitcnt vmcnt(0)
	v_xor_b32_e32 v3, 0x80000000, v5
	v_and_b32_e32 v11, s62, v4
	s_delay_alu instid0(VALU_DEP_2) | instskip(NEXT) | instid1(VALU_DEP_1)
	v_and_b32_e32 v12, s63, v3
	v_cmp_eq_u64_e32 vcc_lo, s[60:61], v[11:12]
	s_and_b32 exec_lo, exec_lo, vcc_lo
	s_cbranch_execz .LBB101_159
; %bb.164:                              ;   in Loop: Header=BB101_160 Depth=2
	v_mov_b32_e32 v3, v16
	ds_store_b128 v16, v[2:5] offset:3072
	s_branch .LBB101_159
.LBB101_165:                            ;   in Loop: Header=BB101_15 Depth=1
	s_or_b32 exec_lo, exec_lo, s17
	s_delay_alu instid0(SALU_CYCLE_1)
	s_and_b32 s4, s16, exec_lo
.LBB101_166:                            ;   in Loop: Header=BB101_15 Depth=1
	s_or_b32 exec_lo, exec_lo, s5
	s_mov_b32 s23, -1
	s_mov_b32 s22, 0
	s_mov_b32 s19, 0
.LBB101_167:                            ;   in Loop: Header=BB101_15 Depth=1
	s_mov_b32 s5, 0
                                        ; implicit-def: $sgpr56
	s_and_saveexec_b32 s54, s4
	s_cbranch_execz .LBB101_278
; %bb.168:                              ;   in Loop: Header=BB101_15 Depth=1
	s_xor_b32 s4, s64, -1
	s_mov_b32 s56, 1
	s_and_not1_b32 vcc_lo, exec_lo, s4
	s_cbranch_vccnz .LBB101_179
; %bb.169:                              ;   in Loop: Header=BB101_15 Depth=1
	v_cmp_gt_u64_e64 s4, s[52:53], s[14:15]
	s_mov_b32 s64, -1
                                        ; implicit-def: $sgpr56
                                        ; implicit-def: $sgpr16_sgpr17
	s_delay_alu instid0(VALU_DEP_1)
	s_and_b32 vcc_lo, exec_lo, s4
                                        ; implicit-def: $sgpr4_sgpr5
	s_cbranch_vccnz .LBB101_175
; %bb.170:                              ;   in Loop: Header=BB101_15 Depth=1
	ds_load_b64 v[3:4], v16 offset:5120
	s_waitcnt lgkmcnt(0)
	v_cmp_ne_u64_e32 vcc_lo, 0, v[3:4]
	s_cbranch_vccnz .LBB101_174
; %bb.171:                              ;   in Loop: Header=BB101_15 Depth=1
	s_and_saveexec_b32 s4, s2
	s_cbranch_execz .LBB101_173
; %bb.172:                              ;   in Loop: Header=BB101_15 Depth=1
	v_dual_mov_b32 v3, s14 :: v_dual_mov_b32 v4, s15
	ds_store_b64 v16, v[3:4] offset:5128
.LBB101_173:                            ;   in Loop: Header=BB101_15 Depth=1
	s_or_b32 exec_lo, exec_lo, s4
	s_waitcnt lgkmcnt(0)
	s_barrier
	buffer_gl0_inv
.LBB101_174:                            ;   in Loop: Header=BB101_15 Depth=1
	s_lshl_b64 s[4:5], 1, s21
	s_and_b64 s[16:17], s[60:61], s[12:13]
	s_mov_b32 s64, 0
	s_or_b64 s[4:5], s[16:17], s[4:5]
	s_or_b64 s[16:17], s[62:63], s[8:9]
	s_mov_b32 s56, 8
.LBB101_175:                            ;   in Loop: Header=BB101_15 Depth=1
	s_and_not1_b32 vcc_lo, exec_lo, s64
	s_cbranch_vccnz .LBB101_177
; %bb.176:                              ;   in Loop: Header=BB101_15 Depth=1
	s_sub_u32 s52, s52, s14
	s_subb_u32 s53, s53, s15
	s_mov_b32 s64, -1
	s_mov_b32 s56, 0
	s_mov_b64 s[4:5], s[60:61]
	s_mov_b64 s[16:17], s[62:63]
.LBB101_177:                            ;   in Loop: Header=BB101_15 Depth=1
	s_delay_alu instid0(SALU_CYCLE_1)
	s_mov_b64 s[62:63], s[16:17]
	s_mov_b64 s[60:61], s[4:5]
	s_and_not1_b32 vcc_lo, exec_lo, s64
	s_mov_b32 s5, -1
	s_cbranch_vccz .LBB101_180
.LBB101_178:                            ;   in Loop: Header=BB101_15 Depth=1
                                        ; implicit-def: $sgpr17
                                        ; implicit-def: $sgpr64
                                        ; implicit-def: $sgpr16
	s_branch .LBB101_277
.LBB101_179:                            ;   in Loop: Header=BB101_15 Depth=1
	s_mov_b64 s[52:53], 1
	s_mov_b32 s5, -1
	s_cbranch_execnz .LBB101_178
.LBB101_180:                            ;   in Loop: Header=BB101_15 Depth=1
	s_cmp_eq_u64 s[10:11], 1
	s_cselect_b32 s4, -1, 0
	s_cmp_eq_u64 s[52:53], 1
	s_cselect_b32 s5, -1, 0
	s_delay_alu instid0(SALU_CYCLE_1)
	s_and_b32 s66, s4, s5
	s_mov_b32 s4, -1
	s_and_b32 vcc_lo, exec_lo, s66
	s_cbranch_vccz .LBB101_195
; %bb.181:                              ;   in Loop: Header=BB101_15 Depth=1
	ds_load_b64 v[3:4], v16 offset:5120
	s_waitcnt lgkmcnt(0)
	s_barrier
	buffer_gl0_inv
	v_readfirstlane_b32 s14, v3
	v_readfirstlane_b32 s15, v4
	s_and_saveexec_b32 s4, s3
	s_cbranch_execz .LBB101_183
; %bb.182:                              ;   in Loop: Header=BB101_15 Depth=1
	v_mov_b32_e32 v15, v16
	ds_store_b64 v27, v[15:16]
.LBB101_183:                            ;   in Loop: Header=BB101_15 Depth=1
	s_or_b32 exec_lo, exec_lo, s4
	s_lshl_b64 s[4:5], 2, s21
	s_and_b64 s[16:17], s[60:61], s[12:13]
	s_or_b64 s[62:63], s[62:63], s[8:9]
	s_or_b64 s[60:61], s[16:17], s[4:5]
	s_cmp_eq_u64 s[14:15], 0
	s_waitcnt lgkmcnt(0)
	s_barrier
	buffer_gl0_inv
	s_cbranch_scc1 .LBB101_198
; %bb.184:                              ;   in Loop: Header=BB101_15 Depth=1
	s_add_u32 s16, s75, s14
	s_addc_u32 s5, s76, s15
	s_mov_b32 s4, s55
	s_delay_alu instid0(SALU_CYCLE_1)
	s_cmp_lg_u64 s[4:5], 0
	s_cbranch_scc0 .LBB101_243
; %bb.185:                              ;   in Loop: Header=BB101_15 Depth=1
	v_cvt_f32_u32_e32 v3, s41
	s_sub_u32 s56, 0, s41
	s_subb_u32 s64, 0, 0
	s_delay_alu instid0(VALU_DEP_1) | instskip(NEXT) | instid1(VALU_DEP_1)
	v_fmac_f32_e64 v3, 0, 0x4f800000
	v_rcp_f32_e32 v3, v3
	s_waitcnt_depctr 0xfff
	v_mul_f32_e32 v3, 0x5f7ffffc, v3
	s_delay_alu instid0(VALU_DEP_1) | instskip(NEXT) | instid1(VALU_DEP_1)
	v_mul_f32_e32 v4, 0x2f800000, v3
	v_trunc_f32_e32 v4, v4
	s_delay_alu instid0(VALU_DEP_1) | instskip(SKIP_1) | instid1(VALU_DEP_2)
	v_fmac_f32_e32 v3, 0xcf800000, v4
	v_cvt_u32_f32_e32 v4, v4
	v_cvt_u32_f32_e32 v3, v3
	s_delay_alu instid0(VALU_DEP_2) | instskip(NEXT) | instid1(VALU_DEP_2)
	v_readfirstlane_b32 s4, v4
	v_readfirstlane_b32 s17, v3
	s_delay_alu instid0(VALU_DEP_2) | instskip(NEXT) | instid1(VALU_DEP_1)
	s_mul_i32 s65, s56, s4
	s_mul_hi_u32 s68, s56, s17
	s_mul_i32 s67, s64, s17
	s_add_i32 s65, s68, s65
	s_mul_i32 s69, s56, s17
	s_add_i32 s65, s65, s67
	s_mul_hi_u32 s68, s17, s69
	s_mul_hi_u32 s70, s4, s69
	s_mul_i32 s67, s4, s69
	s_mul_hi_u32 s69, s17, s65
	s_mul_i32 s17, s17, s65
	s_mul_hi_u32 s71, s4, s65
	s_add_u32 s17, s68, s17
	s_addc_u32 s68, 0, s69
	s_add_u32 s17, s17, s67
	s_mul_i32 s65, s4, s65
	s_addc_u32 s17, s68, s70
	s_addc_u32 s67, s71, 0
	s_add_u32 s17, s17, s65
	s_addc_u32 s65, 0, s67
	v_add_co_u32 v3, s17, v3, s17
	s_delay_alu instid0(VALU_DEP_1) | instskip(SKIP_1) | instid1(VALU_DEP_1)
	s_cmp_lg_u32 s17, 0
	s_addc_u32 s4, s4, s65
	v_readfirstlane_b32 s17, v3
	s_mul_i32 s65, s56, s4
	s_delay_alu instid0(VALU_DEP_1)
	s_mul_hi_u32 s67, s56, s17
	s_mul_i32 s64, s64, s17
	s_add_i32 s65, s67, s65
	s_mul_i32 s56, s56, s17
	s_add_i32 s65, s65, s64
	s_mul_hi_u32 s67, s4, s56
	s_mul_i32 s68, s4, s56
	s_mul_hi_u32 s56, s17, s56
	s_mul_hi_u32 s69, s17, s65
	s_mul_i32 s17, s17, s65
	s_mul_hi_u32 s64, s4, s65
	s_add_u32 s17, s56, s17
	s_addc_u32 s56, 0, s69
	s_add_u32 s17, s17, s68
	s_mul_i32 s65, s4, s65
	s_addc_u32 s17, s56, s67
	s_addc_u32 s56, s64, 0
	s_add_u32 s17, s17, s65
	s_addc_u32 s56, 0, s56
	v_add_co_u32 v3, s17, v3, s17
	s_delay_alu instid0(VALU_DEP_1) | instskip(SKIP_1) | instid1(VALU_DEP_1)
	s_cmp_lg_u32 s17, 0
	s_addc_u32 s4, s4, s56
	v_readfirstlane_b32 s17, v3
	s_mul_i32 s64, s16, s4
	s_mul_hi_u32 s56, s16, s4
	s_mul_hi_u32 s65, s5, s4
	s_mul_i32 s4, s5, s4
	s_mul_hi_u32 s67, s16, s17
	s_mul_hi_u32 s68, s5, s17
	s_mul_i32 s17, s5, s17
	s_add_u32 s64, s67, s64
	s_addc_u32 s56, 0, s56
	s_add_u32 s17, s64, s17
	s_addc_u32 s17, s56, s68
	s_addc_u32 s56, s65, 0
	s_add_u32 s4, s17, s4
	s_addc_u32 s17, 0, s56
	s_mul_hi_u32 s56, s41, s4
	s_mul_i32 s4, s41, s4
	s_mul_i32 s17, s41, s17
	v_sub_co_u32 v3, s4, s16, s4
	s_add_i32 s56, s56, s17
	s_cmp_lg_u32 s4, 0
	s_delay_alu instid0(VALU_DEP_1) | instskip(SKIP_2) | instid1(VALU_DEP_1)
	v_sub_co_u32 v4, s4, v3, s41
	s_subb_u32 s17, s5, s56
	s_cmp_lg_u32 s4, 0
	v_cmp_le_u32_e32 vcc_lo, s41, v4
	v_sub_co_u32 v5, s4, v4, s41
	s_subb_u32 s56, s17, 0
	s_cmp_lg_u32 s4, 0
	v_cndmask_b32_e64 v6, 0, -1, vcc_lo
	s_subb_u32 s4, s56, 0
	s_cmp_eq_u32 s56, 0
	v_mov_b32_e32 v8, s4
	s_cselect_b32 vcc_lo, -1, 0
	s_cmp_eq_u32 s17, 0
	v_cndmask_b32_e32 v6, -1, v6, vcc_lo
	v_cmp_le_u32_e32 vcc_lo, s41, v3
	s_cselect_b32 s4, -1, 0
	v_cndmask_b32_e64 v7, 0, -1, vcc_lo
	s_delay_alu instid0(VALU_DEP_3) | instskip(NEXT) | instid1(VALU_DEP_2)
	v_cmp_ne_u32_e32 vcc_lo, 0, v6
	v_cndmask_b32_e64 v6, -1, v7, s4
	v_cndmask_b32_e32 v7, s56, v8, vcc_lo
	v_cndmask_b32_e32 v5, v4, v5, vcc_lo
	s_delay_alu instid0(VALU_DEP_3) | instskip(NEXT) | instid1(VALU_DEP_3)
	v_cmp_ne_u32_e32 vcc_lo, 0, v6
	v_cndmask_b32_e32 v4, s17, v7, vcc_lo
	s_delay_alu instid0(VALU_DEP_3)
	v_cndmask_b32_e32 v3, v3, v5, vcc_lo
	s_cbranch_execnz .LBB101_187
.LBB101_186:                            ;   in Loop: Header=BB101_15 Depth=1
	v_cvt_f32_u32_e32 v3, s41
	s_sub_i32 s4, 0, s41
	s_delay_alu instid0(VALU_DEP_1) | instskip(SKIP_2) | instid1(VALU_DEP_1)
	v_rcp_iflag_f32_e32 v3, v3
	s_waitcnt_depctr 0xfff
	v_mul_f32_e32 v3, 0x4f7ffffe, v3
	v_cvt_u32_f32_e32 v3, v3
	s_delay_alu instid0(VALU_DEP_1) | instskip(NEXT) | instid1(VALU_DEP_1)
	v_mul_lo_u32 v4, s4, v3
	v_mul_hi_u32 v4, v3, v4
	s_delay_alu instid0(VALU_DEP_1) | instskip(NEXT) | instid1(VALU_DEP_1)
	v_add_nc_u32_e32 v3, v3, v4
	v_mul_hi_u32 v3, s16, v3
	s_delay_alu instid0(VALU_DEP_1) | instskip(NEXT) | instid1(VALU_DEP_1)
	v_mul_lo_u32 v3, v3, s41
	v_sub_nc_u32_e32 v3, s16, v3
	s_delay_alu instid0(VALU_DEP_1) | instskip(SKIP_1) | instid1(VALU_DEP_2)
	v_subrev_nc_u32_e32 v4, s41, v3
	v_cmp_le_u32_e32 vcc_lo, s41, v3
	v_cndmask_b32_e32 v3, v3, v4, vcc_lo
	s_delay_alu instid0(VALU_DEP_1) | instskip(SKIP_1) | instid1(VALU_DEP_2)
	v_subrev_nc_u32_e32 v4, s41, v3
	v_cmp_le_u32_e32 vcc_lo, s41, v3
	v_cndmask_b32_e32 v15, v3, v4, vcc_lo
	s_delay_alu instid0(VALU_DEP_1)
	v_dual_mov_b32 v3, v15 :: v_dual_mov_b32 v4, v16
.LBB101_187:                            ;   in Loop: Header=BB101_15 Depth=1
	s_delay_alu instid0(VALU_DEP_1) | instskip(NEXT) | instid1(VALU_DEP_2)
	v_sub_co_u32 v7, vcc_lo, s16, v3
	v_sub_co_ci_u32_e32 v8, vcc_lo, s5, v4, vcc_lo
	s_mov_b32 s4, 0
	s_mov_b32 s5, exec_lo
                                        ; implicit-def: $vgpr5_vgpr6
	s_delay_alu instid0(VALU_DEP_1)
	v_cmpx_gt_u64_e64 v[7:8], v[0:1]
	s_cbranch_execz .LBB101_200
; %bb.188:                              ;   in Loop: Header=BB101_15 Depth=1
	v_dual_mov_b32 v11, v26 :: v_dual_mov_b32 v10, v1
	v_mov_b32_e32 v9, v0
	s_mov_b32 s16, 0
                                        ; implicit-def: $sgpr4
	s_set_inst_prefetch_distance 0x1
	s_branch .LBB101_190
	.p2align	6
.LBB101_189:                            ;   in Loop: Header=BB101_190 Depth=2
	s_or_b32 exec_lo, exec_lo, s17
	s_waitcnt lgkmcnt(0)
	s_barrier
	buffer_gl0_inv
	ds_load_b128 v[3:6], v16 offset:3072
	v_add_co_u32 v9, vcc_lo, v9, s41
	v_add_co_ci_u32_e32 v10, vcc_lo, 0, v10, vcc_lo
	v_add_nc_u32_e32 v11, s83, v11
	s_waitcnt lgkmcnt(0)
	s_barrier
	s_delay_alu instid0(VALU_DEP_2) | instskip(SKIP_3) | instid1(VALU_DEP_1)
	v_cmp_ge_u64_e32 vcc_lo, v[9:10], v[7:8]
	buffer_gl0_inv
	v_readfirstlane_b32 s65, v4
	v_readfirstlane_b32 s64, v3
	s_cmp_lg_u64 s[64:65], 0
	s_cselect_b32 s17, -1, 0
	s_delay_alu instid0(SALU_CYCLE_1) | instskip(NEXT) | instid1(SALU_CYCLE_1)
	s_or_b32 s56, vcc_lo, s17
	s_and_b32 s56, exec_lo, s56
	s_delay_alu instid0(SALU_CYCLE_1) | instskip(SKIP_2) | instid1(SALU_CYCLE_1)
	s_or_b32 s16, s56, s16
	s_and_not1_b32 s4, s4, exec_lo
	s_and_b32 s17, s17, exec_lo
	s_or_b32 s4, s4, s17
	s_and_not1_b32 exec_lo, exec_lo, s16
	s_cbranch_execz .LBB101_199
.LBB101_190:                            ;   Parent Loop BB101_15 Depth=1
                                        ; =>  This Inner Loop Header: Depth=2
	s_delay_alu instid0(VALU_DEP_1)
	v_cmp_gt_u64_e32 vcc_lo, s[14:15], v[9:10]
	v_mov_b32_e32 v4, 0
	v_mov_b32_e32 v5, 0
	s_and_saveexec_b32 s17, vcc_lo
	s_cbranch_execz .LBB101_192
; %bb.191:                              ;   in Loop: Header=BB101_190 Depth=2
	ds_load_b64 v[4:5], v11
.LBB101_192:                            ;   in Loop: Header=BB101_190 Depth=2
	s_or_b32 exec_lo, exec_lo, s17
	s_and_saveexec_b32 s17, vcc_lo
	s_cbranch_execz .LBB101_189
; %bb.193:                              ;   in Loop: Header=BB101_190 Depth=2
	s_waitcnt lgkmcnt(0)
	v_xor_b32_e32 v3, 0x80000000, v5
	v_and_b32_e32 v12, s62, v4
	s_delay_alu instid0(VALU_DEP_2) | instskip(NEXT) | instid1(VALU_DEP_1)
	v_and_b32_e32 v13, s63, v3
	v_cmp_eq_u64_e32 vcc_lo, s[60:61], v[12:13]
	s_and_b32 exec_lo, exec_lo, vcc_lo
	s_cbranch_execz .LBB101_189
; %bb.194:                              ;   in Loop: Header=BB101_190 Depth=2
	v_mov_b32_e32 v3, v16
	ds_store_b128 v16, v[2:5] offset:3072
	s_branch .LBB101_189
.LBB101_195:                            ;   in Loop: Header=BB101_15 Depth=1
                                        ; implicit-def: $sgpr16
                                        ; implicit-def: $sgpr64
                                        ; implicit-def: $sgpr17
	s_branch .LBB101_214
.LBB101_196:                            ;   in Loop: Header=BB101_15 Depth=1
                                        ; implicit-def: $vgpr3_vgpr4
	s_branch .LBB101_139
.LBB101_197:                            ;   in Loop: Header=BB101_15 Depth=1
                                        ; implicit-def: $vgpr3_vgpr4
	s_branch .LBB101_156
.LBB101_198:                            ;   in Loop: Header=BB101_15 Depth=1
	s_mov_b32 s16, -1
	s_mov_b32 s4, 0
                                        ; implicit-def: $sgpr17
                                        ; implicit-def: $vgpr5_vgpr6
	s_mov_b32 s64, s16
	s_cbranch_execnz .LBB101_201
	s_branch .LBB101_214
.LBB101_199:                            ;   in Loop: Header=BB101_15 Depth=1
	s_set_inst_prefetch_distance 0x2
	s_or_b32 exec_lo, exec_lo, s16
	s_delay_alu instid0(SALU_CYCLE_1)
	s_and_b32 s4, s4, exec_lo
.LBB101_200:                            ;   in Loop: Header=BB101_15 Depth=1
	s_or_b32 exec_lo, exec_lo, s5
	s_mov_b32 s17, -1
	s_mov_b32 s16, 0
	s_delay_alu instid0(SALU_CYCLE_1)
	s_mov_b32 s64, s16
	s_branch .LBB101_214
.LBB101_201:                            ;   in Loop: Header=BB101_15 Depth=1
	s_mov_b32 s56, s55
	s_delay_alu instid0(SALU_CYCLE_1)
	s_cmp_lg_u64 s[56:57], 0
	s_cbranch_scc0 .LBB101_244
; %bb.202:                              ;   in Loop: Header=BB101_15 Depth=1
	v_cvt_f32_u32_e32 v3, s41
	s_sub_u32 s14, 0, s41
	s_subb_u32 s15, 0, 0
	s_delay_alu instid0(VALU_DEP_1) | instskip(NEXT) | instid1(VALU_DEP_1)
	v_fmac_f32_e64 v3, 0, 0x4f800000
	v_rcp_f32_e32 v3, v3
	s_waitcnt_depctr 0xfff
	v_mul_f32_e32 v3, 0x5f7ffffc, v3
	s_delay_alu instid0(VALU_DEP_1) | instskip(NEXT) | instid1(VALU_DEP_1)
	v_mul_f32_e32 v4, 0x2f800000, v3
	v_trunc_f32_e32 v4, v4
	s_delay_alu instid0(VALU_DEP_1) | instskip(SKIP_1) | instid1(VALU_DEP_2)
	v_fmac_f32_e32 v3, 0xcf800000, v4
	v_cvt_u32_f32_e32 v4, v4
	v_cvt_u32_f32_e32 v3, v3
	s_delay_alu instid0(VALU_DEP_2) | instskip(NEXT) | instid1(VALU_DEP_2)
	v_readfirstlane_b32 s4, v4
	v_readfirstlane_b32 s5, v3
	s_delay_alu instid0(VALU_DEP_2) | instskip(NEXT) | instid1(VALU_DEP_1)
	s_mul_i32 s16, s14, s4
	s_mul_hi_u32 s56, s14, s5
	s_mul_i32 s17, s15, s5
	s_add_i32 s16, s56, s16
	s_mul_i32 s64, s14, s5
	s_add_i32 s16, s16, s17
	s_mul_hi_u32 s56, s5, s64
	s_mul_hi_u32 s65, s4, s64
	s_mul_i32 s17, s4, s64
	s_mul_hi_u32 s64, s5, s16
	s_mul_i32 s5, s5, s16
	s_mul_hi_u32 s67, s4, s16
	s_add_u32 s5, s56, s5
	s_addc_u32 s56, 0, s64
	s_add_u32 s5, s5, s17
	s_mul_i32 s16, s4, s16
	s_addc_u32 s5, s56, s65
	s_addc_u32 s17, s67, 0
	s_add_u32 s5, s5, s16
	s_addc_u32 s16, 0, s17
	v_add_co_u32 v3, s5, v3, s5
	s_delay_alu instid0(VALU_DEP_1) | instskip(SKIP_1) | instid1(VALU_DEP_1)
	s_cmp_lg_u32 s5, 0
	s_addc_u32 s4, s4, s16
	v_readfirstlane_b32 s5, v3
	s_mul_i32 s16, s14, s4
	s_delay_alu instid0(VALU_DEP_1)
	s_mul_hi_u32 s17, s14, s5
	s_mul_i32 s15, s15, s5
	s_add_i32 s16, s17, s16
	s_mul_i32 s14, s14, s5
	s_add_i32 s16, s16, s15
	s_mul_hi_u32 s17, s4, s14
	s_mul_i32 s56, s4, s14
	s_mul_hi_u32 s14, s5, s14
	s_mul_hi_u32 s64, s5, s16
	s_mul_i32 s5, s5, s16
	s_mul_hi_u32 s15, s4, s16
	s_add_u32 s5, s14, s5
	s_addc_u32 s14, 0, s64
	s_add_u32 s5, s5, s56
	s_mul_i32 s16, s4, s16
	s_addc_u32 s5, s14, s17
	s_addc_u32 s14, s15, 0
	s_add_u32 s5, s5, s16
	s_addc_u32 s14, 0, s14
	v_add_co_u32 v3, s5, v3, s5
	s_delay_alu instid0(VALU_DEP_1) | instskip(SKIP_1) | instid1(VALU_DEP_1)
	s_cmp_lg_u32 s5, 0
	s_addc_u32 s4, s4, s14
	v_readfirstlane_b32 s5, v3
	s_mul_i32 s15, s77, s4
	s_mul_hi_u32 s14, s77, s4
	s_mul_hi_u32 s16, s57, s4
	s_mul_i32 s4, s57, s4
	s_mul_hi_u32 s17, s77, s5
	s_mul_hi_u32 s56, s57, s5
	s_mul_i32 s5, s57, s5
	s_add_u32 s15, s17, s15
	s_addc_u32 s14, 0, s14
	s_add_u32 s5, s15, s5
	s_addc_u32 s5, s14, s56
	s_addc_u32 s14, s16, 0
	s_add_u32 s4, s5, s4
	s_addc_u32 s5, 0, s14
	s_mul_hi_u32 s14, s41, s4
	s_mul_i32 s4, s41, s4
	s_mul_i32 s5, s41, s5
	v_sub_co_u32 v3, s4, s77, s4
	s_add_i32 s14, s14, s5
	s_cmp_lg_u32 s4, 0
	s_delay_alu instid0(VALU_DEP_1) | instskip(SKIP_2) | instid1(VALU_DEP_1)
	v_sub_co_u32 v4, s4, v3, s41
	s_subb_u32 s5, s57, s14
	s_cmp_lg_u32 s4, 0
	v_cmp_le_u32_e32 vcc_lo, s41, v4
	v_sub_co_u32 v5, s4, v4, s41
	s_subb_u32 s14, s5, 0
	s_cmp_lg_u32 s4, 0
	v_cndmask_b32_e64 v6, 0, -1, vcc_lo
	s_subb_u32 s4, s14, 0
	s_cmp_eq_u32 s14, 0
	v_mov_b32_e32 v8, s4
	s_cselect_b32 vcc_lo, -1, 0
	s_cmp_eq_u32 s5, 0
	v_cndmask_b32_e32 v6, -1, v6, vcc_lo
	v_cmp_le_u32_e32 vcc_lo, s41, v3
	s_cselect_b32 s4, -1, 0
	v_cndmask_b32_e64 v7, 0, -1, vcc_lo
	s_delay_alu instid0(VALU_DEP_3) | instskip(NEXT) | instid1(VALU_DEP_2)
	v_cmp_ne_u32_e32 vcc_lo, 0, v6
	v_cndmask_b32_e64 v6, -1, v7, s4
	v_cndmask_b32_e32 v7, s14, v8, vcc_lo
	v_cndmask_b32_e32 v5, v4, v5, vcc_lo
	s_delay_alu instid0(VALU_DEP_3) | instskip(NEXT) | instid1(VALU_DEP_3)
	v_cmp_ne_u32_e32 vcc_lo, 0, v6
	v_cndmask_b32_e32 v4, s5, v7, vcc_lo
	s_delay_alu instid0(VALU_DEP_3)
	v_cndmask_b32_e32 v3, v3, v5, vcc_lo
	s_cbranch_execnz .LBB101_204
.LBB101_203:                            ;   in Loop: Header=BB101_15 Depth=1
	v_cvt_f32_u32_e32 v3, s41
	s_sub_i32 s4, 0, s41
	s_delay_alu instid0(VALU_DEP_1) | instskip(SKIP_2) | instid1(VALU_DEP_1)
	v_rcp_iflag_f32_e32 v3, v3
	s_waitcnt_depctr 0xfff
	v_mul_f32_e32 v3, 0x4f7ffffe, v3
	v_cvt_u32_f32_e32 v3, v3
	s_delay_alu instid0(VALU_DEP_1) | instskip(NEXT) | instid1(VALU_DEP_1)
	v_mul_lo_u32 v4, s4, v3
	v_mul_hi_u32 v4, v3, v4
	s_delay_alu instid0(VALU_DEP_1) | instskip(NEXT) | instid1(VALU_DEP_1)
	v_add_nc_u32_e32 v3, v3, v4
	v_mul_hi_u32 v3, s77, v3
	s_delay_alu instid0(VALU_DEP_1) | instskip(NEXT) | instid1(VALU_DEP_1)
	v_mul_lo_u32 v3, v3, s41
	v_sub_nc_u32_e32 v3, s77, v3
	s_delay_alu instid0(VALU_DEP_1) | instskip(SKIP_1) | instid1(VALU_DEP_2)
	v_subrev_nc_u32_e32 v4, s41, v3
	v_cmp_le_u32_e32 vcc_lo, s41, v3
	v_cndmask_b32_e32 v3, v3, v4, vcc_lo
	s_delay_alu instid0(VALU_DEP_1) | instskip(SKIP_1) | instid1(VALU_DEP_2)
	v_subrev_nc_u32_e32 v4, s41, v3
	v_cmp_le_u32_e32 vcc_lo, s41, v3
	v_cndmask_b32_e32 v15, v3, v4, vcc_lo
	s_delay_alu instid0(VALU_DEP_1)
	v_dual_mov_b32 v3, v15 :: v_dual_mov_b32 v4, v16
.LBB101_204:                            ;   in Loop: Header=BB101_15 Depth=1
	s_delay_alu instid0(VALU_DEP_1) | instskip(NEXT) | instid1(VALU_DEP_2)
	v_sub_co_u32 v7, vcc_lo, s77, v3
	v_sub_co_ci_u32_e32 v8, vcc_lo, s57, v4, vcc_lo
	s_mov_b32 s4, 0
	s_mov_b32 s5, exec_lo
                                        ; implicit-def: $vgpr5_vgpr6
	s_delay_alu instid0(VALU_DEP_1)
	v_cmpx_gt_u64_e64 v[7:8], v[0:1]
	s_cbranch_execz .LBB101_213
; %bb.205:                              ;   in Loop: Header=BB101_15 Depth=1
	v_dual_mov_b32 v10, v1 :: v_dual_mov_b32 v9, v0
	s_mov_b32 s15, 0
                                        ; implicit-def: $sgpr14
	s_branch .LBB101_207
.LBB101_206:                            ;   in Loop: Header=BB101_207 Depth=2
	s_or_b32 exec_lo, exec_lo, s4
	s_waitcnt vmcnt(0) lgkmcnt(0)
	s_barrier
	buffer_gl0_inv
	ds_load_b128 v[3:6], v16 offset:3072
	v_add_co_u32 v9, vcc_lo, v9, s41
	v_add_co_ci_u32_e32 v10, vcc_lo, 0, v10, vcc_lo
	s_waitcnt lgkmcnt(0)
	s_barrier
	buffer_gl0_inv
	v_cmp_ge_u64_e32 vcc_lo, v[9:10], v[7:8]
	v_readfirstlane_b32 s17, v4
	v_readfirstlane_b32 s16, v3
	s_delay_alu instid0(VALU_DEP_1) | instskip(SKIP_1) | instid1(SALU_CYCLE_1)
	s_cmp_lg_u64 s[16:17], 0
	s_cselect_b32 s4, -1, 0
	s_or_b32 s16, vcc_lo, s4
	s_delay_alu instid0(SALU_CYCLE_1) | instskip(NEXT) | instid1(SALU_CYCLE_1)
	s_and_b32 s16, exec_lo, s16
	s_or_b32 s15, s16, s15
	s_and_not1_b32 s14, s14, exec_lo
	s_and_b32 s4, s4, exec_lo
	s_delay_alu instid0(SALU_CYCLE_1)
	s_or_b32 s14, s14, s4
	s_and_not1_b32 exec_lo, exec_lo, s15
	s_cbranch_execz .LBB101_212
.LBB101_207:                            ;   Parent Loop BB101_15 Depth=1
                                        ; =>  This Inner Loop Header: Depth=2
	s_delay_alu instid0(VALU_DEP_1)
	v_cmp_gt_u64_e32 vcc_lo, s[24:25], v[9:10]
	v_mov_b32_e32 v4, 0
	v_mov_b32_e32 v5, 0
	s_and_saveexec_b32 s16, vcc_lo
	s_cbranch_execz .LBB101_209
; %bb.208:                              ;   in Loop: Header=BB101_207 Depth=2
	v_mul_lo_u32 v5, v10, s42
	v_mul_lo_u32 v6, v9, s43
	v_mad_u64_u32 v[3:4], null, v9, s42, 0
	s_delay_alu instid0(VALU_DEP_1) | instskip(NEXT) | instid1(VALU_DEP_1)
	v_add3_u32 v4, v4, v6, v5
	v_lshlrev_b64 v[3:4], 3, v[3:4]
	s_delay_alu instid0(VALU_DEP_1) | instskip(NEXT) | instid1(VALU_DEP_1)
	v_add_co_u32 v3, s4, s33, v3
	v_add_co_ci_u32_e64 v4, s4, s35, v4, s4
	global_load_b64 v[4:5], v[3:4], off
.LBB101_209:                            ;   in Loop: Header=BB101_207 Depth=2
	s_or_b32 exec_lo, exec_lo, s16
	s_and_saveexec_b32 s4, vcc_lo
	s_cbranch_execz .LBB101_206
; %bb.210:                              ;   in Loop: Header=BB101_207 Depth=2
	s_waitcnt vmcnt(0)
	v_xor_b32_e32 v3, 0x80000000, v5
	v_and_b32_e32 v11, s62, v4
	s_delay_alu instid0(VALU_DEP_2) | instskip(NEXT) | instid1(VALU_DEP_1)
	v_and_b32_e32 v12, s63, v3
	v_cmp_eq_u64_e32 vcc_lo, s[60:61], v[11:12]
	s_and_b32 exec_lo, exec_lo, vcc_lo
	s_cbranch_execz .LBB101_206
; %bb.211:                              ;   in Loop: Header=BB101_207 Depth=2
	v_mov_b32_e32 v3, v16
	ds_store_b128 v16, v[2:5] offset:3072
	s_branch .LBB101_206
.LBB101_212:                            ;   in Loop: Header=BB101_15 Depth=1
	s_or_b32 exec_lo, exec_lo, s15
	s_delay_alu instid0(SALU_CYCLE_1)
	s_and_b32 s4, s14, exec_lo
.LBB101_213:                            ;   in Loop: Header=BB101_15 Depth=1
	s_or_b32 exec_lo, exec_lo, s5
	s_mov_b32 s64, -1
	s_mov_b32 s16, 0
	s_mov_b32 s17, 0
.LBB101_214:                            ;   in Loop: Header=BB101_15 Depth=1
	s_mov_b32 s5, 0
                                        ; implicit-def: $sgpr56
	s_and_saveexec_b32 s65, s4
	s_cbranch_execz .LBB101_276
; %bb.215:                              ;   in Loop: Header=BB101_15 Depth=1
	s_xor_b32 s4, s66, -1
	s_mov_b32 s56, 1
	s_and_not1_b32 vcc_lo, exec_lo, s4
	s_cbranch_vccnz .LBB101_226
; %bb.216:                              ;   in Loop: Header=BB101_15 Depth=1
	v_cmp_gt_u64_e64 s4, s[52:53], s[10:11]
	s_mov_b32 s66, -1
                                        ; implicit-def: $sgpr56
                                        ; implicit-def: $sgpr14_sgpr15
	s_delay_alu instid0(VALU_DEP_1)
	s_and_b32 vcc_lo, exec_lo, s4
                                        ; implicit-def: $sgpr4_sgpr5
	s_cbranch_vccnz .LBB101_222
; %bb.217:                              ;   in Loop: Header=BB101_15 Depth=1
	ds_load_b64 v[3:4], v16 offset:5120
	s_waitcnt lgkmcnt(0)
	v_cmp_ne_u64_e32 vcc_lo, 0, v[3:4]
	s_cbranch_vccnz .LBB101_221
; %bb.218:                              ;   in Loop: Header=BB101_15 Depth=1
	s_and_saveexec_b32 s4, s2
	s_cbranch_execz .LBB101_220
; %bb.219:                              ;   in Loop: Header=BB101_15 Depth=1
	v_dual_mov_b32 v3, s10 :: v_dual_mov_b32 v4, s11
	ds_store_b64 v16, v[3:4] offset:5128
.LBB101_220:                            ;   in Loop: Header=BB101_15 Depth=1
	s_or_b32 exec_lo, exec_lo, s4
	s_waitcnt lgkmcnt(0)
	s_barrier
	buffer_gl0_inv
.LBB101_221:                            ;   in Loop: Header=BB101_15 Depth=1
	s_lshl_b64 s[4:5], 2, s21
	s_and_b64 s[12:13], s[60:61], s[12:13]
	s_or_b64 s[14:15], s[62:63], s[8:9]
	s_or_b64 s[4:5], s[12:13], s[4:5]
	s_mov_b32 s66, 0
	s_mov_b32 s56, 8
.LBB101_222:                            ;   in Loop: Header=BB101_15 Depth=1
	s_and_not1_b32 vcc_lo, exec_lo, s66
	s_cbranch_vccnz .LBB101_224
; %bb.223:                              ;   in Loop: Header=BB101_15 Depth=1
	s_sub_u32 s52, s52, s10
	s_subb_u32 s53, s53, s11
	s_mov_b32 s66, -1
	s_mov_b32 s56, 0
	s_mov_b64 s[4:5], s[60:61]
	s_mov_b64 s[14:15], s[62:63]
.LBB101_224:                            ;   in Loop: Header=BB101_15 Depth=1
	s_delay_alu instid0(SALU_CYCLE_1)
	s_mov_b64 s[62:63], s[14:15]
	s_mov_b64 s[60:61], s[4:5]
	s_and_not1_b32 vcc_lo, exec_lo, s66
	s_mov_b32 s10, -1
	s_cbranch_vccz .LBB101_227
.LBB101_225:                            ;   in Loop: Header=BB101_15 Depth=1
                                        ; implicit-def: $sgpr13
                                        ; implicit-def: $sgpr15
                                        ; implicit-def: $sgpr14
	s_branch .LBB101_275
.LBB101_226:                            ;   in Loop: Header=BB101_15 Depth=1
	s_mov_b64 s[52:53], 1
	s_mov_b32 s10, -1
	s_cbranch_execnz .LBB101_225
.LBB101_227:                            ;   in Loop: Header=BB101_15 Depth=1
	s_cmp_eq_u64 s[6:7], 1
	s_mov_b32 s21, -1
	s_cselect_b32 s4, -1, 0
	s_cmp_eq_u64 s[52:53], 1
	s_cselect_b32 s5, -1, 0
	s_delay_alu instid0(SALU_CYCLE_1) | instskip(NEXT) | instid1(SALU_CYCLE_1)
	s_and_b32 s12, s4, s5
	s_and_b32 vcc_lo, exec_lo, s12
	s_cbranch_vccz .LBB101_242
; %bb.228:                              ;   in Loop: Header=BB101_15 Depth=1
	ds_load_b64 v[3:4], v16 offset:5120
	s_waitcnt lgkmcnt(0)
	s_barrier
	buffer_gl0_inv
	v_readfirstlane_b32 s10, v3
	v_readfirstlane_b32 s11, v4
	s_and_saveexec_b32 s4, s3
	s_cbranch_execz .LBB101_230
; %bb.229:                              ;   in Loop: Header=BB101_15 Depth=1
	v_mov_b32_e32 v15, v16
	ds_store_b64 v27, v[15:16]
.LBB101_230:                            ;   in Loop: Header=BB101_15 Depth=1
	s_or_b32 exec_lo, exec_lo, s4
	s_or_b64 s[60:61], s[60:61], s[8:9]
	s_or_b64 s[62:63], s[62:63], s[8:9]
	s_cmp_eq_u64 s[10:11], 0
	s_waitcnt lgkmcnt(0)
	s_barrier
	buffer_gl0_inv
	s_cbranch_scc1 .LBB101_245
; %bb.231:                              ;   in Loop: Header=BB101_15 Depth=1
	s_add_u32 s13, s75, s10
	s_addc_u32 s5, s76, s11
	s_mov_b32 s4, s55
	s_delay_alu instid0(SALU_CYCLE_1)
	s_cmp_lg_u64 s[4:5], 0
	s_cbranch_scc0 .LBB101_281
; %bb.232:                              ;   in Loop: Header=BB101_15 Depth=1
	v_cvt_f32_u32_e32 v3, s41
	s_sub_u32 s15, 0, s41
	s_subb_u32 s21, 0, 0
	s_delay_alu instid0(VALU_DEP_1) | instskip(NEXT) | instid1(VALU_DEP_1)
	v_fmac_f32_e64 v3, 0, 0x4f800000
	v_rcp_f32_e32 v3, v3
	s_waitcnt_depctr 0xfff
	v_mul_f32_e32 v3, 0x5f7ffffc, v3
	s_delay_alu instid0(VALU_DEP_1) | instskip(NEXT) | instid1(VALU_DEP_1)
	v_mul_f32_e32 v4, 0x2f800000, v3
	v_trunc_f32_e32 v4, v4
	s_delay_alu instid0(VALU_DEP_1) | instskip(SKIP_1) | instid1(VALU_DEP_2)
	v_fmac_f32_e32 v3, 0xcf800000, v4
	v_cvt_u32_f32_e32 v4, v4
	v_cvt_u32_f32_e32 v3, v3
	s_delay_alu instid0(VALU_DEP_2) | instskip(NEXT) | instid1(VALU_DEP_2)
	v_readfirstlane_b32 s4, v4
	v_readfirstlane_b32 s14, v3
	s_delay_alu instid0(VALU_DEP_2) | instskip(NEXT) | instid1(VALU_DEP_1)
	s_mul_i32 s56, s15, s4
	s_mul_hi_u32 s67, s15, s14
	s_mul_i32 s66, s21, s14
	s_add_i32 s56, s67, s56
	s_mul_i32 s68, s15, s14
	s_add_i32 s56, s56, s66
	s_mul_hi_u32 s67, s14, s68
	s_mul_hi_u32 s69, s4, s68
	s_mul_i32 s66, s4, s68
	s_mul_hi_u32 s68, s14, s56
	s_mul_i32 s14, s14, s56
	s_mul_hi_u32 s70, s4, s56
	s_add_u32 s14, s67, s14
	s_addc_u32 s67, 0, s68
	s_add_u32 s14, s14, s66
	s_mul_i32 s56, s4, s56
	s_addc_u32 s14, s67, s69
	s_addc_u32 s66, s70, 0
	s_add_u32 s14, s14, s56
	s_addc_u32 s56, 0, s66
	v_add_co_u32 v3, s14, v3, s14
	s_delay_alu instid0(VALU_DEP_1) | instskip(SKIP_1) | instid1(VALU_DEP_1)
	s_cmp_lg_u32 s14, 0
	s_addc_u32 s4, s4, s56
	v_readfirstlane_b32 s14, v3
	s_mul_i32 s56, s15, s4
	s_delay_alu instid0(VALU_DEP_1)
	s_mul_hi_u32 s66, s15, s14
	s_mul_i32 s21, s21, s14
	s_add_i32 s56, s66, s56
	s_mul_i32 s15, s15, s14
	s_add_i32 s56, s56, s21
	s_mul_hi_u32 s66, s4, s15
	s_mul_i32 s67, s4, s15
	s_mul_hi_u32 s15, s14, s15
	s_mul_hi_u32 s68, s14, s56
	s_mul_i32 s14, s14, s56
	s_mul_hi_u32 s21, s4, s56
	s_add_u32 s14, s15, s14
	s_addc_u32 s15, 0, s68
	s_add_u32 s14, s14, s67
	s_mul_i32 s56, s4, s56
	s_addc_u32 s14, s15, s66
	s_addc_u32 s15, s21, 0
	s_add_u32 s14, s14, s56
	s_addc_u32 s15, 0, s15
	v_add_co_u32 v3, s14, v3, s14
	s_delay_alu instid0(VALU_DEP_1) | instskip(SKIP_1) | instid1(VALU_DEP_1)
	s_cmp_lg_u32 s14, 0
	s_addc_u32 s4, s4, s15
	v_readfirstlane_b32 s14, v3
	s_mul_i32 s21, s13, s4
	s_mul_hi_u32 s15, s13, s4
	s_mul_hi_u32 s56, s5, s4
	s_mul_i32 s4, s5, s4
	s_mul_hi_u32 s66, s13, s14
	s_mul_hi_u32 s67, s5, s14
	s_mul_i32 s14, s5, s14
	s_add_u32 s21, s66, s21
	s_addc_u32 s15, 0, s15
	s_add_u32 s14, s21, s14
	s_addc_u32 s14, s15, s67
	s_addc_u32 s15, s56, 0
	s_add_u32 s4, s14, s4
	s_addc_u32 s14, 0, s15
	s_mul_hi_u32 s15, s41, s4
	s_mul_i32 s4, s41, s4
	s_mul_i32 s14, s41, s14
	v_sub_co_u32 v3, s4, s13, s4
	s_add_i32 s15, s15, s14
	s_cmp_lg_u32 s4, 0
	s_delay_alu instid0(VALU_DEP_1) | instskip(SKIP_2) | instid1(VALU_DEP_1)
	v_sub_co_u32 v4, s4, v3, s41
	s_subb_u32 s14, s5, s15
	s_cmp_lg_u32 s4, 0
	v_cmp_le_u32_e32 vcc_lo, s41, v4
	v_sub_co_u32 v5, s4, v4, s41
	s_subb_u32 s15, s14, 0
	s_cmp_lg_u32 s4, 0
	v_cndmask_b32_e64 v6, 0, -1, vcc_lo
	s_subb_u32 s4, s15, 0
	s_cmp_eq_u32 s15, 0
	v_mov_b32_e32 v8, s4
	s_cselect_b32 vcc_lo, -1, 0
	s_cmp_eq_u32 s14, 0
	v_cndmask_b32_e32 v6, -1, v6, vcc_lo
	v_cmp_le_u32_e32 vcc_lo, s41, v3
	s_cselect_b32 s4, -1, 0
	v_cndmask_b32_e64 v7, 0, -1, vcc_lo
	s_delay_alu instid0(VALU_DEP_3) | instskip(NEXT) | instid1(VALU_DEP_2)
	v_cmp_ne_u32_e32 vcc_lo, 0, v6
	v_cndmask_b32_e64 v6, -1, v7, s4
	v_cndmask_b32_e32 v7, s15, v8, vcc_lo
	v_cndmask_b32_e32 v5, v4, v5, vcc_lo
	s_delay_alu instid0(VALU_DEP_3) | instskip(NEXT) | instid1(VALU_DEP_3)
	v_cmp_ne_u32_e32 vcc_lo, 0, v6
	v_cndmask_b32_e32 v4, s14, v7, vcc_lo
	s_delay_alu instid0(VALU_DEP_3)
	v_cndmask_b32_e32 v3, v3, v5, vcc_lo
	s_cbranch_execnz .LBB101_234
.LBB101_233:                            ;   in Loop: Header=BB101_15 Depth=1
	v_cvt_f32_u32_e32 v3, s41
	s_sub_i32 s4, 0, s41
	s_delay_alu instid0(VALU_DEP_1) | instskip(SKIP_2) | instid1(VALU_DEP_1)
	v_rcp_iflag_f32_e32 v3, v3
	s_waitcnt_depctr 0xfff
	v_mul_f32_e32 v3, 0x4f7ffffe, v3
	v_cvt_u32_f32_e32 v3, v3
	s_delay_alu instid0(VALU_DEP_1) | instskip(NEXT) | instid1(VALU_DEP_1)
	v_mul_lo_u32 v4, s4, v3
	v_mul_hi_u32 v4, v3, v4
	s_delay_alu instid0(VALU_DEP_1) | instskip(NEXT) | instid1(VALU_DEP_1)
	v_add_nc_u32_e32 v3, v3, v4
	v_mul_hi_u32 v3, s13, v3
	s_delay_alu instid0(VALU_DEP_1) | instskip(NEXT) | instid1(VALU_DEP_1)
	v_mul_lo_u32 v3, v3, s41
	v_sub_nc_u32_e32 v3, s13, v3
	s_delay_alu instid0(VALU_DEP_1) | instskip(SKIP_1) | instid1(VALU_DEP_2)
	v_subrev_nc_u32_e32 v4, s41, v3
	v_cmp_le_u32_e32 vcc_lo, s41, v3
	v_cndmask_b32_e32 v3, v3, v4, vcc_lo
	s_delay_alu instid0(VALU_DEP_1) | instskip(SKIP_1) | instid1(VALU_DEP_2)
	v_subrev_nc_u32_e32 v4, s41, v3
	v_cmp_le_u32_e32 vcc_lo, s41, v3
	v_cndmask_b32_e32 v15, v3, v4, vcc_lo
	s_delay_alu instid0(VALU_DEP_1)
	v_dual_mov_b32 v3, v15 :: v_dual_mov_b32 v4, v16
.LBB101_234:                            ;   in Loop: Header=BB101_15 Depth=1
	s_delay_alu instid0(VALU_DEP_1) | instskip(NEXT) | instid1(VALU_DEP_2)
	v_sub_co_u32 v7, vcc_lo, s13, v3
	v_sub_co_ci_u32_e32 v8, vcc_lo, s5, v4, vcc_lo
	s_mov_b32 s21, 0
	s_mov_b32 s4, exec_lo
                                        ; implicit-def: $vgpr5_vgpr6
	s_delay_alu instid0(VALU_DEP_1)
	v_cmpx_gt_u64_e64 v[7:8], v[0:1]
	s_cbranch_execz .LBB101_247
; %bb.235:                              ;   in Loop: Header=BB101_15 Depth=1
	v_dual_mov_b32 v11, v26 :: v_dual_mov_b32 v10, v1
	v_mov_b32_e32 v9, v0
	s_mov_b32 s13, 0
                                        ; implicit-def: $sgpr5
	s_set_inst_prefetch_distance 0x1
	s_branch .LBB101_237
	.p2align	6
.LBB101_236:                            ;   in Loop: Header=BB101_237 Depth=2
	s_or_b32 exec_lo, exec_lo, s14
	s_waitcnt lgkmcnt(0)
	s_barrier
	buffer_gl0_inv
	ds_load_b128 v[3:6], v16 offset:3072
	v_add_co_u32 v9, vcc_lo, v9, s41
	v_add_co_ci_u32_e32 v10, vcc_lo, 0, v10, vcc_lo
	v_add_nc_u32_e32 v11, s83, v11
	s_waitcnt lgkmcnt(0)
	s_barrier
	s_delay_alu instid0(VALU_DEP_2) | instskip(SKIP_3) | instid1(VALU_DEP_1)
	v_cmp_ge_u64_e32 vcc_lo, v[9:10], v[7:8]
	buffer_gl0_inv
	v_readfirstlane_b32 s15, v4
	v_readfirstlane_b32 s14, v3
	s_cmp_lg_u64 s[14:15], 0
	s_cselect_b32 s14, -1, 0
	s_delay_alu instid0(SALU_CYCLE_1) | instskip(NEXT) | instid1(SALU_CYCLE_1)
	s_or_b32 s15, vcc_lo, s14
	s_and_b32 s15, exec_lo, s15
	s_delay_alu instid0(SALU_CYCLE_1) | instskip(SKIP_2) | instid1(SALU_CYCLE_1)
	s_or_b32 s13, s15, s13
	s_and_not1_b32 s5, s5, exec_lo
	s_and_b32 s14, s14, exec_lo
	s_or_b32 s5, s5, s14
	s_and_not1_b32 exec_lo, exec_lo, s13
	s_cbranch_execz .LBB101_246
.LBB101_237:                            ;   Parent Loop BB101_15 Depth=1
                                        ; =>  This Inner Loop Header: Depth=2
	s_delay_alu instid0(VALU_DEP_1)
	v_cmp_gt_u64_e32 vcc_lo, s[10:11], v[9:10]
	v_mov_b32_e32 v4, 0
	v_mov_b32_e32 v5, 0
	s_and_saveexec_b32 s14, vcc_lo
	s_cbranch_execz .LBB101_239
; %bb.238:                              ;   in Loop: Header=BB101_237 Depth=2
	ds_load_b64 v[4:5], v11
.LBB101_239:                            ;   in Loop: Header=BB101_237 Depth=2
	s_or_b32 exec_lo, exec_lo, s14
	s_and_saveexec_b32 s14, vcc_lo
	s_cbranch_execz .LBB101_236
; %bb.240:                              ;   in Loop: Header=BB101_237 Depth=2
	s_waitcnt lgkmcnt(0)
	v_xor_b32_e32 v3, 0x80000000, v5
	v_and_b32_e32 v12, s62, v4
	s_delay_alu instid0(VALU_DEP_2) | instskip(NEXT) | instid1(VALU_DEP_1)
	v_and_b32_e32 v13, s63, v3
	v_cmp_eq_u64_e32 vcc_lo, s[60:61], v[12:13]
	s_and_b32 exec_lo, exec_lo, vcc_lo
	s_cbranch_execz .LBB101_236
; %bb.241:                              ;   in Loop: Header=BB101_237 Depth=2
	v_mov_b32_e32 v3, v16
	ds_store_b128 v16, v[2:5] offset:3072
	s_branch .LBB101_236
.LBB101_242:                            ;   in Loop: Header=BB101_15 Depth=1
                                        ; implicit-def: $sgpr13
                                        ; implicit-def: $sgpr15
                                        ; implicit-def: $sgpr14
	s_branch .LBB101_261
.LBB101_243:                            ;   in Loop: Header=BB101_15 Depth=1
                                        ; implicit-def: $vgpr3_vgpr4
	s_branch .LBB101_186
.LBB101_244:                            ;   in Loop: Header=BB101_15 Depth=1
                                        ; implicit-def: $vgpr3_vgpr4
	s_branch .LBB101_203
.LBB101_245:                            ;   in Loop: Header=BB101_15 Depth=1
	s_mov_b32 s13, -1
	s_mov_b32 s21, 0
                                        ; implicit-def: $sgpr14
                                        ; implicit-def: $vgpr5_vgpr6
	s_mov_b32 s15, s13
	s_cbranch_execnz .LBB101_248
	s_branch .LBB101_261
.LBB101_246:                            ;   in Loop: Header=BB101_15 Depth=1
	s_set_inst_prefetch_distance 0x2
	s_or_b32 exec_lo, exec_lo, s13
	s_delay_alu instid0(SALU_CYCLE_1)
	s_and_b32 s21, s5, exec_lo
.LBB101_247:                            ;   in Loop: Header=BB101_15 Depth=1
	s_or_b32 exec_lo, exec_lo, s4
	s_mov_b32 s14, -1
	s_mov_b32 s13, 0
	s_delay_alu instid0(SALU_CYCLE_1)
	s_mov_b32 s15, s13
	s_branch .LBB101_261
.LBB101_248:                            ;   in Loop: Header=BB101_15 Depth=1
	s_mov_b32 s56, s55
	s_delay_alu instid0(SALU_CYCLE_1)
	s_cmp_lg_u64 s[56:57], 0
	s_cbranch_scc0 .LBB101_282
; %bb.249:                              ;   in Loop: Header=BB101_15 Depth=1
	v_cvt_f32_u32_e32 v3, s41
	s_sub_u32 s10, 0, s41
	s_subb_u32 s11, 0, 0
	s_delay_alu instid0(VALU_DEP_1) | instskip(NEXT) | instid1(VALU_DEP_1)
	v_fmac_f32_e64 v3, 0, 0x4f800000
	v_rcp_f32_e32 v3, v3
	s_waitcnt_depctr 0xfff
	v_mul_f32_e32 v3, 0x5f7ffffc, v3
	s_delay_alu instid0(VALU_DEP_1) | instskip(NEXT) | instid1(VALU_DEP_1)
	v_mul_f32_e32 v4, 0x2f800000, v3
	v_trunc_f32_e32 v4, v4
	s_delay_alu instid0(VALU_DEP_1) | instskip(SKIP_1) | instid1(VALU_DEP_2)
	v_fmac_f32_e32 v3, 0xcf800000, v4
	v_cvt_u32_f32_e32 v4, v4
	v_cvt_u32_f32_e32 v3, v3
	s_delay_alu instid0(VALU_DEP_2) | instskip(NEXT) | instid1(VALU_DEP_2)
	v_readfirstlane_b32 s4, v4
	v_readfirstlane_b32 s5, v3
	s_delay_alu instid0(VALU_DEP_2) | instskip(NEXT) | instid1(VALU_DEP_1)
	s_mul_i32 s13, s10, s4
	s_mul_hi_u32 s15, s10, s5
	s_mul_i32 s14, s11, s5
	s_add_i32 s13, s15, s13
	s_mul_i32 s21, s10, s5
	s_add_i32 s13, s13, s14
	s_mul_hi_u32 s15, s5, s21
	s_mul_hi_u32 s56, s4, s21
	s_mul_i32 s14, s4, s21
	s_mul_hi_u32 s21, s5, s13
	s_mul_i32 s5, s5, s13
	s_mul_hi_u32 s66, s4, s13
	s_add_u32 s5, s15, s5
	s_addc_u32 s15, 0, s21
	s_add_u32 s5, s5, s14
	s_mul_i32 s13, s4, s13
	s_addc_u32 s5, s15, s56
	s_addc_u32 s14, s66, 0
	s_add_u32 s5, s5, s13
	s_addc_u32 s13, 0, s14
	v_add_co_u32 v3, s5, v3, s5
	s_delay_alu instid0(VALU_DEP_1) | instskip(SKIP_1) | instid1(VALU_DEP_1)
	s_cmp_lg_u32 s5, 0
	s_addc_u32 s4, s4, s13
	v_readfirstlane_b32 s5, v3
	s_mul_i32 s13, s10, s4
	s_delay_alu instid0(VALU_DEP_1)
	s_mul_hi_u32 s14, s10, s5
	s_mul_i32 s11, s11, s5
	s_add_i32 s13, s14, s13
	s_mul_i32 s10, s10, s5
	s_add_i32 s13, s13, s11
	s_mul_hi_u32 s14, s4, s10
	s_mul_i32 s15, s4, s10
	s_mul_hi_u32 s10, s5, s10
	s_mul_hi_u32 s21, s5, s13
	s_mul_i32 s5, s5, s13
	s_mul_hi_u32 s11, s4, s13
	s_add_u32 s5, s10, s5
	s_addc_u32 s10, 0, s21
	s_add_u32 s5, s5, s15
	s_mul_i32 s13, s4, s13
	s_addc_u32 s5, s10, s14
	s_addc_u32 s10, s11, 0
	s_add_u32 s5, s5, s13
	s_addc_u32 s10, 0, s10
	v_add_co_u32 v3, s5, v3, s5
	s_delay_alu instid0(VALU_DEP_1) | instskip(SKIP_1) | instid1(VALU_DEP_1)
	s_cmp_lg_u32 s5, 0
	s_addc_u32 s4, s4, s10
	v_readfirstlane_b32 s5, v3
	s_mul_i32 s11, s77, s4
	s_mul_hi_u32 s10, s77, s4
	s_mul_hi_u32 s13, s57, s4
	s_mul_i32 s4, s57, s4
	s_mul_hi_u32 s14, s77, s5
	s_mul_hi_u32 s15, s57, s5
	s_mul_i32 s5, s57, s5
	s_add_u32 s11, s14, s11
	s_addc_u32 s10, 0, s10
	s_add_u32 s5, s11, s5
	s_addc_u32 s5, s10, s15
	s_addc_u32 s10, s13, 0
	s_add_u32 s4, s5, s4
	s_addc_u32 s5, 0, s10
	s_mul_hi_u32 s10, s41, s4
	s_mul_i32 s4, s41, s4
	s_mul_i32 s5, s41, s5
	v_sub_co_u32 v3, s4, s77, s4
	s_add_i32 s10, s10, s5
	s_cmp_lg_u32 s4, 0
	s_delay_alu instid0(VALU_DEP_1) | instskip(SKIP_2) | instid1(VALU_DEP_1)
	v_sub_co_u32 v4, s4, v3, s41
	s_subb_u32 s5, s57, s10
	s_cmp_lg_u32 s4, 0
	v_cmp_le_u32_e32 vcc_lo, s41, v4
	v_sub_co_u32 v5, s4, v4, s41
	s_subb_u32 s10, s5, 0
	s_cmp_lg_u32 s4, 0
	v_cndmask_b32_e64 v6, 0, -1, vcc_lo
	s_subb_u32 s4, s10, 0
	s_cmp_eq_u32 s10, 0
	v_mov_b32_e32 v8, s4
	s_cselect_b32 vcc_lo, -1, 0
	s_cmp_eq_u32 s5, 0
	v_cndmask_b32_e32 v6, -1, v6, vcc_lo
	v_cmp_le_u32_e32 vcc_lo, s41, v3
	s_cselect_b32 s4, -1, 0
	v_cndmask_b32_e64 v7, 0, -1, vcc_lo
	s_delay_alu instid0(VALU_DEP_3) | instskip(NEXT) | instid1(VALU_DEP_2)
	v_cmp_ne_u32_e32 vcc_lo, 0, v6
	v_cndmask_b32_e64 v6, -1, v7, s4
	v_cndmask_b32_e32 v7, s10, v8, vcc_lo
	v_cndmask_b32_e32 v5, v4, v5, vcc_lo
	s_delay_alu instid0(VALU_DEP_3) | instskip(NEXT) | instid1(VALU_DEP_3)
	v_cmp_ne_u32_e32 vcc_lo, 0, v6
	v_cndmask_b32_e32 v4, s5, v7, vcc_lo
	s_delay_alu instid0(VALU_DEP_3)
	v_cndmask_b32_e32 v3, v3, v5, vcc_lo
	s_cbranch_execnz .LBB101_251
.LBB101_250:                            ;   in Loop: Header=BB101_15 Depth=1
	v_cvt_f32_u32_e32 v3, s41
	s_sub_i32 s4, 0, s41
	s_delay_alu instid0(VALU_DEP_1) | instskip(SKIP_2) | instid1(VALU_DEP_1)
	v_rcp_iflag_f32_e32 v3, v3
	s_waitcnt_depctr 0xfff
	v_mul_f32_e32 v3, 0x4f7ffffe, v3
	v_cvt_u32_f32_e32 v3, v3
	s_delay_alu instid0(VALU_DEP_1) | instskip(NEXT) | instid1(VALU_DEP_1)
	v_mul_lo_u32 v4, s4, v3
	v_mul_hi_u32 v4, v3, v4
	s_delay_alu instid0(VALU_DEP_1) | instskip(NEXT) | instid1(VALU_DEP_1)
	v_add_nc_u32_e32 v3, v3, v4
	v_mul_hi_u32 v3, s77, v3
	s_delay_alu instid0(VALU_DEP_1) | instskip(NEXT) | instid1(VALU_DEP_1)
	v_mul_lo_u32 v3, v3, s41
	v_sub_nc_u32_e32 v3, s77, v3
	s_delay_alu instid0(VALU_DEP_1) | instskip(SKIP_1) | instid1(VALU_DEP_2)
	v_subrev_nc_u32_e32 v4, s41, v3
	v_cmp_le_u32_e32 vcc_lo, s41, v3
	v_cndmask_b32_e32 v3, v3, v4, vcc_lo
	s_delay_alu instid0(VALU_DEP_1) | instskip(SKIP_1) | instid1(VALU_DEP_2)
	v_subrev_nc_u32_e32 v4, s41, v3
	v_cmp_le_u32_e32 vcc_lo, s41, v3
	v_cndmask_b32_e32 v15, v3, v4, vcc_lo
	s_delay_alu instid0(VALU_DEP_1)
	v_dual_mov_b32 v3, v15 :: v_dual_mov_b32 v4, v16
.LBB101_251:                            ;   in Loop: Header=BB101_15 Depth=1
	s_delay_alu instid0(VALU_DEP_1) | instskip(NEXT) | instid1(VALU_DEP_2)
	v_sub_co_u32 v7, vcc_lo, s77, v3
	v_sub_co_ci_u32_e32 v8, vcc_lo, s57, v4, vcc_lo
	s_mov_b32 s21, 0
	s_mov_b32 s5, exec_lo
                                        ; implicit-def: $vgpr5_vgpr6
	s_delay_alu instid0(VALU_DEP_1)
	v_cmpx_gt_u64_e64 v[7:8], v[0:1]
	s_cbranch_execz .LBB101_260
; %bb.252:                              ;   in Loop: Header=BB101_15 Depth=1
	v_dual_mov_b32 v10, v1 :: v_dual_mov_b32 v9, v0
	s_mov_b32 s11, 0
                                        ; implicit-def: $sgpr10
	s_branch .LBB101_254
.LBB101_253:                            ;   in Loop: Header=BB101_254 Depth=2
	s_or_b32 exec_lo, exec_lo, s4
	s_waitcnt vmcnt(0) lgkmcnt(0)
	s_barrier
	buffer_gl0_inv
	ds_load_b128 v[3:6], v16 offset:3072
	v_add_co_u32 v9, vcc_lo, v9, s41
	v_add_co_ci_u32_e32 v10, vcc_lo, 0, v10, vcc_lo
	s_waitcnt lgkmcnt(0)
	s_barrier
	buffer_gl0_inv
	v_cmp_ge_u64_e32 vcc_lo, v[9:10], v[7:8]
	v_readfirstlane_b32 s15, v4
	v_readfirstlane_b32 s14, v3
	s_delay_alu instid0(VALU_DEP_1) | instskip(SKIP_1) | instid1(SALU_CYCLE_1)
	s_cmp_lg_u64 s[14:15], 0
	s_cselect_b32 s4, -1, 0
	s_or_b32 s13, vcc_lo, s4
	s_delay_alu instid0(SALU_CYCLE_1) | instskip(NEXT) | instid1(SALU_CYCLE_1)
	s_and_b32 s13, exec_lo, s13
	s_or_b32 s11, s13, s11
	s_and_not1_b32 s10, s10, exec_lo
	s_and_b32 s4, s4, exec_lo
	s_delay_alu instid0(SALU_CYCLE_1)
	s_or_b32 s10, s10, s4
	s_and_not1_b32 exec_lo, exec_lo, s11
	s_cbranch_execz .LBB101_259
.LBB101_254:                            ;   Parent Loop BB101_15 Depth=1
                                        ; =>  This Inner Loop Header: Depth=2
	s_delay_alu instid0(VALU_DEP_1)
	v_cmp_gt_u64_e32 vcc_lo, s[24:25], v[9:10]
	v_mov_b32_e32 v4, 0
	v_mov_b32_e32 v5, 0
	s_and_saveexec_b32 s13, vcc_lo
	s_cbranch_execz .LBB101_256
; %bb.255:                              ;   in Loop: Header=BB101_254 Depth=2
	v_mul_lo_u32 v5, v10, s42
	v_mul_lo_u32 v6, v9, s43
	v_mad_u64_u32 v[3:4], null, v9, s42, 0
	s_delay_alu instid0(VALU_DEP_1) | instskip(NEXT) | instid1(VALU_DEP_1)
	v_add3_u32 v4, v4, v6, v5
	v_lshlrev_b64 v[3:4], 3, v[3:4]
	s_delay_alu instid0(VALU_DEP_1) | instskip(NEXT) | instid1(VALU_DEP_1)
	v_add_co_u32 v3, s4, s33, v3
	v_add_co_ci_u32_e64 v4, s4, s35, v4, s4
	global_load_b64 v[4:5], v[3:4], off
.LBB101_256:                            ;   in Loop: Header=BB101_254 Depth=2
	s_or_b32 exec_lo, exec_lo, s13
	s_and_saveexec_b32 s4, vcc_lo
	s_cbranch_execz .LBB101_253
; %bb.257:                              ;   in Loop: Header=BB101_254 Depth=2
	s_waitcnt vmcnt(0)
	v_xor_b32_e32 v3, 0x80000000, v5
	v_and_b32_e32 v11, s62, v4
	s_delay_alu instid0(VALU_DEP_2) | instskip(NEXT) | instid1(VALU_DEP_1)
	v_and_b32_e32 v12, s63, v3
	v_cmp_eq_u64_e32 vcc_lo, s[60:61], v[11:12]
	s_and_b32 exec_lo, exec_lo, vcc_lo
	s_cbranch_execz .LBB101_253
; %bb.258:                              ;   in Loop: Header=BB101_254 Depth=2
	v_mov_b32_e32 v3, v16
	ds_store_b128 v16, v[2:5] offset:3072
	s_branch .LBB101_253
.LBB101_259:                            ;   in Loop: Header=BB101_15 Depth=1
	s_or_b32 exec_lo, exec_lo, s11
	s_delay_alu instid0(SALU_CYCLE_1)
	s_and_b32 s21, s10, exec_lo
.LBB101_260:                            ;   in Loop: Header=BB101_15 Depth=1
	s_or_b32 exec_lo, exec_lo, s5
	s_mov_b32 s15, -1
	s_mov_b32 s13, 0
	s_mov_b32 s14, 0
.LBB101_261:                            ;   in Loop: Header=BB101_15 Depth=1
	s_mov_b32 s10, 0
                                        ; implicit-def: $sgpr56
                                        ; implicit-def: $sgpr4_sgpr5
	s_and_saveexec_b32 s66, s21
	s_cbranch_execz .LBB101_274
; %bb.262:                              ;   in Loop: Header=BB101_15 Depth=1
	s_xor_b32 s10, s12, -1
	s_mov_b64 s[4:5], 1
	s_and_not1_b32 vcc_lo, exec_lo, s10
	s_mov_b32 s56, 1
	s_cbranch_vccnz .LBB101_273
; %bb.263:                              ;   in Loop: Header=BB101_15 Depth=1
	v_cmp_gt_u64_e64 s4, s[52:53], s[6:7]
	s_delay_alu instid0(VALU_DEP_1)
	s_and_b32 vcc_lo, exec_lo, s4
	s_cbranch_vccnz .LBB101_269
; %bb.264:                              ;   in Loop: Header=BB101_15 Depth=1
	ds_load_b64 v[3:4], v16 offset:5120
	s_waitcnt lgkmcnt(0)
	v_cmp_ne_u64_e32 vcc_lo, 0, v[3:4]
	s_cbranch_vccnz .LBB101_268
; %bb.265:                              ;   in Loop: Header=BB101_15 Depth=1
	s_and_saveexec_b32 s4, s2
	s_cbranch_execz .LBB101_267
; %bb.266:                              ;   in Loop: Header=BB101_15 Depth=1
	v_dual_mov_b32 v3, s6 :: v_dual_mov_b32 v4, s7
	ds_store_b64 v16, v[3:4] offset:5128
.LBB101_267:                            ;   in Loop: Header=BB101_15 Depth=1
	s_or_b32 exec_lo, exec_lo, s4
	s_waitcnt lgkmcnt(0)
	s_barrier
	buffer_gl0_inv
.LBB101_268:                            ;   in Loop: Header=BB101_15 Depth=1
	s_or_b64 s[10:11], s[60:61], s[8:9]
	s_or_b64 s[8:9], s[62:63], s[8:9]
	s_mov_b32 s4, 0
	s_mov_b32 s56, 8
	s_branch .LBB101_270
.LBB101_269:                            ;   in Loop: Header=BB101_15 Depth=1
	s_mov_b32 s4, -1
                                        ; implicit-def: $sgpr56
                                        ; implicit-def: $sgpr10_sgpr11
                                        ; implicit-def: $sgpr8_sgpr9
.LBB101_270:                            ;   in Loop: Header=BB101_15 Depth=1
	s_delay_alu instid0(SALU_CYCLE_1)
	s_and_not1_b32 vcc_lo, exec_lo, s4
	s_cbranch_vccnz .LBB101_272
; %bb.271:                              ;   in Loop: Header=BB101_15 Depth=1
	s_sub_u32 s52, s52, s6
	s_subb_u32 s53, s53, s7
	s_mov_b32 s56, 8
	s_mov_b64 s[10:11], s[60:61]
	s_mov_b64 s[8:9], s[62:63]
.LBB101_272:                            ;   in Loop: Header=BB101_15 Depth=1
	s_mov_b64 s[4:5], s[52:53]
	s_mov_b64 s[60:61], s[10:11]
	;; [unrolled: 1-line block ×3, first 2 shown]
.LBB101_273:                            ;   in Loop: Header=BB101_15 Depth=1
	s_mov_b32 s10, exec_lo
.LBB101_274:                            ;   in Loop: Header=BB101_15 Depth=1
	s_or_b32 exec_lo, exec_lo, s66
	s_mov_b64 s[52:53], s[4:5]
.LBB101_275:                            ;   in Loop: Header=BB101_15 Depth=1
	s_and_not1_b32 s4, s16, exec_lo
	s_and_b32 s5, s13, exec_lo
	s_and_not1_b32 s6, s17, exec_lo
	s_or_b32 s16, s4, s5
	s_and_not1_b32 s4, s64, exec_lo
	s_and_b32 s5, s15, exec_lo
	s_and_b32 s7, s14, exec_lo
	s_or_b32 s64, s4, s5
	s_or_b32 s17, s6, s7
	s_and_b32 s5, s10, exec_lo
.LBB101_276:                            ;   in Loop: Header=BB101_15 Depth=1
	s_or_b32 exec_lo, exec_lo, s65
.LBB101_277:                            ;   in Loop: Header=BB101_15 Depth=1
	s_delay_alu instid0(SALU_CYCLE_1)
	s_and_not1_b32 s4, s22, exec_lo
	s_and_b32 s6, s16, exec_lo
	s_and_not1_b32 s7, s19, exec_lo
	s_or_b32 s22, s4, s6
	s_and_not1_b32 s4, s23, exec_lo
	s_and_b32 s6, s64, exec_lo
	s_and_b32 s8, s17, exec_lo
	s_or_b32 s23, s4, s6
	s_or_b32 s19, s7, s8
	s_and_b32 s5, s5, exec_lo
.LBB101_278:                            ;   in Loop: Header=BB101_15 Depth=1
	s_or_b32 exec_lo, exec_lo, s54
	s_and_saveexec_b32 s4, s5
	s_delay_alu instid0(SALU_CYCLE_1)
	s_xor_b32 s4, exec_lo, s4
	s_cbranch_execz .LBB101_13
.LBB101_279:                            ;   in Loop: Header=BB101_15 Depth=1
	s_and_b32 s5, s56, -9
	s_delay_alu instid0(SALU_CYCLE_1)
	s_cmp_eq_u32 s5, 0
	s_cbranch_scc1 .LBB101_11
; %bb.280:                              ;   in Loop: Header=BB101_15 Depth=1
	s_mov_b32 s5, -1
	s_mov_b32 s6, -1
                                        ; implicit-def: $sgpr62_sgpr63
                                        ; implicit-def: $sgpr52_sgpr53
                                        ; implicit-def: $sgpr87
                                        ; implicit-def: $sgpr91
	s_branch .LBB101_12
.LBB101_281:                            ;   in Loop: Header=BB101_15 Depth=1
                                        ; implicit-def: $vgpr3_vgpr4
	s_branch .LBB101_233
.LBB101_282:                            ;   in Loop: Header=BB101_15 Depth=1
                                        ; implicit-def: $vgpr3_vgpr4
	s_branch .LBB101_250
.LBB101_283:
	s_or_b32 exec_lo, exec_lo, s84
	s_xor_b32 s4, s88, -1
	s_xor_b32 s1, s85, -1
	;; [unrolled: 1-line block ×3, first 2 shown]
	s_mov_b32 s2, 0
	s_and_saveexec_b32 s5, s1
	s_delay_alu instid0(SALU_CYCLE_1)
	s_xor_b32 s1, exec_lo, s5
	s_cbranch_execz .LBB101_300
; %bb.284:
	s_and_saveexec_b32 s2, s4
	s_delay_alu instid0(SALU_CYCLE_1)
	s_xor_b32 s2, exec_lo, s2
	s_cbranch_execz .LBB101_298
; %bb.285:
	s_and_saveexec_b32 s4, s3
	s_delay_alu instid0(SALU_CYCLE_1)
	s_xor_b32 s3, exec_lo, s4
; %bb.286:
	v_xor_b32_e32 v4, 0x80000000, v4
	s_delay_alu instid0(VALU_DEP_1)
	v_dual_mov_b32 v6, v4 :: v_dual_mov_b32 v5, v3
; %bb.287:
	s_or_b32 exec_lo, exec_lo, s3
	s_mul_i32 s3, s46, s45
	s_mul_hi_u32 s4, s46, s44
	s_mul_i32 s5, s46, s44
	s_add_i32 s4, s4, s3
	s_sub_u32 s3, s34, s5
	s_subb_u32 s4, 0, s4
	s_mul_i32 s5, s3, s39
	s_mul_hi_u32 s6, s3, s38
	s_mul_hi_u32 s7, s46, s36
	s_add_i32 s6, s6, s5
	s_mul_i32 s5, s46, s37
	s_mul_i32 s8, s4, s38
	s_add_i32 s5, s7, s5
	s_mul_i32 s4, s46, s36
	s_add_i32 s7, s6, s8
	s_lshl_b64 s[4:5], s[4:5], 3
	s_mul_i32 s6, s3, s38
	s_add_u32 s3, s50, s4
	s_addc_u32 s8, s51, s5
	s_lshl_b64 s[4:5], s[6:7], 3
	v_mov_b32_e32 v2, 0
	s_add_u32 s4, s3, s4
	s_addc_u32 s5, s8, s5
	global_store_b64 v2, v[5:6], s[4:5]
	s_and_saveexec_b32 s3, s0
	s_cbranch_execz .LBB101_297
; %bb.288:
	s_mov_b32 s0, 0
                                        ; implicit-def: $sgpr4
                                        ; implicit-def: $sgpr6
                                        ; implicit-def: $sgpr5
	s_set_inst_prefetch_distance 0x1
	s_branch .LBB101_290
	.p2align	6
.LBB101_289:                            ;   in Loop: Header=BB101_290 Depth=1
	s_or_b32 exec_lo, exec_lo, s7
	s_delay_alu instid0(SALU_CYCLE_1) | instskip(NEXT) | instid1(SALU_CYCLE_1)
	s_and_b32 s7, exec_lo, s6
	s_or_b32 s0, s7, s0
	s_and_not1_b32 s4, s4, exec_lo
	s_and_b32 s7, s5, exec_lo
	s_delay_alu instid0(SALU_CYCLE_1)
	s_or_b32 s4, s4, s7
	s_and_not1_b32 exec_lo, exec_lo, s0
	s_cbranch_execz .LBB101_295
.LBB101_290:                            ; =>This Inner Loop Header: Depth=1
	v_dual_mov_b32 v3, v1 :: v_dual_mov_b32 v2, v0
	s_or_b32 s5, s5, exec_lo
	s_or_b32 s6, s6, exec_lo
	s_delay_alu instid0(VALU_DEP_1) | instskip(NEXT) | instid1(VALU_DEP_2)
	v_mul_lo_u32 v4, v3, s42
	v_mul_lo_u32 v7, v2, s43
	v_mad_u64_u32 v[0:1], null, v2, s42, 0
	s_delay_alu instid0(VALU_DEP_1) | instskip(NEXT) | instid1(VALU_DEP_1)
	v_add3_u32 v1, v1, v7, v4
	v_lshlrev_b64 v[0:1], 3, v[0:1]
	s_delay_alu instid0(VALU_DEP_1) | instskip(NEXT) | instid1(VALU_DEP_2)
	v_add_co_u32 v0, vcc_lo, s33, v0
	v_add_co_ci_u32_e32 v1, vcc_lo, s35, v1, vcc_lo
	global_load_b64 v[0:1], v[0:1], off
	s_waitcnt vmcnt(0)
	v_cmp_ne_u64_e32 vcc_lo, v[0:1], v[5:6]
                                        ; implicit-def: $vgpr0_vgpr1
	s_and_saveexec_b32 s7, vcc_lo
	s_cbranch_execz .LBB101_289
; %bb.291:                              ;   in Loop: Header=BB101_290 Depth=1
	v_add_co_u32 v0, vcc_lo, v2, s41
	v_add_co_ci_u32_e32 v1, vcc_lo, 0, v3, vcc_lo
	s_and_not1_b32 s6, s6, exec_lo
	s_and_not1_b32 s5, s5, exec_lo
	s_delay_alu instid0(VALU_DEP_1) | instskip(SKIP_1) | instid1(SALU_CYCLE_1)
	v_cmp_le_u64_e32 vcc_lo, s[24:25], v[0:1]
	s_and_b32 s8, vcc_lo, exec_lo
	s_or_b32 s6, s6, s8
	s_branch .LBB101_289
.LBB101_292:
	v_cvt_f32_u32_e32 v1, s44
	s_sub_i32 s3, 0, s44
	s_delay_alu instid0(VALU_DEP_1) | instskip(SKIP_2) | instid1(VALU_DEP_1)
	v_rcp_iflag_f32_e32 v1, v1
	s_waitcnt_depctr 0xfff
	v_mul_f32_e32 v1, 0x4f7ffffe, v1
	v_cvt_u32_f32_e32 v1, v1
	s_delay_alu instid0(VALU_DEP_1) | instskip(NEXT) | instid1(VALU_DEP_1)
	v_readfirstlane_b32 s2, v1
	s_mul_i32 s3, s3, s2
	s_delay_alu instid0(SALU_CYCLE_1) | instskip(NEXT) | instid1(SALU_CYCLE_1)
	s_mul_hi_u32 s3, s2, s3
	s_add_i32 s2, s2, s3
	s_delay_alu instid0(SALU_CYCLE_1) | instskip(NEXT) | instid1(SALU_CYCLE_1)
	s_mul_hi_u32 s2, s34, s2
	s_mul_i32 s3, s2, s44
	s_add_i32 s4, s2, 1
	s_sub_i32 s3, s34, s3
	s_delay_alu instid0(SALU_CYCLE_1)
	s_sub_i32 s5, s3, s44
	s_cmp_ge_u32 s3, s44
	s_cselect_b32 s2, s4, s2
	s_cselect_b32 s3, s5, s3
	s_add_i32 s4, s2, 1
	s_cmp_ge_u32 s3, s44
	s_cselect_b32 s46, s4, s2
	s_load_b64 s[42:43], s[0:1], 0x4f0
	v_cmp_lt_u64_e64 s2, s[34:35], s[26:27]
	s_delay_alu instid0(VALU_DEP_1)
	s_and_b32 vcc_lo, exec_lo, s2
	s_cbranch_vccnz .LBB101_3
.LBB101_293:
	v_cvt_f32_u32_e32 v1, s26
	s_sub_i32 s3, 0, s26
	s_delay_alu instid0(VALU_DEP_1) | instskip(SKIP_2) | instid1(VALU_DEP_1)
	v_rcp_iflag_f32_e32 v1, v1
	s_waitcnt_depctr 0xfff
	v_mul_f32_e32 v1, 0x4f7ffffe, v1
	v_cvt_u32_f32_e32 v1, v1
	s_delay_alu instid0(VALU_DEP_1) | instskip(NEXT) | instid1(VALU_DEP_1)
	v_readfirstlane_b32 s2, v1
	s_mul_i32 s3, s3, s2
	s_delay_alu instid0(SALU_CYCLE_1) | instskip(NEXT) | instid1(SALU_CYCLE_1)
	s_mul_hi_u32 s3, s2, s3
	s_add_i32 s2, s2, s3
	s_delay_alu instid0(SALU_CYCLE_1) | instskip(NEXT) | instid1(SALU_CYCLE_1)
	s_mul_hi_u32 s2, s34, s2
	s_mul_i32 s3, s2, s26
	s_add_i32 s4, s2, 1
	s_sub_i32 s3, s34, s3
	s_delay_alu instid0(SALU_CYCLE_1)
	s_sub_i32 s5, s3, s26
	s_cmp_ge_u32 s3, s26
	s_cselect_b32 s2, s4, s2
	s_cselect_b32 s3, s5, s3
	s_add_i32 s4, s2, 1
	s_cmp_ge_u32 s3, s26
	s_cselect_b32 s40, s4, s2
	v_cmp_lt_u64_e64 s2, s[34:35], s[14:15]
	s_mov_b64 s[16:17], 0
	s_delay_alu instid0(VALU_DEP_1)
	s_and_b32 vcc_lo, exec_lo, s2
	s_cbranch_vccnz .LBB101_4
.LBB101_294:
	v_cvt_f32_u32_e32 v1, s14
	s_sub_i32 s3, 0, s14
	s_delay_alu instid0(VALU_DEP_1) | instskip(SKIP_2) | instid1(VALU_DEP_1)
	v_rcp_iflag_f32_e32 v1, v1
	s_waitcnt_depctr 0xfff
	v_mul_f32_e32 v1, 0x4f7ffffe, v1
	v_cvt_u32_f32_e32 v1, v1
	s_delay_alu instid0(VALU_DEP_1) | instskip(NEXT) | instid1(VALU_DEP_1)
	v_readfirstlane_b32 s2, v1
	s_mul_i32 s3, s3, s2
	s_delay_alu instid0(SALU_CYCLE_1) | instskip(NEXT) | instid1(SALU_CYCLE_1)
	s_mul_hi_u32 s3, s2, s3
	s_add_i32 s2, s2, s3
	s_delay_alu instid0(SALU_CYCLE_1) | instskip(NEXT) | instid1(SALU_CYCLE_1)
	s_mul_hi_u32 s2, s34, s2
	s_mul_i32 s3, s2, s14
	s_add_i32 s4, s2, 1
	s_sub_i32 s3, s34, s3
	s_delay_alu instid0(SALU_CYCLE_1)
	s_sub_i32 s5, s3, s14
	s_cmp_ge_u32 s3, s14
	s_cselect_b32 s2, s4, s2
	s_cselect_b32 s3, s5, s3
	s_add_i32 s4, s2, 1
	s_cmp_ge_u32 s3, s14
	s_cselect_b32 s16, s4, s2
	v_cmp_eq_u32_e64 s2, 0, v0
	s_delay_alu instid0(VALU_DEP_1)
	s_and_saveexec_b32 s3, s2
	s_cbranch_execnz .LBB101_5
	s_branch .LBB101_6
.LBB101_295:
	s_set_inst_prefetch_distance 0x2
	s_or_b32 exec_lo, exec_lo, s0
	s_and_saveexec_b32 s0, s4
	s_delay_alu instid0(SALU_CYCLE_1)
	s_xor_b32 s0, exec_lo, s0
	s_cbranch_execz .LBB101_297
; %bb.296:
	s_mul_i32 s0, s40, s27
	s_mul_hi_u32 s4, s40, s26
	s_mul_i32 s5, s40, s26
	s_add_i32 s4, s4, s0
	s_sub_u32 s0, s34, s5
	s_subb_u32 s4, 0, s4
	s_mul_i32 s5, s0, s31
	s_mul_hi_u32 s6, s0, s30
	s_mul_hi_u32 s7, s40, s28
	s_add_i32 s6, s6, s5
	s_mul_i32 s5, s40, s29
	s_mul_i32 s8, s4, s30
	s_add_i32 s5, s7, s5
	s_mul_i32 s4, s40, s28
	s_add_i32 s7, s6, s8
	s_lshl_b64 s[4:5], s[4:5], 3
	s_mul_i32 s6, s0, s30
	s_add_u32 s0, s48, s4
	s_addc_u32 s8, s49, s5
	s_lshl_b64 s[4:5], s[6:7], 3
	v_mov_b32_e32 v0, 0
	s_add_u32 s4, s0, s4
	s_addc_u32 s5, s8, s5
	global_store_b64 v0, v[2:3], s[4:5]
.LBB101_297:
	s_or_b32 exec_lo, exec_lo, s3
.LBB101_298:
	s_or_saveexec_b32 s0, s2
	s_mov_b32 s2, 0
	s_xor_b32 exec_lo, exec_lo, s0
	s_cbranch_execnz .LBB101_306
.LBB101_299:
	s_or_b32 exec_lo, exec_lo, s0
	s_delay_alu instid0(SALU_CYCLE_1)
	s_and_b32 s2, s2, exec_lo
.LBB101_300:
	s_and_not1_saveexec_b32 s0, s1
	s_cbranch_execnz .LBB101_304
; %bb.301:
	s_or_b32 exec_lo, exec_lo, s0
	s_and_saveexec_b32 s0, s2
.LBB101_302:
	; divergent unreachable
.LBB101_303:
	s_nop 0
	s_sendmsg sendmsg(MSG_DEALLOC_VGPRS)
	s_endpgm
.LBB101_304:
	s_cbranch_execnz .LBB101_308
; %bb.305:
	s_or_b32 s2, s2, exec_lo
	s_or_b32 exec_lo, exec_lo, s0
	s_and_saveexec_b32 s0, s2
	s_cbranch_execnz .LBB101_302
	s_branch .LBB101_303
.LBB101_306:
	s_cbranch_execnz .LBB101_310
; %bb.307:
	s_mov_b32 s2, exec_lo
	s_branch .LBB101_299
.LBB101_308:
	s_trap 2
	s_sendmsg_rtn_b32 s0, sendmsg(MSG_RTN_GET_DOORBELL)
	s_mov_b32 ttmp2, m0
	s_waitcnt lgkmcnt(0)
	s_and_b32 s0, s0, 0x3ff
	s_delay_alu instid0(SALU_CYCLE_1) | instskip(NEXT) | instid1(SALU_CYCLE_1)
	s_bitset1_b32 s0, 10
	s_mov_b32 m0, s0
	s_sendmsg sendmsg(MSG_INTERRUPT)
	s_mov_b32 m0, ttmp2
.LBB101_309:                            ; =>This Inner Loop Header: Depth=1
	s_sethalt 5
	s_branch .LBB101_309
.LBB101_310:
	s_trap 2
	s_sendmsg_rtn_b32 s0, sendmsg(MSG_RTN_GET_DOORBELL)
	s_mov_b32 ttmp2, m0
	s_waitcnt lgkmcnt(0)
	s_and_b32 s0, s0, 0x3ff
	s_delay_alu instid0(SALU_CYCLE_1) | instskip(NEXT) | instid1(SALU_CYCLE_1)
	s_bitset1_b32 s0, 10
	s_mov_b32 m0, s0
	s_sendmsg sendmsg(MSG_INTERRUPT)
	s_mov_b32 m0, ttmp2
.LBB101_311:                            ; =>This Inner Loop Header: Depth=1
	s_sethalt 5
	s_branch .LBB101_311
	.section	.rodata,"a",@progbits
	.p2align	6, 0x0
	.amdhsa_kernel _ZN2at6native12_GLOBAL__N_112gatherMedianIlmLi2EEEvNS_4cuda6detail10TensorInfoIT_T0_EENS5_IlS7_EENS5_IKS6_S7_EES7_S7_S7_b
		.amdhsa_group_segment_fixed_size 5152
		.amdhsa_private_segment_fixed_size 0
		.amdhsa_kernarg_size 1536
		.amdhsa_user_sgpr_count 13
		.amdhsa_user_sgpr_dispatch_ptr 0
		.amdhsa_user_sgpr_queue_ptr 0
		.amdhsa_user_sgpr_kernarg_segment_ptr 1
		.amdhsa_user_sgpr_dispatch_id 0
		.amdhsa_user_sgpr_private_segment_size 0
		.amdhsa_wavefront_size32 1
		.amdhsa_uses_dynamic_stack 0
		.amdhsa_enable_private_segment 0
		.amdhsa_system_sgpr_workgroup_id_x 1
		.amdhsa_system_sgpr_workgroup_id_y 1
		.amdhsa_system_sgpr_workgroup_id_z 1
		.amdhsa_system_sgpr_workgroup_info 0
		.amdhsa_system_vgpr_workitem_id 0
		.amdhsa_next_free_vgpr 46
		.amdhsa_next_free_sgpr 95
		.amdhsa_reserve_vcc 1
		.amdhsa_float_round_mode_32 0
		.amdhsa_float_round_mode_16_64 0
		.amdhsa_float_denorm_mode_32 3
		.amdhsa_float_denorm_mode_16_64 3
		.amdhsa_dx10_clamp 1
		.amdhsa_ieee_mode 1
		.amdhsa_fp16_overflow 0
		.amdhsa_workgroup_processor_mode 1
		.amdhsa_memory_ordered 1
		.amdhsa_forward_progress 0
		.amdhsa_shared_vgpr_count 0
		.amdhsa_exception_fp_ieee_invalid_op 0
		.amdhsa_exception_fp_denorm_src 0
		.amdhsa_exception_fp_ieee_div_zero 0
		.amdhsa_exception_fp_ieee_overflow 0
		.amdhsa_exception_fp_ieee_underflow 0
		.amdhsa_exception_fp_ieee_inexact 0
		.amdhsa_exception_int_div_zero 0
	.end_amdhsa_kernel
	.section	.text._ZN2at6native12_GLOBAL__N_112gatherMedianIlmLi2EEEvNS_4cuda6detail10TensorInfoIT_T0_EENS5_IlS7_EENS5_IKS6_S7_EES7_S7_S7_b,"axG",@progbits,_ZN2at6native12_GLOBAL__N_112gatherMedianIlmLi2EEEvNS_4cuda6detail10TensorInfoIT_T0_EENS5_IlS7_EENS5_IKS6_S7_EES7_S7_S7_b,comdat
.Lfunc_end101:
	.size	_ZN2at6native12_GLOBAL__N_112gatherMedianIlmLi2EEEvNS_4cuda6detail10TensorInfoIT_T0_EENS5_IlS7_EENS5_IKS6_S7_EES7_S7_S7_b, .Lfunc_end101-_ZN2at6native12_GLOBAL__N_112gatherMedianIlmLi2EEEvNS_4cuda6detail10TensorInfoIT_T0_EENS5_IlS7_EENS5_IKS6_S7_EES7_S7_S7_b
                                        ; -- End function
	.section	.AMDGPU.csdata,"",@progbits
; Kernel info:
; codeLenInByte = 17412
; NumSgprs: 97
; NumVgprs: 46
; ScratchSize: 0
; MemoryBound: 0
; FloatMode: 240
; IeeeMode: 1
; LDSByteSize: 5152 bytes/workgroup (compile time only)
; SGPRBlocks: 12
; VGPRBlocks: 5
; NumSGPRsForWavesPerEU: 97
; NumVGPRsForWavesPerEU: 46
; Occupancy: 16
; WaveLimiterHint : 1
; COMPUTE_PGM_RSRC2:SCRATCH_EN: 0
; COMPUTE_PGM_RSRC2:USER_SGPR: 13
; COMPUTE_PGM_RSRC2:TRAP_HANDLER: 0
; COMPUTE_PGM_RSRC2:TGID_X_EN: 1
; COMPUTE_PGM_RSRC2:TGID_Y_EN: 1
; COMPUTE_PGM_RSRC2:TGID_Z_EN: 1
; COMPUTE_PGM_RSRC2:TIDIG_COMP_CNT: 0
	.section	.text._ZN2at6native12_GLOBAL__N_112gatherMedianIlmLi3EEEvNS_4cuda6detail10TensorInfoIT_T0_EENS5_IlS7_EENS5_IKS6_S7_EES7_S7_S7_b,"axG",@progbits,_ZN2at6native12_GLOBAL__N_112gatherMedianIlmLi3EEEvNS_4cuda6detail10TensorInfoIT_T0_EENS5_IlS7_EENS5_IKS6_S7_EES7_S7_S7_b,comdat
	.globl	_ZN2at6native12_GLOBAL__N_112gatherMedianIlmLi3EEEvNS_4cuda6detail10TensorInfoIT_T0_EENS5_IlS7_EENS5_IKS6_S7_EES7_S7_S7_b ; -- Begin function _ZN2at6native12_GLOBAL__N_112gatherMedianIlmLi3EEEvNS_4cuda6detail10TensorInfoIT_T0_EENS5_IlS7_EENS5_IKS6_S7_EES7_S7_S7_b
	.p2align	8
	.type	_ZN2at6native12_GLOBAL__N_112gatherMedianIlmLi3EEEvNS_4cuda6detail10TensorInfoIT_T0_EENS5_IlS7_EENS5_IKS6_S7_EES7_S7_S7_b,@function
_ZN2at6native12_GLOBAL__N_112gatherMedianIlmLi3EEEvNS_4cuda6detail10TensorInfoIT_T0_EENS5_IlS7_EENS5_IKS6_S7_EES7_S7_S7_b: ; @_ZN2at6native12_GLOBAL__N_112gatherMedianIlmLi3EEEvNS_4cuda6detail10TensorInfoIT_T0_EENS5_IlS7_EENS5_IKS6_S7_EES7_S7_S7_b
; %bb.0:
	s_clause 0x1
	s_load_b64 s[16:17], s[0:1], 0x500
	s_load_b128 s[24:27], s[0:1], 0x4e0
	s_add_u32 s18, s0, 0x500
	s_addc_u32 s19, s1, 0
	s_mov_b32 s35, 0
	s_waitcnt lgkmcnt(0)
	s_mul_i32 s2, s17, s15
	s_delay_alu instid0(SALU_CYCLE_1) | instskip(NEXT) | instid1(SALU_CYCLE_1)
	s_add_i32 s2, s2, s14
	s_mul_i32 s2, s2, s16
	s_delay_alu instid0(SALU_CYCLE_1) | instskip(NEXT) | instid1(SALU_CYCLE_1)
	s_add_i32 s34, s2, s13
	v_cmp_ge_u64_e64 s2, s[34:35], s[26:27]
	s_delay_alu instid0(VALU_DEP_1)
	s_and_b32 vcc_lo, exec_lo, s2
	s_cbranch_vccnz .LBB102_309
; %bb.1:
	s_load_b128 s[36:39], s[0:1], 0x10
	s_mov_b64 s[50:51], 0
	s_mov_b64 s[52:53], 0
	s_waitcnt lgkmcnt(0)
	v_cmp_lt_u64_e64 s2, s[34:35], s[38:39]
	s_delay_alu instid0(VALU_DEP_1)
	s_and_b32 vcc_lo, exec_lo, s2
	s_cbranch_vccnz .LBB102_3
; %bb.2:
	v_cvt_f32_u32_e32 v1, s38
	s_sub_i32 s3, 0, s38
	s_mov_b32 s53, 0
	s_delay_alu instid0(VALU_DEP_1) | instskip(SKIP_2) | instid1(VALU_DEP_1)
	v_rcp_iflag_f32_e32 v1, v1
	s_waitcnt_depctr 0xfff
	v_mul_f32_e32 v1, 0x4f7ffffe, v1
	v_cvt_u32_f32_e32 v1, v1
	s_delay_alu instid0(VALU_DEP_1) | instskip(NEXT) | instid1(VALU_DEP_1)
	v_readfirstlane_b32 s2, v1
	s_mul_i32 s3, s3, s2
	s_delay_alu instid0(SALU_CYCLE_1) | instskip(NEXT) | instid1(SALU_CYCLE_1)
	s_mul_hi_u32 s3, s2, s3
	s_add_i32 s2, s2, s3
	s_delay_alu instid0(SALU_CYCLE_1) | instskip(NEXT) | instid1(SALU_CYCLE_1)
	s_mul_hi_u32 s2, s34, s2
	s_mul_i32 s3, s2, s38
	s_add_i32 s4, s2, 1
	s_sub_i32 s3, s34, s3
	s_delay_alu instid0(SALU_CYCLE_1)
	s_sub_i32 s5, s3, s38
	s_cmp_ge_u32 s3, s38
	s_cselect_b32 s2, s4, s2
	s_cselect_b32 s3, s5, s3
	s_add_i32 s4, s2, 1
	s_cmp_ge_u32 s3, s38
	s_cselect_b32 s52, s4, s2
.LBB102_3:
	s_load_b128 s[28:31], s[0:1], 0x1b0
	v_cmp_lt_u64_e64 s2, s[52:53], s[36:37]
	s_delay_alu instid0(VALU_DEP_1)
	s_and_b32 vcc_lo, exec_lo, s2
	s_cbranch_vccnz .LBB102_5
; %bb.4:
	v_cvt_f32_u32_e32 v1, s36
	s_sub_i32 s3, 0, s36
	s_delay_alu instid0(VALU_DEP_1) | instskip(SKIP_2) | instid1(VALU_DEP_1)
	v_rcp_iflag_f32_e32 v1, v1
	s_waitcnt_depctr 0xfff
	v_mul_f32_e32 v1, 0x4f7ffffe, v1
	v_cvt_u32_f32_e32 v1, v1
	s_delay_alu instid0(VALU_DEP_1) | instskip(NEXT) | instid1(VALU_DEP_1)
	v_readfirstlane_b32 s2, v1
	s_mul_i32 s3, s3, s2
	s_delay_alu instid0(SALU_CYCLE_1) | instskip(NEXT) | instid1(SALU_CYCLE_1)
	s_mul_hi_u32 s3, s2, s3
	s_add_i32 s2, s2, s3
	s_delay_alu instid0(SALU_CYCLE_1) | instskip(NEXT) | instid1(SALU_CYCLE_1)
	s_mul_hi_u32 s2, s52, s2
	s_mul_i32 s3, s2, s36
	s_add_i32 s4, s2, 1
	s_sub_i32 s3, s52, s3
	s_delay_alu instid0(SALU_CYCLE_1)
	s_sub_i32 s5, s3, s36
	s_cmp_ge_u32 s3, s36
	s_cselect_b32 s2, s4, s2
	s_cselect_b32 s3, s5, s3
	s_add_i32 s4, s2, 1
	s_cmp_ge_u32 s3, s36
	s_cselect_b32 s50, s4, s2
.LBB102_5:
	s_waitcnt lgkmcnt(0)
	v_cmp_lt_u64_e64 s2, s[34:35], s[30:31]
	s_mov_b64 s[26:27], 0
	s_mov_b64 s[48:49], 0
	s_delay_alu instid0(VALU_DEP_1)
	s_and_b32 vcc_lo, exec_lo, s2
	s_cbranch_vccnz .LBB102_7
; %bb.6:
	v_cvt_f32_u32_e32 v1, s30
	s_sub_i32 s3, 0, s30
	s_mov_b32 s49, 0
	s_delay_alu instid0(VALU_DEP_1) | instskip(SKIP_2) | instid1(VALU_DEP_1)
	v_rcp_iflag_f32_e32 v1, v1
	s_waitcnt_depctr 0xfff
	v_mul_f32_e32 v1, 0x4f7ffffe, v1
	v_cvt_u32_f32_e32 v1, v1
	s_delay_alu instid0(VALU_DEP_1) | instskip(NEXT) | instid1(VALU_DEP_1)
	v_readfirstlane_b32 s2, v1
	s_mul_i32 s3, s3, s2
	s_delay_alu instid0(SALU_CYCLE_1) | instskip(NEXT) | instid1(SALU_CYCLE_1)
	s_mul_hi_u32 s3, s2, s3
	s_add_i32 s2, s2, s3
	s_delay_alu instid0(SALU_CYCLE_1) | instskip(NEXT) | instid1(SALU_CYCLE_1)
	s_mul_hi_u32 s2, s34, s2
	s_mul_i32 s3, s2, s30
	s_add_i32 s4, s2, 1
	s_sub_i32 s3, s34, s3
	s_delay_alu instid0(SALU_CYCLE_1)
	s_sub_i32 s5, s3, s30
	s_cmp_ge_u32 s3, s30
	s_cselect_b32 s2, s4, s2
	s_cselect_b32 s3, s5, s3
	s_add_i32 s4, s2, 1
	s_cmp_ge_u32 s3, s30
	s_cselect_b32 s48, s4, s2
.LBB102_7:
	s_load_b128 s[4:7], s[0:1], 0x350
	v_cmp_lt_u64_e64 s2, s[48:49], s[28:29]
	s_delay_alu instid0(VALU_DEP_1)
	s_and_b32 vcc_lo, exec_lo, s2
	s_cbranch_vccnz .LBB102_9
; %bb.8:
	v_cvt_f32_u32_e32 v1, s28
	s_sub_i32 s3, 0, s28
	s_delay_alu instid0(VALU_DEP_1) | instskip(SKIP_2) | instid1(VALU_DEP_1)
	v_rcp_iflag_f32_e32 v1, v1
	s_waitcnt_depctr 0xfff
	v_mul_f32_e32 v1, 0x4f7ffffe, v1
	v_cvt_u32_f32_e32 v1, v1
	s_delay_alu instid0(VALU_DEP_1) | instskip(NEXT) | instid1(VALU_DEP_1)
	v_readfirstlane_b32 s2, v1
	s_mul_i32 s3, s3, s2
	s_delay_alu instid0(SALU_CYCLE_1) | instskip(NEXT) | instid1(SALU_CYCLE_1)
	s_mul_hi_u32 s3, s2, s3
	s_add_i32 s2, s2, s3
	s_delay_alu instid0(SALU_CYCLE_1) | instskip(NEXT) | instid1(SALU_CYCLE_1)
	s_mul_hi_u32 s2, s48, s2
	s_mul_i32 s3, s2, s28
	s_add_i32 s8, s2, 1
	s_sub_i32 s3, s48, s3
	s_delay_alu instid0(SALU_CYCLE_1)
	s_sub_i32 s9, s3, s28
	s_cmp_ge_u32 s3, s28
	s_cselect_b32 s2, s8, s2
	s_cselect_b32 s3, s9, s3
	s_add_i32 s8, s2, 1
	s_cmp_ge_u32 s3, s28
	s_cselect_b32 s26, s8, s2
.LBB102_9:
	s_load_b64 s[54:55], s[0:1], 0x4f0
	s_waitcnt lgkmcnt(0)
	v_cmp_lt_u64_e64 s2, s[34:35], s[6:7]
	s_mov_b64 s[14:15], 0
	s_mov_b64 s[20:21], 0
	s_delay_alu instid0(VALU_DEP_1)
	s_and_b32 vcc_lo, exec_lo, s2
	s_cbranch_vccnz .LBB102_11
; %bb.10:
	v_cvt_f32_u32_e32 v1, s6
	s_sub_i32 s3, 0, s6
	s_mov_b32 s21, 0
	s_delay_alu instid0(VALU_DEP_1) | instskip(SKIP_2) | instid1(VALU_DEP_1)
	v_rcp_iflag_f32_e32 v1, v1
	s_waitcnt_depctr 0xfff
	v_mul_f32_e32 v1, 0x4f7ffffe, v1
	v_cvt_u32_f32_e32 v1, v1
	s_delay_alu instid0(VALU_DEP_1) | instskip(NEXT) | instid1(VALU_DEP_1)
	v_readfirstlane_b32 s2, v1
	s_mul_i32 s3, s3, s2
	s_delay_alu instid0(SALU_CYCLE_1) | instskip(NEXT) | instid1(SALU_CYCLE_1)
	s_mul_hi_u32 s3, s2, s3
	s_add_i32 s2, s2, s3
	s_delay_alu instid0(SALU_CYCLE_1) | instskip(NEXT) | instid1(SALU_CYCLE_1)
	s_mul_hi_u32 s2, s34, s2
	s_mul_i32 s3, s2, s6
	s_add_i32 s8, s2, 1
	s_sub_i32 s3, s34, s3
	s_delay_alu instid0(SALU_CYCLE_1)
	s_sub_i32 s9, s3, s6
	s_cmp_ge_u32 s3, s6
	s_cselect_b32 s2, s8, s2
	s_cselect_b32 s3, s9, s3
	s_add_i32 s8, s2, 1
	s_cmp_ge_u32 s3, s6
	s_cselect_b32 s20, s8, s2
.LBB102_11:
	s_delay_alu instid0(SALU_CYCLE_1) | instskip(NEXT) | instid1(VALU_DEP_1)
	v_cmp_lt_u64_e64 s2, s[20:21], s[4:5]
	s_and_b32 vcc_lo, exec_lo, s2
	s_cbranch_vccnz .LBB102_13
; %bb.12:
	v_cvt_f32_u32_e32 v1, s4
	s_sub_i32 s3, 0, s4
	s_delay_alu instid0(VALU_DEP_1) | instskip(SKIP_2) | instid1(VALU_DEP_1)
	v_rcp_iflag_f32_e32 v1, v1
	s_waitcnt_depctr 0xfff
	v_mul_f32_e32 v1, 0x4f7ffffe, v1
	v_cvt_u32_f32_e32 v1, v1
	s_delay_alu instid0(VALU_DEP_1) | instskip(NEXT) | instid1(VALU_DEP_1)
	v_readfirstlane_b32 s2, v1
	s_mul_i32 s3, s3, s2
	s_delay_alu instid0(SALU_CYCLE_1) | instskip(NEXT) | instid1(SALU_CYCLE_1)
	s_mul_hi_u32 s3, s2, s3
	s_add_i32 s2, s2, s3
	s_delay_alu instid0(SALU_CYCLE_1) | instskip(NEXT) | instid1(SALU_CYCLE_1)
	s_mul_hi_u32 s2, s20, s2
	s_mul_i32 s3, s2, s4
	s_add_i32 s8, s2, 1
	s_sub_i32 s3, s20, s3
	s_delay_alu instid0(SALU_CYCLE_1)
	s_sub_i32 s9, s3, s4
	s_cmp_ge_u32 s3, s4
	s_cselect_b32 s2, s8, s2
	s_cselect_b32 s3, s9, s3
	s_add_i32 s8, s2, 1
	s_cmp_ge_u32 s3, s4
	s_cselect_b32 s14, s8, s2
.LBB102_13:
	s_clause 0x1
	s_load_b64 s[22:23], s[0:1], 0x420
	s_load_b128 s[8:11], s[0:1], 0x410
	v_cmp_eq_u32_e64 s2, 0, v0
	s_delay_alu instid0(VALU_DEP_1)
	s_and_saveexec_b32 s3, s2
	s_cbranch_execz .LBB102_15
; %bb.14:
	v_mov_b32_e32 v1, 0
	s_delay_alu instid0(VALU_DEP_1)
	v_mov_b32_e32 v2, v1
	ds_store_b64 v1, v[1:2] offset:5136
.LBB102_15:
	s_or_b32 exec_lo, exec_lo, s3
	v_mov_b32_e32 v1, 0
	s_waitcnt lgkmcnt(0)
	s_barrier
	buffer_gl0_inv
	s_barrier
	buffer_gl0_inv
	ds_load_b64 v[1:2], v1 offset:5136
	s_clause 0x5
	s_load_b32 s3, s[0:1], 0x4f8
	s_load_b64 s[66:67], s[0:1], 0x340
	s_load_b64 s[56:57], s[0:1], 0x280
	s_load_b128 s[40:43], s[0:1], 0x270
	s_load_b64 s[60:61], s[0:1], 0xe0
	s_load_b128 s[44:47], s[0:1], 0xd0
	s_mov_b64 s[64:65], s[24:25]
	s_waitcnt lgkmcnt(0)
	s_bitcmp1_b32 s3, 0
	v_readfirstlane_b32 s58, v1
	v_readfirstlane_b32 s59, v2
	s_cselect_b32 s3, -1, 0
	s_delay_alu instid0(VALU_DEP_1) | instskip(NEXT) | instid1(VALU_DEP_1)
	v_cmp_lt_i64_e64 s12, s[58:59], 1
	s_or_b32 s3, s3, s12
	s_delay_alu instid0(SALU_CYCLE_1)
	s_and_not1_b32 vcc_lo, exec_lo, s3
	s_cbranch_vccnz .LBB102_17
; %bb.16:
	s_not_b64 s[58:59], s[58:59]
	s_delay_alu instid0(SALU_CYCLE_1) | instskip(SKIP_1) | instid1(SALU_CYCLE_1)
	s_add_u32 s58, s58, s24
	s_addc_u32 s59, s59, s25
	s_lshr_b64 s[58:59], s[58:59], 1
	s_delay_alu instid0(SALU_CYCLE_1)
	s_add_u32 s64, s58, 1
	s_addc_u32 s65, s59, 0
.LBB102_17:
	s_clause 0x1
	s_load_b64 s[58:59], s[0:1], 0x1a0
	s_load_b64 s[62:63], s[0:1], 0x0
                                        ; implicit-def: $vgpr38 : SGPR spill to VGPR lane
	s_waitcnt lgkmcnt(0)
	v_writelane_b32 v38, s58, 0
	v_writelane_b32 v38, s59, 1
	s_and_saveexec_b32 s0, s2
	s_cbranch_execz .LBB102_19
; %bb.18:
	v_dual_mov_b32 v1, 0 :: v_dual_mov_b32 v4, s25
	s_delay_alu instid0(VALU_DEP_1)
	v_dual_mov_b32 v3, s24 :: v_dual_mov_b32 v2, v1
	ds_store_b32 v1, v1 offset:5144
	ds_store_b128 v1, v[1:4] offset:5120
.LBB102_19:
	s_or_b32 exec_lo, exec_lo, s0
	s_mul_i32 s0, s20, s7
	s_mul_hi_u32 s1, s20, s6
	s_mul_i32 s3, s20, s6
	s_add_i32 s1, s1, s0
	s_sub_u32 s0, s34, s3
	s_subb_u32 s1, 0, s1
	s_mul_i32 s3, s0, s23
	s_mul_hi_u32 s6, s0, s22
	s_mul_i32 s1, s1, s22
	s_add_i32 s3, s6, s3
	s_mul_hi_u32 s7, s14, s8
	s_add_i32 s1, s3, s1
	s_mul_i32 s3, s14, s5
	s_mul_hi_u32 s5, s14, s4
	s_mul_i32 s4, s14, s4
	s_add_i32 s5, s5, s3
	s_sub_u32 s3, s20, s4
	s_subb_u32 s5, s21, s5
	s_mul_i32 s4, s3, s11
	s_mul_hi_u32 s6, s3, s10
	s_mul_i32 s0, s0, s22
	s_add_i32 s6, s6, s4
	s_mul_i32 s4, s14, s9
	s_mul_i32 s9, s5, s10
	s_add_i32 s5, s7, s4
	s_mul_i32 s4, s14, s8
	s_add_i32 s7, s6, s9
	s_lshl_b64 s[4:5], s[4:5], 3
	s_mul_i32 s6, s3, s10
	s_add_u32 s3, s66, s4
	s_addc_u32 s8, s67, s5
	s_lshl_b64 s[4:5], s[6:7], 3
	v_mad_u64_u32 v[2:3], null, v0, s54, 0
	s_add_u32 s3, s3, s4
	s_addc_u32 s4, s8, s5
	s_lshl_b64 s[0:1], s[0:1], 3
	s_waitcnt lgkmcnt(0)
	s_add_u32 s27, s3, s0
	s_addc_u32 s33, s4, s1
	s_barrier
	buffer_gl0_inv
	s_load_b32 s4, s[18:19], 0xc
	v_mad_u64_u32 v[4:5], null, v0, s55, v[3:4]
	v_mbcnt_lo_u32_b32 v25, -1, 0
	v_mov_b32_e32 v16, 0
	v_cmp_gt_u32_e32 vcc_lo, 32, v0
	v_lshlrev_b32_e32 v26, 3, v0
	v_cmp_lt_u64_e64 s86, 0x180, s[24:25]
	v_cmp_gt_i32_e64 s3, 4, v25
	v_mov_b32_e32 v3, v4
	v_mov_b32_e32 v1, v16
	;; [unrolled: 1-line block ×3, first 2 shown]
	v_cmp_eq_u32_e64 s1, 0, v25
	s_and_b32 s51, vcc_lo, s3
	v_lshlrev_b64 v[2:3], 3, v[2:3]
	v_cmp_gt_u64_e64 s0, s[24:25], v[0:1]
	v_cmp_gt_u32_e64 s3, 2, v0
	v_dual_mov_b32 v20, v16 :: v_dual_add_nc_u32 v27, 0xc00, v26
	v_dual_mov_b32 v6, 0 :: v_dual_lshlrev_b32 v19, 2, v0
	s_waitcnt lgkmcnt(0)
	s_and_b32 s35, s4, 0xffff
	s_bfe_u32 s5, s4, 0xb0005
	s_add_u32 s87, s35, -1
	s_addc_u32 s88, 0, -1
	v_add_co_u32 v17, vcc_lo, s27, v2
	v_lshrrev_b32_e32 v2, 3, v0
	s_add_u32 s89, s87, s24
	s_addc_u32 s69, s88, s25
	s_cmp_lt_u32 s13, s16
	v_add_co_ci_u32_e32 v18, vcc_lo, s33, v3, vcc_lo
	s_cselect_b32 s6, 12, 18
	v_and_b32_e32 v28, 0x7c, v2
	v_lshlrev_b64 v[2:3], v25, -1
	s_add_u32 s70, s18, s6
	s_addc_u32 s71, s19, 0
	s_add_i32 s6, s5, -1
	s_bfe_u32 s90, s35, 0x30005
	s_cmp_gt_u32 s6, 6
	v_not_b32_e32 v29, v2
	s_cselect_b32 s91, -1, 0
	s_and_b32 s92, s5, 0x7f8
	v_cmp_gt_u16_e64 s93, s4, 31
	v_lshlrev_b32_e32 v30, 5, v0
	v_lshl_or_b32 v31, v25, 3, 0xc00
	v_mov_b32_e32 v2, 1
	s_cmp_lg_u32 s90, 0
	s_mov_b32 s67, 0
	s_cselect_b32 s94, -1, 0
	s_lshl_b32 s95, s35, 3
	s_mov_b32 s99, 62
	s_mov_b64 s[72:73], 0
	s_mov_b32 s96, 0
	s_mov_b32 s103, 0
	s_mov_b64 s[74:75], 0
                                        ; implicit-def: $sgpr97
                                        ; implicit-def: $sgpr100
                                        ; implicit-def: $sgpr98
                                        ; implicit-def: $sgpr102
                                        ; implicit-def: $sgpr104
                                        ; implicit-def: $sgpr101
	s_branch .LBB102_24
.LBB102_20:                             ;   in Loop: Header=BB102_24 Depth=1
	s_xor_b32 s103, s103, 1
	s_add_i32 s7, s99, -2
	s_cmp_eq_u32 s99, 0
	s_mov_b32 s5, 0
	s_cselect_b32 s6, -1, 0
	s_mov_b32 s99, s7
.LBB102_21:                             ;   in Loop: Header=BB102_24 Depth=1
	s_and_not1_b32 s7, s22, exec_lo
	s_and_b32 s5, s5, exec_lo
	s_and_not1_b32 s23, s23, exec_lo
	s_or_b32 s22, s7, s5
	s_and_not1_b32 s19, s19, exec_lo
	s_or_not1_b32 s18, s6, exec_lo
.LBB102_22:                             ;   in Loop: Header=BB102_24 Depth=1
	s_or_b32 exec_lo, exec_lo, s4
	s_delay_alu instid0(SALU_CYCLE_1)
	s_and_not1_b32 s4, s101, exec_lo
	s_and_b32 s5, s22, exec_lo
	s_and_not1_b32 s6, s102, exec_lo
	s_or_b32 s101, s4, s5
	s_and_not1_b32 s4, s104, exec_lo
	s_and_b32 s5, s23, exec_lo
	s_and_b32 s7, s19, exec_lo
	s_or_b32 s104, s4, s5
	s_or_b32 s102, s6, s7
	s_or_not1_b32 s22, s18, exec_lo
.LBB102_23:                             ;   in Loop: Header=BB102_24 Depth=1
	s_or_b32 exec_lo, exec_lo, s20
	s_delay_alu instid0(SALU_CYCLE_1)
	s_and_b32 s4, exec_lo, s22
	v_dual_mov_b32 v3, s72 :: v_dual_mov_b32 v4, s73
	s_or_b32 s96, s4, s96
	s_and_not1_b32 s4, s98, exec_lo
	s_and_b32 s5, s101, exec_lo
	s_and_not1_b32 s6, s97, exec_lo
	s_or_b32 s98, s4, s5
	s_and_not1_b32 s4, s100, exec_lo
	s_and_b32 s5, s104, exec_lo
	s_and_b32 s7, s102, exec_lo
	s_or_b32 s100, s4, s5
	s_or_b32 s97, s6, s7
	s_and_not1_b32 exec_lo, exec_lo, s96
	s_cbranch_execz .LBB102_292
.LBB102_24:                             ; =>This Loop Header: Depth=1
                                        ;     Child Loop BB102_32 Depth 2
                                        ;     Child Loop BB102_50 Depth 2
	;; [unrolled: 1-line block ×16, first 2 shown]
	ds_load_b128 v[7:10], v16 offset:5120
	s_waitcnt lgkmcnt(0)
	v_readfirstlane_b32 s77, v8
	v_readfirstlane_b32 s76, v7
	s_delay_alu instid0(VALU_DEP_1)
	s_cmp_lg_u64 s[76:77], 0
	s_cbranch_scc1 .LBB102_57
; %bb.25:                               ;   in Loop: Header=BB102_24 Depth=1
	s_and_b32 vcc_lo, exec_lo, s86
	s_cbranch_vccz .LBB102_40
; %bb.26:                               ;   in Loop: Header=BB102_24 Depth=1
	v_cmp_gt_u64_e32 vcc_lo, 0x181, v[9:10]
	s_mov_b32 s6, 0
	s_mov_b32 s4, 0
	s_cbranch_vccz .LBB102_41
; %bb.27:                               ;   in Loop: Header=BB102_24 Depth=1
	v_mov_b32_e32 v3, 0
	v_mov_b32_e32 v4, 0
	s_and_saveexec_b32 s4, s0
	s_cbranch_execz .LBB102_29
; %bb.28:                               ;   in Loop: Header=BB102_24 Depth=1
	global_load_b64 v[3:4], v[17:18], off
.LBB102_29:                             ;   in Loop: Header=BB102_24 Depth=1
	s_or_b32 exec_lo, exec_lo, s4
	s_and_saveexec_b32 s7, s0
	s_cbranch_execz .LBB102_42
; %bb.30:                               ;   in Loop: Header=BB102_24 Depth=1
	global_load_u16 v7, v16, s[70:71]
	s_mov_b32 s8, 0
	s_waitcnt vmcnt(0)
	v_dual_mov_b32 v8, v1 :: v_dual_and_b32 v11, 0xffff, v7
	v_mov_b32_e32 v7, v0
	s_branch .LBB102_32
.LBB102_31:                             ;   in Loop: Header=BB102_32 Depth=2
	s_or_b32 exec_lo, exec_lo, s5
	s_waitcnt vmcnt(0)
	v_dual_mov_b32 v3, v9 :: v_dual_mov_b32 v4, v10
	s_and_not1_b32 exec_lo, exec_lo, s8
	s_cbranch_execz .LBB102_42
.LBB102_32:                             ;   Parent Loop BB102_24 Depth=1
                                        ; =>  This Inner Loop Header: Depth=2
	s_delay_alu instid0(VALU_DEP_1) | instskip(NEXT) | instid1(VALU_DEP_3)
	v_add_co_u32 v7, vcc_lo, v7, v11
	v_add_co_ci_u32_e32 v8, vcc_lo, 0, v8, vcc_lo
	v_mov_b32_e32 v9, 0
	v_mov_b32_e32 v10, 0
	s_mov_b32 s5, exec_lo
	s_delay_alu instid0(VALU_DEP_3)
	v_cmp_le_u64_e32 vcc_lo, s[24:25], v[7:8]
	v_cmpx_gt_u64_e64 s[24:25], v[7:8]
	s_cbranch_execz .LBB102_34
; %bb.33:                               ;   in Loop: Header=BB102_32 Depth=2
	s_waitcnt lgkmcnt(0)
	v_mul_lo_u32 v12, v8, s54
	v_mul_lo_u32 v13, v7, s55
	v_mad_u64_u32 v[9:10], null, v7, s54, 0
	s_delay_alu instid0(VALU_DEP_1) | instskip(NEXT) | instid1(VALU_DEP_1)
	v_add3_u32 v10, v10, v13, v12
	v_lshlrev_b64 v[9:10], 3, v[9:10]
	s_delay_alu instid0(VALU_DEP_1) | instskip(NEXT) | instid1(VALU_DEP_1)
	v_add_co_u32 v9, s4, s27, v9
	v_add_co_ci_u32_e64 v10, s4, s33, v10, s4
	global_load_b64 v[9:10], v[9:10], off
.LBB102_34:                             ;   in Loop: Header=BB102_32 Depth=2
	s_or_b32 exec_lo, exec_lo, s5
	s_waitcnt lgkmcnt(0)
	v_xor_b32_e32 v12, 0x80000000, v4
	s_delay_alu instid0(VALU_DEP_1) | instskip(SKIP_1) | instid1(VALU_DEP_1)
	v_and_b32_e32 v13, s75, v12
	v_and_b32_e32 v12, s74, v3
	v_cmp_eq_u64_e64 s4, s[72:73], v[12:13]
	v_mov_b32_e32 v12, 0
	s_delay_alu instid0(VALU_DEP_2) | instskip(SKIP_1) | instid1(SALU_CYCLE_1)
	s_cmp_lg_u32 s4, 0
	s_cselect_b32 s5, -1, 0
	s_and_b32 s5, s1, s5
	s_delay_alu instid0(SALU_CYCLE_1)
	s_and_saveexec_b32 s9, s5
	s_cbranch_execz .LBB102_38
; %bb.35:                               ;   in Loop: Header=BB102_32 Depth=2
	s_mov_b32 s12, exec_lo
	s_bcnt1_i32_b32 s10, s4
	v_mbcnt_lo_u32_b32 v12, s12, 0
	s_mov_b32 s11, exec_lo
                                        ; implicit-def: $vgpr13
	s_delay_alu instid0(VALU_DEP_1)
	v_cmpx_eq_u32_e32 0, v12
	s_cbranch_execz .LBB102_37
; %bb.36:                               ;   in Loop: Header=BB102_32 Depth=2
	s_bcnt1_i32_b32 s5, s12
	s_delay_alu instid0(SALU_CYCLE_1) | instskip(NEXT) | instid1(SALU_CYCLE_1)
	s_mul_i32 s5, s10, s5
	v_mov_b32_e32 v13, s5
	ds_add_rtn_u32 v13, v16, v13 offset:5144
.LBB102_37:                             ;   in Loop: Header=BB102_32 Depth=2
	s_or_b32 exec_lo, exec_lo, s11
	s_waitcnt lgkmcnt(0)
	v_readfirstlane_b32 s5, v13
	s_delay_alu instid0(VALU_DEP_1)
	v_mad_u32_u24 v12, s10, v12, s5
.LBB102_38:                             ;   in Loop: Header=BB102_32 Depth=2
	s_or_b32 exec_lo, exec_lo, s9
	ds_bpermute_b32 v12, v16, v12
	s_and_b32 s5, exec_lo, vcc_lo
	s_delay_alu instid0(SALU_CYCLE_1)
	s_or_b32 s8, s5, s8
	s_and_saveexec_b32 s5, s4
	s_cbranch_execz .LBB102_31
; %bb.39:                               ;   in Loop: Header=BB102_32 Depth=2
	v_and_b32_e32 v13, s4, v29
	s_delay_alu instid0(VALU_DEP_1) | instskip(NEXT) | instid1(VALU_DEP_1)
	v_bcnt_u32_b32 v13, v13, 0
	v_lshlrev_b32_e32 v13, 3, v13
	s_waitcnt lgkmcnt(0)
	s_delay_alu instid0(VALU_DEP_1)
	v_lshl_add_u32 v12, v12, 3, v13
	ds_store_b64 v12, v[3:4]
	s_branch .LBB102_31
.LBB102_40:                             ;   in Loop: Header=BB102_24 Depth=1
	s_mov_b32 s4, 0
                                        ; implicit-def: $sgpr76_sgpr77
	s_cbranch_execnz .LBB102_45
	s_branch .LBB102_55
.LBB102_41:                             ;   in Loop: Header=BB102_24 Depth=1
	s_mov_b64 s[76:77], 0
	s_and_b32 vcc_lo, exec_lo, s6
	s_cbranch_vccnz .LBB102_45
	s_branch .LBB102_55
.LBB102_42:                             ;   in Loop: Header=BB102_24 Depth=1
	s_or_b32 exec_lo, exec_lo, s7
	s_waitcnt vmcnt(0) lgkmcnt(0)
	s_barrier
	buffer_gl0_inv
	s_and_saveexec_b32 s4, s2
	s_cbranch_execz .LBB102_44
; %bb.43:                               ;   in Loop: Header=BB102_24 Depth=1
	ds_load_b32 v3, v16 offset:5144
	s_waitcnt lgkmcnt(0)
	v_ashrrev_i32_e32 v4, 31, v3
	ds_store_b64 v16, v[3:4] offset:5120
.LBB102_44:                             ;   in Loop: Header=BB102_24 Depth=1
	s_or_b32 exec_lo, exec_lo, s4
	s_waitcnt lgkmcnt(0)
	s_mov_b32 s4, -1
	s_barrier
	s_mov_b64 s[76:77], 0
	s_and_b32 vcc_lo, exec_lo, s6
	s_cbranch_vccz .LBB102_55
.LBB102_45:                             ;   in Loop: Header=BB102_24 Depth=1
	v_mov_b32_e32 v3, 0
	v_mov_b32_e32 v4, 0
	s_and_saveexec_b32 s4, s0
	s_cbranch_execz .LBB102_47
; %bb.46:                               ;   in Loop: Header=BB102_24 Depth=1
	global_load_b64 v[3:4], v[17:18], off
.LBB102_47:                             ;   in Loop: Header=BB102_24 Depth=1
	s_or_b32 exec_lo, exec_lo, s4
	s_and_saveexec_b32 s5, s0
	s_cbranch_execz .LBB102_52
; %bb.48:                               ;   in Loop: Header=BB102_24 Depth=1
	global_load_u16 v7, v16, s[70:71]
	s_mov_b32 s6, 0
	s_waitcnt vmcnt(0)
	v_dual_mov_b32 v12, v26 :: v_dual_and_b32 v11, 0xffff, v7
	v_dual_mov_b32 v8, v1 :: v_dual_mov_b32 v7, v0
	s_delay_alu instid0(VALU_DEP_2)
	v_lshlrev_b32_e32 v13, 3, v11
	s_set_inst_prefetch_distance 0x1
	s_branch .LBB102_50
	.p2align	6
.LBB102_49:                             ;   in Loop: Header=BB102_50 Depth=2
	s_or_b32 exec_lo, exec_lo, s7
	ds_store_b64 v12, v[3:4]
	s_waitcnt vmcnt(0)
	v_dual_mov_b32 v3, v9 :: v_dual_add_nc_u32 v12, v12, v13
	v_mov_b32_e32 v4, v10
	s_and_b32 s4, exec_lo, vcc_lo
	s_delay_alu instid0(SALU_CYCLE_1) | instskip(NEXT) | instid1(SALU_CYCLE_1)
	s_or_b32 s6, s4, s6
	s_and_not1_b32 exec_lo, exec_lo, s6
	s_cbranch_execz .LBB102_52
.LBB102_50:                             ;   Parent Loop BB102_24 Depth=1
                                        ; =>  This Inner Loop Header: Depth=2
	s_delay_alu instid0(VALU_DEP_2) | instskip(SKIP_4) | instid1(VALU_DEP_3)
	v_add_co_u32 v7, vcc_lo, v7, v11
	v_add_co_ci_u32_e32 v8, vcc_lo, 0, v8, vcc_lo
	v_mov_b32_e32 v9, 0
	v_mov_b32_e32 v10, 0
	s_mov_b32 s7, exec_lo
	v_cmp_le_u64_e32 vcc_lo, s[24:25], v[7:8]
	v_cmpx_gt_u64_e64 s[24:25], v[7:8]
	s_cbranch_execz .LBB102_49
; %bb.51:                               ;   in Loop: Header=BB102_50 Depth=2
	v_mul_lo_u32 v14, v8, s54
	v_mul_lo_u32 v15, v7, s55
	v_mad_u64_u32 v[9:10], null, v7, s54, 0
	s_delay_alu instid0(VALU_DEP_1) | instskip(NEXT) | instid1(VALU_DEP_1)
	v_add3_u32 v10, v10, v15, v14
	v_lshlrev_b64 v[9:10], 3, v[9:10]
	s_delay_alu instid0(VALU_DEP_1) | instskip(NEXT) | instid1(VALU_DEP_1)
	v_add_co_u32 v9, s4, s27, v9
	v_add_co_ci_u32_e64 v10, s4, s33, v10, s4
	global_load_b64 v[9:10], v[9:10], off
	s_branch .LBB102_49
.LBB102_52:                             ;   in Loop: Header=BB102_24 Depth=1
	s_set_inst_prefetch_distance 0x2
	s_or_b32 exec_lo, exec_lo, s5
	s_waitcnt vmcnt(0) lgkmcnt(0)
	s_barrier
	buffer_gl0_inv
	s_and_saveexec_b32 s4, s2
	s_cbranch_execz .LBB102_54
; %bb.53:                               ;   in Loop: Header=BB102_24 Depth=1
	v_dual_mov_b32 v3, s24 :: v_dual_mov_b32 v4, s25
	ds_store_b64 v16, v[3:4] offset:5120
.LBB102_54:                             ;   in Loop: Header=BB102_24 Depth=1
	s_or_b32 exec_lo, exec_lo, s4
	s_mov_b32 s4, -1
	s_waitcnt lgkmcnt(0)
	s_barrier
                                        ; implicit-def: $sgpr76_sgpr77
.LBB102_55:                             ;   in Loop: Header=BB102_24 Depth=1
	s_and_b32 vcc_lo, exec_lo, s4
	s_cbranch_vccz .LBB102_57
; %bb.56:                               ;   in Loop: Header=BB102_24 Depth=1
	buffer_gl0_inv
	ds_load_b64 v[3:4], v16 offset:5120
	s_waitcnt lgkmcnt(0)
	v_readfirstlane_b32 s76, v3
.LBB102_57:                             ;   in Loop: Header=BB102_24 Depth=1
	s_delay_alu instid0(VALU_DEP_1)
	s_cmp_lt_i32 s76, 1
	s_cbranch_scc0 .LBB102_72
; %bb.58:                               ;   in Loop: Header=BB102_24 Depth=1
	global_load_u16 v23, v16, s[70:71]
	s_mov_b32 s5, s25
	s_waitcnt vmcnt(0)
	v_readfirstlane_b32 s4, v23
	s_delay_alu instid0(VALU_DEP_1)
	s_and_b32 s6, 0xffff, s4
	s_mov_b32 s4, s67
	s_lshl_b32 s23, s6, 2
	s_cmp_lg_u64 s[4:5], 0
	s_cbranch_scc0 .LBB102_92
; %bb.59:                               ;   in Loop: Header=BB102_24 Depth=1
	v_cvt_f32_u32_e32 v3, s23
	s_sub_u32 s6, 0, s23
	s_subb_u32 s7, 0, 0
	s_delay_alu instid0(VALU_DEP_1) | instskip(NEXT) | instid1(VALU_DEP_1)
	v_fmac_f32_e64 v3, 0, 0x4f800000
	v_rcp_f32_e32 v3, v3
	s_waitcnt_depctr 0xfff
	v_mul_f32_e32 v3, 0x5f7ffffc, v3
	s_delay_alu instid0(VALU_DEP_1) | instskip(NEXT) | instid1(VALU_DEP_1)
	v_mul_f32_e32 v4, 0x2f800000, v3
	v_trunc_f32_e32 v4, v4
	s_delay_alu instid0(VALU_DEP_1) | instskip(SKIP_1) | instid1(VALU_DEP_2)
	v_fmac_f32_e32 v3, 0xcf800000, v4
	v_cvt_u32_f32_e32 v4, v4
	v_cvt_u32_f32_e32 v3, v3
	s_delay_alu instid0(VALU_DEP_2) | instskip(NEXT) | instid1(VALU_DEP_2)
	v_readfirstlane_b32 s4, v4
	v_readfirstlane_b32 s5, v3
	s_delay_alu instid0(VALU_DEP_2) | instskip(NEXT) | instid1(VALU_DEP_1)
	s_mul_i32 s8, s6, s4
	s_mul_hi_u32 s10, s6, s5
	s_mul_i32 s9, s7, s5
	s_add_i32 s8, s10, s8
	s_mul_i32 s11, s6, s5
	s_add_i32 s8, s8, s9
	s_mul_hi_u32 s10, s5, s11
	s_mul_hi_u32 s12, s4, s11
	s_mul_i32 s9, s4, s11
	s_mul_hi_u32 s11, s5, s8
	s_mul_i32 s5, s5, s8
	s_mul_hi_u32 s13, s4, s8
	s_add_u32 s5, s10, s5
	s_addc_u32 s10, 0, s11
	s_add_u32 s5, s5, s9
	s_mul_i32 s8, s4, s8
	s_addc_u32 s5, s10, s12
	s_addc_u32 s9, s13, 0
	s_add_u32 s5, s5, s8
	s_addc_u32 s8, 0, s9
	v_add_co_u32 v3, s5, v3, s5
	s_delay_alu instid0(VALU_DEP_1) | instskip(SKIP_1) | instid1(VALU_DEP_1)
	s_cmp_lg_u32 s5, 0
	s_addc_u32 s4, s4, s8
	v_readfirstlane_b32 s5, v3
	s_mul_i32 s8, s6, s4
	s_delay_alu instid0(VALU_DEP_1)
	s_mul_hi_u32 s9, s6, s5
	s_mul_i32 s7, s7, s5
	s_add_i32 s8, s9, s8
	s_mul_i32 s6, s6, s5
	s_add_i32 s8, s8, s7
	s_mul_hi_u32 s9, s4, s6
	s_mul_i32 s10, s4, s6
	s_mul_hi_u32 s6, s5, s6
	s_mul_hi_u32 s11, s5, s8
	s_mul_i32 s5, s5, s8
	s_mul_hi_u32 s7, s4, s8
	s_add_u32 s5, s6, s5
	s_addc_u32 s6, 0, s11
	s_add_u32 s5, s5, s10
	s_mul_i32 s8, s4, s8
	s_addc_u32 s5, s6, s9
	s_addc_u32 s6, s7, 0
	s_add_u32 s5, s5, s8
	s_addc_u32 s6, 0, s6
	v_add_co_u32 v3, s5, v3, s5
	s_delay_alu instid0(VALU_DEP_1) | instskip(SKIP_1) | instid1(VALU_DEP_1)
	s_cmp_lg_u32 s5, 0
	s_addc_u32 s4, s4, s6
	v_readfirstlane_b32 s5, v3
	s_mul_i32 s7, s24, s4
	s_mul_hi_u32 s6, s24, s4
	s_mul_hi_u32 s8, s25, s4
	s_mul_i32 s4, s25, s4
	s_mul_hi_u32 s9, s24, s5
	s_mul_hi_u32 s10, s25, s5
	s_mul_i32 s5, s25, s5
	s_add_u32 s7, s9, s7
	s_addc_u32 s6, 0, s6
	s_add_u32 s5, s7, s5
	s_addc_u32 s5, s6, s10
	s_addc_u32 s6, s8, 0
	s_add_u32 s4, s5, s4
	s_addc_u32 s5, 0, s6
	s_mul_hi_u32 s6, s23, s4
	s_mul_i32 s4, s23, s4
	s_mul_i32 s5, s23, s5
	v_sub_co_u32 v3, s4, s24, s4
	s_add_i32 s6, s6, s5
	s_cmp_lg_u32 s4, 0
	s_delay_alu instid0(VALU_DEP_1) | instskip(SKIP_2) | instid1(VALU_DEP_1)
	v_sub_co_u32 v4, s4, v3, s23
	s_subb_u32 s5, s25, s6
	s_cmp_lg_u32 s4, 0
	v_cmp_le_u32_e32 vcc_lo, s23, v4
	v_sub_co_u32 v7, s4, v4, s23
	s_subb_u32 s6, s5, 0
	s_cmp_lg_u32 s4, 0
	v_cndmask_b32_e64 v8, 0, -1, vcc_lo
	s_subb_u32 s4, s6, 0
	s_cmp_eq_u32 s6, 0
	v_mov_b32_e32 v10, s4
	s_cselect_b32 vcc_lo, -1, 0
	s_cmp_eq_u32 s5, 0
	v_cndmask_b32_e32 v8, -1, v8, vcc_lo
	v_cmp_le_u32_e32 vcc_lo, s23, v3
	s_cselect_b32 s4, -1, 0
	v_cndmask_b32_e64 v9, 0, -1, vcc_lo
	s_delay_alu instid0(VALU_DEP_3) | instskip(NEXT) | instid1(VALU_DEP_2)
	v_cmp_ne_u32_e32 vcc_lo, 0, v8
	v_cndmask_b32_e64 v8, -1, v9, s4
	v_cndmask_b32_e32 v9, s6, v10, vcc_lo
	v_cndmask_b32_e32 v7, v4, v7, vcc_lo
	s_delay_alu instid0(VALU_DEP_3) | instskip(NEXT) | instid1(VALU_DEP_3)
	v_cmp_ne_u32_e32 vcc_lo, 0, v8
	v_cndmask_b32_e32 v4, s5, v9, vcc_lo
	s_delay_alu instid0(VALU_DEP_3)
	v_cndmask_b32_e32 v3, v3, v7, vcc_lo
	s_cbranch_execnz .LBB102_61
.LBB102_60:                             ;   in Loop: Header=BB102_24 Depth=1
	v_cvt_f32_u32_e32 v3, s23
	s_sub_i32 s4, 0, s23
	s_delay_alu instid0(VALU_DEP_1) | instskip(SKIP_2) | instid1(VALU_DEP_1)
	v_rcp_iflag_f32_e32 v3, v3
	s_waitcnt_depctr 0xfff
	v_mul_f32_e32 v3, 0x4f7ffffe, v3
	v_cvt_u32_f32_e32 v3, v3
	s_delay_alu instid0(VALU_DEP_1) | instskip(NEXT) | instid1(VALU_DEP_1)
	v_mul_lo_u32 v4, s4, v3
	v_mul_hi_u32 v4, v3, v4
	s_delay_alu instid0(VALU_DEP_1) | instskip(NEXT) | instid1(VALU_DEP_1)
	v_add_nc_u32_e32 v3, v3, v4
	v_mul_hi_u32 v3, s24, v3
	s_delay_alu instid0(VALU_DEP_1) | instskip(NEXT) | instid1(VALU_DEP_1)
	v_mul_lo_u32 v3, v3, s23
	v_sub_nc_u32_e32 v3, s24, v3
	s_delay_alu instid0(VALU_DEP_1) | instskip(SKIP_1) | instid1(VALU_DEP_2)
	v_subrev_nc_u32_e32 v4, s23, v3
	v_cmp_le_u32_e32 vcc_lo, s23, v3
	v_cndmask_b32_e32 v3, v3, v4, vcc_lo
	s_delay_alu instid0(VALU_DEP_1) | instskip(SKIP_1) | instid1(VALU_DEP_2)
	v_subrev_nc_u32_e32 v4, s23, v3
	v_cmp_le_u32_e32 vcc_lo, s23, v3
	v_cndmask_b32_e32 v15, v3, v4, vcc_lo
	s_delay_alu instid0(VALU_DEP_1)
	v_dual_mov_b32 v3, v15 :: v_dual_mov_b32 v4, v16
.LBB102_61:                             ;   in Loop: Header=BB102_24 Depth=1
	v_mov_b32_e32 v7, 0
	v_mov_b32_e32 v8, 0
	s_delay_alu instid0(VALU_DEP_3) | instskip(NEXT) | instid1(VALU_DEP_4)
	v_sub_co_u32 v3, vcc_lo, s24, v3
	v_sub_co_ci_u32_e32 v4, vcc_lo, s25, v4, vcc_lo
	s_delay_alu instid0(VALU_DEP_3)
	v_dual_mov_b32 v10, v8 :: v_dual_mov_b32 v9, v7
	v_dual_mov_b32 v12, v8 :: v_dual_mov_b32 v11, v7
	;; [unrolled: 1-line block ×3, first 2 shown]
	s_mov_b64 s[78:79], 0
	s_mov_b32 s66, exec_lo
	v_cmpx_gt_u64_e64 v[3:4], v[19:20]
	s_cbranch_execz .LBB102_65
; %bb.62:                               ;   in Loop: Header=BB102_24 Depth=1
	v_dual_mov_b32 v22, v20 :: v_dual_mov_b32 v21, v19
	s_and_b32 s68, s99, 0xfe
	s_mov_b32 s77, 0
	s_mov_b64 s[80:81], 0
	s_mov_b64 s[82:83], 0
	;; [unrolled: 1-line block ×3, first 2 shown]
.LBB102_63:                             ;   Parent Loop BB102_24 Depth=1
                                        ; =>  This Inner Loop Header: Depth=2
	v_mul_lo_u32 v9, v22, s54
	v_mul_lo_u32 v10, v21, s55
	v_mad_u64_u32 v[7:8], null, v21, s54, 0
	s_lshl_b64 s[6:7], s[54:55], 3
	s_delay_alu instid0(VALU_DEP_1) | instskip(NEXT) | instid1(VALU_DEP_1)
	v_add3_u32 v8, v8, v10, v9
	v_lshlrev_b64 v[7:8], 3, v[7:8]
	s_delay_alu instid0(VALU_DEP_1) | instskip(NEXT) | instid1(VALU_DEP_2)
	v_add_co_u32 v7, vcc_lo, s27, v7
	v_add_co_ci_u32_e32 v8, vcc_lo, s33, v8, vcc_lo
	s_delay_alu instid0(VALU_DEP_2)
	v_add_co_u32 v9, vcc_lo, v7, s6
	global_load_b64 v[11:12], v[7:8], off
	v_add_co_ci_u32_e32 v10, vcc_lo, s7, v8, vcc_lo
	s_waitcnt vmcnt(0)
	v_xor_b32_e32 v12, 0x80000000, v12
	v_and_b32_e32 v7, s74, v11
	s_delay_alu instid0(VALU_DEP_2) | instskip(SKIP_1) | instid1(VALU_DEP_2)
	v_and_b32_e32 v8, s75, v12
	v_lshrrev_b64 v[11:12], s68, v[11:12]
	v_cmp_eq_u64_e32 vcc_lo, s[72:73], v[7:8]
	v_add_co_u32 v7, s4, v9, s6
	s_delay_alu instid0(VALU_DEP_1)
	v_add_co_ci_u32_e64 v8, s4, s7, v10, s4
	global_load_b64 v[9:10], v[9:10], off
	v_and_b32_e32 v15, 3, v11
	s_waitcnt vmcnt(0)
	v_xor_b32_e32 v10, 0x80000000, v10
	v_and_b32_e32 v11, s74, v9
	s_delay_alu instid0(VALU_DEP_2) | instskip(SKIP_2) | instid1(VALU_DEP_3)
	v_and_b32_e32 v12, s75, v10
	v_lshrrev_b64 v[9:10], s68, v[9:10]
	v_mov_b32_e32 v10, v16
	v_cmp_eq_u64_e64 s4, s[72:73], v[11:12]
	v_add_co_u32 v11, s5, v7, s6
	s_delay_alu instid0(VALU_DEP_1)
	v_add_co_ci_u32_e64 v12, s5, s7, v8, s5
	global_load_b64 v[7:8], v[7:8], off
	v_and_b32_e32 v9, 3, v9
	v_add_co_u32 v21, s6, v21, s23
	global_load_b64 v[11:12], v[11:12], off
	v_add_co_ci_u32_e64 v22, s6, 0, v22, s6
	v_cmp_eq_u64_e64 s7, 0, v[9:10]
	v_cmp_eq_u64_e64 s8, 1, v[9:10]
	;; [unrolled: 1-line block ×4, first 2 shown]
	v_cmp_ge_u64_e64 s6, v[21:22], v[3:4]
	s_and_b32 s19, s4, s7
	s_waitcnt vmcnt(1)
	v_xor_b32_e32 v8, 0x80000000, v8
	v_and_b32_e32 v13, s74, v7
	s_waitcnt vmcnt(0)
	v_xor_b32_e32 v12, 0x80000000, v12
	s_delay_alu instid0(VALU_DEP_3)
	v_and_b32_e32 v14, s75, v8
	v_lshrrev_b64 v[7:8], s68, v[7:8]
	v_mov_b32_e32 v8, v16
	v_cmp_eq_u64_e64 s12, 0, v[15:16]
	v_and_b32_e32 v9, s74, v11
	v_and_b32_e32 v10, s75, v12
	v_lshrrev_b64 v[11:12], s68, v[11:12]
	v_and_b32_e32 v7, 3, v7
	v_cmp_eq_u64_e64 s5, s[72:73], v[13:14]
	s_and_b32 s12, vcc_lo, s12
	v_cmp_eq_u64_e64 s11, s[72:73], v[9:10]
	s_delay_alu instid0(VALU_DEP_4)
	v_dual_mov_b32 v10, v16 :: v_dual_and_b32 v9, 3, v11
	v_cndmask_b32_e64 v12, 0, 1, s12
	v_cmp_eq_u64_e64 s12, 0, v[7:8]
	v_cmp_eq_u64_e64 s16, 1, v[7:8]
	;; [unrolled: 1-line block ×4, first 2 shown]
	v_cndmask_b32_e64 v7, 0, 1, s19
	v_cmp_eq_u64_e64 s19, 0, v[9:10]
	v_cmp_ne_u32_e64 s7, 0, v12
	s_and_b32 s58, s5, s12
	v_cmp_eq_u64_e64 s13, 1, v[15:16]
	v_cmp_ne_u32_e64 s12, 0, v7
	v_cndmask_b32_e64 v7, 0, 1, s58
	s_bcnt1_i32_b32 s58, s7
	s_and_b32 s7, s11, s19
	v_cmp_eq_u64_e64 s20, 1, v[9:10]
	v_cndmask_b32_e64 v8, 0, 1, s7
	s_bcnt1_i32_b32 s12, s12
	v_cmp_ne_u32_e64 s7, 0, v7
	s_add_i32 s19, s12, s58
	v_cmp_eq_u64_e64 s21, 2, v[9:10]
	v_cmp_ne_u32_e64 s12, 0, v8
	v_cmp_eq_u64_e64 s22, 3, v[9:10]
	s_bcnt1_i32_b32 s7, s7
	v_cmp_eq_u64_e64 s14, 2, v[15:16]
	s_add_i32 s7, s19, s7
	s_bcnt1_i32_b32 s12, s12
	v_cmp_eq_u64_e64 s15, 3, v[15:16]
	s_add_i32 s7, s7, s12
	s_delay_alu instid0(SALU_CYCLE_1)
	s_add_u32 s84, s84, s7
	s_addc_u32 s85, s85, 0
	s_and_b32 s7, vcc_lo, s13
	s_and_b32 s8, s4, s8
	s_and_b32 s12, s5, s16
	v_cndmask_b32_e64 v7, 0, 1, s7
	v_cndmask_b32_e64 v8, 0, 1, s8
	s_and_b32 s13, s11, s20
	v_cndmask_b32_e64 v9, 0, 1, s12
	v_cndmask_b32_e64 v10, 0, 1, s13
	v_cmp_ne_u32_e64 s7, 0, v7
	v_cmp_ne_u32_e64 s8, 0, v8
	s_delay_alu instid0(VALU_DEP_4) | instskip(NEXT) | instid1(VALU_DEP_4)
	v_cmp_ne_u32_e64 s12, 0, v9
	v_cmp_ne_u32_e64 s13, 0, v10
	s_delay_alu instid0(VALU_DEP_4) | instskip(NEXT) | instid1(VALU_DEP_3)
	s_bcnt1_i32_b32 s7, s7
	s_bcnt1_i32_b32 s8, s8
	s_delay_alu instid0(VALU_DEP_2) | instskip(SKIP_3) | instid1(SALU_CYCLE_1)
	s_bcnt1_i32_b32 s12, s12
	s_add_i32 s7, s8, s7
	s_bcnt1_i32_b32 s13, s13
	s_add_i32 s7, s7, s12
	s_add_i32 s7, s7, s13
	s_delay_alu instid0(SALU_CYCLE_1)
	s_add_u32 s82, s82, s7
	s_addc_u32 s83, s83, 0
	s_and_b32 s7, vcc_lo, s14
	s_and_b32 s8, s4, s9
	s_and_b32 s9, s5, s17
	v_cndmask_b32_e64 v7, 0, 1, s7
	v_cndmask_b32_e64 v8, 0, 1, s8
	s_and_b32 s12, s11, s21
	v_cndmask_b32_e64 v9, 0, 1, s9
	v_cndmask_b32_e64 v10, 0, 1, s12
	v_cmp_ne_u32_e64 s7, 0, v7
	v_cmp_ne_u32_e64 s8, 0, v8
	s_delay_alu instid0(VALU_DEP_4) | instskip(NEXT) | instid1(VALU_DEP_4)
	v_cmp_ne_u32_e64 s9, 0, v9
	v_cmp_ne_u32_e64 s12, 0, v10
	s_delay_alu instid0(VALU_DEP_4) | instskip(NEXT) | instid1(VALU_DEP_3)
	s_bcnt1_i32_b32 s7, s7
	s_bcnt1_i32_b32 s8, s8
	s_delay_alu instid0(VALU_DEP_2) | instskip(SKIP_3) | instid1(SALU_CYCLE_1)
	s_bcnt1_i32_b32 s9, s9
	s_add_i32 s7, s8, s7
	s_bcnt1_i32_b32 s12, s12
	s_add_i32 s7, s7, s9
	s_add_i32 s7, s7, s12
	s_delay_alu instid0(SALU_CYCLE_1)
	s_add_u32 s80, s80, s7
	s_addc_u32 s81, s81, 0
	s_and_b32 s7, vcc_lo, s15
	s_and_b32 s4, s4, s10
	s_and_b32 s5, s5, s18
	v_cndmask_b32_e64 v7, 0, 1, s7
	v_cndmask_b32_e64 v8, 0, 1, s4
	s_and_b32 s8, s11, s22
	v_cndmask_b32_e64 v9, 0, 1, s5
	v_cndmask_b32_e64 v10, 0, 1, s8
	v_cmp_ne_u32_e32 vcc_lo, 0, v7
	v_cmp_ne_u32_e64 s4, 0, v8
	v_mov_b32_e32 v7, s84
	v_cmp_ne_u32_e64 s5, 0, v9
	v_cmp_ne_u32_e64 s7, 0, v10
	s_bcnt1_i32_b32 s8, vcc_lo
	s_bcnt1_i32_b32 s4, s4
	v_mov_b32_e32 v9, s82
	s_bcnt1_i32_b32 s5, s5
	s_add_i32 s4, s4, s8
	s_bcnt1_i32_b32 s7, s7
	s_add_i32 s4, s4, s5
	v_dual_mov_b32 v11, s80 :: v_dual_mov_b32 v12, s81
	s_add_i32 s4, s4, s7
	v_mov_b32_e32 v8, s85
	s_add_u32 s78, s78, s4
	s_addc_u32 s79, s79, 0
	v_dual_mov_b32 v13, s78 :: v_dual_mov_b32 v10, s83
	v_mov_b32_e32 v14, s79
	s_or_b32 s77, s6, s77
	s_delay_alu instid0(SALU_CYCLE_1)
	s_and_not1_b32 exec_lo, exec_lo, s77
	s_cbranch_execnz .LBB102_63
; %bb.64:                               ;   in Loop: Header=BB102_24 Depth=1
	s_or_b32 exec_lo, exec_lo, s77
.LBB102_65:                             ;   in Loop: Header=BB102_24 Depth=1
	s_delay_alu instid0(SALU_CYCLE_1) | instskip(SKIP_4) | instid1(VALU_DEP_3)
	s_or_b32 exec_lo, exec_lo, s66
	v_add_co_u32 v3, vcc_lo, v3, v0
	v_add_co_ci_u32_e32 v4, vcc_lo, 0, v4, vcc_lo
	v_dual_mov_b32 v23, 0 :: v_dual_and_b32 v32, 0xffff, v23
	v_mov_b32_e32 v24, 0
	v_cmp_gt_u64_e32 vcc_lo, s[24:25], v[3:4]
	s_and_saveexec_b32 s5, vcc_lo
	s_cbranch_execz .LBB102_67
; %bb.66:                               ;   in Loop: Header=BB102_24 Depth=1
	v_mul_lo_u32 v15, v4, s54
	v_mul_lo_u32 v23, v3, s55
	v_mad_u64_u32 v[21:22], null, v3, s54, 0
	s_delay_alu instid0(VALU_DEP_1) | instskip(NEXT) | instid1(VALU_DEP_1)
	v_add3_u32 v22, v22, v23, v15
	v_lshlrev_b64 v[21:22], 3, v[21:22]
	s_delay_alu instid0(VALU_DEP_1) | instskip(NEXT) | instid1(VALU_DEP_1)
	v_add_co_u32 v21, s4, s27, v21
	v_add_co_ci_u32_e64 v22, s4, s33, v22, s4
	global_load_b64 v[23:24], v[21:22], off
.LBB102_67:                             ;   in Loop: Header=BB102_24 Depth=1
	s_or_b32 exec_lo, exec_lo, s5
	s_and_saveexec_b32 s8, vcc_lo
	s_cbranch_execz .LBB102_74
; %bb.68:                               ;   in Loop: Header=BB102_24 Depth=1
	s_and_b32 s9, s99, 0xfe
	s_mov_b32 s10, 0
	s_branch .LBB102_70
.LBB102_69:                             ;   in Loop: Header=BB102_70 Depth=2
	s_or_b32 exec_lo, exec_lo, s5
	s_waitcnt vmcnt(0)
	v_xor_b32_e32 v24, 0x80000000, v24
	s_and_b32 s6, exec_lo, vcc_lo
	s_delay_alu instid0(SALU_CYCLE_1) | instskip(NEXT) | instid1(VALU_DEP_1)
	s_or_b32 s10, s6, s10
	v_lshrrev_b64 v[33:34], s9, v[23:24]
	v_and_b32_e32 v23, s74, v23
	v_and_b32_e32 v24, s75, v24
	s_delay_alu instid0(VALU_DEP_3) | instskip(NEXT) | instid1(VALU_DEP_2)
	v_and_b32_e32 v15, 3, v33
	v_cmp_eq_u64_e64 s4, s[72:73], v[23:24]
	s_delay_alu instid0(VALU_DEP_2) | instskip(SKIP_3) | instid1(VALU_DEP_4)
	v_cmp_eq_u64_e64 s5, 0, v[15:16]
	v_cmp_eq_u64_e32 vcc_lo, 1, v[15:16]
	v_cmp_eq_u64_e64 s6, 2, v[15:16]
	v_cmp_eq_u64_e64 s7, 3, v[15:16]
	s_and_b32 s5, s4, s5
	s_delay_alu instid0(SALU_CYCLE_1) | instskip(SKIP_1) | instid1(SALU_CYCLE_1)
	v_cndmask_b32_e64 v15, 0, 1, s5
	s_and_b32 s5, s4, vcc_lo
	v_cndmask_b32_e64 v23, 0, 1, s5
	s_and_b32 s5, s4, s6
	s_delay_alu instid0(VALU_DEP_2) | instskip(SKIP_2) | instid1(SALU_CYCLE_1)
	v_cmp_ne_u32_e32 vcc_lo, 0, v15
	v_cndmask_b32_e64 v24, 0, 1, s5
	s_and_b32 s4, s4, s7
	v_cndmask_b32_e64 v33, 0, 1, s4
	v_cmp_ne_u32_e64 s4, 0, v23
	s_bcnt1_i32_b32 s7, vcc_lo
	v_cmp_ne_u32_e64 s5, 0, v24
	v_mov_b32_e32 v24, v22
	v_add_co_u32 v7, vcc_lo, v7, s7
	s_bcnt1_i32_b32 s4, s4
	v_cmp_ne_u32_e64 s6, 0, v33
	v_add_co_ci_u32_e32 v8, vcc_lo, 0, v8, vcc_lo
	v_add_co_u32 v9, vcc_lo, v9, s4
	s_bcnt1_i32_b32 s5, s5
	v_add_co_ci_u32_e32 v10, vcc_lo, 0, v10, vcc_lo
	v_add_co_u32 v11, vcc_lo, v11, s5
	s_bcnt1_i32_b32 s4, s6
	v_add_co_ci_u32_e32 v12, vcc_lo, 0, v12, vcc_lo
	v_add_co_u32 v13, vcc_lo, v13, s4
	v_add_co_ci_u32_e32 v14, vcc_lo, 0, v14, vcc_lo
	v_mov_b32_e32 v23, v21
	s_and_not1_b32 exec_lo, exec_lo, s10
	s_cbranch_execz .LBB102_73
.LBB102_70:                             ;   Parent Loop BB102_24 Depth=1
                                        ; =>  This Inner Loop Header: Depth=2
	v_add_co_u32 v3, vcc_lo, v3, v32
	v_add_co_ci_u32_e32 v4, vcc_lo, 0, v4, vcc_lo
	v_mov_b32_e32 v21, 0
	v_mov_b32_e32 v22, 0
	s_mov_b32 s5, exec_lo
	s_delay_alu instid0(VALU_DEP_3)
	v_cmp_le_u64_e32 vcc_lo, s[24:25], v[3:4]
	v_cmpx_gt_u64_e64 s[24:25], v[3:4]
	s_cbranch_execz .LBB102_69
; %bb.71:                               ;   in Loop: Header=BB102_70 Depth=2
	v_mul_lo_u32 v15, v4, s54
	v_mul_lo_u32 v33, v3, s55
	v_mad_u64_u32 v[21:22], null, v3, s54, 0
	s_delay_alu instid0(VALU_DEP_1) | instskip(NEXT) | instid1(VALU_DEP_1)
	v_add3_u32 v22, v22, v33, v15
	v_lshlrev_b64 v[21:22], 3, v[21:22]
	s_delay_alu instid0(VALU_DEP_1) | instskip(NEXT) | instid1(VALU_DEP_1)
	v_add_co_u32 v21, s4, s27, v21
	v_add_co_ci_u32_e64 v22, s4, s33, v22, s4
	global_load_b64 v[21:22], v[21:22], off
	s_branch .LBB102_69
.LBB102_72:                             ;   in Loop: Header=BB102_24 Depth=1
                                        ; implicit-def: $vgpr13_vgpr14
                                        ; implicit-def: $vgpr9_vgpr10
	s_cbranch_execnz .LBB102_75
	s_branch .LBB102_84
.LBB102_73:                             ;   in Loop: Header=BB102_24 Depth=1
	s_or_b32 exec_lo, exec_lo, s10
.LBB102_74:                             ;   in Loop: Header=BB102_24 Depth=1
	s_delay_alu instid0(SALU_CYCLE_1)
	s_or_b32 exec_lo, exec_lo, s8
	s_branch .LBB102_84
.LBB102_75:                             ;   in Loop: Header=BB102_24 Depth=1
	global_load_u16 v3, v16, s[70:71]
	s_mov_b64 s[78:79], 0
	s_mov_b32 s77, exec_lo
	v_mov_b32_e32 v7, 0
	s_waitcnt vmcnt(0)
	v_dual_mov_b32 v8, 0 :: v_dual_and_b32 v21, 0xffff, v3
	v_readfirstlane_b32 s4, v3
	s_delay_alu instid0(VALU_DEP_2) | instskip(SKIP_1) | instid1(VALU_DEP_3)
	v_dual_mov_b32 v10, v8 :: v_dual_mov_b32 v9, v7
	v_dual_mov_b32 v12, v8 :: v_dual_mov_b32 v11, v7
	s_and_b32 s4, 0xffff, s4
	v_dual_mov_b32 v14, v8 :: v_dual_mov_b32 v13, v7
	s_lshl_b32 s68, s4, 2
	s_delay_alu instid0(SALU_CYCLE_1) | instskip(SKIP_1) | instid1(VALU_DEP_1)
	v_cvt_f32_u32_e32 v4, s68
	s_sub_i32 s5, 0, s68
	v_rcp_iflag_f32_e32 v4, v4
	s_waitcnt_depctr 0xfff
	v_mul_f32_e32 v4, 0x4f7ffffe, v4
	s_delay_alu instid0(VALU_DEP_1) | instskip(NEXT) | instid1(VALU_DEP_1)
	v_cvt_u32_f32_e32 v4, v4
	v_readfirstlane_b32 s4, v4
	s_delay_alu instid0(VALU_DEP_1) | instskip(NEXT) | instid1(SALU_CYCLE_1)
	s_mul_i32 s5, s5, s4
	s_mul_hi_u32 s5, s4, s5
	s_delay_alu instid0(SALU_CYCLE_1) | instskip(NEXT) | instid1(SALU_CYCLE_1)
	s_add_i32 s4, s4, s5
	s_mul_hi_u32 s4, s76, s4
	s_delay_alu instid0(SALU_CYCLE_1) | instskip(NEXT) | instid1(SALU_CYCLE_1)
	s_mul_i32 s4, s4, s68
	s_sub_i32 s4, s76, s4
	s_delay_alu instid0(SALU_CYCLE_1) | instskip(SKIP_2) | instid1(SALU_CYCLE_1)
	s_sub_i32 s5, s4, s68
	s_cmp_ge_u32 s4, s68
	s_cselect_b32 s4, s5, s4
	s_sub_i32 s5, s4, s68
	s_cmp_ge_u32 s4, s68
	s_cselect_b32 s4, s5, s4
	s_delay_alu instid0(SALU_CYCLE_1) | instskip(NEXT) | instid1(SALU_CYCLE_1)
	s_sub_i32 s66, s76, s4
	v_cmpx_gt_u32_e64 s66, v19
	s_cbranch_execz .LBB102_79
; %bb.76:                               ;   in Loop: Header=BB102_24 Depth=1
	v_dual_mov_b32 v23, v30 :: v_dual_lshlrev_b32 v22, 5, v21
	v_dual_mov_b32 v3, v19 :: v_dual_mov_b32 v4, v20
	s_and_b32 vcc_hi, s99, 0xfe
	s_mov_b32 s58, 0
	s_mov_b64 s[80:81], 0
	s_mov_b64 s[82:83], 0
	;; [unrolled: 1-line block ×3, first 2 shown]
.LBB102_77:                             ;   Parent Loop BB102_24 Depth=1
                                        ; =>  This Inner Loop Header: Depth=2
	ds_load_b128 v[7:10], v23
	v_add_co_u32 v3, s7, v3, s68
	s_delay_alu instid0(VALU_DEP_1) | instskip(NEXT) | instid1(VALU_DEP_1)
	v_add_co_ci_u32_e64 v4, s7, 0, v4, s7
	v_cmp_le_u64_e64 s7, s[66:67], v[3:4]
	s_waitcnt lgkmcnt(0)
	v_xor_b32_e32 v8, 0x80000000, v8
	v_xor_b32_e32 v10, 0x80000000, v10
	v_and_b32_e32 v11, s74, v7
	v_and_b32_e32 v13, s74, v9
	s_delay_alu instid0(VALU_DEP_4)
	v_lshrrev_b64 v[32:33], vcc_hi, v[7:8]
	v_and_b32_e32 v12, s75, v8
	v_and_b32_e32 v14, s75, v10
	v_lshrrev_b64 v[33:34], vcc_hi, v[9:10]
	ds_load_b128 v[7:10], v23 offset:16
	v_add_nc_u32_e32 v23, v23, v22
	v_and_b32_e32 v15, 3, v32
	s_delay_alu instid0(VALU_DEP_1)
	v_cmp_eq_u64_e64 s8, 0, v[15:16]
	v_cmp_eq_u64_e64 s12, 1, v[15:16]
	;; [unrolled: 1-line block ×3, first 2 shown]
	s_waitcnt lgkmcnt(0)
	v_xor_b32_e32 v8, 0x80000000, v8
	v_xor_b32_e32 v10, 0x80000000, v10
	v_and_b32_e32 v34, s74, v7
	v_and_b32_e32 v36, s74, v9
	s_delay_alu instid0(VALU_DEP_4)
	v_and_b32_e32 v35, s75, v8
	v_lshrrev_b64 v[7:8], vcc_hi, v[7:8]
	v_lshrrev_b64 v[8:9], vcc_hi, v[9:10]
	v_and_b32_e32 v37, s75, v10
	v_dual_mov_b32 v10, v16 :: v_dual_and_b32 v9, 3, v33
	v_cmp_eq_u64_e32 vcc_lo, s[72:73], v[11:12]
	v_dual_mov_b32 v12, v16 :: v_dual_and_b32 v11, 3, v7
	v_dual_mov_b32 v8, v16 :: v_dual_and_b32 v7, 3, v8
	v_cmp_eq_u64_e64 s4, s[72:73], v[13:14]
	v_cmp_eq_u64_e64 s9, 0, v[9:10]
	;; [unrolled: 1-line block ×6, first 2 shown]
	s_and_b32 s8, vcc_lo, s8
	s_and_b32 s9, s4, s9
	v_cmp_eq_u64_e64 s15, 1, v[7:8]
	v_cmp_eq_u64_e64 s19, 2, v[7:8]
	;; [unrolled: 1-line block ×3, first 2 shown]
	s_and_b32 s10, s5, s10
	v_cndmask_b32_e64 v7, 0, 1, s8
	v_cndmask_b32_e64 v8, 0, 1, s9
	v_cmp_eq_u64_e64 s13, 1, v[9:10]
	v_cmp_eq_u64_e64 s17, 2, v[9:10]
	;; [unrolled: 1-line block ×3, first 2 shown]
	s_and_b32 s11, s6, s11
	v_cndmask_b32_e64 v9, 0, 1, s10
	v_cndmask_b32_e64 v10, 0, 1, s11
	v_cmp_ne_u32_e64 s8, 0, v7
	v_cmp_ne_u32_e64 s9, 0, v8
	v_cmp_eq_u64_e64 s14, 1, v[11:12]
	v_cmp_ne_u32_e64 s10, 0, v9
	v_cmp_ne_u32_e64 s11, 0, v10
	s_bcnt1_i32_b32 s8, s8
	s_bcnt1_i32_b32 s9, s9
	v_cmp_eq_u64_e64 s18, 2, v[11:12]
	s_bcnt1_i32_b32 s10, s10
	s_add_i32 s8, s9, s8
	s_bcnt1_i32_b32 s11, s11
	s_add_i32 s8, s8, s10
	v_cmp_eq_u64_e64 s22, 3, v[11:12]
	s_add_i32 s8, s8, s11
	s_delay_alu instid0(SALU_CYCLE_1)
	s_add_u32 s84, s84, s8
	s_addc_u32 s85, s85, 0
	s_and_b32 s8, vcc_lo, s12
	s_and_b32 s9, s4, s13
	s_and_b32 s10, s5, s14
	v_cndmask_b32_e64 v7, 0, 1, s8
	v_cndmask_b32_e64 v8, 0, 1, s9
	s_and_b32 s11, s6, s15
	v_cndmask_b32_e64 v9, 0, 1, s10
	v_cndmask_b32_e64 v10, 0, 1, s11
	v_cmp_ne_u32_e64 s8, 0, v7
	v_cmp_ne_u32_e64 s9, 0, v8
	s_delay_alu instid0(VALU_DEP_4) | instskip(NEXT) | instid1(VALU_DEP_4)
	v_cmp_ne_u32_e64 s10, 0, v9
	v_cmp_ne_u32_e64 s11, 0, v10
	s_delay_alu instid0(VALU_DEP_4) | instskip(NEXT) | instid1(VALU_DEP_3)
	s_bcnt1_i32_b32 s8, s8
	s_bcnt1_i32_b32 s9, s9
	s_delay_alu instid0(VALU_DEP_2) | instskip(SKIP_3) | instid1(SALU_CYCLE_1)
	s_bcnt1_i32_b32 s10, s10
	s_add_i32 s8, s9, s8
	s_bcnt1_i32_b32 s11, s11
	s_add_i32 s8, s8, s10
	s_add_i32 s8, s8, s11
	s_delay_alu instid0(SALU_CYCLE_1)
	s_add_u32 s82, s82, s8
	s_addc_u32 s83, s83, 0
	s_and_b32 s8, vcc_lo, s16
	s_and_b32 s9, s4, s17
	s_and_b32 s10, s5, s18
	v_cndmask_b32_e64 v7, 0, 1, s8
	v_cndmask_b32_e64 v8, 0, 1, s9
	s_and_b32 s11, s6, s19
	v_cndmask_b32_e64 v9, 0, 1, s10
	v_cndmask_b32_e64 v10, 0, 1, s11
	v_cmp_ne_u32_e64 s8, 0, v7
	v_cmp_ne_u32_e64 s9, 0, v8
	s_delay_alu instid0(VALU_DEP_4) | instskip(NEXT) | instid1(VALU_DEP_4)
	v_cmp_ne_u32_e64 s10, 0, v9
	v_cmp_ne_u32_e64 s11, 0, v10
	s_delay_alu instid0(VALU_DEP_4) | instskip(NEXT) | instid1(VALU_DEP_3)
	s_bcnt1_i32_b32 s8, s8
	s_bcnt1_i32_b32 s9, s9
	s_delay_alu instid0(VALU_DEP_2) | instskip(SKIP_3) | instid1(SALU_CYCLE_1)
	s_bcnt1_i32_b32 s10, s10
	s_add_i32 s8, s9, s8
	s_bcnt1_i32_b32 s11, s11
	s_add_i32 s8, s8, s10
	s_add_i32 s8, s8, s11
	s_delay_alu instid0(SALU_CYCLE_1)
	s_add_u32 s80, s80, s8
	s_addc_u32 s81, s81, 0
	s_and_b32 s5, s5, s22
	s_and_b32 s6, s6, s23
	v_cndmask_b32_e64 v9, 0, 1, s5
	v_cndmask_b32_e64 v10, 0, 1, s6
	s_and_b32 s4, s4, s21
	v_mov_b32_e32 v11, s80
	v_cndmask_b32_e64 v8, 0, 1, s4
	v_cmp_ne_u32_e64 s5, 0, v9
	v_cmp_ne_u32_e64 s6, 0, v10
	v_dual_mov_b32 v9, s82 :: v_dual_mov_b32 v10, s83
	v_cmp_eq_u64_e64 s20, 3, v[15:16]
	v_cmp_ne_u32_e64 s4, 0, v8
	s_bcnt1_i32_b32 s5, s5
	s_bcnt1_i32_b32 s6, s6
	v_mov_b32_e32 v12, s81
	s_delay_alu instid0(VALU_DEP_3) | instskip(SKIP_2) | instid1(VALU_DEP_1)
	s_and_b32 s8, vcc_lo, s20
	s_bcnt1_i32_b32 s4, s4
	v_cndmask_b32_e64 v7, 0, 1, s8
	v_cmp_ne_u32_e32 vcc_lo, 0, v7
	v_dual_mov_b32 v7, s84 :: v_dual_mov_b32 v8, s85
	s_bcnt1_i32_b32 s8, vcc_lo
	s_delay_alu instid0(SALU_CYCLE_1) | instskip(NEXT) | instid1(SALU_CYCLE_1)
	s_add_i32 s4, s4, s8
	s_add_i32 s4, s4, s5
	s_delay_alu instid0(SALU_CYCLE_1) | instskip(NEXT) | instid1(SALU_CYCLE_1)
	s_add_i32 s4, s4, s6
	s_add_u32 s78, s78, s4
	s_addc_u32 s79, s79, 0
	s_delay_alu instid0(SALU_CYCLE_1) | instskip(SKIP_1) | instid1(SALU_CYCLE_1)
	v_dual_mov_b32 v13, s78 :: v_dual_mov_b32 v14, s79
	s_or_b32 s58, s7, s58
	s_and_not1_b32 exec_lo, exec_lo, s58
	s_cbranch_execnz .LBB102_77
; %bb.78:                               ;   in Loop: Header=BB102_24 Depth=1
	s_or_b32 exec_lo, exec_lo, s58
.LBB102_79:                             ;   in Loop: Header=BB102_24 Depth=1
	s_delay_alu instid0(SALU_CYCLE_1) | instskip(SKIP_2) | instid1(VALU_DEP_1)
	s_or_b32 exec_lo, exec_lo, s77
	v_add_nc_u32_e32 v15, s66, v0
	s_mov_b32 s9, exec_lo
	v_cmpx_gt_u32_e64 s76, v15
	s_cbranch_execz .LBB102_83
; %bb.80:                               ;   in Loop: Header=BB102_24 Depth=1
	v_dual_mov_b32 v3, v15 :: v_dual_lshlrev_b32 v22, 3, v15
	v_dual_mov_b32 v4, v16 :: v_dual_lshlrev_b32 v23, 3, v21
	s_mov_b32 s11, 0
	s_and_b32 s10, s76, 0x7fffffff
	s_and_b32 s13, s99, 0xfe
	s_mov_b32 s12, s11
.LBB102_81:                             ;   Parent Loop BB102_24 Depth=1
                                        ; =>  This Inner Loop Header: Depth=2
	ds_load_b64 v[32:33], v22
	v_add_co_u32 v3, vcc_lo, v3, v21
	v_add_co_ci_u32_e32 v4, vcc_lo, 0, v4, vcc_lo
	v_add_nc_u32_e32 v22, v22, v23
	s_delay_alu instid0(VALU_DEP_2) | instskip(SKIP_3) | instid1(VALU_DEP_2)
	v_cmp_le_u64_e32 vcc_lo, s[10:11], v[3:4]
	s_waitcnt lgkmcnt(0)
	v_xor_b32_e32 v33, 0x80000000, v33
	v_and_b32_e32 v34, s74, v32
	v_and_b32_e32 v35, s75, v33
	v_lshrrev_b64 v[32:33], s13, v[32:33]
	s_delay_alu instid0(VALU_DEP_2) | instskip(NEXT) | instid1(VALU_DEP_2)
	v_cmp_eq_u64_e64 s4, s[72:73], v[34:35]
	v_and_b32_e32 v15, 3, v32
	s_delay_alu instid0(VALU_DEP_1) | instskip(SKIP_3) | instid1(VALU_DEP_4)
	v_cmp_eq_u64_e64 s5, 0, v[15:16]
	v_cmp_eq_u64_e64 s6, 1, v[15:16]
	;; [unrolled: 1-line block ×4, first 2 shown]
	s_and_b32 s5, s4, s5
	s_delay_alu instid0(SALU_CYCLE_1) | instskip(NEXT) | instid1(VALU_DEP_4)
	v_cndmask_b32_e64 v15, 0, 1, s5
	s_and_b32 s5, s4, s6
	s_delay_alu instid0(SALU_CYCLE_1)
	v_cndmask_b32_e64 v24, 0, 1, s5
	s_and_b32 s5, s4, s7
	s_and_b32 s4, s4, s8
	v_cndmask_b32_e64 v32, 0, 1, s5
	v_cndmask_b32_e64 v33, 0, 1, s4
	v_cmp_ne_u32_e64 s4, 0, v15
	v_cmp_ne_u32_e64 s5, 0, v24
	s_delay_alu instid0(VALU_DEP_4) | instskip(NEXT) | instid1(VALU_DEP_4)
	v_cmp_ne_u32_e64 s6, 0, v32
	v_cmp_ne_u32_e64 s7, 0, v33
	s_delay_alu instid0(VALU_DEP_4) | instskip(NEXT) | instid1(VALU_DEP_3)
	s_bcnt1_i32_b32 s4, s4
	s_bcnt1_i32_b32 s5, s5
	v_add_co_u32 v7, s4, v7, s4
	s_delay_alu instid0(VALU_DEP_1)
	v_add_co_ci_u32_e64 v8, s4, 0, v8, s4
	v_add_co_u32 v9, s4, v9, s5
	s_bcnt1_i32_b32 s6, s6
	v_add_co_ci_u32_e64 v10, s4, 0, v10, s4
	v_add_co_u32 v11, s4, v11, s6
	s_bcnt1_i32_b32 s7, s7
	v_add_co_ci_u32_e64 v12, s4, 0, v12, s4
	v_add_co_u32 v13, s4, v13, s7
	s_delay_alu instid0(VALU_DEP_1) | instskip(SKIP_1) | instid1(SALU_CYCLE_1)
	v_add_co_ci_u32_e64 v14, s4, 0, v14, s4
	s_or_b32 s12, vcc_lo, s12
	s_and_not1_b32 exec_lo, exec_lo, s12
	s_cbranch_execnz .LBB102_81
; %bb.82:                               ;   in Loop: Header=BB102_24 Depth=1
	s_or_b32 exec_lo, exec_lo, s12
.LBB102_83:                             ;   in Loop: Header=BB102_24 Depth=1
	s_delay_alu instid0(SALU_CYCLE_1)
	s_or_b32 exec_lo, exec_lo, s9
.LBB102_84:                             ;   in Loop: Header=BB102_24 Depth=1
	s_lshl_b32 s4, s103, 7
	s_and_saveexec_b32 s5, s1
	s_cbranch_execz .LBB102_86
; %bb.85:                               ;   in Loop: Header=BB102_24 Depth=1
	v_or_b32_e32 v3, s4, v28
	s_delay_alu instid0(VALU_DEP_1)
	v_lshlrev_b32_e32 v3, 3, v3
	ds_store_b128 v3, v[7:10] offset:3072
	ds_store_b128 v3, v[11:14] offset:3088
.LBB102_86:                             ;   in Loop: Header=BB102_24 Depth=1
	s_or_b32 exec_lo, exec_lo, s5
	s_waitcnt vmcnt(0) lgkmcnt(0)
	s_barrier
	buffer_gl0_inv
	s_and_saveexec_b32 s5, s51
	s_cbranch_execz .LBB102_97
; %bb.87:                               ;   in Loop: Header=BB102_24 Depth=1
	v_mov_b32_e32 v3, 0
	v_mov_b32_e32 v4, 0
	s_and_not1_b32 vcc_lo, exec_lo, s93
	s_cbranch_vccnz .LBB102_96
; %bb.88:                               ;   in Loop: Header=BB102_24 Depth=1
	v_mov_b32_e32 v3, 0
	v_mov_b32_e32 v4, 0
	s_and_not1_b32 vcc_lo, exec_lo, s91
	s_cbranch_vccnz .LBB102_93
; %bb.89:                               ;   in Loop: Header=BB102_24 Depth=1
	v_lshl_add_u32 v7, s103, 10, v31
	s_mov_b32 s6, 0
	s_set_inst_prefetch_distance 0x1
	.p2align	6
.LBB102_90:                             ;   Parent Loop BB102_24 Depth=1
                                        ; =>  This Inner Loop Header: Depth=2
	ds_load_2addr_b64 v[8:11], v7 offset1:4
	ds_load_2addr_b64 v[12:15], v7 offset0:8 offset1:12
	ds_load_2addr_b64 v[21:24], v7 offset0:16 offset1:20
	s_add_i32 s6, s6, 8
	s_delay_alu instid0(SALU_CYCLE_1) | instskip(SKIP_3) | instid1(VALU_DEP_2)
	s_cmp_eq_u32 s92, s6
	s_waitcnt lgkmcnt(2)
	v_add_co_u32 v3, vcc_lo, v8, v3
	v_add_co_ci_u32_e32 v4, vcc_lo, v9, v4, vcc_lo
	v_add_co_u32 v3, vcc_lo, v10, v3
	s_delay_alu instid0(VALU_DEP_2)
	v_add_co_ci_u32_e32 v4, vcc_lo, v11, v4, vcc_lo
	ds_load_2addr_b64 v[8:11], v7 offset0:24 offset1:28
	s_waitcnt lgkmcnt(2)
	v_add_co_u32 v3, vcc_lo, v12, v3
	v_add_co_ci_u32_e32 v4, vcc_lo, v13, v4, vcc_lo
	v_add_nc_u32_e32 v7, 0x100, v7
	s_delay_alu instid0(VALU_DEP_3) | instskip(NEXT) | instid1(VALU_DEP_3)
	v_add_co_u32 v3, vcc_lo, v14, v3
	v_add_co_ci_u32_e32 v4, vcc_lo, v15, v4, vcc_lo
	s_waitcnt lgkmcnt(1)
	s_delay_alu instid0(VALU_DEP_2) | instskip(NEXT) | instid1(VALU_DEP_2)
	v_add_co_u32 v3, vcc_lo, v21, v3
	v_add_co_ci_u32_e32 v4, vcc_lo, v22, v4, vcc_lo
	s_delay_alu instid0(VALU_DEP_2) | instskip(NEXT) | instid1(VALU_DEP_2)
	v_add_co_u32 v3, vcc_lo, v23, v3
	v_add_co_ci_u32_e32 v4, vcc_lo, v24, v4, vcc_lo
	s_waitcnt lgkmcnt(0)
	s_delay_alu instid0(VALU_DEP_2) | instskip(NEXT) | instid1(VALU_DEP_2)
	v_add_co_u32 v3, vcc_lo, v8, v3
	v_add_co_ci_u32_e32 v4, vcc_lo, v9, v4, vcc_lo
	s_delay_alu instid0(VALU_DEP_2) | instskip(NEXT) | instid1(VALU_DEP_2)
	v_add_co_u32 v3, vcc_lo, v10, v3
	v_add_co_ci_u32_e32 v4, vcc_lo, v11, v4, vcc_lo
	s_cbranch_scc0 .LBB102_90
; %bb.91:                               ;   in Loop: Header=BB102_24 Depth=1
	s_set_inst_prefetch_distance 0x2
	s_mov_b32 s6, s92
	s_and_not1_b32 vcc_lo, exec_lo, s94
	s_cbranch_vccz .LBB102_94
	s_branch .LBB102_96
.LBB102_92:                             ;   in Loop: Header=BB102_24 Depth=1
                                        ; implicit-def: $vgpr3_vgpr4
	s_branch .LBB102_60
.LBB102_93:                             ;   in Loop: Header=BB102_24 Depth=1
	s_mov_b32 s6, 0
	s_and_not1_b32 vcc_lo, exec_lo, s94
	s_cbranch_vccnz .LBB102_96
.LBB102_94:                             ;   in Loop: Header=BB102_24 Depth=1
	s_lshl_b32 s7, s103, 10
	s_lshl_b32 s6, s6, 5
	s_delay_alu instid0(SALU_CYCLE_1)
	v_add3_u32 v7, s7, s6, v31
	s_mov_b32 s6, s90
.LBB102_95:                             ;   Parent Loop BB102_24 Depth=1
                                        ; =>  This Inner Loop Header: Depth=2
	ds_load_b64 v[8:9], v7
	v_add_nc_u32_e32 v7, 32, v7
	s_add_i32 s6, s6, -1
	s_delay_alu instid0(SALU_CYCLE_1)
	s_cmp_lg_u32 s6, 0
	s_waitcnt lgkmcnt(0)
	v_add_co_u32 v3, vcc_lo, v8, v3
	v_add_co_ci_u32_e32 v4, vcc_lo, v9, v4, vcc_lo
	s_cbranch_scc1 .LBB102_95
.LBB102_96:                             ;   in Loop: Header=BB102_24 Depth=1
	v_add_lshl_u32 v7, s4, v25, 3
	ds_store_b64 v7, v[3:4] offset:3072
.LBB102_97:                             ;   in Loop: Header=BB102_24 Depth=1
	s_or_b32 exec_lo, exec_lo, s5
	s_lshl_b32 s4, s4, 3
	s_waitcnt lgkmcnt(0)
	v_mov_b32_e32 v3, s4
	s_barrier
	buffer_gl0_inv
	s_and_b32 s21, s99, 0xfe
	s_mov_b32 s22, -1
	ds_load_b128 v[7:10], v3 offset:3072
	ds_load_b128 v[11:14], v3 offset:3088
	s_lshl_b64 s[8:9], 3, s21
	s_delay_alu instid0(SALU_CYCLE_1)
	s_not_b64 s[12:13], s[8:9]
	s_waitcnt lgkmcnt(1)
	v_readfirstlane_b32 s17, v8
	v_readfirstlane_b32 s16, v7
	;; [unrolled: 1-line block ×4, first 2 shown]
	s_waitcnt lgkmcnt(0)
	v_readfirstlane_b32 s10, v11
	v_readfirstlane_b32 s11, v12
	s_cmp_eq_u64 s[16:17], 1
	v_readfirstlane_b32 s6, v13
	s_cselect_b32 s4, -1, 0
	s_cmp_eq_u64 s[64:65], 1
	v_readfirstlane_b32 s7, v14
	s_cselect_b32 s5, -1, 0
	s_delay_alu instid0(SALU_CYCLE_1) | instskip(NEXT) | instid1(SALU_CYCLE_1)
	s_and_b32 s23, s4, s5
	s_and_b32 vcc_lo, exec_lo, s23
	s_cbranch_vccz .LBB102_112
; %bb.98:                               ;   in Loop: Header=BB102_24 Depth=1
	ds_load_b64 v[3:4], v16 offset:5120
	s_waitcnt lgkmcnt(0)
	s_barrier
	buffer_gl0_inv
	v_readfirstlane_b32 s18, v3
	v_readfirstlane_b32 s19, v4
	s_and_saveexec_b32 s4, s3
	s_cbranch_execz .LBB102_100
; %bb.99:                               ;   in Loop: Header=BB102_24 Depth=1
	v_mov_b32_e32 v15, v16
	ds_store_b64 v27, v[15:16]
.LBB102_100:                            ;   in Loop: Header=BB102_24 Depth=1
	s_or_b32 exec_lo, exec_lo, s4
	s_and_b64 s[72:73], s[72:73], s[12:13]
	s_or_b64 s[74:75], s[74:75], s[8:9]
	s_cmp_eq_u64 s[18:19], 0
	s_waitcnt lgkmcnt(0)
	s_barrier
	buffer_gl0_inv
	s_cbranch_scc1 .LBB102_113
; %bb.101:                              ;   in Loop: Header=BB102_24 Depth=1
	s_add_u32 s20, s87, s18
	s_addc_u32 s5, s88, s19
	s_mov_b32 s4, s67
	s_delay_alu instid0(SALU_CYCLE_1)
	s_cmp_lg_u64 s[4:5], 0
	s_cbranch_scc0 .LBB102_158
; %bb.102:                              ;   in Loop: Header=BB102_24 Depth=1
	v_cvt_f32_u32_e32 v3, s35
	s_sub_u32 s59, 0, s35
	s_subb_u32 s66, 0, 0
	s_delay_alu instid0(VALU_DEP_1) | instskip(NEXT) | instid1(VALU_DEP_1)
	v_fmac_f32_e64 v3, 0, 0x4f800000
	v_rcp_f32_e32 v3, v3
	s_waitcnt_depctr 0xfff
	v_mul_f32_e32 v3, 0x5f7ffffc, v3
	s_delay_alu instid0(VALU_DEP_1) | instskip(NEXT) | instid1(VALU_DEP_1)
	v_mul_f32_e32 v4, 0x2f800000, v3
	v_trunc_f32_e32 v4, v4
	s_delay_alu instid0(VALU_DEP_1) | instskip(SKIP_1) | instid1(VALU_DEP_2)
	v_fmac_f32_e32 v3, 0xcf800000, v4
	v_cvt_u32_f32_e32 v4, v4
	v_cvt_u32_f32_e32 v3, v3
	s_delay_alu instid0(VALU_DEP_2) | instskip(NEXT) | instid1(VALU_DEP_2)
	v_readfirstlane_b32 s4, v4
	v_readfirstlane_b32 s58, v3
	s_delay_alu instid0(VALU_DEP_2) | instskip(NEXT) | instid1(VALU_DEP_1)
	s_mul_i32 s68, s59, s4
	s_mul_hi_u32 s77, s59, s58
	s_mul_i32 s76, s66, s58
	s_add_i32 s68, s77, s68
	s_mul_i32 s78, s59, s58
	s_add_i32 s68, s68, s76
	s_mul_hi_u32 s77, s58, s78
	s_mul_hi_u32 s79, s4, s78
	s_mul_i32 s76, s4, s78
	s_mul_hi_u32 s78, s58, s68
	s_mul_i32 s58, s58, s68
	s_mul_hi_u32 s80, s4, s68
	s_add_u32 s58, s77, s58
	s_addc_u32 s77, 0, s78
	s_add_u32 s58, s58, s76
	s_mul_i32 s68, s4, s68
	s_addc_u32 s58, s77, s79
	s_addc_u32 s76, s80, 0
	s_add_u32 s58, s58, s68
	s_addc_u32 s68, 0, s76
	v_add_co_u32 v3, s58, v3, s58
	s_delay_alu instid0(VALU_DEP_1) | instskip(SKIP_1) | instid1(VALU_DEP_1)
	s_cmp_lg_u32 s58, 0
	s_addc_u32 s4, s4, s68
	v_readfirstlane_b32 s58, v3
	s_mul_i32 s68, s59, s4
	s_delay_alu instid0(VALU_DEP_1)
	s_mul_hi_u32 s76, s59, s58
	s_mul_i32 s66, s66, s58
	s_add_i32 s68, s76, s68
	s_mul_i32 s59, s59, s58
	s_add_i32 s68, s68, s66
	s_mul_hi_u32 s76, s4, s59
	s_mul_i32 s77, s4, s59
	s_mul_hi_u32 s59, s58, s59
	s_mul_hi_u32 s78, s58, s68
	s_mul_i32 s58, s58, s68
	s_mul_hi_u32 s66, s4, s68
	s_add_u32 s58, s59, s58
	s_addc_u32 s59, 0, s78
	s_add_u32 s58, s58, s77
	s_mul_i32 s68, s4, s68
	s_addc_u32 s58, s59, s76
	s_addc_u32 s59, s66, 0
	s_add_u32 s58, s58, s68
	s_addc_u32 s59, 0, s59
	v_add_co_u32 v3, s58, v3, s58
	s_delay_alu instid0(VALU_DEP_1) | instskip(SKIP_1) | instid1(VALU_DEP_1)
	s_cmp_lg_u32 s58, 0
	s_addc_u32 s4, s4, s59
	v_readfirstlane_b32 s58, v3
	s_mul_i32 s66, s20, s4
	s_mul_hi_u32 s59, s20, s4
	s_mul_hi_u32 s68, s5, s4
	s_mul_i32 s4, s5, s4
	s_mul_hi_u32 s76, s20, s58
	s_mul_hi_u32 s77, s5, s58
	s_mul_i32 s58, s5, s58
	s_add_u32 s66, s76, s66
	s_addc_u32 s59, 0, s59
	s_add_u32 s58, s66, s58
	s_addc_u32 s58, s59, s77
	s_addc_u32 s59, s68, 0
	s_add_u32 s4, s58, s4
	s_addc_u32 s58, 0, s59
	s_mul_hi_u32 s59, s35, s4
	s_mul_i32 s4, s35, s4
	s_mul_i32 s58, s35, s58
	v_sub_co_u32 v3, s4, s20, s4
	s_add_i32 s59, s59, s58
	s_cmp_lg_u32 s4, 0
	s_delay_alu instid0(VALU_DEP_1) | instskip(SKIP_2) | instid1(VALU_DEP_1)
	v_sub_co_u32 v4, s4, v3, s35
	s_subb_u32 s58, s5, s59
	s_cmp_lg_u32 s4, 0
	v_cmp_le_u32_e32 vcc_lo, s35, v4
	v_sub_co_u32 v5, s4, v4, s35
	s_subb_u32 s59, s58, 0
	s_cmp_lg_u32 s4, 0
	v_cndmask_b32_e64 v6, 0, -1, vcc_lo
	s_subb_u32 s4, s59, 0
	s_cmp_eq_u32 s59, 0
	v_mov_b32_e32 v8, s4
	s_cselect_b32 vcc_lo, -1, 0
	s_cmp_eq_u32 s58, 0
	v_cndmask_b32_e32 v6, -1, v6, vcc_lo
	v_cmp_le_u32_e32 vcc_lo, s35, v3
	s_cselect_b32 s4, -1, 0
	v_cndmask_b32_e64 v7, 0, -1, vcc_lo
	s_delay_alu instid0(VALU_DEP_3) | instskip(NEXT) | instid1(VALU_DEP_2)
	v_cmp_ne_u32_e32 vcc_lo, 0, v6
	v_cndmask_b32_e64 v6, -1, v7, s4
	v_cndmask_b32_e32 v7, s59, v8, vcc_lo
	v_cndmask_b32_e32 v5, v4, v5, vcc_lo
	s_delay_alu instid0(VALU_DEP_3) | instskip(NEXT) | instid1(VALU_DEP_3)
	v_cmp_ne_u32_e32 vcc_lo, 0, v6
	v_cndmask_b32_e32 v4, s58, v7, vcc_lo
	s_delay_alu instid0(VALU_DEP_3)
	v_cndmask_b32_e32 v3, v3, v5, vcc_lo
	s_cbranch_execnz .LBB102_104
.LBB102_103:                            ;   in Loop: Header=BB102_24 Depth=1
	v_cvt_f32_u32_e32 v3, s35
	s_sub_i32 s4, 0, s35
	s_delay_alu instid0(VALU_DEP_1) | instskip(SKIP_2) | instid1(VALU_DEP_1)
	v_rcp_iflag_f32_e32 v3, v3
	s_waitcnt_depctr 0xfff
	v_mul_f32_e32 v3, 0x4f7ffffe, v3
	v_cvt_u32_f32_e32 v3, v3
	s_delay_alu instid0(VALU_DEP_1) | instskip(NEXT) | instid1(VALU_DEP_1)
	v_mul_lo_u32 v4, s4, v3
	v_mul_hi_u32 v4, v3, v4
	s_delay_alu instid0(VALU_DEP_1) | instskip(NEXT) | instid1(VALU_DEP_1)
	v_add_nc_u32_e32 v3, v3, v4
	v_mul_hi_u32 v3, s20, v3
	s_delay_alu instid0(VALU_DEP_1) | instskip(NEXT) | instid1(VALU_DEP_1)
	v_mul_lo_u32 v3, v3, s35
	v_sub_nc_u32_e32 v3, s20, v3
	s_delay_alu instid0(VALU_DEP_1) | instskip(SKIP_1) | instid1(VALU_DEP_2)
	v_subrev_nc_u32_e32 v4, s35, v3
	v_cmp_le_u32_e32 vcc_lo, s35, v3
	v_cndmask_b32_e32 v3, v3, v4, vcc_lo
	s_delay_alu instid0(VALU_DEP_1) | instskip(SKIP_1) | instid1(VALU_DEP_2)
	v_subrev_nc_u32_e32 v4, s35, v3
	v_cmp_le_u32_e32 vcc_lo, s35, v3
	v_cndmask_b32_e32 v15, v3, v4, vcc_lo
	s_delay_alu instid0(VALU_DEP_1)
	v_dual_mov_b32 v3, v15 :: v_dual_mov_b32 v4, v16
.LBB102_104:                            ;   in Loop: Header=BB102_24 Depth=1
	s_delay_alu instid0(VALU_DEP_1) | instskip(NEXT) | instid1(VALU_DEP_2)
	v_sub_co_u32 v7, vcc_lo, s20, v3
	v_sub_co_ci_u32_e32 v8, vcc_lo, s5, v4, vcc_lo
	s_mov_b32 s4, 0
	s_mov_b32 s5, exec_lo
                                        ; implicit-def: $vgpr5_vgpr6
	s_delay_alu instid0(VALU_DEP_1)
	v_cmpx_gt_u64_e64 v[7:8], v[0:1]
	s_cbranch_execz .LBB102_115
; %bb.105:                              ;   in Loop: Header=BB102_24 Depth=1
	v_dual_mov_b32 v11, v26 :: v_dual_mov_b32 v10, v1
	v_mov_b32_e32 v9, v0
	s_mov_b32 s20, 0
                                        ; implicit-def: $sgpr4
	s_set_inst_prefetch_distance 0x1
	s_branch .LBB102_107
	.p2align	6
.LBB102_106:                            ;   in Loop: Header=BB102_107 Depth=2
	s_or_b32 exec_lo, exec_lo, s58
	s_waitcnt lgkmcnt(0)
	s_barrier
	buffer_gl0_inv
	ds_load_b128 v[3:6], v16 offset:3072
	v_add_co_u32 v9, vcc_lo, v9, s35
	v_add_co_ci_u32_e32 v10, vcc_lo, 0, v10, vcc_lo
	v_add_nc_u32_e32 v11, s95, v11
	s_waitcnt lgkmcnt(0)
	s_barrier
	s_delay_alu instid0(VALU_DEP_2) | instskip(SKIP_3) | instid1(VALU_DEP_1)
	v_cmp_ge_u64_e32 vcc_lo, v[9:10], v[7:8]
	buffer_gl0_inv
	v_readfirstlane_b32 s59, v4
	v_readfirstlane_b32 s58, v3
	s_cmp_lg_u64 s[58:59], 0
	s_cselect_b32 s58, -1, 0
	s_delay_alu instid0(SALU_CYCLE_1) | instskip(NEXT) | instid1(SALU_CYCLE_1)
	s_or_b32 s59, vcc_lo, s58
	s_and_b32 s59, exec_lo, s59
	s_delay_alu instid0(SALU_CYCLE_1) | instskip(SKIP_2) | instid1(SALU_CYCLE_1)
	s_or_b32 s20, s59, s20
	s_and_not1_b32 s4, s4, exec_lo
	s_and_b32 s58, s58, exec_lo
	s_or_b32 s4, s4, s58
	s_and_not1_b32 exec_lo, exec_lo, s20
	s_cbranch_execz .LBB102_114
.LBB102_107:                            ;   Parent Loop BB102_24 Depth=1
                                        ; =>  This Inner Loop Header: Depth=2
	s_delay_alu instid0(VALU_DEP_1)
	v_cmp_gt_u64_e32 vcc_lo, s[18:19], v[9:10]
	v_mov_b32_e32 v4, 0
	v_mov_b32_e32 v5, 0
	s_and_saveexec_b32 s58, vcc_lo
	s_cbranch_execz .LBB102_109
; %bb.108:                              ;   in Loop: Header=BB102_107 Depth=2
	ds_load_b64 v[4:5], v11
.LBB102_109:                            ;   in Loop: Header=BB102_107 Depth=2
	s_or_b32 exec_lo, exec_lo, s58
	s_and_saveexec_b32 s58, vcc_lo
	s_cbranch_execz .LBB102_106
; %bb.110:                              ;   in Loop: Header=BB102_107 Depth=2
	s_waitcnt lgkmcnt(0)
	v_xor_b32_e32 v3, 0x80000000, v5
	v_and_b32_e32 v12, s74, v4
	s_delay_alu instid0(VALU_DEP_2) | instskip(NEXT) | instid1(VALU_DEP_1)
	v_and_b32_e32 v13, s75, v3
	v_cmp_eq_u64_e32 vcc_lo, s[72:73], v[12:13]
	s_and_b32 exec_lo, exec_lo, vcc_lo
	s_cbranch_execz .LBB102_106
; %bb.111:                              ;   in Loop: Header=BB102_107 Depth=2
	v_mov_b32_e32 v3, v16
	ds_store_b128 v16, v[2:5] offset:3072
	s_branch .LBB102_106
.LBB102_112:                            ;   in Loop: Header=BB102_24 Depth=1
	s_mov_b32 s4, -1
                                        ; implicit-def: $sgpr5
                                        ; implicit-def: $sgpr19
                                        ; implicit-def: $sgpr18
	s_branch .LBB102_129
.LBB102_113:                            ;   in Loop: Header=BB102_24 Depth=1
	s_mov_b32 s5, -1
	s_mov_b32 s4, 0
                                        ; implicit-def: $sgpr18
                                        ; implicit-def: $vgpr5_vgpr6
	s_mov_b32 s19, s5
	s_cbranch_execnz .LBB102_116
	s_branch .LBB102_129
.LBB102_114:                            ;   in Loop: Header=BB102_24 Depth=1
	s_set_inst_prefetch_distance 0x2
	s_or_b32 exec_lo, exec_lo, s20
	s_delay_alu instid0(SALU_CYCLE_1)
	s_and_b32 s4, s4, exec_lo
.LBB102_115:                            ;   in Loop: Header=BB102_24 Depth=1
	s_or_b32 exec_lo, exec_lo, s5
	s_mov_b32 s18, -1
	s_mov_b32 s5, 0
	s_delay_alu instid0(SALU_CYCLE_1)
	s_mov_b32 s19, s5
	s_branch .LBB102_129
.LBB102_116:                            ;   in Loop: Header=BB102_24 Depth=1
	s_mov_b32 s68, s67
	s_delay_alu instid0(SALU_CYCLE_1)
	s_cmp_lg_u64 s[68:69], 0
	s_cbranch_scc0 .LBB102_159
; %bb.117:                              ;   in Loop: Header=BB102_24 Depth=1
	v_cvt_f32_u32_e32 v3, s35
	s_sub_u32 s18, 0, s35
	s_subb_u32 s19, 0, 0
	s_delay_alu instid0(VALU_DEP_1) | instskip(NEXT) | instid1(VALU_DEP_1)
	v_fmac_f32_e64 v3, 0, 0x4f800000
	v_rcp_f32_e32 v3, v3
	s_waitcnt_depctr 0xfff
	v_mul_f32_e32 v3, 0x5f7ffffc, v3
	s_delay_alu instid0(VALU_DEP_1) | instskip(NEXT) | instid1(VALU_DEP_1)
	v_mul_f32_e32 v4, 0x2f800000, v3
	v_trunc_f32_e32 v4, v4
	s_delay_alu instid0(VALU_DEP_1) | instskip(SKIP_1) | instid1(VALU_DEP_2)
	v_fmac_f32_e32 v3, 0xcf800000, v4
	v_cvt_u32_f32_e32 v4, v4
	v_cvt_u32_f32_e32 v3, v3
	s_delay_alu instid0(VALU_DEP_2) | instskip(NEXT) | instid1(VALU_DEP_2)
	v_readfirstlane_b32 s4, v4
	v_readfirstlane_b32 s5, v3
	s_delay_alu instid0(VALU_DEP_2) | instskip(NEXT) | instid1(VALU_DEP_1)
	s_mul_i32 s20, s18, s4
	s_mul_hi_u32 s59, s18, s5
	s_mul_i32 s58, s19, s5
	s_add_i32 s20, s59, s20
	s_mul_i32 s66, s18, s5
	s_add_i32 s20, s20, s58
	s_mul_hi_u32 s59, s5, s66
	s_mul_hi_u32 s68, s4, s66
	s_mul_i32 s58, s4, s66
	s_mul_hi_u32 s66, s5, s20
	s_mul_i32 s5, s5, s20
	s_mul_hi_u32 s76, s4, s20
	s_add_u32 s5, s59, s5
	s_addc_u32 s59, 0, s66
	s_add_u32 s5, s5, s58
	s_mul_i32 s20, s4, s20
	s_addc_u32 s5, s59, s68
	s_addc_u32 s58, s76, 0
	s_add_u32 s5, s5, s20
	s_addc_u32 s20, 0, s58
	v_add_co_u32 v3, s5, v3, s5
	s_delay_alu instid0(VALU_DEP_1) | instskip(SKIP_1) | instid1(VALU_DEP_1)
	s_cmp_lg_u32 s5, 0
	s_addc_u32 s4, s4, s20
	v_readfirstlane_b32 s5, v3
	s_mul_i32 s20, s18, s4
	s_delay_alu instid0(VALU_DEP_1)
	s_mul_hi_u32 s58, s18, s5
	s_mul_i32 s19, s19, s5
	s_add_i32 s20, s58, s20
	s_mul_i32 s18, s18, s5
	s_add_i32 s20, s20, s19
	s_mul_hi_u32 s58, s4, s18
	s_mul_i32 s59, s4, s18
	s_mul_hi_u32 s18, s5, s18
	s_mul_hi_u32 s66, s5, s20
	s_mul_i32 s5, s5, s20
	s_mul_hi_u32 s19, s4, s20
	s_add_u32 s5, s18, s5
	s_addc_u32 s18, 0, s66
	s_add_u32 s5, s5, s59
	s_mul_i32 s20, s4, s20
	s_addc_u32 s5, s18, s58
	s_addc_u32 s18, s19, 0
	s_add_u32 s5, s5, s20
	s_addc_u32 s18, 0, s18
	v_add_co_u32 v3, s5, v3, s5
	s_delay_alu instid0(VALU_DEP_1) | instskip(SKIP_1) | instid1(VALU_DEP_1)
	s_cmp_lg_u32 s5, 0
	s_addc_u32 s4, s4, s18
	v_readfirstlane_b32 s5, v3
	s_mul_i32 s19, s89, s4
	s_mul_hi_u32 s18, s89, s4
	s_mul_hi_u32 s20, s69, s4
	s_mul_i32 s4, s69, s4
	s_mul_hi_u32 s58, s89, s5
	s_mul_hi_u32 s59, s69, s5
	s_mul_i32 s5, s69, s5
	s_add_u32 s19, s58, s19
	s_addc_u32 s18, 0, s18
	s_add_u32 s5, s19, s5
	s_addc_u32 s5, s18, s59
	s_addc_u32 s18, s20, 0
	s_add_u32 s4, s5, s4
	s_addc_u32 s5, 0, s18
	s_mul_hi_u32 s18, s35, s4
	s_mul_i32 s4, s35, s4
	s_mul_i32 s5, s35, s5
	v_sub_co_u32 v3, s4, s89, s4
	s_add_i32 s18, s18, s5
	s_cmp_lg_u32 s4, 0
	s_delay_alu instid0(VALU_DEP_1) | instskip(SKIP_2) | instid1(VALU_DEP_1)
	v_sub_co_u32 v4, s4, v3, s35
	s_subb_u32 s5, s69, s18
	s_cmp_lg_u32 s4, 0
	v_cmp_le_u32_e32 vcc_lo, s35, v4
	v_sub_co_u32 v5, s4, v4, s35
	s_subb_u32 s18, s5, 0
	s_cmp_lg_u32 s4, 0
	v_cndmask_b32_e64 v6, 0, -1, vcc_lo
	s_subb_u32 s4, s18, 0
	s_cmp_eq_u32 s18, 0
	v_mov_b32_e32 v8, s4
	s_cselect_b32 vcc_lo, -1, 0
	s_cmp_eq_u32 s5, 0
	v_cndmask_b32_e32 v6, -1, v6, vcc_lo
	v_cmp_le_u32_e32 vcc_lo, s35, v3
	s_cselect_b32 s4, -1, 0
	v_cndmask_b32_e64 v7, 0, -1, vcc_lo
	s_delay_alu instid0(VALU_DEP_3) | instskip(NEXT) | instid1(VALU_DEP_2)
	v_cmp_ne_u32_e32 vcc_lo, 0, v6
	v_cndmask_b32_e64 v6, -1, v7, s4
	v_cndmask_b32_e32 v7, s18, v8, vcc_lo
	v_cndmask_b32_e32 v5, v4, v5, vcc_lo
	s_delay_alu instid0(VALU_DEP_3) | instskip(NEXT) | instid1(VALU_DEP_3)
	v_cmp_ne_u32_e32 vcc_lo, 0, v6
	v_cndmask_b32_e32 v4, s5, v7, vcc_lo
	s_delay_alu instid0(VALU_DEP_3)
	v_cndmask_b32_e32 v3, v3, v5, vcc_lo
	s_cbranch_execnz .LBB102_119
.LBB102_118:                            ;   in Loop: Header=BB102_24 Depth=1
	v_cvt_f32_u32_e32 v3, s35
	s_sub_i32 s4, 0, s35
	s_delay_alu instid0(VALU_DEP_1) | instskip(SKIP_2) | instid1(VALU_DEP_1)
	v_rcp_iflag_f32_e32 v3, v3
	s_waitcnt_depctr 0xfff
	v_mul_f32_e32 v3, 0x4f7ffffe, v3
	v_cvt_u32_f32_e32 v3, v3
	s_delay_alu instid0(VALU_DEP_1) | instskip(NEXT) | instid1(VALU_DEP_1)
	v_mul_lo_u32 v4, s4, v3
	v_mul_hi_u32 v4, v3, v4
	s_delay_alu instid0(VALU_DEP_1) | instskip(NEXT) | instid1(VALU_DEP_1)
	v_add_nc_u32_e32 v3, v3, v4
	v_mul_hi_u32 v3, s89, v3
	s_delay_alu instid0(VALU_DEP_1) | instskip(NEXT) | instid1(VALU_DEP_1)
	v_mul_lo_u32 v3, v3, s35
	v_sub_nc_u32_e32 v3, s89, v3
	s_delay_alu instid0(VALU_DEP_1) | instskip(SKIP_1) | instid1(VALU_DEP_2)
	v_subrev_nc_u32_e32 v4, s35, v3
	v_cmp_le_u32_e32 vcc_lo, s35, v3
	v_cndmask_b32_e32 v3, v3, v4, vcc_lo
	s_delay_alu instid0(VALU_DEP_1) | instskip(SKIP_1) | instid1(VALU_DEP_2)
	v_subrev_nc_u32_e32 v4, s35, v3
	v_cmp_le_u32_e32 vcc_lo, s35, v3
	v_cndmask_b32_e32 v15, v3, v4, vcc_lo
	s_delay_alu instid0(VALU_DEP_1)
	v_dual_mov_b32 v3, v15 :: v_dual_mov_b32 v4, v16
.LBB102_119:                            ;   in Loop: Header=BB102_24 Depth=1
	s_delay_alu instid0(VALU_DEP_1) | instskip(NEXT) | instid1(VALU_DEP_2)
	v_sub_co_u32 v7, vcc_lo, s89, v3
	v_sub_co_ci_u32_e32 v8, vcc_lo, s69, v4, vcc_lo
	s_mov_b32 s4, 0
	s_mov_b32 s5, exec_lo
                                        ; implicit-def: $vgpr5_vgpr6
	s_delay_alu instid0(VALU_DEP_1)
	v_cmpx_gt_u64_e64 v[7:8], v[0:1]
	s_cbranch_execz .LBB102_128
; %bb.120:                              ;   in Loop: Header=BB102_24 Depth=1
	v_dual_mov_b32 v10, v1 :: v_dual_mov_b32 v9, v0
	s_mov_b32 s19, 0
                                        ; implicit-def: $sgpr18
	s_branch .LBB102_122
.LBB102_121:                            ;   in Loop: Header=BB102_122 Depth=2
	s_or_b32 exec_lo, exec_lo, s4
	s_waitcnt vmcnt(0) lgkmcnt(0)
	s_barrier
	buffer_gl0_inv
	ds_load_b128 v[3:6], v16 offset:3072
	v_add_co_u32 v9, vcc_lo, v9, s35
	v_add_co_ci_u32_e32 v10, vcc_lo, 0, v10, vcc_lo
	s_waitcnt lgkmcnt(0)
	s_barrier
	buffer_gl0_inv
	v_cmp_ge_u64_e32 vcc_lo, v[9:10], v[7:8]
	v_readfirstlane_b32 s59, v4
	v_readfirstlane_b32 s58, v3
	s_delay_alu instid0(VALU_DEP_1) | instskip(SKIP_1) | instid1(SALU_CYCLE_1)
	s_cmp_lg_u64 s[58:59], 0
	s_cselect_b32 s4, -1, 0
	s_or_b32 s20, vcc_lo, s4
	s_delay_alu instid0(SALU_CYCLE_1) | instskip(NEXT) | instid1(SALU_CYCLE_1)
	s_and_b32 s20, exec_lo, s20
	s_or_b32 s19, s20, s19
	s_and_not1_b32 s18, s18, exec_lo
	s_and_b32 s4, s4, exec_lo
	s_delay_alu instid0(SALU_CYCLE_1)
	s_or_b32 s18, s18, s4
	s_and_not1_b32 exec_lo, exec_lo, s19
	s_cbranch_execz .LBB102_127
.LBB102_122:                            ;   Parent Loop BB102_24 Depth=1
                                        ; =>  This Inner Loop Header: Depth=2
	s_delay_alu instid0(VALU_DEP_1)
	v_cmp_gt_u64_e32 vcc_lo, s[24:25], v[9:10]
	v_mov_b32_e32 v4, 0
	v_mov_b32_e32 v5, 0
	s_and_saveexec_b32 s20, vcc_lo
	s_cbranch_execz .LBB102_124
; %bb.123:                              ;   in Loop: Header=BB102_122 Depth=2
	v_mul_lo_u32 v5, v10, s54
	v_mul_lo_u32 v6, v9, s55
	v_mad_u64_u32 v[3:4], null, v9, s54, 0
	s_delay_alu instid0(VALU_DEP_1) | instskip(NEXT) | instid1(VALU_DEP_1)
	v_add3_u32 v4, v4, v6, v5
	v_lshlrev_b64 v[3:4], 3, v[3:4]
	s_delay_alu instid0(VALU_DEP_1) | instskip(NEXT) | instid1(VALU_DEP_1)
	v_add_co_u32 v3, s4, s27, v3
	v_add_co_ci_u32_e64 v4, s4, s33, v4, s4
	global_load_b64 v[4:5], v[3:4], off
.LBB102_124:                            ;   in Loop: Header=BB102_122 Depth=2
	s_or_b32 exec_lo, exec_lo, s20
	s_and_saveexec_b32 s4, vcc_lo
	s_cbranch_execz .LBB102_121
; %bb.125:                              ;   in Loop: Header=BB102_122 Depth=2
	s_waitcnt vmcnt(0)
	v_xor_b32_e32 v3, 0x80000000, v5
	v_and_b32_e32 v11, s74, v4
	s_delay_alu instid0(VALU_DEP_2) | instskip(NEXT) | instid1(VALU_DEP_1)
	v_and_b32_e32 v12, s75, v3
	v_cmp_eq_u64_e32 vcc_lo, s[72:73], v[11:12]
	s_and_b32 exec_lo, exec_lo, vcc_lo
	s_cbranch_execz .LBB102_121
; %bb.126:                              ;   in Loop: Header=BB102_122 Depth=2
	v_mov_b32_e32 v3, v16
	ds_store_b128 v16, v[2:5] offset:3072
	s_branch .LBB102_121
.LBB102_127:                            ;   in Loop: Header=BB102_24 Depth=1
	s_or_b32 exec_lo, exec_lo, s19
	s_delay_alu instid0(SALU_CYCLE_1)
	s_and_b32 s4, s18, exec_lo
.LBB102_128:                            ;   in Loop: Header=BB102_24 Depth=1
	s_or_b32 exec_lo, exec_lo, s5
	s_mov_b32 s19, -1
	s_mov_b32 s5, 0
	s_mov_b32 s18, 0
.LBB102_129:                            ;   in Loop: Header=BB102_24 Depth=1
	s_and_not1_b32 s20, s101, exec_lo
	s_and_b32 s5, s5, exec_lo
	s_and_b32 s19, s19, exec_lo
	s_or_b32 s101, s20, s5
	s_and_not1_b32 s5, s104, exec_lo
	s_and_not1_b32 s20, s102, exec_lo
	s_and_b32 s18, s18, exec_lo
	s_or_b32 s104, s5, s19
	s_or_b32 s102, s20, s18
	s_and_saveexec_b32 s20, s4
	s_cbranch_execz .LBB102_23
; %bb.130:                              ;   in Loop: Header=BB102_24 Depth=1
	s_xor_b32 s4, s23, -1
	s_mov_b32 s68, 1
	s_and_not1_b32 vcc_lo, exec_lo, s4
	s_cbranch_vccnz .LBB102_141
; %bb.131:                              ;   in Loop: Header=BB102_24 Depth=1
	v_cmp_gt_u64_e64 s4, s[64:65], s[16:17]
	s_mov_b32 s22, -1
                                        ; implicit-def: $sgpr68
                                        ; implicit-def: $sgpr18_sgpr19
	s_delay_alu instid0(VALU_DEP_1)
	s_and_b32 vcc_lo, exec_lo, s4
                                        ; implicit-def: $sgpr4_sgpr5
	s_cbranch_vccnz .LBB102_137
; %bb.132:                              ;   in Loop: Header=BB102_24 Depth=1
	ds_load_b64 v[3:4], v16 offset:5120
	s_waitcnt lgkmcnt(0)
	v_cmp_ne_u64_e32 vcc_lo, 0, v[3:4]
	s_cbranch_vccnz .LBB102_136
; %bb.133:                              ;   in Loop: Header=BB102_24 Depth=1
	s_and_saveexec_b32 s4, s2
	s_cbranch_execz .LBB102_135
; %bb.134:                              ;   in Loop: Header=BB102_24 Depth=1
	v_dual_mov_b32 v3, s16 :: v_dual_mov_b32 v4, s17
	ds_store_b64 v16, v[3:4] offset:5128
.LBB102_135:                            ;   in Loop: Header=BB102_24 Depth=1
	s_or_b32 exec_lo, exec_lo, s4
	s_waitcnt lgkmcnt(0)
	s_barrier
	buffer_gl0_inv
.LBB102_136:                            ;   in Loop: Header=BB102_24 Depth=1
	s_and_b64 s[4:5], s[72:73], s[12:13]
	s_or_b64 s[18:19], s[74:75], s[8:9]
	s_mov_b32 s22, 0
	s_mov_b32 s68, 8
.LBB102_137:                            ;   in Loop: Header=BB102_24 Depth=1
	s_and_not1_b32 vcc_lo, exec_lo, s22
	s_cbranch_vccnz .LBB102_139
; %bb.138:                              ;   in Loop: Header=BB102_24 Depth=1
	s_sub_u32 s64, s64, s16
	s_subb_u32 s65, s65, s17
	s_mov_b32 s22, -1
	s_mov_b32 s68, 0
	s_mov_b64 s[4:5], s[72:73]
	s_mov_b64 s[18:19], s[74:75]
.LBB102_139:                            ;   in Loop: Header=BB102_24 Depth=1
	s_delay_alu instid0(SALU_CYCLE_1)
	s_mov_b64 s[74:75], s[18:19]
	s_mov_b64 s[72:73], s[4:5]
	s_and_b32 vcc_lo, exec_lo, s22
	s_mov_b32 s18, -1
	s_cbranch_vccnz .LBB102_142
.LBB102_140:                            ;   in Loop: Header=BB102_24 Depth=1
	s_mov_b32 s5, -1
                                        ; implicit-def: $sgpr19
                                        ; implicit-def: $sgpr23
                                        ; implicit-def: $sgpr22
	s_delay_alu instid0(SALU_CYCLE_1) | instskip(NEXT) | instid1(SALU_CYCLE_1)
	s_and_saveexec_b32 s4, s5
	s_xor_b32 s4, exec_lo, s4
	s_cbranch_execz .LBB102_22
	s_branch .LBB102_288
.LBB102_141:                            ;   in Loop: Header=BB102_24 Depth=1
	s_mov_b64 s[64:65], 1
	s_mov_b32 s18, -1
	s_branch .LBB102_140
.LBB102_142:                            ;   in Loop: Header=BB102_24 Depth=1
	s_cmp_eq_u64 s[14:15], 1
	s_cselect_b32 s4, -1, 0
	s_cmp_eq_u64 s[64:65], 1
	s_cselect_b32 s5, -1, 0
	s_delay_alu instid0(SALU_CYCLE_1)
	s_and_b32 s76, s4, s5
	s_mov_b32 s4, -1
	s_and_b32 vcc_lo, exec_lo, s76
	s_cbranch_vccz .LBB102_157
; %bb.143:                              ;   in Loop: Header=BB102_24 Depth=1
	ds_load_b64 v[3:4], v16 offset:5120
	s_waitcnt lgkmcnt(0)
	s_barrier
	buffer_gl0_inv
	v_readfirstlane_b32 s16, v3
	v_readfirstlane_b32 s17, v4
	s_and_saveexec_b32 s4, s3
	s_cbranch_execz .LBB102_145
; %bb.144:                              ;   in Loop: Header=BB102_24 Depth=1
	v_mov_b32_e32 v15, v16
	ds_store_b64 v27, v[15:16]
.LBB102_145:                            ;   in Loop: Header=BB102_24 Depth=1
	s_or_b32 exec_lo, exec_lo, s4
	s_lshl_b64 s[4:5], 1, s21
	s_and_b64 s[22:23], s[72:73], s[12:13]
	s_or_b64 s[74:75], s[74:75], s[8:9]
	s_or_b64 s[72:73], s[22:23], s[4:5]
	s_cmp_eq_u64 s[16:17], 0
	s_waitcnt lgkmcnt(0)
	s_barrier
	buffer_gl0_inv
	s_cbranch_scc1 .LBB102_160
; %bb.146:                              ;   in Loop: Header=BB102_24 Depth=1
	s_add_u32 s19, s87, s16
	s_addc_u32 s5, s88, s17
	s_mov_b32 s4, s67
	s_delay_alu instid0(SALU_CYCLE_1)
	s_cmp_lg_u64 s[4:5], 0
	s_cbranch_scc0 .LBB102_205
; %bb.147:                              ;   in Loop: Header=BB102_24 Depth=1
	v_cvt_f32_u32_e32 v3, s35
	s_sub_u32 s23, 0, s35
	s_subb_u32 s58, 0, 0
	s_delay_alu instid0(VALU_DEP_1) | instskip(NEXT) | instid1(VALU_DEP_1)
	v_fmac_f32_e64 v3, 0, 0x4f800000
	v_rcp_f32_e32 v3, v3
	s_waitcnt_depctr 0xfff
	v_mul_f32_e32 v3, 0x5f7ffffc, v3
	s_delay_alu instid0(VALU_DEP_1) | instskip(NEXT) | instid1(VALU_DEP_1)
	v_mul_f32_e32 v4, 0x2f800000, v3
	v_trunc_f32_e32 v4, v4
	s_delay_alu instid0(VALU_DEP_1) | instskip(SKIP_1) | instid1(VALU_DEP_2)
	v_fmac_f32_e32 v3, 0xcf800000, v4
	v_cvt_u32_f32_e32 v4, v4
	v_cvt_u32_f32_e32 v3, v3
	s_delay_alu instid0(VALU_DEP_2) | instskip(NEXT) | instid1(VALU_DEP_2)
	v_readfirstlane_b32 s4, v4
	v_readfirstlane_b32 s22, v3
	s_delay_alu instid0(VALU_DEP_2) | instskip(NEXT) | instid1(VALU_DEP_1)
	s_mul_i32 s59, s23, s4
	s_mul_hi_u32 s68, s23, s22
	s_mul_i32 s66, s58, s22
	s_add_i32 s59, s68, s59
	s_mul_i32 s77, s23, s22
	s_add_i32 s59, s59, s66
	s_mul_hi_u32 s68, s22, s77
	s_mul_hi_u32 s78, s4, s77
	s_mul_i32 s66, s4, s77
	s_mul_hi_u32 s77, s22, s59
	s_mul_i32 s22, s22, s59
	s_mul_hi_u32 s79, s4, s59
	s_add_u32 s22, s68, s22
	s_addc_u32 s68, 0, s77
	s_add_u32 s22, s22, s66
	s_mul_i32 s59, s4, s59
	s_addc_u32 s22, s68, s78
	s_addc_u32 s66, s79, 0
	s_add_u32 s22, s22, s59
	s_addc_u32 s59, 0, s66
	v_add_co_u32 v3, s22, v3, s22
	s_delay_alu instid0(VALU_DEP_1) | instskip(SKIP_1) | instid1(VALU_DEP_1)
	s_cmp_lg_u32 s22, 0
	s_addc_u32 s4, s4, s59
	v_readfirstlane_b32 s22, v3
	s_mul_i32 s59, s23, s4
	s_delay_alu instid0(VALU_DEP_1)
	s_mul_hi_u32 s66, s23, s22
	s_mul_i32 s58, s58, s22
	s_add_i32 s59, s66, s59
	s_mul_i32 s23, s23, s22
	s_add_i32 s59, s59, s58
	s_mul_hi_u32 s66, s4, s23
	s_mul_i32 s68, s4, s23
	s_mul_hi_u32 s23, s22, s23
	s_mul_hi_u32 s77, s22, s59
	s_mul_i32 s22, s22, s59
	s_mul_hi_u32 s58, s4, s59
	s_add_u32 s22, s23, s22
	s_addc_u32 s23, 0, s77
	s_add_u32 s22, s22, s68
	s_mul_i32 s59, s4, s59
	s_addc_u32 s22, s23, s66
	s_addc_u32 s23, s58, 0
	s_add_u32 s22, s22, s59
	s_addc_u32 s23, 0, s23
	v_add_co_u32 v3, s22, v3, s22
	s_delay_alu instid0(VALU_DEP_1) | instskip(SKIP_1) | instid1(VALU_DEP_1)
	s_cmp_lg_u32 s22, 0
	s_addc_u32 s4, s4, s23
	v_readfirstlane_b32 s22, v3
	s_mul_i32 s58, s19, s4
	s_mul_hi_u32 s23, s19, s4
	s_mul_hi_u32 s59, s5, s4
	s_mul_i32 s4, s5, s4
	s_mul_hi_u32 s66, s19, s22
	s_mul_hi_u32 s68, s5, s22
	s_mul_i32 s22, s5, s22
	s_add_u32 s58, s66, s58
	s_addc_u32 s23, 0, s23
	s_add_u32 s22, s58, s22
	s_addc_u32 s22, s23, s68
	s_addc_u32 s23, s59, 0
	s_add_u32 s4, s22, s4
	s_addc_u32 s22, 0, s23
	s_mul_hi_u32 s23, s35, s4
	s_mul_i32 s4, s35, s4
	s_mul_i32 s22, s35, s22
	v_sub_co_u32 v3, s4, s19, s4
	s_add_i32 s23, s23, s22
	s_cmp_lg_u32 s4, 0
	s_delay_alu instid0(VALU_DEP_1) | instskip(SKIP_2) | instid1(VALU_DEP_1)
	v_sub_co_u32 v4, s4, v3, s35
	s_subb_u32 s22, s5, s23
	s_cmp_lg_u32 s4, 0
	v_cmp_le_u32_e32 vcc_lo, s35, v4
	v_sub_co_u32 v5, s4, v4, s35
	s_subb_u32 s23, s22, 0
	s_cmp_lg_u32 s4, 0
	v_cndmask_b32_e64 v6, 0, -1, vcc_lo
	s_subb_u32 s4, s23, 0
	s_cmp_eq_u32 s23, 0
	v_mov_b32_e32 v8, s4
	s_cselect_b32 vcc_lo, -1, 0
	s_cmp_eq_u32 s22, 0
	v_cndmask_b32_e32 v6, -1, v6, vcc_lo
	v_cmp_le_u32_e32 vcc_lo, s35, v3
	s_cselect_b32 s4, -1, 0
	v_cndmask_b32_e64 v7, 0, -1, vcc_lo
	s_delay_alu instid0(VALU_DEP_3) | instskip(NEXT) | instid1(VALU_DEP_2)
	v_cmp_ne_u32_e32 vcc_lo, 0, v6
	v_cndmask_b32_e64 v6, -1, v7, s4
	v_cndmask_b32_e32 v7, s23, v8, vcc_lo
	v_cndmask_b32_e32 v5, v4, v5, vcc_lo
	s_delay_alu instid0(VALU_DEP_3) | instskip(NEXT) | instid1(VALU_DEP_3)
	v_cmp_ne_u32_e32 vcc_lo, 0, v6
	v_cndmask_b32_e32 v4, s22, v7, vcc_lo
	s_delay_alu instid0(VALU_DEP_3)
	v_cndmask_b32_e32 v3, v3, v5, vcc_lo
	s_cbranch_execnz .LBB102_149
.LBB102_148:                            ;   in Loop: Header=BB102_24 Depth=1
	v_cvt_f32_u32_e32 v3, s35
	s_sub_i32 s4, 0, s35
	s_delay_alu instid0(VALU_DEP_1) | instskip(SKIP_2) | instid1(VALU_DEP_1)
	v_rcp_iflag_f32_e32 v3, v3
	s_waitcnt_depctr 0xfff
	v_mul_f32_e32 v3, 0x4f7ffffe, v3
	v_cvt_u32_f32_e32 v3, v3
	s_delay_alu instid0(VALU_DEP_1) | instskip(NEXT) | instid1(VALU_DEP_1)
	v_mul_lo_u32 v4, s4, v3
	v_mul_hi_u32 v4, v3, v4
	s_delay_alu instid0(VALU_DEP_1) | instskip(NEXT) | instid1(VALU_DEP_1)
	v_add_nc_u32_e32 v3, v3, v4
	v_mul_hi_u32 v3, s19, v3
	s_delay_alu instid0(VALU_DEP_1) | instskip(NEXT) | instid1(VALU_DEP_1)
	v_mul_lo_u32 v3, v3, s35
	v_sub_nc_u32_e32 v3, s19, v3
	s_delay_alu instid0(VALU_DEP_1) | instskip(SKIP_1) | instid1(VALU_DEP_2)
	v_subrev_nc_u32_e32 v4, s35, v3
	v_cmp_le_u32_e32 vcc_lo, s35, v3
	v_cndmask_b32_e32 v3, v3, v4, vcc_lo
	s_delay_alu instid0(VALU_DEP_1) | instskip(SKIP_1) | instid1(VALU_DEP_2)
	v_subrev_nc_u32_e32 v4, s35, v3
	v_cmp_le_u32_e32 vcc_lo, s35, v3
	v_cndmask_b32_e32 v15, v3, v4, vcc_lo
	s_delay_alu instid0(VALU_DEP_1)
	v_dual_mov_b32 v3, v15 :: v_dual_mov_b32 v4, v16
.LBB102_149:                            ;   in Loop: Header=BB102_24 Depth=1
	s_delay_alu instid0(VALU_DEP_1) | instskip(NEXT) | instid1(VALU_DEP_2)
	v_sub_co_u32 v7, vcc_lo, s19, v3
	v_sub_co_ci_u32_e32 v8, vcc_lo, s5, v4, vcc_lo
	s_mov_b32 s4, 0
	s_mov_b32 s5, exec_lo
                                        ; implicit-def: $vgpr5_vgpr6
	s_delay_alu instid0(VALU_DEP_1)
	v_cmpx_gt_u64_e64 v[7:8], v[0:1]
	s_cbranch_execz .LBB102_162
; %bb.150:                              ;   in Loop: Header=BB102_24 Depth=1
	v_dual_mov_b32 v11, v26 :: v_dual_mov_b32 v10, v1
	v_mov_b32_e32 v9, v0
	s_mov_b32 s19, 0
                                        ; implicit-def: $sgpr4
	s_set_inst_prefetch_distance 0x1
	s_branch .LBB102_152
	.p2align	6
.LBB102_151:                            ;   in Loop: Header=BB102_152 Depth=2
	s_or_b32 exec_lo, exec_lo, s22
	s_waitcnt lgkmcnt(0)
	s_barrier
	buffer_gl0_inv
	ds_load_b128 v[3:6], v16 offset:3072
	v_add_co_u32 v9, vcc_lo, v9, s35
	v_add_co_ci_u32_e32 v10, vcc_lo, 0, v10, vcc_lo
	v_add_nc_u32_e32 v11, s95, v11
	s_waitcnt lgkmcnt(0)
	s_barrier
	s_delay_alu instid0(VALU_DEP_2) | instskip(SKIP_3) | instid1(VALU_DEP_1)
	v_cmp_ge_u64_e32 vcc_lo, v[9:10], v[7:8]
	buffer_gl0_inv
	v_readfirstlane_b32 s23, v4
	v_readfirstlane_b32 s22, v3
	s_cmp_lg_u64 s[22:23], 0
	s_cselect_b32 s22, -1, 0
	s_delay_alu instid0(SALU_CYCLE_1) | instskip(NEXT) | instid1(SALU_CYCLE_1)
	s_or_b32 s23, vcc_lo, s22
	s_and_b32 s23, exec_lo, s23
	s_delay_alu instid0(SALU_CYCLE_1) | instskip(SKIP_2) | instid1(SALU_CYCLE_1)
	s_or_b32 s19, s23, s19
	s_and_not1_b32 s4, s4, exec_lo
	s_and_b32 s22, s22, exec_lo
	s_or_b32 s4, s4, s22
	s_and_not1_b32 exec_lo, exec_lo, s19
	s_cbranch_execz .LBB102_161
.LBB102_152:                            ;   Parent Loop BB102_24 Depth=1
                                        ; =>  This Inner Loop Header: Depth=2
	s_delay_alu instid0(VALU_DEP_1)
	v_cmp_gt_u64_e32 vcc_lo, s[16:17], v[9:10]
	v_mov_b32_e32 v4, 0
	v_mov_b32_e32 v5, 0
	s_and_saveexec_b32 s22, vcc_lo
	s_cbranch_execz .LBB102_154
; %bb.153:                              ;   in Loop: Header=BB102_152 Depth=2
	ds_load_b64 v[4:5], v11
.LBB102_154:                            ;   in Loop: Header=BB102_152 Depth=2
	s_or_b32 exec_lo, exec_lo, s22
	s_and_saveexec_b32 s22, vcc_lo
	s_cbranch_execz .LBB102_151
; %bb.155:                              ;   in Loop: Header=BB102_152 Depth=2
	s_waitcnt lgkmcnt(0)
	v_xor_b32_e32 v3, 0x80000000, v5
	v_and_b32_e32 v12, s74, v4
	s_delay_alu instid0(VALU_DEP_2) | instskip(NEXT) | instid1(VALU_DEP_1)
	v_and_b32_e32 v13, s75, v3
	v_cmp_eq_u64_e32 vcc_lo, s[72:73], v[12:13]
	s_and_b32 exec_lo, exec_lo, vcc_lo
	s_cbranch_execz .LBB102_151
; %bb.156:                              ;   in Loop: Header=BB102_152 Depth=2
	v_mov_b32_e32 v3, v16
	ds_store_b128 v16, v[2:5] offset:3072
	s_branch .LBB102_151
.LBB102_157:                            ;   in Loop: Header=BB102_24 Depth=1
                                        ; implicit-def: $sgpr22
                                        ; implicit-def: $sgpr23
                                        ; implicit-def: $sgpr19
	s_branch .LBB102_176
.LBB102_158:                            ;   in Loop: Header=BB102_24 Depth=1
                                        ; implicit-def: $vgpr3_vgpr4
	s_branch .LBB102_103
.LBB102_159:                            ;   in Loop: Header=BB102_24 Depth=1
                                        ; implicit-def: $vgpr3_vgpr4
	s_branch .LBB102_118
.LBB102_160:                            ;   in Loop: Header=BB102_24 Depth=1
	s_mov_b32 s22, -1
	s_mov_b32 s4, 0
                                        ; implicit-def: $sgpr19
                                        ; implicit-def: $vgpr5_vgpr6
	s_mov_b32 s23, s22
	s_cbranch_execnz .LBB102_163
	s_branch .LBB102_176
.LBB102_161:                            ;   in Loop: Header=BB102_24 Depth=1
	s_set_inst_prefetch_distance 0x2
	s_or_b32 exec_lo, exec_lo, s19
	s_delay_alu instid0(SALU_CYCLE_1)
	s_and_b32 s4, s4, exec_lo
.LBB102_162:                            ;   in Loop: Header=BB102_24 Depth=1
	s_or_b32 exec_lo, exec_lo, s5
	s_mov_b32 s19, -1
	s_mov_b32 s22, 0
	s_delay_alu instid0(SALU_CYCLE_1)
	s_mov_b32 s23, s22
	s_branch .LBB102_176
.LBB102_163:                            ;   in Loop: Header=BB102_24 Depth=1
	s_mov_b32 s68, s67
	s_delay_alu instid0(SALU_CYCLE_1)
	s_cmp_lg_u64 s[68:69], 0
	s_cbranch_scc0 .LBB102_206
; %bb.164:                              ;   in Loop: Header=BB102_24 Depth=1
	v_cvt_f32_u32_e32 v3, s35
	s_sub_u32 s16, 0, s35
	s_subb_u32 s17, 0, 0
	s_delay_alu instid0(VALU_DEP_1) | instskip(NEXT) | instid1(VALU_DEP_1)
	v_fmac_f32_e64 v3, 0, 0x4f800000
	v_rcp_f32_e32 v3, v3
	s_waitcnt_depctr 0xfff
	v_mul_f32_e32 v3, 0x5f7ffffc, v3
	s_delay_alu instid0(VALU_DEP_1) | instskip(NEXT) | instid1(VALU_DEP_1)
	v_mul_f32_e32 v4, 0x2f800000, v3
	v_trunc_f32_e32 v4, v4
	s_delay_alu instid0(VALU_DEP_1) | instskip(SKIP_1) | instid1(VALU_DEP_2)
	v_fmac_f32_e32 v3, 0xcf800000, v4
	v_cvt_u32_f32_e32 v4, v4
	v_cvt_u32_f32_e32 v3, v3
	s_delay_alu instid0(VALU_DEP_2) | instskip(NEXT) | instid1(VALU_DEP_2)
	v_readfirstlane_b32 s4, v4
	v_readfirstlane_b32 s5, v3
	s_delay_alu instid0(VALU_DEP_2) | instskip(NEXT) | instid1(VALU_DEP_1)
	s_mul_i32 s19, s16, s4
	s_mul_hi_u32 s23, s16, s5
	s_mul_i32 s22, s17, s5
	s_add_i32 s19, s23, s19
	s_mul_i32 s58, s16, s5
	s_add_i32 s19, s19, s22
	s_mul_hi_u32 s23, s5, s58
	s_mul_hi_u32 s59, s4, s58
	s_mul_i32 s22, s4, s58
	s_mul_hi_u32 s58, s5, s19
	s_mul_i32 s5, s5, s19
	s_mul_hi_u32 s66, s4, s19
	s_add_u32 s5, s23, s5
	s_addc_u32 s23, 0, s58
	s_add_u32 s5, s5, s22
	s_mul_i32 s19, s4, s19
	s_addc_u32 s5, s23, s59
	s_addc_u32 s22, s66, 0
	s_add_u32 s5, s5, s19
	s_addc_u32 s19, 0, s22
	v_add_co_u32 v3, s5, v3, s5
	s_delay_alu instid0(VALU_DEP_1) | instskip(SKIP_1) | instid1(VALU_DEP_1)
	s_cmp_lg_u32 s5, 0
	s_addc_u32 s4, s4, s19
	v_readfirstlane_b32 s5, v3
	s_mul_i32 s19, s16, s4
	s_delay_alu instid0(VALU_DEP_1)
	s_mul_hi_u32 s22, s16, s5
	s_mul_i32 s17, s17, s5
	s_add_i32 s19, s22, s19
	s_mul_i32 s16, s16, s5
	s_add_i32 s19, s19, s17
	s_mul_hi_u32 s22, s4, s16
	s_mul_i32 s23, s4, s16
	s_mul_hi_u32 s16, s5, s16
	s_mul_hi_u32 s58, s5, s19
	s_mul_i32 s5, s5, s19
	s_mul_hi_u32 s17, s4, s19
	s_add_u32 s5, s16, s5
	s_addc_u32 s16, 0, s58
	s_add_u32 s5, s5, s23
	s_mul_i32 s19, s4, s19
	s_addc_u32 s5, s16, s22
	s_addc_u32 s16, s17, 0
	s_add_u32 s5, s5, s19
	s_addc_u32 s16, 0, s16
	v_add_co_u32 v3, s5, v3, s5
	s_delay_alu instid0(VALU_DEP_1) | instskip(SKIP_1) | instid1(VALU_DEP_1)
	s_cmp_lg_u32 s5, 0
	s_addc_u32 s4, s4, s16
	v_readfirstlane_b32 s5, v3
	s_mul_i32 s17, s89, s4
	s_mul_hi_u32 s16, s89, s4
	s_mul_hi_u32 s19, s69, s4
	s_mul_i32 s4, s69, s4
	s_mul_hi_u32 s22, s89, s5
	s_mul_hi_u32 s23, s69, s5
	s_mul_i32 s5, s69, s5
	s_add_u32 s17, s22, s17
	s_addc_u32 s16, 0, s16
	s_add_u32 s5, s17, s5
	s_addc_u32 s5, s16, s23
	s_addc_u32 s16, s19, 0
	s_add_u32 s4, s5, s4
	s_addc_u32 s5, 0, s16
	s_mul_hi_u32 s16, s35, s4
	s_mul_i32 s4, s35, s4
	s_mul_i32 s5, s35, s5
	v_sub_co_u32 v3, s4, s89, s4
	s_add_i32 s16, s16, s5
	s_cmp_lg_u32 s4, 0
	s_delay_alu instid0(VALU_DEP_1) | instskip(SKIP_2) | instid1(VALU_DEP_1)
	v_sub_co_u32 v4, s4, v3, s35
	s_subb_u32 s5, s69, s16
	s_cmp_lg_u32 s4, 0
	v_cmp_le_u32_e32 vcc_lo, s35, v4
	v_sub_co_u32 v5, s4, v4, s35
	s_subb_u32 s16, s5, 0
	s_cmp_lg_u32 s4, 0
	v_cndmask_b32_e64 v6, 0, -1, vcc_lo
	s_subb_u32 s4, s16, 0
	s_cmp_eq_u32 s16, 0
	v_mov_b32_e32 v8, s4
	s_cselect_b32 vcc_lo, -1, 0
	s_cmp_eq_u32 s5, 0
	v_cndmask_b32_e32 v6, -1, v6, vcc_lo
	v_cmp_le_u32_e32 vcc_lo, s35, v3
	s_cselect_b32 s4, -1, 0
	v_cndmask_b32_e64 v7, 0, -1, vcc_lo
	s_delay_alu instid0(VALU_DEP_3) | instskip(NEXT) | instid1(VALU_DEP_2)
	v_cmp_ne_u32_e32 vcc_lo, 0, v6
	v_cndmask_b32_e64 v6, -1, v7, s4
	v_cndmask_b32_e32 v7, s16, v8, vcc_lo
	v_cndmask_b32_e32 v5, v4, v5, vcc_lo
	s_delay_alu instid0(VALU_DEP_3) | instskip(NEXT) | instid1(VALU_DEP_3)
	v_cmp_ne_u32_e32 vcc_lo, 0, v6
	v_cndmask_b32_e32 v4, s5, v7, vcc_lo
	s_delay_alu instid0(VALU_DEP_3)
	v_cndmask_b32_e32 v3, v3, v5, vcc_lo
	s_cbranch_execnz .LBB102_166
.LBB102_165:                            ;   in Loop: Header=BB102_24 Depth=1
	v_cvt_f32_u32_e32 v3, s35
	s_sub_i32 s4, 0, s35
	s_delay_alu instid0(VALU_DEP_1) | instskip(SKIP_2) | instid1(VALU_DEP_1)
	v_rcp_iflag_f32_e32 v3, v3
	s_waitcnt_depctr 0xfff
	v_mul_f32_e32 v3, 0x4f7ffffe, v3
	v_cvt_u32_f32_e32 v3, v3
	s_delay_alu instid0(VALU_DEP_1) | instskip(NEXT) | instid1(VALU_DEP_1)
	v_mul_lo_u32 v4, s4, v3
	v_mul_hi_u32 v4, v3, v4
	s_delay_alu instid0(VALU_DEP_1) | instskip(NEXT) | instid1(VALU_DEP_1)
	v_add_nc_u32_e32 v3, v3, v4
	v_mul_hi_u32 v3, s89, v3
	s_delay_alu instid0(VALU_DEP_1) | instskip(NEXT) | instid1(VALU_DEP_1)
	v_mul_lo_u32 v3, v3, s35
	v_sub_nc_u32_e32 v3, s89, v3
	s_delay_alu instid0(VALU_DEP_1) | instskip(SKIP_1) | instid1(VALU_DEP_2)
	v_subrev_nc_u32_e32 v4, s35, v3
	v_cmp_le_u32_e32 vcc_lo, s35, v3
	v_cndmask_b32_e32 v3, v3, v4, vcc_lo
	s_delay_alu instid0(VALU_DEP_1) | instskip(SKIP_1) | instid1(VALU_DEP_2)
	v_subrev_nc_u32_e32 v4, s35, v3
	v_cmp_le_u32_e32 vcc_lo, s35, v3
	v_cndmask_b32_e32 v15, v3, v4, vcc_lo
	s_delay_alu instid0(VALU_DEP_1)
	v_dual_mov_b32 v3, v15 :: v_dual_mov_b32 v4, v16
.LBB102_166:                            ;   in Loop: Header=BB102_24 Depth=1
	s_delay_alu instid0(VALU_DEP_1) | instskip(NEXT) | instid1(VALU_DEP_2)
	v_sub_co_u32 v7, vcc_lo, s89, v3
	v_sub_co_ci_u32_e32 v8, vcc_lo, s69, v4, vcc_lo
	s_mov_b32 s4, 0
	s_mov_b32 s5, exec_lo
                                        ; implicit-def: $vgpr5_vgpr6
	s_delay_alu instid0(VALU_DEP_1)
	v_cmpx_gt_u64_e64 v[7:8], v[0:1]
	s_cbranch_execz .LBB102_175
; %bb.167:                              ;   in Loop: Header=BB102_24 Depth=1
	v_dual_mov_b32 v10, v1 :: v_dual_mov_b32 v9, v0
	s_mov_b32 s17, 0
                                        ; implicit-def: $sgpr16
	s_branch .LBB102_169
.LBB102_168:                            ;   in Loop: Header=BB102_169 Depth=2
	s_or_b32 exec_lo, exec_lo, s4
	s_waitcnt vmcnt(0) lgkmcnt(0)
	s_barrier
	buffer_gl0_inv
	ds_load_b128 v[3:6], v16 offset:3072
	v_add_co_u32 v9, vcc_lo, v9, s35
	v_add_co_ci_u32_e32 v10, vcc_lo, 0, v10, vcc_lo
	s_waitcnt lgkmcnt(0)
	s_barrier
	buffer_gl0_inv
	v_cmp_ge_u64_e32 vcc_lo, v[9:10], v[7:8]
	v_readfirstlane_b32 s23, v4
	v_readfirstlane_b32 s22, v3
	s_delay_alu instid0(VALU_DEP_1) | instskip(SKIP_1) | instid1(SALU_CYCLE_1)
	s_cmp_lg_u64 s[22:23], 0
	s_cselect_b32 s4, -1, 0
	s_or_b32 s19, vcc_lo, s4
	s_delay_alu instid0(SALU_CYCLE_1) | instskip(NEXT) | instid1(SALU_CYCLE_1)
	s_and_b32 s19, exec_lo, s19
	s_or_b32 s17, s19, s17
	s_and_not1_b32 s16, s16, exec_lo
	s_and_b32 s4, s4, exec_lo
	s_delay_alu instid0(SALU_CYCLE_1)
	s_or_b32 s16, s16, s4
	s_and_not1_b32 exec_lo, exec_lo, s17
	s_cbranch_execz .LBB102_174
.LBB102_169:                            ;   Parent Loop BB102_24 Depth=1
                                        ; =>  This Inner Loop Header: Depth=2
	s_delay_alu instid0(VALU_DEP_1)
	v_cmp_gt_u64_e32 vcc_lo, s[24:25], v[9:10]
	v_mov_b32_e32 v4, 0
	v_mov_b32_e32 v5, 0
	s_and_saveexec_b32 s19, vcc_lo
	s_cbranch_execz .LBB102_171
; %bb.170:                              ;   in Loop: Header=BB102_169 Depth=2
	v_mul_lo_u32 v5, v10, s54
	v_mul_lo_u32 v6, v9, s55
	v_mad_u64_u32 v[3:4], null, v9, s54, 0
	s_delay_alu instid0(VALU_DEP_1) | instskip(NEXT) | instid1(VALU_DEP_1)
	v_add3_u32 v4, v4, v6, v5
	v_lshlrev_b64 v[3:4], 3, v[3:4]
	s_delay_alu instid0(VALU_DEP_1) | instskip(NEXT) | instid1(VALU_DEP_1)
	v_add_co_u32 v3, s4, s27, v3
	v_add_co_ci_u32_e64 v4, s4, s33, v4, s4
	global_load_b64 v[4:5], v[3:4], off
.LBB102_171:                            ;   in Loop: Header=BB102_169 Depth=2
	s_or_b32 exec_lo, exec_lo, s19
	s_and_saveexec_b32 s4, vcc_lo
	s_cbranch_execz .LBB102_168
; %bb.172:                              ;   in Loop: Header=BB102_169 Depth=2
	s_waitcnt vmcnt(0)
	v_xor_b32_e32 v3, 0x80000000, v5
	v_and_b32_e32 v11, s74, v4
	s_delay_alu instid0(VALU_DEP_2) | instskip(NEXT) | instid1(VALU_DEP_1)
	v_and_b32_e32 v12, s75, v3
	v_cmp_eq_u64_e32 vcc_lo, s[72:73], v[11:12]
	s_and_b32 exec_lo, exec_lo, vcc_lo
	s_cbranch_execz .LBB102_168
; %bb.173:                              ;   in Loop: Header=BB102_169 Depth=2
	v_mov_b32_e32 v3, v16
	ds_store_b128 v16, v[2:5] offset:3072
	s_branch .LBB102_168
.LBB102_174:                            ;   in Loop: Header=BB102_24 Depth=1
	s_or_b32 exec_lo, exec_lo, s17
	s_delay_alu instid0(SALU_CYCLE_1)
	s_and_b32 s4, s16, exec_lo
.LBB102_175:                            ;   in Loop: Header=BB102_24 Depth=1
	s_or_b32 exec_lo, exec_lo, s5
	s_mov_b32 s23, -1
	s_mov_b32 s22, 0
	s_mov_b32 s19, 0
.LBB102_176:                            ;   in Loop: Header=BB102_24 Depth=1
	s_mov_b32 s5, 0
                                        ; implicit-def: $sgpr68
	s_and_saveexec_b32 s66, s4
	s_cbranch_execz .LBB102_287
; %bb.177:                              ;   in Loop: Header=BB102_24 Depth=1
	s_xor_b32 s4, s76, -1
	s_mov_b32 s68, 1
	s_and_not1_b32 vcc_lo, exec_lo, s4
	s_cbranch_vccnz .LBB102_188
; %bb.178:                              ;   in Loop: Header=BB102_24 Depth=1
	v_cmp_gt_u64_e64 s4, s[64:65], s[14:15]
	s_mov_b32 s58, -1
                                        ; implicit-def: $sgpr68
                                        ; implicit-def: $sgpr16_sgpr17
	s_delay_alu instid0(VALU_DEP_1)
	s_and_b32 vcc_lo, exec_lo, s4
                                        ; implicit-def: $sgpr4_sgpr5
	s_cbranch_vccnz .LBB102_184
; %bb.179:                              ;   in Loop: Header=BB102_24 Depth=1
	ds_load_b64 v[3:4], v16 offset:5120
	s_waitcnt lgkmcnt(0)
	v_cmp_ne_u64_e32 vcc_lo, 0, v[3:4]
	s_cbranch_vccnz .LBB102_183
; %bb.180:                              ;   in Loop: Header=BB102_24 Depth=1
	s_and_saveexec_b32 s4, s2
	s_cbranch_execz .LBB102_182
; %bb.181:                              ;   in Loop: Header=BB102_24 Depth=1
	v_dual_mov_b32 v3, s14 :: v_dual_mov_b32 v4, s15
	ds_store_b64 v16, v[3:4] offset:5128
.LBB102_182:                            ;   in Loop: Header=BB102_24 Depth=1
	s_or_b32 exec_lo, exec_lo, s4
	s_waitcnt lgkmcnt(0)
	s_barrier
	buffer_gl0_inv
.LBB102_183:                            ;   in Loop: Header=BB102_24 Depth=1
	s_lshl_b64 s[4:5], 1, s21
	s_and_b64 s[16:17], s[72:73], s[12:13]
	s_mov_b32 s58, 0
	s_or_b64 s[4:5], s[16:17], s[4:5]
	s_or_b64 s[16:17], s[74:75], s[8:9]
	s_mov_b32 s68, 8
.LBB102_184:                            ;   in Loop: Header=BB102_24 Depth=1
	s_and_not1_b32 vcc_lo, exec_lo, s58
	s_cbranch_vccnz .LBB102_186
; %bb.185:                              ;   in Loop: Header=BB102_24 Depth=1
	s_sub_u32 s64, s64, s14
	s_subb_u32 s65, s65, s15
	s_mov_b32 s58, -1
	s_mov_b32 s68, 0
	s_mov_b64 s[4:5], s[72:73]
	s_mov_b64 s[16:17], s[74:75]
.LBB102_186:                            ;   in Loop: Header=BB102_24 Depth=1
	s_delay_alu instid0(SALU_CYCLE_1)
	s_mov_b64 s[74:75], s[16:17]
	s_mov_b64 s[72:73], s[4:5]
	s_and_not1_b32 vcc_lo, exec_lo, s58
	s_mov_b32 s5, -1
	s_cbranch_vccz .LBB102_189
.LBB102_187:                            ;   in Loop: Header=BB102_24 Depth=1
                                        ; implicit-def: $sgpr17
                                        ; implicit-def: $sgpr76
                                        ; implicit-def: $sgpr16
	s_branch .LBB102_286
.LBB102_188:                            ;   in Loop: Header=BB102_24 Depth=1
	s_mov_b64 s[64:65], 1
	s_mov_b32 s5, -1
	s_cbranch_execnz .LBB102_187
.LBB102_189:                            ;   in Loop: Header=BB102_24 Depth=1
	s_cmp_eq_u64 s[10:11], 1
	s_cselect_b32 s4, -1, 0
	s_cmp_eq_u64 s[64:65], 1
	s_cselect_b32 s5, -1, 0
	s_delay_alu instid0(SALU_CYCLE_1)
	s_and_b32 s78, s4, s5
	s_mov_b32 s4, -1
	s_and_b32 vcc_lo, exec_lo, s78
	s_cbranch_vccz .LBB102_204
; %bb.190:                              ;   in Loop: Header=BB102_24 Depth=1
	ds_load_b64 v[3:4], v16 offset:5120
	s_waitcnt lgkmcnt(0)
	s_barrier
	buffer_gl0_inv
	v_readfirstlane_b32 s14, v3
	v_readfirstlane_b32 s15, v4
	s_and_saveexec_b32 s4, s3
	s_cbranch_execz .LBB102_192
; %bb.191:                              ;   in Loop: Header=BB102_24 Depth=1
	v_mov_b32_e32 v15, v16
	ds_store_b64 v27, v[15:16]
.LBB102_192:                            ;   in Loop: Header=BB102_24 Depth=1
	s_or_b32 exec_lo, exec_lo, s4
	s_lshl_b64 s[4:5], 2, s21
	s_and_b64 s[16:17], s[72:73], s[12:13]
	s_or_b64 s[74:75], s[74:75], s[8:9]
	s_or_b64 s[72:73], s[16:17], s[4:5]
	s_cmp_eq_u64 s[14:15], 0
	s_waitcnt lgkmcnt(0)
	s_barrier
	buffer_gl0_inv
	s_cbranch_scc1 .LBB102_207
; %bb.193:                              ;   in Loop: Header=BB102_24 Depth=1
	s_add_u32 s16, s87, s14
	s_addc_u32 s5, s88, s15
	s_mov_b32 s4, s67
	s_delay_alu instid0(SALU_CYCLE_1)
	s_cmp_lg_u64 s[4:5], 0
	s_cbranch_scc0 .LBB102_252
; %bb.194:                              ;   in Loop: Header=BB102_24 Depth=1
	v_cvt_f32_u32_e32 v3, s35
	s_sub_u32 s58, 0, s35
	s_subb_u32 s59, 0, 0
	s_delay_alu instid0(VALU_DEP_1) | instskip(NEXT) | instid1(VALU_DEP_1)
	v_fmac_f32_e64 v3, 0, 0x4f800000
	v_rcp_f32_e32 v3, v3
	s_waitcnt_depctr 0xfff
	v_mul_f32_e32 v3, 0x5f7ffffc, v3
	s_delay_alu instid0(VALU_DEP_1) | instskip(NEXT) | instid1(VALU_DEP_1)
	v_mul_f32_e32 v4, 0x2f800000, v3
	v_trunc_f32_e32 v4, v4
	s_delay_alu instid0(VALU_DEP_1) | instskip(SKIP_1) | instid1(VALU_DEP_2)
	v_fmac_f32_e32 v3, 0xcf800000, v4
	v_cvt_u32_f32_e32 v4, v4
	v_cvt_u32_f32_e32 v3, v3
	s_delay_alu instid0(VALU_DEP_2) | instskip(NEXT) | instid1(VALU_DEP_2)
	v_readfirstlane_b32 s4, v4
	v_readfirstlane_b32 s17, v3
	s_delay_alu instid0(VALU_DEP_2) | instskip(NEXT) | instid1(VALU_DEP_1)
	s_mul_i32 s68, s58, s4
	s_mul_hi_u32 s77, s58, s17
	s_mul_i32 s76, s59, s17
	s_add_i32 s68, s77, s68
	s_mul_i32 s79, s58, s17
	s_add_i32 s68, s68, s76
	s_mul_hi_u32 s77, s17, s79
	s_mul_hi_u32 s80, s4, s79
	s_mul_i32 s76, s4, s79
	s_mul_hi_u32 s79, s17, s68
	s_mul_i32 s17, s17, s68
	s_mul_hi_u32 s81, s4, s68
	s_add_u32 s17, s77, s17
	s_addc_u32 s77, 0, s79
	s_add_u32 s17, s17, s76
	s_mul_i32 s68, s4, s68
	s_addc_u32 s17, s77, s80
	s_addc_u32 s76, s81, 0
	s_add_u32 s17, s17, s68
	s_addc_u32 s68, 0, s76
	v_add_co_u32 v3, s17, v3, s17
	s_delay_alu instid0(VALU_DEP_1) | instskip(SKIP_1) | instid1(VALU_DEP_1)
	s_cmp_lg_u32 s17, 0
	s_addc_u32 s4, s4, s68
	v_readfirstlane_b32 s17, v3
	s_mul_i32 s68, s58, s4
	s_delay_alu instid0(VALU_DEP_1)
	s_mul_hi_u32 s76, s58, s17
	s_mul_i32 s59, s59, s17
	s_add_i32 s68, s76, s68
	s_mul_i32 s58, s58, s17
	s_add_i32 s68, s68, s59
	s_mul_hi_u32 s76, s4, s58
	s_mul_i32 s77, s4, s58
	s_mul_hi_u32 s58, s17, s58
	s_mul_hi_u32 s79, s17, s68
	s_mul_i32 s17, s17, s68
	s_mul_hi_u32 s59, s4, s68
	s_add_u32 s17, s58, s17
	s_addc_u32 s58, 0, s79
	s_add_u32 s17, s17, s77
	s_mul_i32 s68, s4, s68
	s_addc_u32 s17, s58, s76
	s_addc_u32 s58, s59, 0
	s_add_u32 s17, s17, s68
	s_addc_u32 s58, 0, s58
	v_add_co_u32 v3, s17, v3, s17
	s_delay_alu instid0(VALU_DEP_1) | instskip(SKIP_1) | instid1(VALU_DEP_1)
	s_cmp_lg_u32 s17, 0
	s_addc_u32 s4, s4, s58
	v_readfirstlane_b32 s17, v3
	s_mul_i32 s59, s16, s4
	s_mul_hi_u32 s58, s16, s4
	s_mul_hi_u32 s68, s5, s4
	s_mul_i32 s4, s5, s4
	s_mul_hi_u32 s76, s16, s17
	s_mul_hi_u32 s77, s5, s17
	s_mul_i32 s17, s5, s17
	s_add_u32 s59, s76, s59
	s_addc_u32 s58, 0, s58
	s_add_u32 s17, s59, s17
	s_addc_u32 s17, s58, s77
	s_addc_u32 s58, s68, 0
	s_add_u32 s4, s17, s4
	s_addc_u32 s17, 0, s58
	s_mul_hi_u32 s58, s35, s4
	s_mul_i32 s4, s35, s4
	s_mul_i32 s17, s35, s17
	v_sub_co_u32 v3, s4, s16, s4
	s_add_i32 s58, s58, s17
	s_cmp_lg_u32 s4, 0
	s_delay_alu instid0(VALU_DEP_1) | instskip(SKIP_2) | instid1(VALU_DEP_1)
	v_sub_co_u32 v4, s4, v3, s35
	s_subb_u32 s17, s5, s58
	s_cmp_lg_u32 s4, 0
	v_cmp_le_u32_e32 vcc_lo, s35, v4
	v_sub_co_u32 v5, s4, v4, s35
	s_subb_u32 s58, s17, 0
	s_cmp_lg_u32 s4, 0
	v_cndmask_b32_e64 v6, 0, -1, vcc_lo
	s_subb_u32 s4, s58, 0
	s_cmp_eq_u32 s58, 0
	v_mov_b32_e32 v8, s4
	s_cselect_b32 vcc_lo, -1, 0
	s_cmp_eq_u32 s17, 0
	v_cndmask_b32_e32 v6, -1, v6, vcc_lo
	v_cmp_le_u32_e32 vcc_lo, s35, v3
	s_cselect_b32 s4, -1, 0
	v_cndmask_b32_e64 v7, 0, -1, vcc_lo
	s_delay_alu instid0(VALU_DEP_3) | instskip(NEXT) | instid1(VALU_DEP_2)
	v_cmp_ne_u32_e32 vcc_lo, 0, v6
	v_cndmask_b32_e64 v6, -1, v7, s4
	v_cndmask_b32_e32 v7, s58, v8, vcc_lo
	v_cndmask_b32_e32 v5, v4, v5, vcc_lo
	s_delay_alu instid0(VALU_DEP_3) | instskip(NEXT) | instid1(VALU_DEP_3)
	v_cmp_ne_u32_e32 vcc_lo, 0, v6
	v_cndmask_b32_e32 v4, s17, v7, vcc_lo
	s_delay_alu instid0(VALU_DEP_3)
	v_cndmask_b32_e32 v3, v3, v5, vcc_lo
	s_cbranch_execnz .LBB102_196
.LBB102_195:                            ;   in Loop: Header=BB102_24 Depth=1
	v_cvt_f32_u32_e32 v3, s35
	s_sub_i32 s4, 0, s35
	s_delay_alu instid0(VALU_DEP_1) | instskip(SKIP_2) | instid1(VALU_DEP_1)
	v_rcp_iflag_f32_e32 v3, v3
	s_waitcnt_depctr 0xfff
	v_mul_f32_e32 v3, 0x4f7ffffe, v3
	v_cvt_u32_f32_e32 v3, v3
	s_delay_alu instid0(VALU_DEP_1) | instskip(NEXT) | instid1(VALU_DEP_1)
	v_mul_lo_u32 v4, s4, v3
	v_mul_hi_u32 v4, v3, v4
	s_delay_alu instid0(VALU_DEP_1) | instskip(NEXT) | instid1(VALU_DEP_1)
	v_add_nc_u32_e32 v3, v3, v4
	v_mul_hi_u32 v3, s16, v3
	s_delay_alu instid0(VALU_DEP_1) | instskip(NEXT) | instid1(VALU_DEP_1)
	v_mul_lo_u32 v3, v3, s35
	v_sub_nc_u32_e32 v3, s16, v3
	s_delay_alu instid0(VALU_DEP_1) | instskip(SKIP_1) | instid1(VALU_DEP_2)
	v_subrev_nc_u32_e32 v4, s35, v3
	v_cmp_le_u32_e32 vcc_lo, s35, v3
	v_cndmask_b32_e32 v3, v3, v4, vcc_lo
	s_delay_alu instid0(VALU_DEP_1) | instskip(SKIP_1) | instid1(VALU_DEP_2)
	v_subrev_nc_u32_e32 v4, s35, v3
	v_cmp_le_u32_e32 vcc_lo, s35, v3
	v_cndmask_b32_e32 v15, v3, v4, vcc_lo
	s_delay_alu instid0(VALU_DEP_1)
	v_dual_mov_b32 v3, v15 :: v_dual_mov_b32 v4, v16
.LBB102_196:                            ;   in Loop: Header=BB102_24 Depth=1
	s_delay_alu instid0(VALU_DEP_1) | instskip(NEXT) | instid1(VALU_DEP_2)
	v_sub_co_u32 v7, vcc_lo, s16, v3
	v_sub_co_ci_u32_e32 v8, vcc_lo, s5, v4, vcc_lo
	s_mov_b32 s4, 0
	s_mov_b32 s5, exec_lo
                                        ; implicit-def: $vgpr5_vgpr6
	s_delay_alu instid0(VALU_DEP_1)
	v_cmpx_gt_u64_e64 v[7:8], v[0:1]
	s_cbranch_execz .LBB102_209
; %bb.197:                              ;   in Loop: Header=BB102_24 Depth=1
	v_dual_mov_b32 v11, v26 :: v_dual_mov_b32 v10, v1
	v_mov_b32_e32 v9, v0
	s_mov_b32 s16, 0
                                        ; implicit-def: $sgpr4
	s_set_inst_prefetch_distance 0x1
	s_branch .LBB102_199
	.p2align	6
.LBB102_198:                            ;   in Loop: Header=BB102_199 Depth=2
	s_or_b32 exec_lo, exec_lo, s17
	s_waitcnt lgkmcnt(0)
	s_barrier
	buffer_gl0_inv
	ds_load_b128 v[3:6], v16 offset:3072
	v_add_co_u32 v9, vcc_lo, v9, s35
	v_add_co_ci_u32_e32 v10, vcc_lo, 0, v10, vcc_lo
	v_add_nc_u32_e32 v11, s95, v11
	s_waitcnt lgkmcnt(0)
	s_barrier
	s_delay_alu instid0(VALU_DEP_2) | instskip(SKIP_3) | instid1(VALU_DEP_1)
	v_cmp_ge_u64_e32 vcc_lo, v[9:10], v[7:8]
	buffer_gl0_inv
	v_readfirstlane_b32 s59, v4
	v_readfirstlane_b32 s58, v3
	s_cmp_lg_u64 s[58:59], 0
	s_cselect_b32 s17, -1, 0
	s_delay_alu instid0(SALU_CYCLE_1) | instskip(NEXT) | instid1(SALU_CYCLE_1)
	s_or_b32 s58, vcc_lo, s17
	s_and_b32 s58, exec_lo, s58
	s_delay_alu instid0(SALU_CYCLE_1) | instskip(SKIP_2) | instid1(SALU_CYCLE_1)
	s_or_b32 s16, s58, s16
	s_and_not1_b32 s4, s4, exec_lo
	s_and_b32 s17, s17, exec_lo
	s_or_b32 s4, s4, s17
	s_and_not1_b32 exec_lo, exec_lo, s16
	s_cbranch_execz .LBB102_208
.LBB102_199:                            ;   Parent Loop BB102_24 Depth=1
                                        ; =>  This Inner Loop Header: Depth=2
	s_delay_alu instid0(VALU_DEP_1)
	v_cmp_gt_u64_e32 vcc_lo, s[14:15], v[9:10]
	v_mov_b32_e32 v4, 0
	v_mov_b32_e32 v5, 0
	s_and_saveexec_b32 s17, vcc_lo
	s_cbranch_execz .LBB102_201
; %bb.200:                              ;   in Loop: Header=BB102_199 Depth=2
	ds_load_b64 v[4:5], v11
.LBB102_201:                            ;   in Loop: Header=BB102_199 Depth=2
	s_or_b32 exec_lo, exec_lo, s17
	s_and_saveexec_b32 s17, vcc_lo
	s_cbranch_execz .LBB102_198
; %bb.202:                              ;   in Loop: Header=BB102_199 Depth=2
	s_waitcnt lgkmcnt(0)
	v_xor_b32_e32 v3, 0x80000000, v5
	v_and_b32_e32 v12, s74, v4
	s_delay_alu instid0(VALU_DEP_2) | instskip(NEXT) | instid1(VALU_DEP_1)
	v_and_b32_e32 v13, s75, v3
	v_cmp_eq_u64_e32 vcc_lo, s[72:73], v[12:13]
	s_and_b32 exec_lo, exec_lo, vcc_lo
	s_cbranch_execz .LBB102_198
; %bb.203:                              ;   in Loop: Header=BB102_199 Depth=2
	v_mov_b32_e32 v3, v16
	ds_store_b128 v16, v[2:5] offset:3072
	s_branch .LBB102_198
.LBB102_204:                            ;   in Loop: Header=BB102_24 Depth=1
                                        ; implicit-def: $sgpr16
                                        ; implicit-def: $sgpr76
                                        ; implicit-def: $sgpr17
	s_branch .LBB102_223
.LBB102_205:                            ;   in Loop: Header=BB102_24 Depth=1
                                        ; implicit-def: $vgpr3_vgpr4
	s_branch .LBB102_148
.LBB102_206:                            ;   in Loop: Header=BB102_24 Depth=1
                                        ; implicit-def: $vgpr3_vgpr4
	s_branch .LBB102_165
.LBB102_207:                            ;   in Loop: Header=BB102_24 Depth=1
	s_mov_b32 s16, -1
	s_mov_b32 s4, 0
                                        ; implicit-def: $sgpr17
                                        ; implicit-def: $vgpr5_vgpr6
	s_mov_b32 s76, s16
	s_cbranch_execnz .LBB102_210
	s_branch .LBB102_223
.LBB102_208:                            ;   in Loop: Header=BB102_24 Depth=1
	s_set_inst_prefetch_distance 0x2
	s_or_b32 exec_lo, exec_lo, s16
	s_delay_alu instid0(SALU_CYCLE_1)
	s_and_b32 s4, s4, exec_lo
.LBB102_209:                            ;   in Loop: Header=BB102_24 Depth=1
	s_or_b32 exec_lo, exec_lo, s5
	s_mov_b32 s17, -1
	s_mov_b32 s16, 0
	s_delay_alu instid0(SALU_CYCLE_1)
	s_mov_b32 s76, s16
	s_branch .LBB102_223
.LBB102_210:                            ;   in Loop: Header=BB102_24 Depth=1
	s_mov_b32 s68, s67
	s_delay_alu instid0(SALU_CYCLE_1)
	s_cmp_lg_u64 s[68:69], 0
	s_cbranch_scc0 .LBB102_253
; %bb.211:                              ;   in Loop: Header=BB102_24 Depth=1
	v_cvt_f32_u32_e32 v3, s35
	s_sub_u32 s14, 0, s35
	s_subb_u32 s15, 0, 0
	s_delay_alu instid0(VALU_DEP_1) | instskip(NEXT) | instid1(VALU_DEP_1)
	v_fmac_f32_e64 v3, 0, 0x4f800000
	v_rcp_f32_e32 v3, v3
	s_waitcnt_depctr 0xfff
	v_mul_f32_e32 v3, 0x5f7ffffc, v3
	s_delay_alu instid0(VALU_DEP_1) | instskip(NEXT) | instid1(VALU_DEP_1)
	v_mul_f32_e32 v4, 0x2f800000, v3
	v_trunc_f32_e32 v4, v4
	s_delay_alu instid0(VALU_DEP_1) | instskip(SKIP_1) | instid1(VALU_DEP_2)
	v_fmac_f32_e32 v3, 0xcf800000, v4
	v_cvt_u32_f32_e32 v4, v4
	v_cvt_u32_f32_e32 v3, v3
	s_delay_alu instid0(VALU_DEP_2) | instskip(NEXT) | instid1(VALU_DEP_2)
	v_readfirstlane_b32 s4, v4
	v_readfirstlane_b32 s5, v3
	s_delay_alu instid0(VALU_DEP_2) | instskip(NEXT) | instid1(VALU_DEP_1)
	s_mul_i32 s16, s14, s4
	s_mul_hi_u32 s58, s14, s5
	s_mul_i32 s17, s15, s5
	s_add_i32 s16, s58, s16
	s_mul_i32 s59, s14, s5
	s_add_i32 s16, s16, s17
	s_mul_hi_u32 s58, s5, s59
	s_mul_hi_u32 s68, s4, s59
	s_mul_i32 s17, s4, s59
	s_mul_hi_u32 s59, s5, s16
	s_mul_i32 s5, s5, s16
	s_mul_hi_u32 s76, s4, s16
	s_add_u32 s5, s58, s5
	s_addc_u32 s58, 0, s59
	s_add_u32 s5, s5, s17
	s_mul_i32 s16, s4, s16
	s_addc_u32 s5, s58, s68
	s_addc_u32 s17, s76, 0
	s_add_u32 s5, s5, s16
	s_addc_u32 s16, 0, s17
	v_add_co_u32 v3, s5, v3, s5
	s_delay_alu instid0(VALU_DEP_1) | instskip(SKIP_1) | instid1(VALU_DEP_1)
	s_cmp_lg_u32 s5, 0
	s_addc_u32 s4, s4, s16
	v_readfirstlane_b32 s5, v3
	s_mul_i32 s16, s14, s4
	s_delay_alu instid0(VALU_DEP_1)
	s_mul_hi_u32 s17, s14, s5
	s_mul_i32 s15, s15, s5
	s_add_i32 s16, s17, s16
	s_mul_i32 s14, s14, s5
	s_add_i32 s16, s16, s15
	s_mul_hi_u32 s17, s4, s14
	s_mul_i32 s58, s4, s14
	s_mul_hi_u32 s14, s5, s14
	s_mul_hi_u32 s59, s5, s16
	s_mul_i32 s5, s5, s16
	s_mul_hi_u32 s15, s4, s16
	s_add_u32 s5, s14, s5
	s_addc_u32 s14, 0, s59
	s_add_u32 s5, s5, s58
	s_mul_i32 s16, s4, s16
	s_addc_u32 s5, s14, s17
	s_addc_u32 s14, s15, 0
	s_add_u32 s5, s5, s16
	s_addc_u32 s14, 0, s14
	v_add_co_u32 v3, s5, v3, s5
	s_delay_alu instid0(VALU_DEP_1) | instskip(SKIP_1) | instid1(VALU_DEP_1)
	s_cmp_lg_u32 s5, 0
	s_addc_u32 s4, s4, s14
	v_readfirstlane_b32 s5, v3
	s_mul_i32 s15, s89, s4
	s_mul_hi_u32 s14, s89, s4
	s_mul_hi_u32 s16, s69, s4
	s_mul_i32 s4, s69, s4
	s_mul_hi_u32 s17, s89, s5
	s_mul_hi_u32 s58, s69, s5
	s_mul_i32 s5, s69, s5
	s_add_u32 s15, s17, s15
	s_addc_u32 s14, 0, s14
	s_add_u32 s5, s15, s5
	s_addc_u32 s5, s14, s58
	s_addc_u32 s14, s16, 0
	s_add_u32 s4, s5, s4
	s_addc_u32 s5, 0, s14
	s_mul_hi_u32 s14, s35, s4
	s_mul_i32 s4, s35, s4
	s_mul_i32 s5, s35, s5
	v_sub_co_u32 v3, s4, s89, s4
	s_add_i32 s14, s14, s5
	s_cmp_lg_u32 s4, 0
	s_delay_alu instid0(VALU_DEP_1) | instskip(SKIP_2) | instid1(VALU_DEP_1)
	v_sub_co_u32 v4, s4, v3, s35
	s_subb_u32 s5, s69, s14
	s_cmp_lg_u32 s4, 0
	v_cmp_le_u32_e32 vcc_lo, s35, v4
	v_sub_co_u32 v5, s4, v4, s35
	s_subb_u32 s14, s5, 0
	s_cmp_lg_u32 s4, 0
	v_cndmask_b32_e64 v6, 0, -1, vcc_lo
	s_subb_u32 s4, s14, 0
	s_cmp_eq_u32 s14, 0
	v_mov_b32_e32 v8, s4
	s_cselect_b32 vcc_lo, -1, 0
	s_cmp_eq_u32 s5, 0
	v_cndmask_b32_e32 v6, -1, v6, vcc_lo
	v_cmp_le_u32_e32 vcc_lo, s35, v3
	s_cselect_b32 s4, -1, 0
	v_cndmask_b32_e64 v7, 0, -1, vcc_lo
	s_delay_alu instid0(VALU_DEP_3) | instskip(NEXT) | instid1(VALU_DEP_2)
	v_cmp_ne_u32_e32 vcc_lo, 0, v6
	v_cndmask_b32_e64 v6, -1, v7, s4
	v_cndmask_b32_e32 v7, s14, v8, vcc_lo
	v_cndmask_b32_e32 v5, v4, v5, vcc_lo
	s_delay_alu instid0(VALU_DEP_3) | instskip(NEXT) | instid1(VALU_DEP_3)
	v_cmp_ne_u32_e32 vcc_lo, 0, v6
	v_cndmask_b32_e32 v4, s5, v7, vcc_lo
	s_delay_alu instid0(VALU_DEP_3)
	v_cndmask_b32_e32 v3, v3, v5, vcc_lo
	s_cbranch_execnz .LBB102_213
.LBB102_212:                            ;   in Loop: Header=BB102_24 Depth=1
	v_cvt_f32_u32_e32 v3, s35
	s_sub_i32 s4, 0, s35
	s_delay_alu instid0(VALU_DEP_1) | instskip(SKIP_2) | instid1(VALU_DEP_1)
	v_rcp_iflag_f32_e32 v3, v3
	s_waitcnt_depctr 0xfff
	v_mul_f32_e32 v3, 0x4f7ffffe, v3
	v_cvt_u32_f32_e32 v3, v3
	s_delay_alu instid0(VALU_DEP_1) | instskip(NEXT) | instid1(VALU_DEP_1)
	v_mul_lo_u32 v4, s4, v3
	v_mul_hi_u32 v4, v3, v4
	s_delay_alu instid0(VALU_DEP_1) | instskip(NEXT) | instid1(VALU_DEP_1)
	v_add_nc_u32_e32 v3, v3, v4
	v_mul_hi_u32 v3, s89, v3
	s_delay_alu instid0(VALU_DEP_1) | instskip(NEXT) | instid1(VALU_DEP_1)
	v_mul_lo_u32 v3, v3, s35
	v_sub_nc_u32_e32 v3, s89, v3
	s_delay_alu instid0(VALU_DEP_1) | instskip(SKIP_1) | instid1(VALU_DEP_2)
	v_subrev_nc_u32_e32 v4, s35, v3
	v_cmp_le_u32_e32 vcc_lo, s35, v3
	v_cndmask_b32_e32 v3, v3, v4, vcc_lo
	s_delay_alu instid0(VALU_DEP_1) | instskip(SKIP_1) | instid1(VALU_DEP_2)
	v_subrev_nc_u32_e32 v4, s35, v3
	v_cmp_le_u32_e32 vcc_lo, s35, v3
	v_cndmask_b32_e32 v15, v3, v4, vcc_lo
	s_delay_alu instid0(VALU_DEP_1)
	v_dual_mov_b32 v3, v15 :: v_dual_mov_b32 v4, v16
.LBB102_213:                            ;   in Loop: Header=BB102_24 Depth=1
	s_delay_alu instid0(VALU_DEP_1) | instskip(NEXT) | instid1(VALU_DEP_2)
	v_sub_co_u32 v7, vcc_lo, s89, v3
	v_sub_co_ci_u32_e32 v8, vcc_lo, s69, v4, vcc_lo
	s_mov_b32 s4, 0
	s_mov_b32 s5, exec_lo
                                        ; implicit-def: $vgpr5_vgpr6
	s_delay_alu instid0(VALU_DEP_1)
	v_cmpx_gt_u64_e64 v[7:8], v[0:1]
	s_cbranch_execz .LBB102_222
; %bb.214:                              ;   in Loop: Header=BB102_24 Depth=1
	v_dual_mov_b32 v10, v1 :: v_dual_mov_b32 v9, v0
	s_mov_b32 s15, 0
                                        ; implicit-def: $sgpr14
	s_branch .LBB102_216
.LBB102_215:                            ;   in Loop: Header=BB102_216 Depth=2
	s_or_b32 exec_lo, exec_lo, s4
	s_waitcnt vmcnt(0) lgkmcnt(0)
	s_barrier
	buffer_gl0_inv
	ds_load_b128 v[3:6], v16 offset:3072
	v_add_co_u32 v9, vcc_lo, v9, s35
	v_add_co_ci_u32_e32 v10, vcc_lo, 0, v10, vcc_lo
	s_waitcnt lgkmcnt(0)
	s_barrier
	buffer_gl0_inv
	v_cmp_ge_u64_e32 vcc_lo, v[9:10], v[7:8]
	v_readfirstlane_b32 s17, v4
	v_readfirstlane_b32 s16, v3
	s_delay_alu instid0(VALU_DEP_1) | instskip(SKIP_1) | instid1(SALU_CYCLE_1)
	s_cmp_lg_u64 s[16:17], 0
	s_cselect_b32 s4, -1, 0
	s_or_b32 s16, vcc_lo, s4
	s_delay_alu instid0(SALU_CYCLE_1) | instskip(NEXT) | instid1(SALU_CYCLE_1)
	s_and_b32 s16, exec_lo, s16
	s_or_b32 s15, s16, s15
	s_and_not1_b32 s14, s14, exec_lo
	s_and_b32 s4, s4, exec_lo
	s_delay_alu instid0(SALU_CYCLE_1)
	s_or_b32 s14, s14, s4
	s_and_not1_b32 exec_lo, exec_lo, s15
	s_cbranch_execz .LBB102_221
.LBB102_216:                            ;   Parent Loop BB102_24 Depth=1
                                        ; =>  This Inner Loop Header: Depth=2
	s_delay_alu instid0(VALU_DEP_1)
	v_cmp_gt_u64_e32 vcc_lo, s[24:25], v[9:10]
	v_mov_b32_e32 v4, 0
	v_mov_b32_e32 v5, 0
	s_and_saveexec_b32 s16, vcc_lo
	s_cbranch_execz .LBB102_218
; %bb.217:                              ;   in Loop: Header=BB102_216 Depth=2
	v_mul_lo_u32 v5, v10, s54
	v_mul_lo_u32 v6, v9, s55
	v_mad_u64_u32 v[3:4], null, v9, s54, 0
	s_delay_alu instid0(VALU_DEP_1) | instskip(NEXT) | instid1(VALU_DEP_1)
	v_add3_u32 v4, v4, v6, v5
	v_lshlrev_b64 v[3:4], 3, v[3:4]
	s_delay_alu instid0(VALU_DEP_1) | instskip(NEXT) | instid1(VALU_DEP_1)
	v_add_co_u32 v3, s4, s27, v3
	v_add_co_ci_u32_e64 v4, s4, s33, v4, s4
	global_load_b64 v[4:5], v[3:4], off
.LBB102_218:                            ;   in Loop: Header=BB102_216 Depth=2
	s_or_b32 exec_lo, exec_lo, s16
	s_and_saveexec_b32 s4, vcc_lo
	s_cbranch_execz .LBB102_215
; %bb.219:                              ;   in Loop: Header=BB102_216 Depth=2
	s_waitcnt vmcnt(0)
	v_xor_b32_e32 v3, 0x80000000, v5
	v_and_b32_e32 v11, s74, v4
	s_delay_alu instid0(VALU_DEP_2) | instskip(NEXT) | instid1(VALU_DEP_1)
	v_and_b32_e32 v12, s75, v3
	v_cmp_eq_u64_e32 vcc_lo, s[72:73], v[11:12]
	s_and_b32 exec_lo, exec_lo, vcc_lo
	s_cbranch_execz .LBB102_215
; %bb.220:                              ;   in Loop: Header=BB102_216 Depth=2
	v_mov_b32_e32 v3, v16
	ds_store_b128 v16, v[2:5] offset:3072
	s_branch .LBB102_215
.LBB102_221:                            ;   in Loop: Header=BB102_24 Depth=1
	s_or_b32 exec_lo, exec_lo, s15
	s_delay_alu instid0(SALU_CYCLE_1)
	s_and_b32 s4, s14, exec_lo
.LBB102_222:                            ;   in Loop: Header=BB102_24 Depth=1
	s_or_b32 exec_lo, exec_lo, s5
	s_mov_b32 s76, -1
	s_mov_b32 s16, 0
	s_mov_b32 s17, 0
.LBB102_223:                            ;   in Loop: Header=BB102_24 Depth=1
	s_mov_b32 s5, 0
                                        ; implicit-def: $sgpr68
	s_and_saveexec_b32 s77, s4
	s_cbranch_execz .LBB102_285
; %bb.224:                              ;   in Loop: Header=BB102_24 Depth=1
	s_xor_b32 s4, s78, -1
	s_mov_b32 s68, 1
	s_and_not1_b32 vcc_lo, exec_lo, s4
	s_cbranch_vccnz .LBB102_235
; %bb.225:                              ;   in Loop: Header=BB102_24 Depth=1
	v_cmp_gt_u64_e64 s4, s[64:65], s[10:11]
	s_mov_b32 s58, -1
                                        ; implicit-def: $sgpr68
                                        ; implicit-def: $sgpr14_sgpr15
	s_delay_alu instid0(VALU_DEP_1)
	s_and_b32 vcc_lo, exec_lo, s4
                                        ; implicit-def: $sgpr4_sgpr5
	s_cbranch_vccnz .LBB102_231
; %bb.226:                              ;   in Loop: Header=BB102_24 Depth=1
	ds_load_b64 v[3:4], v16 offset:5120
	s_waitcnt lgkmcnt(0)
	v_cmp_ne_u64_e32 vcc_lo, 0, v[3:4]
	s_cbranch_vccnz .LBB102_230
; %bb.227:                              ;   in Loop: Header=BB102_24 Depth=1
	s_and_saveexec_b32 s4, s2
	s_cbranch_execz .LBB102_229
; %bb.228:                              ;   in Loop: Header=BB102_24 Depth=1
	v_dual_mov_b32 v3, s10 :: v_dual_mov_b32 v4, s11
	ds_store_b64 v16, v[3:4] offset:5128
.LBB102_229:                            ;   in Loop: Header=BB102_24 Depth=1
	s_or_b32 exec_lo, exec_lo, s4
	s_waitcnt lgkmcnt(0)
	s_barrier
	buffer_gl0_inv
.LBB102_230:                            ;   in Loop: Header=BB102_24 Depth=1
	s_lshl_b64 s[4:5], 2, s21
	s_and_b64 s[12:13], s[72:73], s[12:13]
	s_or_b64 s[14:15], s[74:75], s[8:9]
	s_or_b64 s[4:5], s[12:13], s[4:5]
	s_mov_b32 s58, 0
	s_mov_b32 s68, 8
.LBB102_231:                            ;   in Loop: Header=BB102_24 Depth=1
	s_and_not1_b32 vcc_lo, exec_lo, s58
	s_cbranch_vccnz .LBB102_233
; %bb.232:                              ;   in Loop: Header=BB102_24 Depth=1
	s_sub_u32 s64, s64, s10
	s_subb_u32 s65, s65, s11
	s_mov_b32 s58, -1
	s_mov_b32 s68, 0
	s_mov_b64 s[4:5], s[72:73]
	s_mov_b64 s[14:15], s[74:75]
.LBB102_233:                            ;   in Loop: Header=BB102_24 Depth=1
	s_delay_alu instid0(SALU_CYCLE_1)
	s_mov_b64 s[74:75], s[14:15]
	s_mov_b64 s[72:73], s[4:5]
	s_and_not1_b32 vcc_lo, exec_lo, s58
	s_mov_b32 s10, -1
	s_cbranch_vccz .LBB102_236
.LBB102_234:                            ;   in Loop: Header=BB102_24 Depth=1
                                        ; implicit-def: $sgpr13
                                        ; implicit-def: $sgpr15
                                        ; implicit-def: $sgpr14
	s_branch .LBB102_284
.LBB102_235:                            ;   in Loop: Header=BB102_24 Depth=1
	s_mov_b64 s[64:65], 1
	s_mov_b32 s10, -1
	s_cbranch_execnz .LBB102_234
.LBB102_236:                            ;   in Loop: Header=BB102_24 Depth=1
	s_cmp_eq_u64 s[6:7], 1
	s_mov_b32 s21, -1
	s_cselect_b32 s4, -1, 0
	s_cmp_eq_u64 s[64:65], 1
	s_cselect_b32 s5, -1, 0
	s_delay_alu instid0(SALU_CYCLE_1) | instskip(NEXT) | instid1(SALU_CYCLE_1)
	s_and_b32 s12, s4, s5
	s_and_b32 vcc_lo, exec_lo, s12
	s_cbranch_vccz .LBB102_251
; %bb.237:                              ;   in Loop: Header=BB102_24 Depth=1
	ds_load_b64 v[3:4], v16 offset:5120
	s_waitcnt lgkmcnt(0)
	s_barrier
	buffer_gl0_inv
	v_readfirstlane_b32 s10, v3
	v_readfirstlane_b32 s11, v4
	s_and_saveexec_b32 s4, s3
	s_cbranch_execz .LBB102_239
; %bb.238:                              ;   in Loop: Header=BB102_24 Depth=1
	v_mov_b32_e32 v15, v16
	ds_store_b64 v27, v[15:16]
.LBB102_239:                            ;   in Loop: Header=BB102_24 Depth=1
	s_or_b32 exec_lo, exec_lo, s4
	s_or_b64 s[72:73], s[72:73], s[8:9]
	s_or_b64 s[74:75], s[74:75], s[8:9]
	s_cmp_eq_u64 s[10:11], 0
	s_waitcnt lgkmcnt(0)
	s_barrier
	buffer_gl0_inv
	s_cbranch_scc1 .LBB102_254
; %bb.240:                              ;   in Loop: Header=BB102_24 Depth=1
	s_add_u32 s13, s87, s10
	s_addc_u32 s5, s88, s11
	s_mov_b32 s4, s67
	s_delay_alu instid0(SALU_CYCLE_1)
	s_cmp_lg_u64 s[4:5], 0
	s_cbranch_scc0 .LBB102_290
; %bb.241:                              ;   in Loop: Header=BB102_24 Depth=1
	v_cvt_f32_u32_e32 v3, s35
	s_sub_u32 s15, 0, s35
	s_subb_u32 s21, 0, 0
	s_delay_alu instid0(VALU_DEP_1) | instskip(NEXT) | instid1(VALU_DEP_1)
	v_fmac_f32_e64 v3, 0, 0x4f800000
	v_rcp_f32_e32 v3, v3
	s_waitcnt_depctr 0xfff
	v_mul_f32_e32 v3, 0x5f7ffffc, v3
	s_delay_alu instid0(VALU_DEP_1) | instskip(NEXT) | instid1(VALU_DEP_1)
	v_mul_f32_e32 v4, 0x2f800000, v3
	v_trunc_f32_e32 v4, v4
	s_delay_alu instid0(VALU_DEP_1) | instskip(SKIP_1) | instid1(VALU_DEP_2)
	v_fmac_f32_e32 v3, 0xcf800000, v4
	v_cvt_u32_f32_e32 v4, v4
	v_cvt_u32_f32_e32 v3, v3
	s_delay_alu instid0(VALU_DEP_2) | instskip(NEXT) | instid1(VALU_DEP_2)
	v_readfirstlane_b32 s4, v4
	v_readfirstlane_b32 s14, v3
	s_delay_alu instid0(VALU_DEP_2) | instskip(NEXT) | instid1(VALU_DEP_1)
	s_mul_i32 s58, s15, s4
	s_mul_hi_u32 s68, s15, s14
	s_mul_i32 s59, s21, s14
	s_add_i32 s58, s68, s58
	s_mul_i32 s78, s15, s14
	s_add_i32 s58, s58, s59
	s_mul_hi_u32 s68, s14, s78
	s_mul_hi_u32 s79, s4, s78
	s_mul_i32 s59, s4, s78
	s_mul_hi_u32 s78, s14, s58
	s_mul_i32 s14, s14, s58
	s_mul_hi_u32 s80, s4, s58
	s_add_u32 s14, s68, s14
	s_addc_u32 s68, 0, s78
	s_add_u32 s14, s14, s59
	s_mul_i32 s58, s4, s58
	s_addc_u32 s14, s68, s79
	s_addc_u32 s59, s80, 0
	s_add_u32 s14, s14, s58
	s_addc_u32 s58, 0, s59
	v_add_co_u32 v3, s14, v3, s14
	s_delay_alu instid0(VALU_DEP_1) | instskip(SKIP_1) | instid1(VALU_DEP_1)
	s_cmp_lg_u32 s14, 0
	s_addc_u32 s4, s4, s58
	v_readfirstlane_b32 s14, v3
	s_mul_i32 s58, s15, s4
	s_delay_alu instid0(VALU_DEP_1)
	s_mul_hi_u32 s59, s15, s14
	s_mul_i32 s21, s21, s14
	s_add_i32 s58, s59, s58
	s_mul_i32 s15, s15, s14
	s_add_i32 s58, s58, s21
	s_mul_hi_u32 s59, s4, s15
	s_mul_i32 s68, s4, s15
	s_mul_hi_u32 s15, s14, s15
	s_mul_hi_u32 s78, s14, s58
	s_mul_i32 s14, s14, s58
	s_mul_hi_u32 s21, s4, s58
	s_add_u32 s14, s15, s14
	s_addc_u32 s15, 0, s78
	s_add_u32 s14, s14, s68
	s_mul_i32 s58, s4, s58
	s_addc_u32 s14, s15, s59
	s_addc_u32 s15, s21, 0
	s_add_u32 s14, s14, s58
	s_addc_u32 s15, 0, s15
	v_add_co_u32 v3, s14, v3, s14
	s_delay_alu instid0(VALU_DEP_1) | instskip(SKIP_1) | instid1(VALU_DEP_1)
	s_cmp_lg_u32 s14, 0
	s_addc_u32 s4, s4, s15
	v_readfirstlane_b32 s14, v3
	s_mul_i32 s21, s13, s4
	s_mul_hi_u32 s15, s13, s4
	s_mul_hi_u32 s58, s5, s4
	s_mul_i32 s4, s5, s4
	s_mul_hi_u32 s59, s13, s14
	s_mul_hi_u32 s68, s5, s14
	s_mul_i32 s14, s5, s14
	s_add_u32 s21, s59, s21
	s_addc_u32 s15, 0, s15
	s_add_u32 s14, s21, s14
	s_addc_u32 s14, s15, s68
	s_addc_u32 s15, s58, 0
	s_add_u32 s4, s14, s4
	s_addc_u32 s14, 0, s15
	s_mul_hi_u32 s15, s35, s4
	s_mul_i32 s4, s35, s4
	s_mul_i32 s14, s35, s14
	v_sub_co_u32 v3, s4, s13, s4
	s_add_i32 s15, s15, s14
	s_cmp_lg_u32 s4, 0
	s_delay_alu instid0(VALU_DEP_1) | instskip(SKIP_2) | instid1(VALU_DEP_1)
	v_sub_co_u32 v4, s4, v3, s35
	s_subb_u32 s14, s5, s15
	s_cmp_lg_u32 s4, 0
	v_cmp_le_u32_e32 vcc_lo, s35, v4
	v_sub_co_u32 v5, s4, v4, s35
	s_subb_u32 s15, s14, 0
	s_cmp_lg_u32 s4, 0
	v_cndmask_b32_e64 v6, 0, -1, vcc_lo
	s_subb_u32 s4, s15, 0
	s_cmp_eq_u32 s15, 0
	v_mov_b32_e32 v8, s4
	s_cselect_b32 vcc_lo, -1, 0
	s_cmp_eq_u32 s14, 0
	v_cndmask_b32_e32 v6, -1, v6, vcc_lo
	v_cmp_le_u32_e32 vcc_lo, s35, v3
	s_cselect_b32 s4, -1, 0
	v_cndmask_b32_e64 v7, 0, -1, vcc_lo
	s_delay_alu instid0(VALU_DEP_3) | instskip(NEXT) | instid1(VALU_DEP_2)
	v_cmp_ne_u32_e32 vcc_lo, 0, v6
	v_cndmask_b32_e64 v6, -1, v7, s4
	v_cndmask_b32_e32 v7, s15, v8, vcc_lo
	v_cndmask_b32_e32 v5, v4, v5, vcc_lo
	s_delay_alu instid0(VALU_DEP_3) | instskip(NEXT) | instid1(VALU_DEP_3)
	v_cmp_ne_u32_e32 vcc_lo, 0, v6
	v_cndmask_b32_e32 v4, s14, v7, vcc_lo
	s_delay_alu instid0(VALU_DEP_3)
	v_cndmask_b32_e32 v3, v3, v5, vcc_lo
	s_cbranch_execnz .LBB102_243
.LBB102_242:                            ;   in Loop: Header=BB102_24 Depth=1
	v_cvt_f32_u32_e32 v3, s35
	s_sub_i32 s4, 0, s35
	s_delay_alu instid0(VALU_DEP_1) | instskip(SKIP_2) | instid1(VALU_DEP_1)
	v_rcp_iflag_f32_e32 v3, v3
	s_waitcnt_depctr 0xfff
	v_mul_f32_e32 v3, 0x4f7ffffe, v3
	v_cvt_u32_f32_e32 v3, v3
	s_delay_alu instid0(VALU_DEP_1) | instskip(NEXT) | instid1(VALU_DEP_1)
	v_mul_lo_u32 v4, s4, v3
	v_mul_hi_u32 v4, v3, v4
	s_delay_alu instid0(VALU_DEP_1) | instskip(NEXT) | instid1(VALU_DEP_1)
	v_add_nc_u32_e32 v3, v3, v4
	v_mul_hi_u32 v3, s13, v3
	s_delay_alu instid0(VALU_DEP_1) | instskip(NEXT) | instid1(VALU_DEP_1)
	v_mul_lo_u32 v3, v3, s35
	v_sub_nc_u32_e32 v3, s13, v3
	s_delay_alu instid0(VALU_DEP_1) | instskip(SKIP_1) | instid1(VALU_DEP_2)
	v_subrev_nc_u32_e32 v4, s35, v3
	v_cmp_le_u32_e32 vcc_lo, s35, v3
	v_cndmask_b32_e32 v3, v3, v4, vcc_lo
	s_delay_alu instid0(VALU_DEP_1) | instskip(SKIP_1) | instid1(VALU_DEP_2)
	v_subrev_nc_u32_e32 v4, s35, v3
	v_cmp_le_u32_e32 vcc_lo, s35, v3
	v_cndmask_b32_e32 v15, v3, v4, vcc_lo
	s_delay_alu instid0(VALU_DEP_1)
	v_dual_mov_b32 v3, v15 :: v_dual_mov_b32 v4, v16
.LBB102_243:                            ;   in Loop: Header=BB102_24 Depth=1
	s_delay_alu instid0(VALU_DEP_1) | instskip(NEXT) | instid1(VALU_DEP_2)
	v_sub_co_u32 v7, vcc_lo, s13, v3
	v_sub_co_ci_u32_e32 v8, vcc_lo, s5, v4, vcc_lo
	s_mov_b32 s21, 0
	s_mov_b32 s4, exec_lo
                                        ; implicit-def: $vgpr5_vgpr6
	s_delay_alu instid0(VALU_DEP_1)
	v_cmpx_gt_u64_e64 v[7:8], v[0:1]
	s_cbranch_execz .LBB102_256
; %bb.244:                              ;   in Loop: Header=BB102_24 Depth=1
	v_dual_mov_b32 v11, v26 :: v_dual_mov_b32 v10, v1
	v_mov_b32_e32 v9, v0
	s_mov_b32 s13, 0
                                        ; implicit-def: $sgpr5
	s_set_inst_prefetch_distance 0x1
	s_branch .LBB102_246
	.p2align	6
.LBB102_245:                            ;   in Loop: Header=BB102_246 Depth=2
	s_or_b32 exec_lo, exec_lo, s14
	s_waitcnt lgkmcnt(0)
	s_barrier
	buffer_gl0_inv
	ds_load_b128 v[3:6], v16 offset:3072
	v_add_co_u32 v9, vcc_lo, v9, s35
	v_add_co_ci_u32_e32 v10, vcc_lo, 0, v10, vcc_lo
	v_add_nc_u32_e32 v11, s95, v11
	s_waitcnt lgkmcnt(0)
	s_barrier
	s_delay_alu instid0(VALU_DEP_2) | instskip(SKIP_3) | instid1(VALU_DEP_1)
	v_cmp_ge_u64_e32 vcc_lo, v[9:10], v[7:8]
	buffer_gl0_inv
	v_readfirstlane_b32 s15, v4
	v_readfirstlane_b32 s14, v3
	s_cmp_lg_u64 s[14:15], 0
	s_cselect_b32 s14, -1, 0
	s_delay_alu instid0(SALU_CYCLE_1) | instskip(NEXT) | instid1(SALU_CYCLE_1)
	s_or_b32 s15, vcc_lo, s14
	s_and_b32 s15, exec_lo, s15
	s_delay_alu instid0(SALU_CYCLE_1) | instskip(SKIP_2) | instid1(SALU_CYCLE_1)
	s_or_b32 s13, s15, s13
	s_and_not1_b32 s5, s5, exec_lo
	s_and_b32 s14, s14, exec_lo
	s_or_b32 s5, s5, s14
	s_and_not1_b32 exec_lo, exec_lo, s13
	s_cbranch_execz .LBB102_255
.LBB102_246:                            ;   Parent Loop BB102_24 Depth=1
                                        ; =>  This Inner Loop Header: Depth=2
	s_delay_alu instid0(VALU_DEP_1)
	v_cmp_gt_u64_e32 vcc_lo, s[10:11], v[9:10]
	v_mov_b32_e32 v4, 0
	v_mov_b32_e32 v5, 0
	s_and_saveexec_b32 s14, vcc_lo
	s_cbranch_execz .LBB102_248
; %bb.247:                              ;   in Loop: Header=BB102_246 Depth=2
	ds_load_b64 v[4:5], v11
.LBB102_248:                            ;   in Loop: Header=BB102_246 Depth=2
	s_or_b32 exec_lo, exec_lo, s14
	s_and_saveexec_b32 s14, vcc_lo
	s_cbranch_execz .LBB102_245
; %bb.249:                              ;   in Loop: Header=BB102_246 Depth=2
	s_waitcnt lgkmcnt(0)
	v_xor_b32_e32 v3, 0x80000000, v5
	v_and_b32_e32 v12, s74, v4
	s_delay_alu instid0(VALU_DEP_2) | instskip(NEXT) | instid1(VALU_DEP_1)
	v_and_b32_e32 v13, s75, v3
	v_cmp_eq_u64_e32 vcc_lo, s[72:73], v[12:13]
	s_and_b32 exec_lo, exec_lo, vcc_lo
	s_cbranch_execz .LBB102_245
; %bb.250:                              ;   in Loop: Header=BB102_246 Depth=2
	v_mov_b32_e32 v3, v16
	ds_store_b128 v16, v[2:5] offset:3072
	s_branch .LBB102_245
.LBB102_251:                            ;   in Loop: Header=BB102_24 Depth=1
                                        ; implicit-def: $sgpr13
                                        ; implicit-def: $sgpr15
                                        ; implicit-def: $sgpr14
	s_branch .LBB102_270
.LBB102_252:                            ;   in Loop: Header=BB102_24 Depth=1
                                        ; implicit-def: $vgpr3_vgpr4
	s_branch .LBB102_195
.LBB102_253:                            ;   in Loop: Header=BB102_24 Depth=1
                                        ; implicit-def: $vgpr3_vgpr4
	s_branch .LBB102_212
.LBB102_254:                            ;   in Loop: Header=BB102_24 Depth=1
	s_mov_b32 s13, -1
	s_mov_b32 s21, 0
                                        ; implicit-def: $sgpr14
                                        ; implicit-def: $vgpr5_vgpr6
	s_mov_b32 s15, s13
	s_cbranch_execnz .LBB102_257
	s_branch .LBB102_270
.LBB102_255:                            ;   in Loop: Header=BB102_24 Depth=1
	s_set_inst_prefetch_distance 0x2
	s_or_b32 exec_lo, exec_lo, s13
	s_delay_alu instid0(SALU_CYCLE_1)
	s_and_b32 s21, s5, exec_lo
.LBB102_256:                            ;   in Loop: Header=BB102_24 Depth=1
	s_or_b32 exec_lo, exec_lo, s4
	s_mov_b32 s14, -1
	s_mov_b32 s13, 0
	s_delay_alu instid0(SALU_CYCLE_1)
	s_mov_b32 s15, s13
	s_branch .LBB102_270
.LBB102_257:                            ;   in Loop: Header=BB102_24 Depth=1
	s_mov_b32 s68, s67
	s_delay_alu instid0(SALU_CYCLE_1)
	s_cmp_lg_u64 s[68:69], 0
	s_cbranch_scc0 .LBB102_291
; %bb.258:                              ;   in Loop: Header=BB102_24 Depth=1
	v_cvt_f32_u32_e32 v3, s35
	s_sub_u32 s10, 0, s35
	s_subb_u32 s11, 0, 0
	s_delay_alu instid0(VALU_DEP_1) | instskip(NEXT) | instid1(VALU_DEP_1)
	v_fmac_f32_e64 v3, 0, 0x4f800000
	v_rcp_f32_e32 v3, v3
	s_waitcnt_depctr 0xfff
	v_mul_f32_e32 v3, 0x5f7ffffc, v3
	s_delay_alu instid0(VALU_DEP_1) | instskip(NEXT) | instid1(VALU_DEP_1)
	v_mul_f32_e32 v4, 0x2f800000, v3
	v_trunc_f32_e32 v4, v4
	s_delay_alu instid0(VALU_DEP_1) | instskip(SKIP_1) | instid1(VALU_DEP_2)
	v_fmac_f32_e32 v3, 0xcf800000, v4
	v_cvt_u32_f32_e32 v4, v4
	v_cvt_u32_f32_e32 v3, v3
	s_delay_alu instid0(VALU_DEP_2) | instskip(NEXT) | instid1(VALU_DEP_2)
	v_readfirstlane_b32 s4, v4
	v_readfirstlane_b32 s5, v3
	s_delay_alu instid0(VALU_DEP_2) | instskip(NEXT) | instid1(VALU_DEP_1)
	s_mul_i32 s13, s10, s4
	s_mul_hi_u32 s15, s10, s5
	s_mul_i32 s14, s11, s5
	s_add_i32 s13, s15, s13
	s_mul_i32 s21, s10, s5
	s_add_i32 s13, s13, s14
	s_mul_hi_u32 s15, s5, s21
	s_mul_hi_u32 s58, s4, s21
	s_mul_i32 s14, s4, s21
	s_mul_hi_u32 s21, s5, s13
	s_mul_i32 s5, s5, s13
	s_mul_hi_u32 s59, s4, s13
	s_add_u32 s5, s15, s5
	s_addc_u32 s15, 0, s21
	s_add_u32 s5, s5, s14
	s_mul_i32 s13, s4, s13
	s_addc_u32 s5, s15, s58
	s_addc_u32 s14, s59, 0
	s_add_u32 s5, s5, s13
	s_addc_u32 s13, 0, s14
	v_add_co_u32 v3, s5, v3, s5
	s_delay_alu instid0(VALU_DEP_1) | instskip(SKIP_1) | instid1(VALU_DEP_1)
	s_cmp_lg_u32 s5, 0
	s_addc_u32 s4, s4, s13
	v_readfirstlane_b32 s5, v3
	s_mul_i32 s13, s10, s4
	s_delay_alu instid0(VALU_DEP_1)
	s_mul_hi_u32 s14, s10, s5
	s_mul_i32 s11, s11, s5
	s_add_i32 s13, s14, s13
	s_mul_i32 s10, s10, s5
	s_add_i32 s13, s13, s11
	s_mul_hi_u32 s14, s4, s10
	s_mul_i32 s15, s4, s10
	s_mul_hi_u32 s10, s5, s10
	s_mul_hi_u32 s21, s5, s13
	s_mul_i32 s5, s5, s13
	s_mul_hi_u32 s11, s4, s13
	s_add_u32 s5, s10, s5
	s_addc_u32 s10, 0, s21
	s_add_u32 s5, s5, s15
	s_mul_i32 s13, s4, s13
	s_addc_u32 s5, s10, s14
	s_addc_u32 s10, s11, 0
	s_add_u32 s5, s5, s13
	s_addc_u32 s10, 0, s10
	v_add_co_u32 v3, s5, v3, s5
	s_delay_alu instid0(VALU_DEP_1) | instskip(SKIP_1) | instid1(VALU_DEP_1)
	s_cmp_lg_u32 s5, 0
	s_addc_u32 s4, s4, s10
	v_readfirstlane_b32 s5, v3
	s_mul_i32 s11, s89, s4
	s_mul_hi_u32 s10, s89, s4
	s_mul_hi_u32 s13, s69, s4
	s_mul_i32 s4, s69, s4
	s_mul_hi_u32 s14, s89, s5
	s_mul_hi_u32 s15, s69, s5
	s_mul_i32 s5, s69, s5
	s_add_u32 s11, s14, s11
	s_addc_u32 s10, 0, s10
	s_add_u32 s5, s11, s5
	s_addc_u32 s5, s10, s15
	s_addc_u32 s10, s13, 0
	s_add_u32 s4, s5, s4
	s_addc_u32 s5, 0, s10
	s_mul_hi_u32 s10, s35, s4
	s_mul_i32 s4, s35, s4
	s_mul_i32 s5, s35, s5
	v_sub_co_u32 v3, s4, s89, s4
	s_add_i32 s10, s10, s5
	s_cmp_lg_u32 s4, 0
	s_delay_alu instid0(VALU_DEP_1) | instskip(SKIP_2) | instid1(VALU_DEP_1)
	v_sub_co_u32 v4, s4, v3, s35
	s_subb_u32 s5, s69, s10
	s_cmp_lg_u32 s4, 0
	v_cmp_le_u32_e32 vcc_lo, s35, v4
	v_sub_co_u32 v5, s4, v4, s35
	s_subb_u32 s10, s5, 0
	s_cmp_lg_u32 s4, 0
	v_cndmask_b32_e64 v6, 0, -1, vcc_lo
	s_subb_u32 s4, s10, 0
	s_cmp_eq_u32 s10, 0
	v_mov_b32_e32 v8, s4
	s_cselect_b32 vcc_lo, -1, 0
	s_cmp_eq_u32 s5, 0
	v_cndmask_b32_e32 v6, -1, v6, vcc_lo
	v_cmp_le_u32_e32 vcc_lo, s35, v3
	s_cselect_b32 s4, -1, 0
	v_cndmask_b32_e64 v7, 0, -1, vcc_lo
	s_delay_alu instid0(VALU_DEP_3) | instskip(NEXT) | instid1(VALU_DEP_2)
	v_cmp_ne_u32_e32 vcc_lo, 0, v6
	v_cndmask_b32_e64 v6, -1, v7, s4
	v_cndmask_b32_e32 v7, s10, v8, vcc_lo
	v_cndmask_b32_e32 v5, v4, v5, vcc_lo
	s_delay_alu instid0(VALU_DEP_3) | instskip(NEXT) | instid1(VALU_DEP_3)
	v_cmp_ne_u32_e32 vcc_lo, 0, v6
	v_cndmask_b32_e32 v4, s5, v7, vcc_lo
	s_delay_alu instid0(VALU_DEP_3)
	v_cndmask_b32_e32 v3, v3, v5, vcc_lo
	s_cbranch_execnz .LBB102_260
.LBB102_259:                            ;   in Loop: Header=BB102_24 Depth=1
	v_cvt_f32_u32_e32 v3, s35
	s_sub_i32 s4, 0, s35
	s_delay_alu instid0(VALU_DEP_1) | instskip(SKIP_2) | instid1(VALU_DEP_1)
	v_rcp_iflag_f32_e32 v3, v3
	s_waitcnt_depctr 0xfff
	v_mul_f32_e32 v3, 0x4f7ffffe, v3
	v_cvt_u32_f32_e32 v3, v3
	s_delay_alu instid0(VALU_DEP_1) | instskip(NEXT) | instid1(VALU_DEP_1)
	v_mul_lo_u32 v4, s4, v3
	v_mul_hi_u32 v4, v3, v4
	s_delay_alu instid0(VALU_DEP_1) | instskip(NEXT) | instid1(VALU_DEP_1)
	v_add_nc_u32_e32 v3, v3, v4
	v_mul_hi_u32 v3, s89, v3
	s_delay_alu instid0(VALU_DEP_1) | instskip(NEXT) | instid1(VALU_DEP_1)
	v_mul_lo_u32 v3, v3, s35
	v_sub_nc_u32_e32 v3, s89, v3
	s_delay_alu instid0(VALU_DEP_1) | instskip(SKIP_1) | instid1(VALU_DEP_2)
	v_subrev_nc_u32_e32 v4, s35, v3
	v_cmp_le_u32_e32 vcc_lo, s35, v3
	v_cndmask_b32_e32 v3, v3, v4, vcc_lo
	s_delay_alu instid0(VALU_DEP_1) | instskip(SKIP_1) | instid1(VALU_DEP_2)
	v_subrev_nc_u32_e32 v4, s35, v3
	v_cmp_le_u32_e32 vcc_lo, s35, v3
	v_cndmask_b32_e32 v15, v3, v4, vcc_lo
	s_delay_alu instid0(VALU_DEP_1)
	v_dual_mov_b32 v3, v15 :: v_dual_mov_b32 v4, v16
.LBB102_260:                            ;   in Loop: Header=BB102_24 Depth=1
	s_delay_alu instid0(VALU_DEP_1) | instskip(NEXT) | instid1(VALU_DEP_2)
	v_sub_co_u32 v7, vcc_lo, s89, v3
	v_sub_co_ci_u32_e32 v8, vcc_lo, s69, v4, vcc_lo
	s_mov_b32 s21, 0
	s_mov_b32 s5, exec_lo
                                        ; implicit-def: $vgpr5_vgpr6
	s_delay_alu instid0(VALU_DEP_1)
	v_cmpx_gt_u64_e64 v[7:8], v[0:1]
	s_cbranch_execz .LBB102_269
; %bb.261:                              ;   in Loop: Header=BB102_24 Depth=1
	v_dual_mov_b32 v10, v1 :: v_dual_mov_b32 v9, v0
	s_mov_b32 s11, 0
                                        ; implicit-def: $sgpr10
	s_branch .LBB102_263
.LBB102_262:                            ;   in Loop: Header=BB102_263 Depth=2
	s_or_b32 exec_lo, exec_lo, s4
	s_waitcnt vmcnt(0) lgkmcnt(0)
	s_barrier
	buffer_gl0_inv
	ds_load_b128 v[3:6], v16 offset:3072
	v_add_co_u32 v9, vcc_lo, v9, s35
	v_add_co_ci_u32_e32 v10, vcc_lo, 0, v10, vcc_lo
	s_waitcnt lgkmcnt(0)
	s_barrier
	buffer_gl0_inv
	v_cmp_ge_u64_e32 vcc_lo, v[9:10], v[7:8]
	v_readfirstlane_b32 s15, v4
	v_readfirstlane_b32 s14, v3
	s_delay_alu instid0(VALU_DEP_1) | instskip(SKIP_1) | instid1(SALU_CYCLE_1)
	s_cmp_lg_u64 s[14:15], 0
	s_cselect_b32 s4, -1, 0
	s_or_b32 s13, vcc_lo, s4
	s_delay_alu instid0(SALU_CYCLE_1) | instskip(NEXT) | instid1(SALU_CYCLE_1)
	s_and_b32 s13, exec_lo, s13
	s_or_b32 s11, s13, s11
	s_and_not1_b32 s10, s10, exec_lo
	s_and_b32 s4, s4, exec_lo
	s_delay_alu instid0(SALU_CYCLE_1)
	s_or_b32 s10, s10, s4
	s_and_not1_b32 exec_lo, exec_lo, s11
	s_cbranch_execz .LBB102_268
.LBB102_263:                            ;   Parent Loop BB102_24 Depth=1
                                        ; =>  This Inner Loop Header: Depth=2
	s_delay_alu instid0(VALU_DEP_1)
	v_cmp_gt_u64_e32 vcc_lo, s[24:25], v[9:10]
	v_mov_b32_e32 v4, 0
	v_mov_b32_e32 v5, 0
	s_and_saveexec_b32 s13, vcc_lo
	s_cbranch_execz .LBB102_265
; %bb.264:                              ;   in Loop: Header=BB102_263 Depth=2
	v_mul_lo_u32 v5, v10, s54
	v_mul_lo_u32 v6, v9, s55
	v_mad_u64_u32 v[3:4], null, v9, s54, 0
	s_delay_alu instid0(VALU_DEP_1) | instskip(NEXT) | instid1(VALU_DEP_1)
	v_add3_u32 v4, v4, v6, v5
	v_lshlrev_b64 v[3:4], 3, v[3:4]
	s_delay_alu instid0(VALU_DEP_1) | instskip(NEXT) | instid1(VALU_DEP_1)
	v_add_co_u32 v3, s4, s27, v3
	v_add_co_ci_u32_e64 v4, s4, s33, v4, s4
	global_load_b64 v[4:5], v[3:4], off
.LBB102_265:                            ;   in Loop: Header=BB102_263 Depth=2
	s_or_b32 exec_lo, exec_lo, s13
	s_and_saveexec_b32 s4, vcc_lo
	s_cbranch_execz .LBB102_262
; %bb.266:                              ;   in Loop: Header=BB102_263 Depth=2
	s_waitcnt vmcnt(0)
	v_xor_b32_e32 v3, 0x80000000, v5
	v_and_b32_e32 v11, s74, v4
	s_delay_alu instid0(VALU_DEP_2) | instskip(NEXT) | instid1(VALU_DEP_1)
	v_and_b32_e32 v12, s75, v3
	v_cmp_eq_u64_e32 vcc_lo, s[72:73], v[11:12]
	s_and_b32 exec_lo, exec_lo, vcc_lo
	s_cbranch_execz .LBB102_262
; %bb.267:                              ;   in Loop: Header=BB102_263 Depth=2
	v_mov_b32_e32 v3, v16
	ds_store_b128 v16, v[2:5] offset:3072
	s_branch .LBB102_262
.LBB102_268:                            ;   in Loop: Header=BB102_24 Depth=1
	s_or_b32 exec_lo, exec_lo, s11
	s_delay_alu instid0(SALU_CYCLE_1)
	s_and_b32 s21, s10, exec_lo
.LBB102_269:                            ;   in Loop: Header=BB102_24 Depth=1
	s_or_b32 exec_lo, exec_lo, s5
	s_mov_b32 s15, -1
	s_mov_b32 s13, 0
	s_mov_b32 s14, 0
.LBB102_270:                            ;   in Loop: Header=BB102_24 Depth=1
	s_mov_b32 s10, 0
                                        ; implicit-def: $sgpr68
                                        ; implicit-def: $sgpr4_sgpr5
	s_and_saveexec_b32 s58, s21
	s_cbranch_execz .LBB102_283
; %bb.271:                              ;   in Loop: Header=BB102_24 Depth=1
	s_xor_b32 s10, s12, -1
	s_mov_b64 s[4:5], 1
	s_and_not1_b32 vcc_lo, exec_lo, s10
	s_mov_b32 s68, 1
	s_cbranch_vccnz .LBB102_282
; %bb.272:                              ;   in Loop: Header=BB102_24 Depth=1
	v_cmp_gt_u64_e64 s4, s[64:65], s[6:7]
	s_delay_alu instid0(VALU_DEP_1)
	s_and_b32 vcc_lo, exec_lo, s4
	s_cbranch_vccnz .LBB102_278
; %bb.273:                              ;   in Loop: Header=BB102_24 Depth=1
	ds_load_b64 v[3:4], v16 offset:5120
	s_waitcnt lgkmcnt(0)
	v_cmp_ne_u64_e32 vcc_lo, 0, v[3:4]
	s_cbranch_vccnz .LBB102_277
; %bb.274:                              ;   in Loop: Header=BB102_24 Depth=1
	s_and_saveexec_b32 s4, s2
	s_cbranch_execz .LBB102_276
; %bb.275:                              ;   in Loop: Header=BB102_24 Depth=1
	v_dual_mov_b32 v3, s6 :: v_dual_mov_b32 v4, s7
	ds_store_b64 v16, v[3:4] offset:5128
.LBB102_276:                            ;   in Loop: Header=BB102_24 Depth=1
	s_or_b32 exec_lo, exec_lo, s4
	s_waitcnt lgkmcnt(0)
	s_barrier
	buffer_gl0_inv
.LBB102_277:                            ;   in Loop: Header=BB102_24 Depth=1
	s_or_b64 s[10:11], s[72:73], s[8:9]
	s_or_b64 s[8:9], s[74:75], s[8:9]
	s_mov_b32 s4, 0
	s_mov_b32 s68, 8
	s_branch .LBB102_279
.LBB102_278:                            ;   in Loop: Header=BB102_24 Depth=1
	s_mov_b32 s4, -1
                                        ; implicit-def: $sgpr68
                                        ; implicit-def: $sgpr10_sgpr11
                                        ; implicit-def: $sgpr8_sgpr9
.LBB102_279:                            ;   in Loop: Header=BB102_24 Depth=1
	s_delay_alu instid0(SALU_CYCLE_1)
	s_and_not1_b32 vcc_lo, exec_lo, s4
	s_cbranch_vccnz .LBB102_281
; %bb.280:                              ;   in Loop: Header=BB102_24 Depth=1
	s_sub_u32 s64, s64, s6
	s_subb_u32 s65, s65, s7
	s_mov_b32 s68, 8
	s_mov_b64 s[10:11], s[72:73]
	s_mov_b64 s[8:9], s[74:75]
.LBB102_281:                            ;   in Loop: Header=BB102_24 Depth=1
	s_mov_b64 s[4:5], s[64:65]
	s_mov_b64 s[72:73], s[10:11]
	s_mov_b64 s[74:75], s[8:9]
.LBB102_282:                            ;   in Loop: Header=BB102_24 Depth=1
	s_mov_b32 s10, exec_lo
.LBB102_283:                            ;   in Loop: Header=BB102_24 Depth=1
	s_or_b32 exec_lo, exec_lo, s58
	s_mov_b64 s[64:65], s[4:5]
.LBB102_284:                            ;   in Loop: Header=BB102_24 Depth=1
	s_and_not1_b32 s4, s16, exec_lo
	s_and_b32 s5, s13, exec_lo
	s_and_not1_b32 s6, s17, exec_lo
	s_or_b32 s16, s4, s5
	s_and_not1_b32 s4, s76, exec_lo
	s_and_b32 s5, s15, exec_lo
	s_and_b32 s7, s14, exec_lo
	s_or_b32 s76, s4, s5
	s_or_b32 s17, s6, s7
	s_and_b32 s5, s10, exec_lo
.LBB102_285:                            ;   in Loop: Header=BB102_24 Depth=1
	s_or_b32 exec_lo, exec_lo, s77
.LBB102_286:                            ;   in Loop: Header=BB102_24 Depth=1
	s_delay_alu instid0(SALU_CYCLE_1)
	s_and_not1_b32 s4, s22, exec_lo
	s_and_b32 s6, s16, exec_lo
	s_and_not1_b32 s7, s19, exec_lo
	s_or_b32 s22, s4, s6
	s_and_not1_b32 s4, s23, exec_lo
	s_and_b32 s6, s76, exec_lo
	s_and_b32 s8, s17, exec_lo
	s_or_b32 s23, s4, s6
	s_or_b32 s19, s7, s8
	s_and_b32 s5, s5, exec_lo
.LBB102_287:                            ;   in Loop: Header=BB102_24 Depth=1
	s_or_b32 exec_lo, exec_lo, s66
	s_and_saveexec_b32 s4, s5
	s_delay_alu instid0(SALU_CYCLE_1)
	s_xor_b32 s4, exec_lo, s4
	s_cbranch_execz .LBB102_22
.LBB102_288:                            ;   in Loop: Header=BB102_24 Depth=1
	s_and_b32 s5, s68, -9
	s_delay_alu instid0(SALU_CYCLE_1)
	s_cmp_eq_u32 s5, 0
	s_cbranch_scc1 .LBB102_20
; %bb.289:                              ;   in Loop: Header=BB102_24 Depth=1
	s_mov_b32 s5, -1
	s_mov_b32 s6, -1
                                        ; implicit-def: $sgpr74_sgpr75
                                        ; implicit-def: $sgpr64_sgpr65
                                        ; implicit-def: $sgpr99
                                        ; implicit-def: $sgpr103
	s_branch .LBB102_21
.LBB102_290:                            ;   in Loop: Header=BB102_24 Depth=1
                                        ; implicit-def: $vgpr3_vgpr4
	s_branch .LBB102_242
.LBB102_291:                            ;   in Loop: Header=BB102_24 Depth=1
                                        ; implicit-def: $vgpr3_vgpr4
	s_branch .LBB102_259
.LBB102_292:
	s_or_b32 exec_lo, exec_lo, s96
	s_xor_b32 s4, s100, -1
	s_xor_b32 s1, s97, -1
	;; [unrolled: 1-line block ×3, first 2 shown]
	s_mov_b32 s2, 0
	s_and_saveexec_b32 s5, s1
	s_delay_alu instid0(SALU_CYCLE_1)
	s_xor_b32 s1, exec_lo, s5
	s_cbranch_execz .LBB102_306
; %bb.293:
	s_and_saveexec_b32 s2, s4
	s_delay_alu instid0(SALU_CYCLE_1)
	s_xor_b32 s2, exec_lo, s2
	s_cbranch_execz .LBB102_304
; %bb.294:
	s_and_saveexec_b32 s4, s3
	s_delay_alu instid0(SALU_CYCLE_1)
	s_xor_b32 s3, exec_lo, s4
; %bb.295:
	v_xor_b32_e32 v4, 0x80000000, v4
	s_delay_alu instid0(VALU_DEP_1)
	v_dual_mov_b32 v6, v4 :: v_dual_mov_b32 v5, v3
; %bb.296:
	s_or_b32 exec_lo, exec_lo, s3
	s_mul_i32 s3, s50, s37
	s_mul_hi_u32 s4, s50, s36
	s_mul_i32 s5, s50, s36
	s_add_i32 s4, s4, s3
	s_sub_u32 s3, s52, s5
	s_subb_u32 s4, s53, s4
	s_mul_i32 s5, s3, s47
	s_mul_hi_u32 s6, s3, s46
	s_mul_i32 s4, s4, s46
	s_add_i32 s5, s6, s5
	s_mul_i32 s6, s50, s45
	s_mul_hi_u32 s7, s50, s44
	s_add_i32 s5, s5, s4
	s_mul_i32 s4, s3, s46
	s_add_i32 s7, s7, s6
	s_mul_i32 s3, s52, s39
	s_mul_hi_u32 s6, s52, s38
	s_mul_i32 s8, s52, s38
	s_add_i32 s3, s6, s3
	s_sub_u32 s8, s34, s8
	s_subb_u32 s3, 0, s3
	s_mul_i32 s9, s8, s61
	s_mul_hi_u32 s10, s8, s60
	s_mul_i32 s6, s50, s44
	s_add_i32 s9, s10, s9
	s_mul_i32 s3, s3, s60
	s_lshl_b64 s[6:7], s[6:7], 3
	s_add_i32 s9, s9, s3
	s_add_u32 s3, s62, s6
	s_addc_u32 s6, s63, s7
	s_lshl_b64 s[4:5], s[4:5], 3
	s_mul_i32 s8, s8, s60
	s_add_u32 s3, s3, s4
	s_addc_u32 s6, s6, s5
	s_lshl_b64 s[4:5], s[8:9], 3
	v_mov_b32_e32 v2, 0
	s_add_u32 s4, s3, s4
	s_addc_u32 s5, s6, s5
	global_store_b64 v2, v[5:6], s[4:5]
	s_and_saveexec_b32 s3, s0
	s_cbranch_execz .LBB102_303
; %bb.297:
	s_mov_b32 s0, 0
                                        ; implicit-def: $sgpr4
                                        ; implicit-def: $sgpr6
                                        ; implicit-def: $sgpr5
	s_set_inst_prefetch_distance 0x1
	s_branch .LBB102_299
	.p2align	6
.LBB102_298:                            ;   in Loop: Header=BB102_299 Depth=1
	s_or_b32 exec_lo, exec_lo, s7
	s_delay_alu instid0(SALU_CYCLE_1) | instskip(NEXT) | instid1(SALU_CYCLE_1)
	s_and_b32 s7, exec_lo, s6
	s_or_b32 s0, s7, s0
	s_and_not1_b32 s4, s4, exec_lo
	s_and_b32 s7, s5, exec_lo
	s_delay_alu instid0(SALU_CYCLE_1)
	s_or_b32 s4, s4, s7
	s_and_not1_b32 exec_lo, exec_lo, s0
	s_cbranch_execz .LBB102_301
.LBB102_299:                            ; =>This Inner Loop Header: Depth=1
	v_dual_mov_b32 v3, v1 :: v_dual_mov_b32 v2, v0
	s_or_b32 s5, s5, exec_lo
	s_or_b32 s6, s6, exec_lo
	s_delay_alu instid0(VALU_DEP_1) | instskip(NEXT) | instid1(VALU_DEP_2)
	v_mul_lo_u32 v4, v3, s54
	v_mul_lo_u32 v7, v2, s55
	v_mad_u64_u32 v[0:1], null, v2, s54, 0
	s_delay_alu instid0(VALU_DEP_1) | instskip(NEXT) | instid1(VALU_DEP_1)
	v_add3_u32 v1, v1, v7, v4
	v_lshlrev_b64 v[0:1], 3, v[0:1]
	s_delay_alu instid0(VALU_DEP_1) | instskip(NEXT) | instid1(VALU_DEP_2)
	v_add_co_u32 v0, vcc_lo, s27, v0
	v_add_co_ci_u32_e32 v1, vcc_lo, s33, v1, vcc_lo
	global_load_b64 v[0:1], v[0:1], off
	s_waitcnt vmcnt(0)
	v_cmp_ne_u64_e32 vcc_lo, v[0:1], v[5:6]
                                        ; implicit-def: $vgpr0_vgpr1
	s_and_saveexec_b32 s7, vcc_lo
	s_cbranch_execz .LBB102_298
; %bb.300:                              ;   in Loop: Header=BB102_299 Depth=1
	v_add_co_u32 v0, vcc_lo, v2, s35
	v_add_co_ci_u32_e32 v1, vcc_lo, 0, v3, vcc_lo
	s_and_not1_b32 s6, s6, exec_lo
	s_and_not1_b32 s5, s5, exec_lo
	s_delay_alu instid0(VALU_DEP_1) | instskip(SKIP_1) | instid1(SALU_CYCLE_1)
	v_cmp_le_u64_e32 vcc_lo, s[24:25], v[0:1]
	s_and_b32 s8, vcc_lo, exec_lo
	s_or_b32 s6, s6, s8
	s_branch .LBB102_298
.LBB102_301:
	s_set_inst_prefetch_distance 0x2
	s_or_b32 exec_lo, exec_lo, s0
	s_and_saveexec_b32 s0, s4
	s_delay_alu instid0(SALU_CYCLE_1)
	s_xor_b32 s0, exec_lo, s0
	s_cbranch_execz .LBB102_303
; %bb.302:
	s_mul_i32 s0, s26, s29
	s_mul_hi_u32 s4, s26, s28
	s_mul_i32 s5, s26, s28
	s_add_i32 s4, s4, s0
	s_sub_u32 s0, s48, s5
	s_subb_u32 s4, s49, s4
	s_mul_i32 s5, s0, s43
	s_mul_hi_u32 s6, s0, s42
	s_mul_i32 s4, s4, s42
	s_add_i32 s5, s6, s5
	s_mul_i32 s6, s26, s41
	s_mul_hi_u32 s7, s26, s40
	s_add_i32 s5, s5, s4
	s_mul_i32 s4, s0, s42
	s_add_i32 s7, s7, s6
	s_mul_i32 s0, s48, s31
	s_mul_hi_u32 s6, s48, s30
	s_mul_i32 s8, s48, s30
	s_add_i32 s0, s6, s0
	s_sub_u32 s8, s34, s8
	s_subb_u32 s0, 0, s0
	s_mul_i32 s9, s8, s57
	s_mul_hi_u32 s10, s8, s56
	s_mul_i32 s6, s26, s40
	s_add_i32 s9, s10, s9
	v_readlane_b32 s10, v38, 0
	v_readlane_b32 s11, v38, 1
	s_mul_i32 s0, s0, s56
	s_lshl_b64 s[6:7], s[6:7], 3
	s_add_i32 s9, s9, s0
	s_add_u32 s0, s10, s6
	s_addc_u32 s6, s11, s7
	s_lshl_b64 s[4:5], s[4:5], 3
	s_mul_i32 s8, s8, s56
	s_add_u32 s0, s0, s4
	s_addc_u32 s6, s6, s5
	s_lshl_b64 s[4:5], s[8:9], 3
	v_mov_b32_e32 v0, 0
	s_add_u32 s4, s0, s4
	s_addc_u32 s5, s6, s5
	global_store_b64 v0, v[2:3], s[4:5]
.LBB102_303:
	s_or_b32 exec_lo, exec_lo, s3
.LBB102_304:
	s_or_saveexec_b32 s0, s2
	s_mov_b32 s2, 0
	s_xor_b32 exec_lo, exec_lo, s0
	s_cbranch_execnz .LBB102_312
.LBB102_305:
	s_or_b32 exec_lo, exec_lo, s0
	s_delay_alu instid0(SALU_CYCLE_1)
	s_and_b32 s2, s2, exec_lo
.LBB102_306:
	s_and_not1_saveexec_b32 s0, s1
	s_cbranch_execnz .LBB102_310
; %bb.307:
	s_or_b32 exec_lo, exec_lo, s0
	s_and_saveexec_b32 s0, s2
.LBB102_308:
	; divergent unreachable
.LBB102_309:
	s_nop 0
	s_sendmsg sendmsg(MSG_DEALLOC_VGPRS)
	s_endpgm
.LBB102_310:
	s_cbranch_execnz .LBB102_314
; %bb.311:
	s_or_b32 s2, s2, exec_lo
	s_or_b32 exec_lo, exec_lo, s0
	s_and_saveexec_b32 s0, s2
	s_cbranch_execnz .LBB102_308
	s_branch .LBB102_309
.LBB102_312:
	s_cbranch_execnz .LBB102_316
; %bb.313:
	s_mov_b32 s2, exec_lo
	s_branch .LBB102_305
.LBB102_314:
	s_trap 2
	s_sendmsg_rtn_b32 s0, sendmsg(MSG_RTN_GET_DOORBELL)
	s_mov_b32 ttmp2, m0
	s_waitcnt lgkmcnt(0)
	s_and_b32 s0, s0, 0x3ff
	s_delay_alu instid0(SALU_CYCLE_1) | instskip(NEXT) | instid1(SALU_CYCLE_1)
	s_bitset1_b32 s0, 10
	s_mov_b32 m0, s0
	s_sendmsg sendmsg(MSG_INTERRUPT)
	s_mov_b32 m0, ttmp2
.LBB102_315:                            ; =>This Inner Loop Header: Depth=1
	s_sethalt 5
	s_branch .LBB102_315
.LBB102_316:
	s_trap 2
	s_sendmsg_rtn_b32 s0, sendmsg(MSG_RTN_GET_DOORBELL)
	s_mov_b32 ttmp2, m0
	s_waitcnt lgkmcnt(0)
	s_and_b32 s0, s0, 0x3ff
	s_delay_alu instid0(SALU_CYCLE_1) | instskip(NEXT) | instid1(SALU_CYCLE_1)
	s_bitset1_b32 s0, 10
	s_mov_b32 m0, s0
	s_sendmsg sendmsg(MSG_INTERRUPT)
	s_mov_b32 m0, ttmp2
.LBB102_317:                            ; =>This Inner Loop Header: Depth=1
	s_sethalt 5
	s_branch .LBB102_317
	.section	.rodata,"a",@progbits
	.p2align	6, 0x0
	.amdhsa_kernel _ZN2at6native12_GLOBAL__N_112gatherMedianIlmLi3EEEvNS_4cuda6detail10TensorInfoIT_T0_EENS5_IlS7_EENS5_IKS6_S7_EES7_S7_S7_b
		.amdhsa_group_segment_fixed_size 5152
		.amdhsa_private_segment_fixed_size 0
		.amdhsa_kernarg_size 1536
		.amdhsa_user_sgpr_count 13
		.amdhsa_user_sgpr_dispatch_ptr 0
		.amdhsa_user_sgpr_queue_ptr 0
		.amdhsa_user_sgpr_kernarg_segment_ptr 1
		.amdhsa_user_sgpr_dispatch_id 0
		.amdhsa_user_sgpr_private_segment_size 0
		.amdhsa_wavefront_size32 1
		.amdhsa_uses_dynamic_stack 0
		.amdhsa_enable_private_segment 0
		.amdhsa_system_sgpr_workgroup_id_x 1
		.amdhsa_system_sgpr_workgroup_id_y 1
		.amdhsa_system_sgpr_workgroup_id_z 1
		.amdhsa_system_sgpr_workgroup_info 0
		.amdhsa_system_vgpr_workitem_id 0
		.amdhsa_next_free_vgpr 39
		.amdhsa_next_free_sgpr 105
		.amdhsa_reserve_vcc 1
		.amdhsa_float_round_mode_32 0
		.amdhsa_float_round_mode_16_64 0
		.amdhsa_float_denorm_mode_32 3
		.amdhsa_float_denorm_mode_16_64 3
		.amdhsa_dx10_clamp 1
		.amdhsa_ieee_mode 1
		.amdhsa_fp16_overflow 0
		.amdhsa_workgroup_processor_mode 1
		.amdhsa_memory_ordered 1
		.amdhsa_forward_progress 0
		.amdhsa_shared_vgpr_count 0
		.amdhsa_exception_fp_ieee_invalid_op 0
		.amdhsa_exception_fp_denorm_src 0
		.amdhsa_exception_fp_ieee_div_zero 0
		.amdhsa_exception_fp_ieee_overflow 0
		.amdhsa_exception_fp_ieee_underflow 0
		.amdhsa_exception_fp_ieee_inexact 0
		.amdhsa_exception_int_div_zero 0
	.end_amdhsa_kernel
	.section	.text._ZN2at6native12_GLOBAL__N_112gatherMedianIlmLi3EEEvNS_4cuda6detail10TensorInfoIT_T0_EENS5_IlS7_EENS5_IKS6_S7_EES7_S7_S7_b,"axG",@progbits,_ZN2at6native12_GLOBAL__N_112gatherMedianIlmLi3EEEvNS_4cuda6detail10TensorInfoIT_T0_EENS5_IlS7_EENS5_IKS6_S7_EES7_S7_S7_b,comdat
.Lfunc_end102:
	.size	_ZN2at6native12_GLOBAL__N_112gatherMedianIlmLi3EEEvNS_4cuda6detail10TensorInfoIT_T0_EENS5_IlS7_EENS5_IKS6_S7_EES7_S7_S7_b, .Lfunc_end102-_ZN2at6native12_GLOBAL__N_112gatherMedianIlmLi3EEEvNS_4cuda6detail10TensorInfoIT_T0_EENS5_IlS7_EENS5_IKS6_S7_EES7_S7_S7_b
                                        ; -- End function
	.section	.AMDGPU.csdata,"",@progbits
; Kernel info:
; codeLenInByte = 18016
; NumSgprs: 107
; NumVgprs: 39
; ScratchSize: 0
; MemoryBound: 0
; FloatMode: 240
; IeeeMode: 1
; LDSByteSize: 5152 bytes/workgroup (compile time only)
; SGPRBlocks: 13
; VGPRBlocks: 4
; NumSGPRsForWavesPerEU: 107
; NumVGPRsForWavesPerEU: 39
; Occupancy: 16
; WaveLimiterHint : 1
; COMPUTE_PGM_RSRC2:SCRATCH_EN: 0
; COMPUTE_PGM_RSRC2:USER_SGPR: 13
; COMPUTE_PGM_RSRC2:TRAP_HANDLER: 0
; COMPUTE_PGM_RSRC2:TGID_X_EN: 1
; COMPUTE_PGM_RSRC2:TGID_Y_EN: 1
; COMPUTE_PGM_RSRC2:TGID_Z_EN: 1
; COMPUTE_PGM_RSRC2:TIDIG_COMP_CNT: 0
	.section	.text._ZN2at6native12_GLOBAL__N_112gatherMedianIlmLin1EEEvNS_4cuda6detail10TensorInfoIT_T0_EENS5_IlS7_EENS5_IKS6_S7_EES7_S7_S7_b,"axG",@progbits,_ZN2at6native12_GLOBAL__N_112gatherMedianIlmLin1EEEvNS_4cuda6detail10TensorInfoIT_T0_EENS5_IlS7_EENS5_IKS6_S7_EES7_S7_S7_b,comdat
	.globl	_ZN2at6native12_GLOBAL__N_112gatherMedianIlmLin1EEEvNS_4cuda6detail10TensorInfoIT_T0_EENS5_IlS7_EENS5_IKS6_S7_EES7_S7_S7_b ; -- Begin function _ZN2at6native12_GLOBAL__N_112gatherMedianIlmLin1EEEvNS_4cuda6detail10TensorInfoIT_T0_EENS5_IlS7_EENS5_IKS6_S7_EES7_S7_S7_b
	.p2align	8
	.type	_ZN2at6native12_GLOBAL__N_112gatherMedianIlmLin1EEEvNS_4cuda6detail10TensorInfoIT_T0_EENS5_IlS7_EENS5_IKS6_S7_EES7_S7_S7_b,@function
_ZN2at6native12_GLOBAL__N_112gatherMedianIlmLin1EEEvNS_4cuda6detail10TensorInfoIT_T0_EENS5_IlS7_EENS5_IKS6_S7_EES7_S7_S7_b: ; @_ZN2at6native12_GLOBAL__N_112gatherMedianIlmLin1EEEvNS_4cuda6detail10TensorInfoIT_T0_EENS5_IlS7_EENS5_IKS6_S7_EES7_S7_S7_b
; %bb.0:
	s_clause 0x1
	s_load_b64 s[4:5], s[0:1], 0x500
	s_load_b128 s[24:27], s[0:1], 0x4e0
	s_add_u32 s6, s0, 0x500
	s_addc_u32 s7, s1, 0
	s_mov_b32 s3, 0
	s_waitcnt lgkmcnt(0)
	s_mul_i32 s2, s5, s15
	s_delay_alu instid0(SALU_CYCLE_1) | instskip(NEXT) | instid1(SALU_CYCLE_1)
	s_add_i32 s2, s2, s14
	s_mul_i32 s2, s2, s4
	s_delay_alu instid0(SALU_CYCLE_1) | instskip(NEXT) | instid1(SALU_CYCLE_1)
	s_add_i32 s2, s2, s13
	v_cmp_ge_u64_e64 s5, s[2:3], s[26:27]
	s_delay_alu instid0(VALU_DEP_1)
	s_and_b32 vcc_lo, exec_lo, s5
	s_cbranch_vccnz .LBB103_322
; %bb.1:
	s_clause 0x1
	s_load_b32 s5, s[0:1], 0x198
	s_load_b64 s[28:29], s[0:1], 0x4f0
	s_mov_b64 s[26:27], 0
	s_mov_b64 s[34:35], s[2:3]
	s_waitcnt lgkmcnt(0)
	s_cmp_lt_i32 s5, 2
	s_cbranch_scc1 .LBB103_9
; %bb.2:
	s_mov_b32 s8, 0
	s_add_i32 s10, s5, -1
	s_mov_b32 s11, s8
	s_add_i32 s5, s5, 1
	s_lshl_b64 s[10:11], s[10:11], 3
	s_mov_b64 s[14:15], s[2:3]
	s_add_u32 s9, s10, s0
	s_addc_u32 s11, s11, s1
	s_add_u32 s10, s9, 8
	s_addc_u32 s11, s11, 0
.LBB103_3:                              ; =>This Inner Loop Header: Depth=1
	s_load_b64 s[16:17], s[10:11], 0x0
                                        ; implicit-def: $sgpr34_sgpr35
	s_waitcnt lgkmcnt(0)
	s_or_b64 s[18:19], s[14:15], s[16:17]
	s_delay_alu instid0(SALU_CYCLE_1) | instskip(NEXT) | instid1(SALU_CYCLE_1)
	s_mov_b32 s9, s19
	s_cmp_lg_u64 s[8:9], 0
	s_mov_b32 s9, -1
	s_cbranch_scc0 .LBB103_5
; %bb.4:                                ;   in Loop: Header=BB103_3 Depth=1
	v_cvt_f32_u32_e32 v1, s16
	v_cvt_f32_u32_e32 v2, s17
	s_sub_u32 s18, 0, s16
	s_subb_u32 s19, 0, s17
	s_waitcnt_depctr 0xfff
	v_fmac_f32_e32 v1, 0x4f800000, v2
	s_delay_alu instid0(VALU_DEP_1) | instskip(SKIP_2) | instid1(VALU_DEP_1)
	v_rcp_f32_e32 v1, v1
	s_waitcnt_depctr 0xfff
	v_mul_f32_e32 v1, 0x5f7ffffc, v1
	v_mul_f32_e32 v2, 0x2f800000, v1
	s_delay_alu instid0(VALU_DEP_1) | instskip(NEXT) | instid1(VALU_DEP_1)
	v_trunc_f32_e32 v2, v2
	v_fmac_f32_e32 v1, 0xcf800000, v2
	v_cvt_u32_f32_e32 v2, v2
	s_delay_alu instid0(VALU_DEP_2) | instskip(NEXT) | instid1(VALU_DEP_2)
	v_cvt_u32_f32_e32 v1, v1
	v_readfirstlane_b32 s9, v2
	s_delay_alu instid0(VALU_DEP_2) | instskip(NEXT) | instid1(VALU_DEP_2)
	v_readfirstlane_b32 s12, v1
	s_mul_i32 s20, s18, s9
	s_delay_alu instid0(VALU_DEP_1)
	s_mul_hi_u32 s22, s18, s12
	s_mul_i32 s21, s19, s12
	s_add_i32 s20, s22, s20
	s_mul_i32 s23, s18, s12
	s_add_i32 s20, s20, s21
	s_mul_hi_u32 s22, s12, s23
	s_mul_hi_u32 s30, s9, s23
	s_mul_i32 s21, s9, s23
	s_mul_hi_u32 s23, s12, s20
	s_mul_i32 s12, s12, s20
	s_mul_hi_u32 s31, s9, s20
	s_add_u32 s12, s22, s12
	s_addc_u32 s22, 0, s23
	s_add_u32 s12, s12, s21
	s_mul_i32 s20, s9, s20
	s_addc_u32 s12, s22, s30
	s_addc_u32 s21, s31, 0
	s_add_u32 s12, s12, s20
	s_addc_u32 s20, 0, s21
	v_add_co_u32 v1, s12, v1, s12
	s_delay_alu instid0(VALU_DEP_1) | instskip(SKIP_1) | instid1(VALU_DEP_1)
	s_cmp_lg_u32 s12, 0
	s_addc_u32 s9, s9, s20
	v_readfirstlane_b32 s12, v1
	s_mul_i32 s20, s18, s9
	s_delay_alu instid0(VALU_DEP_1)
	s_mul_hi_u32 s21, s18, s12
	s_mul_i32 s19, s19, s12
	s_add_i32 s20, s21, s20
	s_mul_i32 s18, s18, s12
	s_add_i32 s20, s20, s19
	s_mul_hi_u32 s21, s9, s18
	s_mul_i32 s22, s9, s18
	s_mul_hi_u32 s18, s12, s18
	s_mul_hi_u32 s23, s12, s20
	s_mul_i32 s12, s12, s20
	s_mul_hi_u32 s19, s9, s20
	s_add_u32 s12, s18, s12
	s_addc_u32 s18, 0, s23
	s_add_u32 s12, s12, s22
	s_mul_i32 s20, s9, s20
	s_addc_u32 s12, s18, s21
	s_addc_u32 s18, s19, 0
	s_add_u32 s12, s12, s20
	s_addc_u32 s18, 0, s18
	v_add_co_u32 v1, s12, v1, s12
	s_delay_alu instid0(VALU_DEP_1) | instskip(SKIP_1) | instid1(VALU_DEP_1)
	s_cmp_lg_u32 s12, 0
	s_addc_u32 s9, s9, s18
	v_readfirstlane_b32 s12, v1
	s_mul_i32 s19, s14, s9
	s_mul_hi_u32 s18, s14, s9
	s_mul_hi_u32 s20, s15, s9
	s_mul_i32 s9, s15, s9
	s_mul_hi_u32 s21, s14, s12
	s_mul_hi_u32 s22, s15, s12
	s_mul_i32 s12, s15, s12
	s_add_u32 s19, s21, s19
	s_addc_u32 s18, 0, s18
	s_add_u32 s12, s19, s12
	s_addc_u32 s12, s18, s22
	s_addc_u32 s18, s20, 0
	s_add_u32 s12, s12, s9
	s_addc_u32 s18, 0, s18
	s_mul_hi_u32 s9, s16, s12
	s_mul_i32 s20, s16, s18
	s_mul_i32 s21, s16, s12
	s_add_i32 s9, s9, s20
	v_sub_co_u32 v1, s20, s14, s21
	s_mul_i32 s19, s17, s12
	s_delay_alu instid0(SALU_CYCLE_1) | instskip(NEXT) | instid1(VALU_DEP_1)
	s_add_i32 s9, s9, s19
	v_sub_co_u32 v2, s21, v1, s16
	s_sub_i32 s19, s15, s9
	s_cmp_lg_u32 s20, 0
	s_subb_u32 s19, s19, s17
	s_cmp_lg_u32 s21, 0
	v_readfirstlane_b32 s21, v2
	s_subb_u32 s19, s19, 0
	s_delay_alu instid0(SALU_CYCLE_1) | instskip(SKIP_1) | instid1(VALU_DEP_1)
	s_cmp_ge_u32 s19, s17
	s_cselect_b32 s22, -1, 0
	s_cmp_ge_u32 s21, s16
	s_cselect_b32 s21, -1, 0
	s_cmp_eq_u32 s19, s17
	s_cselect_b32 s19, s21, s22
	s_add_u32 s21, s12, 1
	s_addc_u32 s22, s18, 0
	s_add_u32 s23, s12, 2
	s_addc_u32 s30, s18, 0
	s_cmp_lg_u32 s19, 0
	s_cselect_b32 s19, s23, s21
	s_cselect_b32 s21, s30, s22
	s_cmp_lg_u32 s20, 0
	v_readfirstlane_b32 s20, v1
	s_subb_u32 s9, s15, s9
	s_delay_alu instid0(SALU_CYCLE_1) | instskip(SKIP_1) | instid1(VALU_DEP_1)
	s_cmp_ge_u32 s9, s17
	s_cselect_b32 s22, -1, 0
	s_cmp_ge_u32 s20, s16
	s_cselect_b32 s20, -1, 0
	s_cmp_eq_u32 s9, s17
	s_cselect_b32 s9, s20, s22
	s_delay_alu instid0(SALU_CYCLE_1)
	s_cmp_lg_u32 s9, 0
	s_mov_b32 s9, 0
	s_cselect_b32 s35, s21, s18
	s_cselect_b32 s34, s19, s12
.LBB103_5:                              ;   in Loop: Header=BB103_3 Depth=1
	s_and_not1_b32 vcc_lo, exec_lo, s9
	s_cbranch_vccnz .LBB103_7
; %bb.6:                                ;   in Loop: Header=BB103_3 Depth=1
	v_cvt_f32_u32_e32 v1, s16
	s_sub_i32 s12, 0, s16
	s_mov_b32 s35, s8
	s_waitcnt_depctr 0xfff
	v_rcp_iflag_f32_e32 v1, v1
	s_waitcnt_depctr 0xfff
	v_mul_f32_e32 v1, 0x4f7ffffe, v1
	s_delay_alu instid0(VALU_DEP_1) | instskip(NEXT) | instid1(VALU_DEP_1)
	v_cvt_u32_f32_e32 v1, v1
	v_readfirstlane_b32 s9, v1
	s_delay_alu instid0(VALU_DEP_1) | instskip(NEXT) | instid1(SALU_CYCLE_1)
	s_mul_i32 s12, s12, s9
	s_mul_hi_u32 s12, s9, s12
	s_delay_alu instid0(SALU_CYCLE_1) | instskip(NEXT) | instid1(SALU_CYCLE_1)
	s_add_i32 s9, s9, s12
	s_mul_hi_u32 s9, s14, s9
	s_delay_alu instid0(SALU_CYCLE_1) | instskip(SKIP_2) | instid1(SALU_CYCLE_1)
	s_mul_i32 s12, s9, s16
	s_add_i32 s18, s9, 1
	s_sub_i32 s12, s14, s12
	s_sub_i32 s19, s12, s16
	s_cmp_ge_u32 s12, s16
	s_cselect_b32 s9, s18, s9
	s_cselect_b32 s12, s19, s12
	s_add_i32 s18, s9, 1
	s_cmp_ge_u32 s12, s16
	s_cselect_b32 s34, s18, s9
.LBB103_7:                              ;   in Loop: Header=BB103_3 Depth=1
	s_load_b64 s[18:19], s[10:11], 0xc8
	s_mul_i32 s9, s34, s17
	s_mul_hi_u32 s12, s34, s16
	s_mul_i32 s17, s35, s16
	s_add_i32 s9, s12, s9
	s_mul_i32 s12, s34, s16
	s_add_i32 s9, s9, s17
	s_sub_u32 s12, s14, s12
	s_subb_u32 s9, s15, s9
	s_waitcnt lgkmcnt(0)
	s_mul_i32 s9, s18, s9
	s_mul_hi_u32 s14, s18, s12
	s_mul_i32 s15, s19, s12
	s_add_i32 s9, s14, s9
	s_mul_i32 s12, s18, s12
	s_add_i32 s9, s9, s15
	s_add_u32 s26, s12, s26
	s_addc_u32 s27, s9, s27
	s_add_i32 s5, s5, -1
	s_add_u32 s10, s10, -8
	s_addc_u32 s11, s11, -1
	s_cmp_gt_u32 s5, 2
	s_cbranch_scc0 .LBB103_9
; %bb.8:                                ;   in Loop: Header=BB103_3 Depth=1
	s_mov_b64 s[14:15], s[34:35]
	s_branch .LBB103_3
.LBB103_9:
	s_clause 0x1
	s_load_b32 s5, s[0:1], 0x338
	s_load_b64 s[36:37], s[0:1], 0xd0
	s_add_u32 s8, s0, 0x1a0
	s_addc_u32 s9, s1, 0
	s_mov_b64 s[30:31], 0
	s_mov_b64 s[38:39], s[2:3]
	s_waitcnt lgkmcnt(0)
	s_cmp_lt_i32 s5, 2
	s_cbranch_scc1 .LBB103_17
; %bb.10:
	s_mov_b32 s10, 0
	s_add_i32 s14, s5, -1
	s_mov_b32 s15, s10
	s_add_i32 s5, s5, 1
	s_lshl_b64 s[14:15], s[14:15], 3
	s_mov_b64 s[16:17], s[2:3]
	s_add_u32 s11, s14, s8
	s_addc_u32 s12, s15, s9
	s_add_u32 s14, s11, 8
	s_addc_u32 s15, s12, 0
.LBB103_11:                             ; =>This Inner Loop Header: Depth=1
	s_load_b64 s[18:19], s[14:15], 0x0
                                        ; implicit-def: $sgpr38_sgpr39
	s_waitcnt lgkmcnt(0)
	s_or_b64 s[20:21], s[16:17], s[18:19]
	s_delay_alu instid0(SALU_CYCLE_1) | instskip(NEXT) | instid1(SALU_CYCLE_1)
	s_mov_b32 s11, s21
	s_cmp_lg_u64 s[10:11], 0
	s_mov_b32 s11, -1
	s_cbranch_scc0 .LBB103_13
; %bb.12:                               ;   in Loop: Header=BB103_11 Depth=1
	v_cvt_f32_u32_e32 v1, s18
	v_cvt_f32_u32_e32 v2, s19
	s_sub_u32 s20, 0, s18
	s_subb_u32 s21, 0, s19
	s_waitcnt_depctr 0xfff
	v_fmac_f32_e32 v1, 0x4f800000, v2
	s_delay_alu instid0(VALU_DEP_1) | instskip(SKIP_2) | instid1(VALU_DEP_1)
	v_rcp_f32_e32 v1, v1
	s_waitcnt_depctr 0xfff
	v_mul_f32_e32 v1, 0x5f7ffffc, v1
	v_mul_f32_e32 v2, 0x2f800000, v1
	s_delay_alu instid0(VALU_DEP_1) | instskip(NEXT) | instid1(VALU_DEP_1)
	v_trunc_f32_e32 v2, v2
	v_fmac_f32_e32 v1, 0xcf800000, v2
	v_cvt_u32_f32_e32 v2, v2
	s_delay_alu instid0(VALU_DEP_2) | instskip(NEXT) | instid1(VALU_DEP_2)
	v_cvt_u32_f32_e32 v1, v1
	v_readfirstlane_b32 s11, v2
	s_delay_alu instid0(VALU_DEP_2) | instskip(NEXT) | instid1(VALU_DEP_2)
	v_readfirstlane_b32 s12, v1
	s_mul_i32 s22, s20, s11
	s_delay_alu instid0(VALU_DEP_1)
	s_mul_hi_u32 s33, s20, s12
	s_mul_i32 s23, s21, s12
	s_add_i32 s22, s33, s22
	s_mul_i32 s38, s20, s12
	s_add_i32 s22, s22, s23
	s_mul_hi_u32 s33, s12, s38
	s_mul_hi_u32 s39, s11, s38
	s_mul_i32 s23, s11, s38
	s_mul_hi_u32 s38, s12, s22
	s_mul_i32 s12, s12, s22
	s_mul_hi_u32 s40, s11, s22
	s_add_u32 s12, s33, s12
	s_addc_u32 s33, 0, s38
	s_add_u32 s12, s12, s23
	s_mul_i32 s22, s11, s22
	s_addc_u32 s12, s33, s39
	s_addc_u32 s23, s40, 0
	s_add_u32 s12, s12, s22
	s_addc_u32 s22, 0, s23
	v_add_co_u32 v1, s12, v1, s12
	s_delay_alu instid0(VALU_DEP_1) | instskip(SKIP_1) | instid1(VALU_DEP_1)
	s_cmp_lg_u32 s12, 0
	s_addc_u32 s11, s11, s22
	v_readfirstlane_b32 s12, v1
	s_mul_i32 s22, s20, s11
	s_delay_alu instid0(VALU_DEP_1)
	s_mul_hi_u32 s23, s20, s12
	s_mul_i32 s21, s21, s12
	s_add_i32 s22, s23, s22
	s_mul_i32 s20, s20, s12
	s_add_i32 s22, s22, s21
	s_mul_hi_u32 s23, s11, s20
	s_mul_i32 s33, s11, s20
	s_mul_hi_u32 s20, s12, s20
	s_mul_hi_u32 s38, s12, s22
	s_mul_i32 s12, s12, s22
	s_mul_hi_u32 s21, s11, s22
	s_add_u32 s12, s20, s12
	s_addc_u32 s20, 0, s38
	s_add_u32 s12, s12, s33
	s_mul_i32 s22, s11, s22
	s_addc_u32 s12, s20, s23
	s_addc_u32 s20, s21, 0
	s_add_u32 s12, s12, s22
	s_addc_u32 s20, 0, s20
	v_add_co_u32 v1, s12, v1, s12
	s_delay_alu instid0(VALU_DEP_1) | instskip(SKIP_1) | instid1(VALU_DEP_1)
	s_cmp_lg_u32 s12, 0
	s_addc_u32 s11, s11, s20
	v_readfirstlane_b32 s12, v1
	s_mul_i32 s21, s16, s11
	s_mul_hi_u32 s20, s16, s11
	s_mul_hi_u32 s22, s17, s11
	s_mul_i32 s11, s17, s11
	s_mul_hi_u32 s23, s16, s12
	s_mul_hi_u32 s33, s17, s12
	s_mul_i32 s12, s17, s12
	s_add_u32 s21, s23, s21
	s_addc_u32 s20, 0, s20
	s_add_u32 s12, s21, s12
	s_addc_u32 s12, s20, s33
	s_addc_u32 s20, s22, 0
	s_add_u32 s12, s12, s11
	s_addc_u32 s20, 0, s20
	s_mul_hi_u32 s11, s18, s12
	s_mul_i32 s22, s18, s20
	s_mul_i32 s23, s18, s12
	s_add_i32 s11, s11, s22
	v_sub_co_u32 v1, s22, s16, s23
	s_mul_i32 s21, s19, s12
	s_delay_alu instid0(SALU_CYCLE_1) | instskip(NEXT) | instid1(VALU_DEP_1)
	s_add_i32 s11, s11, s21
	v_sub_co_u32 v2, s23, v1, s18
	s_sub_i32 s21, s17, s11
	s_cmp_lg_u32 s22, 0
	s_subb_u32 s21, s21, s19
	s_cmp_lg_u32 s23, 0
	v_readfirstlane_b32 s23, v2
	s_subb_u32 s21, s21, 0
	s_delay_alu instid0(SALU_CYCLE_1) | instskip(SKIP_1) | instid1(VALU_DEP_1)
	s_cmp_ge_u32 s21, s19
	s_cselect_b32 s33, -1, 0
	s_cmp_ge_u32 s23, s18
	s_cselect_b32 s23, -1, 0
	s_cmp_eq_u32 s21, s19
	s_cselect_b32 s21, s23, s33
	s_add_u32 s23, s12, 1
	s_addc_u32 s33, s20, 0
	s_add_u32 s38, s12, 2
	s_addc_u32 s39, s20, 0
	s_cmp_lg_u32 s21, 0
	s_cselect_b32 s21, s38, s23
	s_cselect_b32 s23, s39, s33
	s_cmp_lg_u32 s22, 0
	v_readfirstlane_b32 s22, v1
	s_subb_u32 s11, s17, s11
	s_delay_alu instid0(SALU_CYCLE_1) | instskip(SKIP_1) | instid1(VALU_DEP_1)
	s_cmp_ge_u32 s11, s19
	s_cselect_b32 s33, -1, 0
	s_cmp_ge_u32 s22, s18
	s_cselect_b32 s22, -1, 0
	s_cmp_eq_u32 s11, s19
	s_cselect_b32 s11, s22, s33
	s_delay_alu instid0(SALU_CYCLE_1)
	s_cmp_lg_u32 s11, 0
	s_mov_b32 s11, 0
	s_cselect_b32 s39, s23, s20
	s_cselect_b32 s38, s21, s12
.LBB103_13:                             ;   in Loop: Header=BB103_11 Depth=1
	s_and_not1_b32 vcc_lo, exec_lo, s11
	s_cbranch_vccnz .LBB103_15
; %bb.14:                               ;   in Loop: Header=BB103_11 Depth=1
	v_cvt_f32_u32_e32 v1, s18
	s_sub_i32 s12, 0, s18
	s_mov_b32 s39, s10
	s_waitcnt_depctr 0xfff
	v_rcp_iflag_f32_e32 v1, v1
	s_waitcnt_depctr 0xfff
	v_mul_f32_e32 v1, 0x4f7ffffe, v1
	s_delay_alu instid0(VALU_DEP_1) | instskip(NEXT) | instid1(VALU_DEP_1)
	v_cvt_u32_f32_e32 v1, v1
	v_readfirstlane_b32 s11, v1
	s_delay_alu instid0(VALU_DEP_1) | instskip(NEXT) | instid1(SALU_CYCLE_1)
	s_mul_i32 s12, s12, s11
	s_mul_hi_u32 s12, s11, s12
	s_delay_alu instid0(SALU_CYCLE_1) | instskip(NEXT) | instid1(SALU_CYCLE_1)
	s_add_i32 s11, s11, s12
	s_mul_hi_u32 s11, s16, s11
	s_delay_alu instid0(SALU_CYCLE_1) | instskip(SKIP_2) | instid1(SALU_CYCLE_1)
	s_mul_i32 s12, s11, s18
	s_add_i32 s20, s11, 1
	s_sub_i32 s12, s16, s12
	s_sub_i32 s21, s12, s18
	s_cmp_ge_u32 s12, s18
	s_cselect_b32 s11, s20, s11
	s_cselect_b32 s12, s21, s12
	s_add_i32 s20, s11, 1
	s_cmp_ge_u32 s12, s18
	s_cselect_b32 s38, s20, s11
.LBB103_15:                             ;   in Loop: Header=BB103_11 Depth=1
	s_load_b64 s[20:21], s[14:15], 0xc8
	s_mul_i32 s11, s38, s19
	s_mul_hi_u32 s12, s38, s18
	s_mul_i32 s19, s39, s18
	s_add_i32 s11, s12, s11
	s_mul_i32 s12, s38, s18
	s_add_i32 s11, s11, s19
	s_sub_u32 s12, s16, s12
	s_subb_u32 s11, s17, s11
	s_waitcnt lgkmcnt(0)
	s_mul_i32 s11, s20, s11
	s_mul_hi_u32 s16, s20, s12
	s_mul_i32 s17, s21, s12
	s_add_i32 s11, s16, s11
	s_mul_i32 s12, s20, s12
	s_add_i32 s11, s11, s17
	s_add_u32 s30, s12, s30
	s_addc_u32 s31, s11, s31
	s_add_i32 s5, s5, -1
	s_add_u32 s14, s14, -8
	s_addc_u32 s15, s15, -1
	s_cmp_gt_u32 s5, 2
	s_cbranch_scc0 .LBB103_17
; %bb.16:                               ;   in Loop: Header=BB103_11 Depth=1
	s_mov_b64 s[16:17], s[38:39]
	s_branch .LBB103_11
.LBB103_17:
	s_clause 0x1
	s_load_b32 s5, s[0:1], 0x4d8
	s_load_b64 s[40:41], s[8:9], 0xd0
	s_add_u32 s11, s0, 0x340
	s_addc_u32 s12, s1, 0
	s_mov_b64 s[8:9], 0
	s_waitcnt lgkmcnt(0)
	s_cmp_lt_i32 s5, 2
	s_cbranch_scc1 .LBB103_25
; %bb.18:
	s_mov_b32 s10, 0
	s_add_i32 s8, s5, -1
	s_mov_b32 s9, s10
	s_add_i32 s5, s5, 1
	s_lshl_b64 s[8:9], s[8:9], 3
	s_delay_alu instid0(SALU_CYCLE_1)
	s_add_u32 s8, s8, s11
	s_addc_u32 s9, s9, s12
	s_add_u32 s14, s8, 8
	s_addc_u32 s15, s9, 0
	s_mov_b64 s[8:9], 0
.LBB103_19:                             ; =>This Inner Loop Header: Depth=1
	s_load_b64 s[16:17], s[14:15], 0x0
	s_waitcnt lgkmcnt(0)
	s_or_b64 s[18:19], s[2:3], s[16:17]
	s_delay_alu instid0(SALU_CYCLE_1) | instskip(NEXT) | instid1(SALU_CYCLE_1)
	s_mov_b32 s11, s19
                                        ; implicit-def: $sgpr18_sgpr19
	s_cmp_lg_u64 s[10:11], 0
	s_mov_b32 s11, -1
	s_cbranch_scc0 .LBB103_21
; %bb.20:                               ;   in Loop: Header=BB103_19 Depth=1
	v_cvt_f32_u32_e32 v1, s16
	v_cvt_f32_u32_e32 v2, s17
	s_sub_u32 s18, 0, s16
	s_subb_u32 s19, 0, s17
	s_waitcnt_depctr 0xfff
	v_fmac_f32_e32 v1, 0x4f800000, v2
	s_delay_alu instid0(VALU_DEP_1) | instskip(SKIP_2) | instid1(VALU_DEP_1)
	v_rcp_f32_e32 v1, v1
	s_waitcnt_depctr 0xfff
	v_mul_f32_e32 v1, 0x5f7ffffc, v1
	v_mul_f32_e32 v2, 0x2f800000, v1
	s_delay_alu instid0(VALU_DEP_1) | instskip(NEXT) | instid1(VALU_DEP_1)
	v_trunc_f32_e32 v2, v2
	v_fmac_f32_e32 v1, 0xcf800000, v2
	v_cvt_u32_f32_e32 v2, v2
	s_delay_alu instid0(VALU_DEP_2) | instskip(NEXT) | instid1(VALU_DEP_2)
	v_cvt_u32_f32_e32 v1, v1
	v_readfirstlane_b32 s11, v2
	s_delay_alu instid0(VALU_DEP_2) | instskip(NEXT) | instid1(VALU_DEP_2)
	v_readfirstlane_b32 s12, v1
	s_mul_i32 s20, s18, s11
	s_delay_alu instid0(VALU_DEP_1)
	s_mul_hi_u32 s22, s18, s12
	s_mul_i32 s21, s19, s12
	s_add_i32 s20, s22, s20
	s_mul_i32 s23, s18, s12
	s_add_i32 s20, s20, s21
	s_mul_hi_u32 s22, s12, s23
	s_mul_hi_u32 s33, s11, s23
	s_mul_i32 s21, s11, s23
	s_mul_hi_u32 s23, s12, s20
	s_mul_i32 s12, s12, s20
	s_mul_hi_u32 s42, s11, s20
	s_add_u32 s12, s22, s12
	s_addc_u32 s22, 0, s23
	s_add_u32 s12, s12, s21
	s_mul_i32 s20, s11, s20
	s_addc_u32 s12, s22, s33
	s_addc_u32 s21, s42, 0
	s_add_u32 s12, s12, s20
	s_addc_u32 s20, 0, s21
	v_add_co_u32 v1, s12, v1, s12
	s_delay_alu instid0(VALU_DEP_1) | instskip(SKIP_1) | instid1(VALU_DEP_1)
	s_cmp_lg_u32 s12, 0
	s_addc_u32 s11, s11, s20
	v_readfirstlane_b32 s12, v1
	s_mul_i32 s20, s18, s11
	s_delay_alu instid0(VALU_DEP_1)
	s_mul_hi_u32 s21, s18, s12
	s_mul_i32 s19, s19, s12
	s_add_i32 s20, s21, s20
	s_mul_i32 s18, s18, s12
	s_add_i32 s20, s20, s19
	s_mul_hi_u32 s21, s11, s18
	s_mul_i32 s22, s11, s18
	s_mul_hi_u32 s18, s12, s18
	s_mul_hi_u32 s23, s12, s20
	s_mul_i32 s12, s12, s20
	s_mul_hi_u32 s19, s11, s20
	s_add_u32 s12, s18, s12
	s_addc_u32 s18, 0, s23
	s_add_u32 s12, s12, s22
	s_mul_i32 s20, s11, s20
	s_addc_u32 s12, s18, s21
	s_addc_u32 s18, s19, 0
	s_add_u32 s12, s12, s20
	s_addc_u32 s18, 0, s18
	v_add_co_u32 v1, s12, v1, s12
	s_delay_alu instid0(VALU_DEP_1) | instskip(SKIP_1) | instid1(VALU_DEP_1)
	s_cmp_lg_u32 s12, 0
	s_addc_u32 s11, s11, s18
	v_readfirstlane_b32 s12, v1
	s_mul_i32 s19, s2, s11
	s_mul_hi_u32 s18, s2, s11
	s_mul_hi_u32 s20, s3, s11
	s_mul_i32 s11, s3, s11
	s_mul_hi_u32 s21, s2, s12
	s_mul_hi_u32 s22, s3, s12
	s_mul_i32 s12, s3, s12
	s_add_u32 s19, s21, s19
	s_addc_u32 s18, 0, s18
	s_add_u32 s12, s19, s12
	s_addc_u32 s12, s18, s22
	s_addc_u32 s18, s20, 0
	s_add_u32 s12, s12, s11
	s_addc_u32 s18, 0, s18
	s_mul_hi_u32 s11, s16, s12
	s_mul_i32 s20, s16, s18
	s_mul_i32 s21, s16, s12
	s_add_i32 s11, s11, s20
	v_sub_co_u32 v1, s20, s2, s21
	s_mul_i32 s19, s17, s12
	s_delay_alu instid0(SALU_CYCLE_1) | instskip(NEXT) | instid1(VALU_DEP_1)
	s_add_i32 s11, s11, s19
	v_sub_co_u32 v2, s21, v1, s16
	s_sub_i32 s19, s3, s11
	s_cmp_lg_u32 s20, 0
	s_subb_u32 s19, s19, s17
	s_cmp_lg_u32 s21, 0
	v_readfirstlane_b32 s21, v2
	s_subb_u32 s19, s19, 0
	s_delay_alu instid0(SALU_CYCLE_1) | instskip(SKIP_1) | instid1(VALU_DEP_1)
	s_cmp_ge_u32 s19, s17
	s_cselect_b32 s22, -1, 0
	s_cmp_ge_u32 s21, s16
	s_cselect_b32 s21, -1, 0
	s_cmp_eq_u32 s19, s17
	s_cselect_b32 s19, s21, s22
	s_add_u32 s21, s12, 1
	s_addc_u32 s22, s18, 0
	s_add_u32 s23, s12, 2
	s_addc_u32 s33, s18, 0
	s_cmp_lg_u32 s19, 0
	s_cselect_b32 s21, s23, s21
	s_cselect_b32 s19, s33, s22
	s_cmp_lg_u32 s20, 0
	v_readfirstlane_b32 s20, v1
	s_subb_u32 s11, s3, s11
	s_delay_alu instid0(SALU_CYCLE_1) | instskip(SKIP_1) | instid1(VALU_DEP_1)
	s_cmp_ge_u32 s11, s17
	s_cselect_b32 s22, -1, 0
	s_cmp_ge_u32 s20, s16
	s_cselect_b32 s20, -1, 0
	s_cmp_eq_u32 s11, s17
	s_cselect_b32 s11, s20, s22
	s_delay_alu instid0(SALU_CYCLE_1)
	s_cmp_lg_u32 s11, 0
	s_mov_b32 s11, 0
	s_cselect_b32 s19, s19, s18
	s_cselect_b32 s18, s21, s12
.LBB103_21:                             ;   in Loop: Header=BB103_19 Depth=1
	s_and_not1_b32 vcc_lo, exec_lo, s11
	s_cbranch_vccnz .LBB103_23
; %bb.22:                               ;   in Loop: Header=BB103_19 Depth=1
	v_cvt_f32_u32_e32 v1, s16
	s_sub_i32 s12, 0, s16
	s_waitcnt_depctr 0xfff
	v_rcp_iflag_f32_e32 v1, v1
	s_waitcnt_depctr 0xfff
	v_mul_f32_e32 v1, 0x4f7ffffe, v1
	s_delay_alu instid0(VALU_DEP_1) | instskip(NEXT) | instid1(VALU_DEP_1)
	v_cvt_u32_f32_e32 v1, v1
	v_readfirstlane_b32 s11, v1
	s_delay_alu instid0(VALU_DEP_1) | instskip(NEXT) | instid1(SALU_CYCLE_1)
	s_mul_i32 s12, s12, s11
	s_mul_hi_u32 s12, s11, s12
	s_delay_alu instid0(SALU_CYCLE_1) | instskip(NEXT) | instid1(SALU_CYCLE_1)
	s_add_i32 s11, s11, s12
	s_mul_hi_u32 s11, s2, s11
	s_delay_alu instid0(SALU_CYCLE_1) | instskip(SKIP_2) | instid1(SALU_CYCLE_1)
	s_mul_i32 s12, s11, s16
	s_add_i32 s18, s11, 1
	s_sub_i32 s12, s2, s12
	s_sub_i32 s19, s12, s16
	s_cmp_ge_u32 s12, s16
	s_cselect_b32 s11, s18, s11
	s_cselect_b32 s12, s19, s12
	s_add_i32 s18, s11, 1
	s_cmp_ge_u32 s12, s16
	s_mov_b32 s19, s10
	s_cselect_b32 s18, s18, s11
.LBB103_23:                             ;   in Loop: Header=BB103_19 Depth=1
	s_load_b64 s[20:21], s[14:15], 0xc8
	s_mul_i32 s11, s18, s17
	s_mul_hi_u32 s12, s18, s16
	s_mul_i32 s17, s19, s16
	s_add_i32 s11, s12, s11
	s_mul_i32 s12, s18, s16
	s_add_i32 s11, s11, s17
	s_sub_u32 s2, s2, s12
	s_subb_u32 s3, s3, s11
	s_waitcnt lgkmcnt(0)
	s_mul_i32 s3, s20, s3
	s_mul_hi_u32 s11, s20, s2
	s_mul_i32 s12, s21, s2
	s_add_i32 s3, s11, s3
	s_mul_i32 s2, s20, s2
	s_add_i32 s3, s3, s12
	s_add_u32 s8, s2, s8
	s_addc_u32 s9, s3, s9
	s_add_i32 s5, s5, -1
	s_add_u32 s14, s14, -8
	s_addc_u32 s15, s15, -1
	s_cmp_gt_u32 s5, 2
	s_cbranch_scc0 .LBB103_26
; %bb.24:                               ;   in Loop: Header=BB103_19 Depth=1
	s_mov_b64 s[2:3], s[18:19]
	s_branch .LBB103_19
.LBB103_25:
	s_mov_b64 s[18:19], s[2:3]
.LBB103_26:
	v_cmp_eq_u32_e64 s2, 0, v0
	s_delay_alu instid0(VALU_DEP_1)
	s_and_saveexec_b32 s3, s2
	s_cbranch_execz .LBB103_28
; %bb.27:
	v_mov_b32_e32 v1, 0
	s_delay_alu instid0(VALU_DEP_1)
	v_mov_b32_e32 v2, v1
	ds_store_b64 v1, v[1:2] offset:5136
.LBB103_28:
	s_or_b32 exec_lo, exec_lo, s3
	v_mov_b32_e32 v1, 0
	s_waitcnt lgkmcnt(0)
	s_barrier
	buffer_gl0_inv
	s_barrier
	buffer_gl0_inv
	ds_load_b64 v[1:2], v1 offset:5136
	s_clause 0x2
	s_load_b32 s3, s[0:1], 0x4f8
	s_load_b64 s[14:15], s[0:1], 0x410
	s_load_b64 s[10:11], s[0:1], 0x340
	s_mov_b64 s[46:47], s[24:25]
	s_waitcnt lgkmcnt(0)
	v_readfirstlane_b32 s16, v1
	v_readfirstlane_b32 s17, v2
	s_bitcmp1_b32 s3, 0
	s_cselect_b32 s3, -1, 0
	s_delay_alu instid0(VALU_DEP_1) | instskip(NEXT) | instid1(VALU_DEP_1)
	v_cmp_lt_i64_e64 s5, s[16:17], 1
	s_or_b32 s3, s3, s5
	s_delay_alu instid0(SALU_CYCLE_1)
	s_and_not1_b32 vcc_lo, exec_lo, s3
	s_cbranch_vccnz .LBB103_30
; %bb.29:
	s_not_b64 s[16:17], s[16:17]
	s_delay_alu instid0(SALU_CYCLE_1) | instskip(SKIP_1) | instid1(SALU_CYCLE_1)
	s_add_u32 s16, s16, s24
	s_addc_u32 s17, s17, s25
	s_lshr_b64 s[16:17], s[16:17], 1
	s_delay_alu instid0(SALU_CYCLE_1)
	s_add_u32 s46, s16, 1
	s_addc_u32 s47, s17, 0
.LBB103_30:
	s_clause 0x1
	s_load_b64 s[44:45], s[0:1], 0x0
	s_load_b64 s[42:43], s[0:1], 0x1a0
	s_and_saveexec_b32 s0, s2
	s_cbranch_execz .LBB103_32
; %bb.31:
	v_dual_mov_b32 v1, 0 :: v_dual_mov_b32 v4, s25
	s_delay_alu instid0(VALU_DEP_1)
	v_dual_mov_b32 v3, s24 :: v_dual_mov_b32 v2, v1
	ds_store_b32 v1, v1 offset:5144
	ds_store_b128 v1, v[1:4] offset:5120
.LBB103_32:
	s_or_b32 exec_lo, exec_lo, s0
	s_mul_i32 s0, s14, s19
	s_mul_hi_u32 s1, s14, s18
	v_lshlrev_b32_e32 v45, 5, v0
	s_mul_i32 s3, s15, s18
	s_add_i32 s0, s1, s0
	s_waitcnt lgkmcnt(0)
	s_add_i32 s1, s0, s3
	s_mul_i32 s0, s14, s18
	s_barrier
	buffer_gl0_inv
	s_load_b32 s5, s[6:7], 0xc
	s_lshl_b64 s[14:15], s[0:1], 3
	v_or_b32_e32 v13, 8, v45
	s_lshl_b64 s[48:49], s[8:9], 3
	s_add_u32 s8, s10, s14
	s_addc_u32 s9, s11, s15
	v_mbcnt_lo_u32_b32 v41, -1, 0
	v_mad_u64_u32 v[27:28], null, s28, v13, s[8:9]
	v_mad_u64_u32 v[2:3], null, v0, s28, 0
	v_cmp_gt_u32_e32 vcc_lo, 32, v0
	s_delay_alu instid0(VALU_DEP_4)
	v_cmp_gt_i32_e64 s3, 4, v41
	v_lshrrev_b32_e32 v6, 3, v0
	s_add_u32 s78, s8, s48
	v_mov_b32_e32 v8, v28
	v_or_b32_e32 v11, 24, v45
	v_or_b32_e32 v12, 16, v45
	s_addc_u32 s79, s9, s49
	v_mad_u64_u32 v[4:5], null, v0, s29, v[3:4]
	s_delay_alu instid0(VALU_DEP_3) | instskip(NEXT) | instid1(VALU_DEP_3)
	v_mad_u64_u32 v[23:24], null, s28, v11, s[8:9]
	v_mad_u64_u32 v[25:26], null, s28, v12, s[8:9]
	s_waitcnt lgkmcnt(0)
	s_and_b32 s33, s5, 0xffff
	s_and_b32 s80, vcc_lo, s3
	s_bfe_u32 s12, s5, 0xb0005
	v_and_b32_e32 v44, 0x7c, v6
	v_lshlrev_b64 v[6:7], v41, -1
	s_add_u32 s82, s33, -1
	v_mov_b32_e32 v7, v26
	s_addc_u32 s83, 0, -1
	s_add_u32 s84, s82, s24
	s_addc_u32 s55, s83, s25
	s_cmp_lt_u32 s13, s4
	v_lshlrev_b32_e32 v21, 2, v0
	v_not_b32_e32 v46, v6
	v_mov_b32_e32 v6, v24
	s_cselect_b32 s4, 12, 18
	v_dual_mov_b32 v16, 0 :: v_dual_mov_b32 v3, v4
	s_add_u32 s56, s6, s4
	s_addc_u32 s57, s7, 0
	s_add_i32 s4, s12, -1
	s_bfe_u32 s85, s33, 0x30005
	v_mad_u64_u32 v[9:10], null, s29, v11, v[6:7]
	s_cmp_gt_u32 s4, 6
	v_lshlrev_b64 v[4:5], 3, v[2:3]
	s_cselect_b32 s86, -1, 0
	s_and_b32 s87, s12, 0x7f8
	s_cmp_lg_u32 s85, 0
	v_lshlrev_b64 v[2:3], 5, v[2:3]
	s_cselect_b32 s89, -1, 0
	s_add_u32 s4, s14, s48
	v_cmp_gt_u16_e64 s88, s5, 31
	s_addc_u32 s5, s15, s49
	v_add_co_u32 v19, vcc_lo, s78, v4
	v_mad_u64_u32 v[10:11], null, s29, v12, v[7:8]
	v_mad_u64_u32 v[6:7], null, s29, v13, v[8:9]
	s_add_u32 s58, s10, s4
	s_addc_u32 s59, s11, s5
	s_lshl_b64 s[60:61], s[28:29], 3
	s_lshl_b64 s[62:63], s[28:29], 5
	s_lshl_b32 s90, s33, 3
	v_add_co_ci_u32_e32 v20, vcc_lo, s79, v5, vcc_lo
	s_add_u32 s4, s10, s48
	v_dual_mov_b32 v1, v16 :: v_dual_lshlrev_b32 v42, 3, v0
	v_add_co_u32 v29, vcc_lo, s8, v2
	s_addc_u32 s5, s11, s49
	s_add_u32 s6, s4, s14
	v_add_co_ci_u32_e32 v30, vcc_lo, s9, v3, vcc_lo
	s_addc_u32 s8, s5, s15
	v_add_co_u32 v17, vcc_lo, s6, v4
	v_cmp_gt_u64_e64 s0, s[24:25], v[0:1]
	v_cmp_lt_u64_e64 s81, 0x180, s[24:25]
	v_mov_b32_e32 v24, v9
	v_mov_b32_e32 v28, v6
	s_mul_i32 s4, s29, s33
	s_mul_hi_u32 s7, s28, s33
	v_add_co_ci_u32_e32 v18, vcc_lo, s8, v5, vcc_lo
	v_mov_b32_e32 v5, 0
	v_cmp_eq_u32_e64 s1, 0, v41
	v_cmp_gt_u32_e64 s3, 2, v0
	v_dual_mov_b32 v22, v16 :: v_dual_add_nc_u32 v43, 0xc00, v42
	v_mov_b32_e32 v26, v10
	v_lshl_or_b32 v47, v41, 3, 0xc00
	v_mov_b32_e32 v6, 0
	v_mov_b32_e32 v2, 1
	s_add_i32 s5, s7, s4
	s_mul_i32 s4, s28, s33
	s_mov_b32 s53, 0
	s_lshl_b64 s[50:51], s[4:5], 3
	s_mov_b32 s94, 62
	s_mov_b64 s[64:65], 0
	s_mov_b32 s91, 0
	s_mov_b32 s98, 0
	s_mov_b64 s[66:67], 0
                                        ; implicit-def: $sgpr92
                                        ; implicit-def: $sgpr95
                                        ; implicit-def: $sgpr93
                                        ; implicit-def: $sgpr97
                                        ; implicit-def: $sgpr99
                                        ; implicit-def: $sgpr96
	s_branch .LBB103_37
.LBB103_33:                             ;   in Loop: Header=BB103_37 Depth=1
	s_xor_b32 s98, s98, 1
	s_add_i32 s7, s94, -2
	s_cmp_eq_u32 s94, 0
	s_mov_b32 s5, 0
	s_cselect_b32 s6, -1, 0
	s_mov_b32 s94, s7
.LBB103_34:                             ;   in Loop: Header=BB103_37 Depth=1
	s_and_not1_b32 s7, s22, exec_lo
	s_and_b32 s5, s5, exec_lo
	s_and_not1_b32 s23, s23, exec_lo
	s_or_b32 s22, s7, s5
	s_and_not1_b32 s19, s19, exec_lo
	s_or_not1_b32 s18, s6, exec_lo
.LBB103_35:                             ;   in Loop: Header=BB103_37 Depth=1
	s_or_b32 exec_lo, exec_lo, s4
	s_delay_alu instid0(SALU_CYCLE_1)
	s_and_not1_b32 s4, s96, exec_lo
	s_and_b32 s5, s22, exec_lo
	s_and_not1_b32 s6, s97, exec_lo
	s_or_b32 s96, s4, s5
	s_and_not1_b32 s4, s99, exec_lo
	s_and_b32 s5, s23, exec_lo
	s_and_b32 s7, s19, exec_lo
	s_or_b32 s99, s4, s5
	s_or_b32 s97, s6, s7
	s_or_not1_b32 s22, s18, exec_lo
.LBB103_36:                             ;   in Loop: Header=BB103_37 Depth=1
	s_or_b32 exec_lo, exec_lo, s20
	s_delay_alu instid0(SALU_CYCLE_1)
	s_and_b32 s4, exec_lo, s22
	v_dual_mov_b32 v3, s64 :: v_dual_mov_b32 v4, s65
	s_or_b32 s91, s4, s91
	s_and_not1_b32 s4, s93, exec_lo
	s_and_b32 s5, s96, exec_lo
	s_and_not1_b32 s6, s92, exec_lo
	s_or_b32 s93, s4, s5
	s_and_not1_b32 s4, s95, exec_lo
	s_and_b32 s5, s99, exec_lo
	s_and_b32 s7, s97, exec_lo
	s_or_b32 s95, s4, s5
	s_or_b32 s92, s6, s7
	s_and_not1_b32 exec_lo, exec_lo, s91
	s_cbranch_execz .LBB103_305
.LBB103_37:                             ; =>This Loop Header: Depth=1
                                        ;     Child Loop BB103_45 Depth 2
                                        ;     Child Loop BB103_63 Depth 2
	;; [unrolled: 1-line block ×16, first 2 shown]
	ds_load_b128 v[7:10], v16 offset:5120
	s_waitcnt lgkmcnt(0)
	v_readfirstlane_b32 s69, v8
	v_readfirstlane_b32 s68, v7
	s_delay_alu instid0(VALU_DEP_1)
	s_cmp_lg_u64 s[68:69], 0
	s_cbranch_scc1 .LBB103_70
; %bb.38:                               ;   in Loop: Header=BB103_37 Depth=1
	s_and_b32 vcc_lo, exec_lo, s81
	s_cbranch_vccz .LBB103_53
; %bb.39:                               ;   in Loop: Header=BB103_37 Depth=1
	v_cmp_gt_u64_e32 vcc_lo, 0x181, v[9:10]
	s_mov_b32 s6, 0
	s_mov_b32 s4, 0
	s_cbranch_vccz .LBB103_54
; %bb.40:                               ;   in Loop: Header=BB103_37 Depth=1
	v_mov_b32_e32 v3, 0
	v_mov_b32_e32 v4, 0
	s_and_saveexec_b32 s4, s0
	s_cbranch_execz .LBB103_42
; %bb.41:                               ;   in Loop: Header=BB103_37 Depth=1
	global_load_b64 v[3:4], v[19:20], off
.LBB103_42:                             ;   in Loop: Header=BB103_37 Depth=1
	s_or_b32 exec_lo, exec_lo, s4
	s_and_saveexec_b32 s7, s0
	s_cbranch_execz .LBB103_55
; %bb.43:                               ;   in Loop: Header=BB103_37 Depth=1
	global_load_u16 v11, v16, s[56:57]
	s_mov_b32 s10, 0
	s_waitcnt vmcnt(0)
	v_readfirstlane_b32 s4, v11
	s_delay_alu instid0(VALU_DEP_1) | instskip(NEXT) | instid1(SALU_CYCLE_1)
	s_and_b32 s4, 0xffff, s4
	v_add_nc_u32_e32 v12, s4, v0
	s_mul_i32 s5, s61, s4
	s_mul_hi_u32 s8, s60, s4
	s_mul_i32 s9, s60, s4
	s_add_i32 s8, s8, s5
	v_mad_u64_u32 v[7:8], null, s60, v12, s[58:59]
	s_delay_alu instid0(VALU_DEP_1) | instskip(NEXT) | instid1(VALU_DEP_1)
	v_mad_u64_u32 v[9:10], null, s61, v12, v[8:9]
	v_dual_mov_b32 v8, v9 :: v_dual_and_b32 v13, 0xffff, v11
	v_dual_mov_b32 v10, v1 :: v_dual_mov_b32 v9, v0
	s_branch .LBB103_45
.LBB103_44:                             ;   in Loop: Header=BB103_45 Depth=2
	s_or_b32 exec_lo, exec_lo, s5
	v_add_co_u32 v7, vcc_lo, v7, s9
	v_add_co_ci_u32_e32 v8, vcc_lo, s8, v8, vcc_lo
	s_waitcnt vmcnt(0)
	v_dual_mov_b32 v3, v11 :: v_dual_mov_b32 v4, v12
	s_and_not1_b32 exec_lo, exec_lo, s10
	s_cbranch_execz .LBB103_55
.LBB103_45:                             ;   Parent Loop BB103_37 Depth=1
                                        ; =>  This Inner Loop Header: Depth=2
	s_delay_alu instid0(VALU_DEP_1) | instskip(NEXT) | instid1(VALU_DEP_2)
	v_add_co_u32 v9, vcc_lo, v9, v13
	v_add_co_ci_u32_e32 v10, vcc_lo, 0, v10, vcc_lo
	v_mov_b32_e32 v11, 0
	v_mov_b32_e32 v12, 0
	s_mov_b32 s5, exec_lo
	s_delay_alu instid0(VALU_DEP_3)
	v_cmp_le_u64_e32 vcc_lo, s[24:25], v[9:10]
	v_cmpx_gt_u64_e64 s[24:25], v[9:10]
	s_cbranch_execz .LBB103_47
; %bb.46:                               ;   in Loop: Header=BB103_45 Depth=2
	global_load_b64 v[11:12], v[7:8], off
.LBB103_47:                             ;   in Loop: Header=BB103_45 Depth=2
	s_or_b32 exec_lo, exec_lo, s5
	s_waitcnt lgkmcnt(0)
	v_xor_b32_e32 v14, 0x80000000, v4
	s_delay_alu instid0(VALU_DEP_1) | instskip(SKIP_1) | instid1(VALU_DEP_1)
	v_and_b32_e32 v15, s67, v14
	v_and_b32_e32 v14, s66, v3
	v_cmp_eq_u64_e64 s4, s[64:65], v[14:15]
	v_mov_b32_e32 v14, 0
	s_delay_alu instid0(VALU_DEP_2) | instskip(SKIP_1) | instid1(SALU_CYCLE_1)
	s_cmp_lg_u32 s4, 0
	s_cselect_b32 s5, -1, 0
	s_and_b32 s5, s1, s5
	s_delay_alu instid0(SALU_CYCLE_1)
	s_and_saveexec_b32 s11, s5
	s_cbranch_execz .LBB103_51
; %bb.48:                               ;   in Loop: Header=BB103_45 Depth=2
	s_mov_b32 s14, exec_lo
	s_bcnt1_i32_b32 s12, s4
	v_mbcnt_lo_u32_b32 v14, s14, 0
	s_mov_b32 s13, exec_lo
                                        ; implicit-def: $vgpr15
	s_delay_alu instid0(VALU_DEP_1)
	v_cmpx_eq_u32_e32 0, v14
	s_cbranch_execz .LBB103_50
; %bb.49:                               ;   in Loop: Header=BB103_45 Depth=2
	s_bcnt1_i32_b32 s5, s14
	s_delay_alu instid0(SALU_CYCLE_1) | instskip(NEXT) | instid1(SALU_CYCLE_1)
	s_mul_i32 s5, s12, s5
	v_mov_b32_e32 v15, s5
	ds_add_rtn_u32 v15, v16, v15 offset:5144
.LBB103_50:                             ;   in Loop: Header=BB103_45 Depth=2
	s_or_b32 exec_lo, exec_lo, s13
	s_waitcnt lgkmcnt(0)
	v_readfirstlane_b32 s5, v15
	s_delay_alu instid0(VALU_DEP_1)
	v_mad_u32_u24 v14, s12, v14, s5
.LBB103_51:                             ;   in Loop: Header=BB103_45 Depth=2
	s_or_b32 exec_lo, exec_lo, s11
	ds_bpermute_b32 v14, v16, v14
	s_and_b32 s5, exec_lo, vcc_lo
	s_delay_alu instid0(SALU_CYCLE_1)
	s_or_b32 s10, s5, s10
	s_and_saveexec_b32 s5, s4
	s_cbranch_execz .LBB103_44
; %bb.52:                               ;   in Loop: Header=BB103_45 Depth=2
	v_and_b32_e32 v15, s4, v46
	s_delay_alu instid0(VALU_DEP_1) | instskip(NEXT) | instid1(VALU_DEP_1)
	v_bcnt_u32_b32 v15, v15, 0
	v_lshlrev_b32_e32 v15, 3, v15
	s_waitcnt lgkmcnt(0)
	s_delay_alu instid0(VALU_DEP_1)
	v_lshl_add_u32 v14, v14, 3, v15
	ds_store_b64 v14, v[3:4]
	s_branch .LBB103_44
.LBB103_53:                             ;   in Loop: Header=BB103_37 Depth=1
	s_mov_b32 s4, 0
                                        ; implicit-def: $sgpr68_sgpr69
	s_cbranch_execnz .LBB103_58
	s_branch .LBB103_68
.LBB103_54:                             ;   in Loop: Header=BB103_37 Depth=1
	s_mov_b64 s[68:69], 0
	s_and_b32 vcc_lo, exec_lo, s6
	s_cbranch_vccnz .LBB103_58
	s_branch .LBB103_68
.LBB103_55:                             ;   in Loop: Header=BB103_37 Depth=1
	s_or_b32 exec_lo, exec_lo, s7
	s_waitcnt vmcnt(0) lgkmcnt(0)
	s_barrier
	buffer_gl0_inv
	s_and_saveexec_b32 s4, s2
	s_cbranch_execz .LBB103_57
; %bb.56:                               ;   in Loop: Header=BB103_37 Depth=1
	ds_load_b32 v3, v16 offset:5144
	s_waitcnt lgkmcnt(0)
	v_ashrrev_i32_e32 v4, 31, v3
	ds_store_b64 v16, v[3:4] offset:5120
.LBB103_57:                             ;   in Loop: Header=BB103_37 Depth=1
	s_or_b32 exec_lo, exec_lo, s4
	s_waitcnt lgkmcnt(0)
	s_mov_b32 s4, -1
	s_barrier
	s_mov_b64 s[68:69], 0
	s_and_b32 vcc_lo, exec_lo, s6
	s_cbranch_vccz .LBB103_68
.LBB103_58:                             ;   in Loop: Header=BB103_37 Depth=1
	v_mov_b32_e32 v3, 0
	v_mov_b32_e32 v4, 0
	s_and_saveexec_b32 s4, s0
	s_cbranch_execz .LBB103_60
; %bb.59:                               ;   in Loop: Header=BB103_37 Depth=1
	global_load_b64 v[3:4], v[19:20], off
.LBB103_60:                             ;   in Loop: Header=BB103_37 Depth=1
	s_or_b32 exec_lo, exec_lo, s4
	s_and_saveexec_b32 s5, s0
	s_cbranch_execz .LBB103_65
; %bb.61:                               ;   in Loop: Header=BB103_37 Depth=1
	global_load_u16 v11, v16, s[56:57]
	s_mov_b32 s9, 0
	v_mov_b32_e32 v13, v42
	s_waitcnt vmcnt(0)
	v_readfirstlane_b32 s4, v11
	v_and_b32_e32 v14, 0xffff, v11
	s_delay_alu instid0(VALU_DEP_2) | instskip(NEXT) | instid1(SALU_CYCLE_1)
	s_and_b32 s4, 0xffff, s4
	v_add_nc_u32_e32 v12, s4, v0
	s_mul_i32 s7, s61, s4
	s_mul_hi_u32 s8, s60, s4
	s_lshl_b32 s6, s4, 3
	s_add_i32 s7, s8, s7
	v_mad_u64_u32 v[7:8], null, s60, v12, s[58:59]
	s_mul_i32 s8, s60, s4
	s_delay_alu instid0(VALU_DEP_1) | instskip(NEXT) | instid1(VALU_DEP_1)
	v_mad_u64_u32 v[9:10], null, s61, v12, v[8:9]
	v_mov_b32_e32 v8, v9
	v_dual_mov_b32 v10, v1 :: v_dual_mov_b32 v9, v0
	s_set_inst_prefetch_distance 0x1
	s_branch .LBB103_63
	.p2align	6
.LBB103_62:                             ;   in Loop: Header=BB103_63 Depth=2
	s_or_b32 exec_lo, exec_lo, s10
	s_delay_alu instid0(SALU_CYCLE_1)
	s_and_b32 s4, exec_lo, vcc_lo
	v_add_co_u32 v7, vcc_lo, v7, s8
	ds_store_b64 v13, v[3:4]
	s_waitcnt vmcnt(0)
	v_mov_b32_e32 v3, v11
	v_dual_mov_b32 v4, v12 :: v_dual_add_nc_u32 v13, s6, v13
	v_add_co_ci_u32_e32 v8, vcc_lo, s7, v8, vcc_lo
	s_or_b32 s9, s4, s9
	s_delay_alu instid0(SALU_CYCLE_1)
	s_and_not1_b32 exec_lo, exec_lo, s9
	s_cbranch_execz .LBB103_65
.LBB103_63:                             ;   Parent Loop BB103_37 Depth=1
                                        ; =>  This Inner Loop Header: Depth=2
	s_delay_alu instid0(VALU_DEP_1) | instskip(NEXT) | instid1(VALU_DEP_2)
	v_add_co_u32 v9, vcc_lo, v9, v14
	v_add_co_ci_u32_e32 v10, vcc_lo, 0, v10, vcc_lo
	v_mov_b32_e32 v11, 0
	v_mov_b32_e32 v12, 0
	s_mov_b32 s10, exec_lo
	s_delay_alu instid0(VALU_DEP_3)
	v_cmp_le_u64_e32 vcc_lo, s[24:25], v[9:10]
	v_cmpx_gt_u64_e64 s[24:25], v[9:10]
	s_cbranch_execz .LBB103_62
; %bb.64:                               ;   in Loop: Header=BB103_63 Depth=2
	global_load_b64 v[11:12], v[7:8], off
	s_branch .LBB103_62
.LBB103_65:                             ;   in Loop: Header=BB103_37 Depth=1
	s_set_inst_prefetch_distance 0x2
	s_or_b32 exec_lo, exec_lo, s5
	s_waitcnt vmcnt(0) lgkmcnt(0)
	s_barrier
	buffer_gl0_inv
	s_and_saveexec_b32 s4, s2
	s_cbranch_execz .LBB103_67
; %bb.66:                               ;   in Loop: Header=BB103_37 Depth=1
	v_dual_mov_b32 v3, s24 :: v_dual_mov_b32 v4, s25
	ds_store_b64 v16, v[3:4] offset:5120
.LBB103_67:                             ;   in Loop: Header=BB103_37 Depth=1
	s_or_b32 exec_lo, exec_lo, s4
	s_mov_b32 s4, -1
	s_waitcnt lgkmcnt(0)
	s_barrier
                                        ; implicit-def: $sgpr68_sgpr69
.LBB103_68:                             ;   in Loop: Header=BB103_37 Depth=1
	s_and_b32 vcc_lo, exec_lo, s4
	s_cbranch_vccz .LBB103_70
; %bb.69:                               ;   in Loop: Header=BB103_37 Depth=1
	buffer_gl0_inv
	ds_load_b64 v[3:4], v16 offset:5120
	s_waitcnt lgkmcnt(0)
	v_readfirstlane_b32 s68, v3
.LBB103_70:                             ;   in Loop: Header=BB103_37 Depth=1
	s_delay_alu instid0(VALU_DEP_1)
	s_cmp_lt_i32 s68, 1
	s_cbranch_scc0 .LBB103_85
; %bb.71:                               ;   in Loop: Header=BB103_37 Depth=1
	global_load_u16 v3, v16, s[56:57]
	s_mov_b32 s5, s25
	s_waitcnt vmcnt(0)
	v_readfirstlane_b32 s4, v3
	s_delay_alu instid0(VALU_DEP_1)
	s_and_b32 s52, s4, 0xffff
	s_mov_b32 s4, s53
	s_lshl_b32 s54, s52, 2
	s_cmp_lg_u64 s[4:5], 0
	s_cbranch_scc0 .LBB103_105
; %bb.72:                               ;   in Loop: Header=BB103_37 Depth=1
	v_cvt_f32_u32_e32 v3, s54
	s_sub_u32 s6, 0, s54
	s_subb_u32 s7, 0, 0
	s_delay_alu instid0(VALU_DEP_1) | instskip(NEXT) | instid1(VALU_DEP_1)
	v_fmac_f32_e64 v3, 0, 0x4f800000
	v_rcp_f32_e32 v3, v3
	s_waitcnt_depctr 0xfff
	v_mul_f32_e32 v3, 0x5f7ffffc, v3
	s_delay_alu instid0(VALU_DEP_1) | instskip(NEXT) | instid1(VALU_DEP_1)
	v_mul_f32_e32 v4, 0x2f800000, v3
	v_trunc_f32_e32 v4, v4
	s_delay_alu instid0(VALU_DEP_1) | instskip(SKIP_1) | instid1(VALU_DEP_2)
	v_fmac_f32_e32 v3, 0xcf800000, v4
	v_cvt_u32_f32_e32 v4, v4
	v_cvt_u32_f32_e32 v3, v3
	s_delay_alu instid0(VALU_DEP_2) | instskip(NEXT) | instid1(VALU_DEP_2)
	v_readfirstlane_b32 s4, v4
	v_readfirstlane_b32 s5, v3
	s_delay_alu instid0(VALU_DEP_2) | instskip(NEXT) | instid1(VALU_DEP_1)
	s_mul_i32 s8, s6, s4
	s_mul_hi_u32 s10, s6, s5
	s_mul_i32 s9, s7, s5
	s_add_i32 s8, s10, s8
	s_mul_i32 s11, s6, s5
	s_add_i32 s8, s8, s9
	s_mul_hi_u32 s10, s5, s11
	s_mul_hi_u32 s12, s4, s11
	s_mul_i32 s9, s4, s11
	s_mul_hi_u32 s11, s5, s8
	s_mul_i32 s5, s5, s8
	s_mul_hi_u32 s13, s4, s8
	s_add_u32 s5, s10, s5
	s_addc_u32 s10, 0, s11
	s_add_u32 s5, s5, s9
	s_mul_i32 s8, s4, s8
	s_addc_u32 s5, s10, s12
	s_addc_u32 s9, s13, 0
	s_add_u32 s5, s5, s8
	s_addc_u32 s8, 0, s9
	v_add_co_u32 v3, s5, v3, s5
	s_delay_alu instid0(VALU_DEP_1) | instskip(SKIP_1) | instid1(VALU_DEP_1)
	s_cmp_lg_u32 s5, 0
	s_addc_u32 s4, s4, s8
	v_readfirstlane_b32 s5, v3
	s_mul_i32 s8, s6, s4
	s_delay_alu instid0(VALU_DEP_1)
	s_mul_hi_u32 s9, s6, s5
	s_mul_i32 s7, s7, s5
	s_add_i32 s8, s9, s8
	s_mul_i32 s6, s6, s5
	s_add_i32 s8, s8, s7
	s_mul_hi_u32 s9, s4, s6
	s_mul_i32 s10, s4, s6
	s_mul_hi_u32 s6, s5, s6
	s_mul_hi_u32 s11, s5, s8
	s_mul_i32 s5, s5, s8
	s_mul_hi_u32 s7, s4, s8
	s_add_u32 s5, s6, s5
	s_addc_u32 s6, 0, s11
	s_add_u32 s5, s5, s10
	s_mul_i32 s8, s4, s8
	s_addc_u32 s5, s6, s9
	s_addc_u32 s6, s7, 0
	s_add_u32 s5, s5, s8
	s_addc_u32 s6, 0, s6
	v_add_co_u32 v3, s5, v3, s5
	s_delay_alu instid0(VALU_DEP_1) | instskip(SKIP_1) | instid1(VALU_DEP_1)
	s_cmp_lg_u32 s5, 0
	s_addc_u32 s4, s4, s6
	v_readfirstlane_b32 s5, v3
	s_mul_i32 s7, s24, s4
	s_mul_hi_u32 s6, s24, s4
	s_mul_hi_u32 s8, s25, s4
	s_mul_i32 s4, s25, s4
	s_mul_hi_u32 s9, s24, s5
	s_mul_hi_u32 s10, s25, s5
	s_mul_i32 s5, s25, s5
	s_add_u32 s7, s9, s7
	s_addc_u32 s6, 0, s6
	s_add_u32 s5, s7, s5
	s_addc_u32 s5, s6, s10
	s_addc_u32 s6, s8, 0
	s_add_u32 s4, s5, s4
	s_addc_u32 s5, 0, s6
	s_mul_hi_u32 s6, s54, s4
	s_mul_i32 s4, s54, s4
	s_mul_i32 s5, s54, s5
	v_sub_co_u32 v3, s4, s24, s4
	s_add_i32 s6, s6, s5
	s_cmp_lg_u32 s4, 0
	s_delay_alu instid0(VALU_DEP_1) | instskip(SKIP_2) | instid1(VALU_DEP_1)
	v_sub_co_u32 v4, s4, v3, s54
	s_subb_u32 s5, s25, s6
	s_cmp_lg_u32 s4, 0
	v_cmp_le_u32_e32 vcc_lo, s54, v4
	v_sub_co_u32 v7, s4, v4, s54
	s_subb_u32 s6, s5, 0
	s_cmp_lg_u32 s4, 0
	v_cndmask_b32_e64 v8, 0, -1, vcc_lo
	s_subb_u32 s4, s6, 0
	s_cmp_eq_u32 s6, 0
	v_mov_b32_e32 v10, s4
	s_cselect_b32 vcc_lo, -1, 0
	s_cmp_eq_u32 s5, 0
	v_cndmask_b32_e32 v8, -1, v8, vcc_lo
	v_cmp_le_u32_e32 vcc_lo, s54, v3
	s_cselect_b32 s4, -1, 0
	v_cndmask_b32_e64 v9, 0, -1, vcc_lo
	s_delay_alu instid0(VALU_DEP_3) | instskip(NEXT) | instid1(VALU_DEP_2)
	v_cmp_ne_u32_e32 vcc_lo, 0, v8
	v_cndmask_b32_e64 v8, -1, v9, s4
	v_cndmask_b32_e32 v9, s6, v10, vcc_lo
	v_cndmask_b32_e32 v7, v4, v7, vcc_lo
	s_delay_alu instid0(VALU_DEP_3) | instskip(NEXT) | instid1(VALU_DEP_3)
	v_cmp_ne_u32_e32 vcc_lo, 0, v8
	v_cndmask_b32_e32 v4, s5, v9, vcc_lo
	s_delay_alu instid0(VALU_DEP_3)
	v_cndmask_b32_e32 v3, v3, v7, vcc_lo
	s_cbranch_execnz .LBB103_74
.LBB103_73:                             ;   in Loop: Header=BB103_37 Depth=1
	v_cvt_f32_u32_e32 v3, s54
	s_sub_i32 s4, 0, s54
	s_delay_alu instid0(VALU_DEP_1) | instskip(SKIP_2) | instid1(VALU_DEP_1)
	v_rcp_iflag_f32_e32 v3, v3
	s_waitcnt_depctr 0xfff
	v_mul_f32_e32 v3, 0x4f7ffffe, v3
	v_cvt_u32_f32_e32 v3, v3
	s_delay_alu instid0(VALU_DEP_1) | instskip(NEXT) | instid1(VALU_DEP_1)
	v_mul_lo_u32 v4, s4, v3
	v_mul_hi_u32 v4, v3, v4
	s_delay_alu instid0(VALU_DEP_1) | instskip(NEXT) | instid1(VALU_DEP_1)
	v_add_nc_u32_e32 v3, v3, v4
	v_mul_hi_u32 v3, s24, v3
	s_delay_alu instid0(VALU_DEP_1) | instskip(NEXT) | instid1(VALU_DEP_1)
	v_mul_lo_u32 v3, v3, s54
	v_sub_nc_u32_e32 v3, s24, v3
	s_delay_alu instid0(VALU_DEP_1) | instskip(SKIP_1) | instid1(VALU_DEP_2)
	v_subrev_nc_u32_e32 v4, s54, v3
	v_cmp_le_u32_e32 vcc_lo, s54, v3
	v_cndmask_b32_e32 v3, v3, v4, vcc_lo
	s_delay_alu instid0(VALU_DEP_1) | instskip(SKIP_1) | instid1(VALU_DEP_2)
	v_subrev_nc_u32_e32 v4, s54, v3
	v_cmp_le_u32_e32 vcc_lo, s54, v3
	v_cndmask_b32_e32 v15, v3, v4, vcc_lo
	s_delay_alu instid0(VALU_DEP_1)
	v_dual_mov_b32 v3, v15 :: v_dual_mov_b32 v4, v16
.LBB103_74:                             ;   in Loop: Header=BB103_37 Depth=1
	v_mov_b32_e32 v7, 0
	v_mov_b32_e32 v8, 0
	s_delay_alu instid0(VALU_DEP_3) | instskip(NEXT) | instid1(VALU_DEP_4)
	v_sub_co_u32 v3, vcc_lo, s24, v3
	v_sub_co_ci_u32_e32 v4, vcc_lo, s25, v4, vcc_lo
	s_delay_alu instid0(VALU_DEP_3)
	v_dual_mov_b32 v10, v8 :: v_dual_mov_b32 v9, v7
	v_dual_mov_b32 v12, v8 :: v_dual_mov_b32 v11, v7
	;; [unrolled: 1-line block ×3, first 2 shown]
	s_mov_b64 s[70:71], 0
	s_mov_b32 s69, exec_lo
	v_cmpx_gt_u64_e64 v[3:4], v[21:22]
	s_cbranch_execz .LBB103_78
; %bb.75:                               ;   in Loop: Header=BB103_37 Depth=1
	v_dual_mov_b32 v32, v30 :: v_dual_mov_b32 v31, v29
	v_dual_mov_b32 v34, v28 :: v_dual_mov_b32 v33, v27
	;; [unrolled: 1-line block ×5, first 2 shown]
	s_mul_i32 s4, s63, s52
	s_mul_hi_u32 s5, s62, s52
	s_and_b32 s100, s94, 0xfe
	s_add_i32 s101, s5, s4
	s_mul_i32 s102, s62, s52
	s_mov_b32 s103, 0
	s_mov_b64 s[72:73], 0
	s_mov_b64 s[74:75], 0
	;; [unrolled: 1-line block ×3, first 2 shown]
.LBB103_76:                             ;   Parent Loop BB103_37 Depth=1
                                        ; =>  This Inner Loop Header: Depth=2
	v_add_co_u32 v7, vcc_lo, v31, s48
	v_add_co_ci_u32_e32 v8, vcc_lo, s49, v32, vcc_lo
	v_add_co_u32 v9, vcc_lo, v33, s48
	v_add_co_ci_u32_e32 v10, vcc_lo, s49, v34, vcc_lo
	;; [unrolled: 2-line block ×4, first 2 shown]
	global_load_b64 v[7:8], v[7:8], off
	global_load_b64 v[9:10], v[9:10], off
	;; [unrolled: 1-line block ×4, first 2 shown]
	v_mov_b32_e32 v49, v16
	v_mov_b32_e32 v51, v16
	;; [unrolled: 1-line block ×3, first 2 shown]
	v_add_co_u32 v39, vcc_lo, v39, s54
	v_add_co_ci_u32_e32 v40, vcc_lo, 0, v40, vcc_lo
	v_add_co_u32 v37, vcc_lo, v37, s102
	v_add_co_ci_u32_e32 v38, vcc_lo, s101, v38, vcc_lo
	;; [unrolled: 2-line block ×5, first 2 shown]
	v_cmp_ge_u64_e32 vcc_lo, v[39:40], v[3:4]
	s_waitcnt vmcnt(3)
	v_xor_b32_e32 v8, 0x80000000, v8
	s_waitcnt vmcnt(2)
	v_xor_b32_e32 v10, 0x80000000, v10
	s_waitcnt vmcnt(1)
	v_and_b32_e32 v58, s66, v11
	v_xor_b32_e32 v12, 0x80000000, v12
	v_and_b32_e32 v54, s66, v7
	v_and_b32_e32 v55, s67, v8
	v_lshrrev_b64 v[7:8], s100, v[7:8]
	s_waitcnt vmcnt(0)
	v_xor_b32_e32 v14, 0x80000000, v14
	v_and_b32_e32 v56, s66, v9
	v_lshrrev_b64 v[8:9], s100, v[9:10]
	v_and_b32_e32 v57, s67, v10
	v_lshrrev_b64 v[9:10], s100, v[11:12]
	v_lshrrev_b64 v[10:11], s100, v[13:14]
	v_and_b32_e32 v15, 3, v7
	v_and_b32_e32 v59, s67, v12
	;; [unrolled: 1-line block ×3, first 2 shown]
	v_cmp_eq_u64_e64 s4, s[64:65], v[54:55]
	v_and_b32_e32 v50, 3, v9
	v_cmp_eq_u64_e64 s8, 0, v[15:16]
	v_and_b32_e32 v60, s66, v13
	v_and_b32_e32 v61, s67, v14
	;; [unrolled: 1-line block ×3, first 2 shown]
	v_cmp_eq_u64_e64 s5, s[64:65], v[56:57]
	v_cmp_eq_u64_e64 s9, 0, v[48:49]
	;; [unrolled: 1-line block ×6, first 2 shown]
	s_and_b32 s8, s4, s8
	v_cmp_eq_u64_e64 s12, 1, v[15:16]
	v_cndmask_b32_e64 v7, 0, 1, s8
	s_and_b32 s8, s5, s9
	v_cmp_eq_u64_e64 s13, 1, v[48:49]
	v_cndmask_b32_e64 v8, 0, 1, s8
	;; [unrolled: 3-line block ×3, first 2 shown]
	s_and_b32 s8, s7, s11
	v_cmp_ne_u32_e64 s9, 0, v8
	v_cndmask_b32_e64 v10, 0, 1, s8
	v_cmp_ne_u32_e64 s8, 0, v7
	v_cmp_ne_u32_e64 s10, 0, v9
	v_cmp_eq_u64_e64 s15, 1, v[52:53]
	s_bcnt1_i32_b32 s9, s9
	v_cmp_ne_u32_e64 s11, 0, v10
	s_bcnt1_i32_b32 s8, s8
	s_bcnt1_i32_b32 s10, s10
	s_add_i32 s8, s9, s8
	v_cmp_eq_u64_e64 s16, 2, v[15:16]
	s_bcnt1_i32_b32 s11, s11
	s_add_i32 s8, s8, s10
	v_cmp_eq_u64_e64 s17, 2, v[48:49]
	s_add_i32 s8, s8, s11
	v_cmp_eq_u64_e64 s18, 2, v[50:51]
	s_add_u32 s76, s76, s8
	s_addc_u32 s77, s77, 0
	s_and_b32 s8, s4, s12
	v_cmp_eq_u64_e64 s19, 2, v[52:53]
	v_cndmask_b32_e64 v7, 0, 1, s8
	s_and_b32 s8, s5, s13
	v_cmp_eq_u64_e64 s20, 3, v[15:16]
	v_cndmask_b32_e64 v8, 0, 1, s8
	;; [unrolled: 3-line block ×3, first 2 shown]
	s_and_b32 s8, s7, s15
	v_cmp_ne_u32_e64 s9, 0, v8
	v_cndmask_b32_e64 v10, 0, 1, s8
	v_cmp_ne_u32_e64 s8, 0, v7
	v_cmp_ne_u32_e64 s10, 0, v9
	v_cmp_eq_u64_e64 s23, 3, v[52:53]
	s_bcnt1_i32_b32 s9, s9
	v_cmp_ne_u32_e64 s11, 0, v10
	s_bcnt1_i32_b32 s8, s8
	s_bcnt1_i32_b32 s10, s10
	s_add_i32 s8, s9, s8
	s_delay_alu instid0(VALU_DEP_1) | instskip(SKIP_1) | instid1(SALU_CYCLE_1)
	s_bcnt1_i32_b32 s11, s11
	s_add_i32 s8, s8, s10
	s_add_i32 s8, s8, s11
	s_delay_alu instid0(SALU_CYCLE_1) | instskip(SKIP_2) | instid1(SALU_CYCLE_1)
	s_add_u32 s74, s74, s8
	s_addc_u32 s75, s75, 0
	s_and_b32 s8, s4, s16
	v_cndmask_b32_e64 v7, 0, 1, s8
	s_and_b32 s8, s5, s17
	s_delay_alu instid0(SALU_CYCLE_1) | instskip(SKIP_1) | instid1(SALU_CYCLE_1)
	v_cndmask_b32_e64 v8, 0, 1, s8
	s_and_b32 s8, s6, s18
	v_cndmask_b32_e64 v9, 0, 1, s8
	s_and_b32 s8, s7, s19
	s_delay_alu instid0(VALU_DEP_2) | instskip(SKIP_3) | instid1(VALU_DEP_4)
	v_cmp_ne_u32_e64 s9, 0, v8
	v_cndmask_b32_e64 v10, 0, 1, s8
	v_cmp_ne_u32_e64 s8, 0, v7
	v_cmp_ne_u32_e64 s10, 0, v9
	s_bcnt1_i32_b32 s9, s9
	s_delay_alu instid0(VALU_DEP_3) | instskip(NEXT) | instid1(VALU_DEP_3)
	v_cmp_ne_u32_e64 s11, 0, v10
	s_bcnt1_i32_b32 s8, s8
	s_delay_alu instid0(VALU_DEP_2) | instskip(SKIP_1) | instid1(VALU_DEP_1)
	s_bcnt1_i32_b32 s10, s10
	s_add_i32 s8, s9, s8
	s_bcnt1_i32_b32 s11, s11
	s_add_i32 s8, s8, s10
	s_delay_alu instid0(SALU_CYCLE_1) | instskip(NEXT) | instid1(SALU_CYCLE_1)
	s_add_i32 s8, s8, s11
	s_add_u32 s72, s72, s8
	s_addc_u32 s73, s73, 0
	v_mov_b32_e32 v11, s72
	v_cmp_eq_u64_e64 s22, 3, v[50:51]
	s_and_b32 s4, s4, s20
	v_mov_b32_e32 v12, s73
	v_cndmask_b32_e64 v7, 0, 1, s4
	s_and_b32 s4, s5, s21
	s_delay_alu instid0(SALU_CYCLE_1) | instskip(SKIP_1) | instid1(SALU_CYCLE_1)
	v_cndmask_b32_e64 v8, 0, 1, s4
	s_and_b32 s4, s6, s22
	v_cndmask_b32_e64 v9, 0, 1, s4
	s_and_b32 s4, s7, s23
	s_delay_alu instid0(VALU_DEP_2)
	v_cmp_ne_u32_e64 s5, 0, v8
	v_cndmask_b32_e64 v10, 0, 1, s4
	v_cmp_ne_u32_e64 s4, 0, v7
	v_cmp_ne_u32_e64 s6, 0, v9
	v_mov_b32_e32 v7, s76
	s_bcnt1_i32_b32 s5, s5
	v_cmp_ne_u32_e64 s7, 0, v10
	s_bcnt1_i32_b32 s4, s4
	s_bcnt1_i32_b32 s6, s6
	s_add_i32 s4, s5, s4
	v_mov_b32_e32 v9, s74
	s_bcnt1_i32_b32 s5, s7
	s_add_i32 s4, s4, s6
	v_mov_b32_e32 v8, s77
	s_add_i32 s4, s4, s5
	v_mov_b32_e32 v10, s75
	s_add_u32 s70, s70, s4
	s_addc_u32 s71, s71, 0
	s_delay_alu instid0(SALU_CYCLE_1) | instskip(SKIP_1) | instid1(SALU_CYCLE_1)
	v_dual_mov_b32 v13, s70 :: v_dual_mov_b32 v14, s71
	s_or_b32 s103, vcc_lo, s103
	s_and_not1_b32 exec_lo, exec_lo, s103
	s_cbranch_execnz .LBB103_76
; %bb.77:                               ;   in Loop: Header=BB103_37 Depth=1
	s_or_b32 exec_lo, exec_lo, s103
.LBB103_78:                             ;   in Loop: Header=BB103_37 Depth=1
	s_delay_alu instid0(SALU_CYCLE_1) | instskip(SKIP_4) | instid1(VALU_DEP_3)
	s_or_b32 exec_lo, exec_lo, s69
	v_add_co_u32 v3, vcc_lo, v3, v0
	v_add_co_ci_u32_e32 v4, vcc_lo, 0, v4, vcc_lo
	v_mov_b32_e32 v33, 0
	v_mov_b32_e32 v34, 0
	v_cmp_gt_u64_e32 vcc_lo, s[24:25], v[3:4]
	s_and_saveexec_b32 s5, vcc_lo
	s_cbranch_execz .LBB103_80
; %bb.79:                               ;   in Loop: Header=BB103_37 Depth=1
	v_mul_lo_u32 v15, v4, s28
	v_mul_lo_u32 v33, v3, s29
	v_mad_u64_u32 v[31:32], null, v3, s28, 0
	s_delay_alu instid0(VALU_DEP_1) | instskip(NEXT) | instid1(VALU_DEP_1)
	v_add3_u32 v32, v32, v33, v15
	v_lshlrev_b64 v[31:32], 3, v[31:32]
	s_delay_alu instid0(VALU_DEP_1) | instskip(NEXT) | instid1(VALU_DEP_1)
	v_add_co_u32 v31, s4, s78, v31
	v_add_co_ci_u32_e64 v32, s4, s79, v32, s4
	global_load_b64 v[33:34], v[31:32], off
.LBB103_80:                             ;   in Loop: Header=BB103_37 Depth=1
	s_or_b32 exec_lo, exec_lo, s5
	s_and_saveexec_b32 s8, vcc_lo
	s_cbranch_execz .LBB103_87
; %bb.81:                               ;   in Loop: Header=BB103_37 Depth=1
	s_and_b32 s9, s94, 0xfe
	s_mov_b32 s10, 0
	s_branch .LBB103_83
.LBB103_82:                             ;   in Loop: Header=BB103_83 Depth=2
	s_or_b32 exec_lo, exec_lo, s5
	s_waitcnt vmcnt(0)
	v_xor_b32_e32 v34, 0x80000000, v34
	s_and_b32 s6, exec_lo, vcc_lo
	s_delay_alu instid0(SALU_CYCLE_1) | instskip(NEXT) | instid1(VALU_DEP_1)
	s_or_b32 s10, s6, s10
	v_lshrrev_b64 v[35:36], s9, v[33:34]
	v_and_b32_e32 v33, s66, v33
	v_and_b32_e32 v34, s67, v34
	s_delay_alu instid0(VALU_DEP_3) | instskip(NEXT) | instid1(VALU_DEP_2)
	v_and_b32_e32 v15, 3, v35
	v_cmp_eq_u64_e64 s4, s[64:65], v[33:34]
	s_delay_alu instid0(VALU_DEP_2) | instskip(SKIP_3) | instid1(VALU_DEP_4)
	v_cmp_eq_u64_e64 s5, 0, v[15:16]
	v_cmp_eq_u64_e32 vcc_lo, 1, v[15:16]
	v_cmp_eq_u64_e64 s6, 2, v[15:16]
	v_cmp_eq_u64_e64 s7, 3, v[15:16]
	s_and_b32 s5, s4, s5
	s_delay_alu instid0(SALU_CYCLE_1) | instskip(SKIP_1) | instid1(SALU_CYCLE_1)
	v_cndmask_b32_e64 v15, 0, 1, s5
	s_and_b32 s5, s4, vcc_lo
	v_cndmask_b32_e64 v33, 0, 1, s5
	s_and_b32 s5, s4, s6
	s_delay_alu instid0(VALU_DEP_2) | instskip(SKIP_2) | instid1(SALU_CYCLE_1)
	v_cmp_ne_u32_e32 vcc_lo, 0, v15
	v_cndmask_b32_e64 v34, 0, 1, s5
	s_and_b32 s4, s4, s7
	v_cndmask_b32_e64 v35, 0, 1, s4
	v_cmp_ne_u32_e64 s4, 0, v33
	s_bcnt1_i32_b32 s7, vcc_lo
	v_cmp_ne_u32_e64 s5, 0, v34
	v_mov_b32_e32 v34, v32
	v_add_co_u32 v7, vcc_lo, v7, s7
	s_bcnt1_i32_b32 s4, s4
	v_cmp_ne_u32_e64 s6, 0, v35
	v_add_co_ci_u32_e32 v8, vcc_lo, 0, v8, vcc_lo
	v_add_co_u32 v9, vcc_lo, v9, s4
	s_bcnt1_i32_b32 s5, s5
	v_add_co_ci_u32_e32 v10, vcc_lo, 0, v10, vcc_lo
	v_add_co_u32 v11, vcc_lo, v11, s5
	s_bcnt1_i32_b32 s4, s6
	v_add_co_ci_u32_e32 v12, vcc_lo, 0, v12, vcc_lo
	v_add_co_u32 v13, vcc_lo, v13, s4
	v_add_co_ci_u32_e32 v14, vcc_lo, 0, v14, vcc_lo
	v_mov_b32_e32 v33, v31
	s_and_not1_b32 exec_lo, exec_lo, s10
	s_cbranch_execz .LBB103_86
.LBB103_83:                             ;   Parent Loop BB103_37 Depth=1
                                        ; =>  This Inner Loop Header: Depth=2
	v_add_co_u32 v3, vcc_lo, v3, s52
	v_add_co_ci_u32_e32 v4, vcc_lo, 0, v4, vcc_lo
	v_mov_b32_e32 v31, 0
	v_mov_b32_e32 v32, 0
	s_mov_b32 s5, exec_lo
	s_delay_alu instid0(VALU_DEP_3)
	v_cmp_le_u64_e32 vcc_lo, s[24:25], v[3:4]
	v_cmpx_gt_u64_e64 s[24:25], v[3:4]
	s_cbranch_execz .LBB103_82
; %bb.84:                               ;   in Loop: Header=BB103_83 Depth=2
	v_mul_lo_u32 v15, v4, s28
	v_mul_lo_u32 v35, v3, s29
	v_mad_u64_u32 v[31:32], null, v3, s28, 0
	s_delay_alu instid0(VALU_DEP_1) | instskip(NEXT) | instid1(VALU_DEP_1)
	v_add3_u32 v32, v32, v35, v15
	v_lshlrev_b64 v[31:32], 3, v[31:32]
	s_delay_alu instid0(VALU_DEP_1) | instskip(NEXT) | instid1(VALU_DEP_1)
	v_add_co_u32 v31, s4, s78, v31
	v_add_co_ci_u32_e64 v32, s4, s79, v32, s4
	global_load_b64 v[31:32], v[31:32], off
	s_branch .LBB103_82
.LBB103_85:                             ;   in Loop: Header=BB103_37 Depth=1
                                        ; implicit-def: $vgpr13_vgpr14
                                        ; implicit-def: $vgpr9_vgpr10
	s_cbranch_execnz .LBB103_88
	s_branch .LBB103_97
.LBB103_86:                             ;   in Loop: Header=BB103_37 Depth=1
	s_or_b32 exec_lo, exec_lo, s10
.LBB103_87:                             ;   in Loop: Header=BB103_37 Depth=1
	s_delay_alu instid0(SALU_CYCLE_1)
	s_or_b32 exec_lo, exec_lo, s8
	s_branch .LBB103_97
.LBB103_88:                             ;   in Loop: Header=BB103_37 Depth=1
	global_load_u16 v3, v16, s[56:57]
	s_mov_b64 s[70:71], 0
	s_mov_b32 s69, exec_lo
	v_mov_b32_e32 v7, 0
	s_waitcnt vmcnt(0)
	v_dual_mov_b32 v8, 0 :: v_dual_and_b32 v31, 0xffff, v3
	v_readfirstlane_b32 s4, v3
	s_delay_alu instid0(VALU_DEP_2) | instskip(SKIP_1) | instid1(VALU_DEP_3)
	v_dual_mov_b32 v10, v8 :: v_dual_mov_b32 v9, v7
	v_dual_mov_b32 v12, v8 :: v_dual_mov_b32 v11, v7
	s_and_b32 s4, 0xffff, s4
	v_dual_mov_b32 v14, v8 :: v_dual_mov_b32 v13, v7
	s_lshl_b32 s54, s4, 2
	s_delay_alu instid0(SALU_CYCLE_1) | instskip(SKIP_1) | instid1(VALU_DEP_1)
	v_cvt_f32_u32_e32 v4, s54
	s_sub_i32 s5, 0, s54
	v_rcp_iflag_f32_e32 v4, v4
	s_waitcnt_depctr 0xfff
	v_mul_f32_e32 v4, 0x4f7ffffe, v4
	s_delay_alu instid0(VALU_DEP_1) | instskip(NEXT) | instid1(VALU_DEP_1)
	v_cvt_u32_f32_e32 v4, v4
	v_readfirstlane_b32 s4, v4
	s_delay_alu instid0(VALU_DEP_1) | instskip(NEXT) | instid1(SALU_CYCLE_1)
	s_mul_i32 s5, s5, s4
	s_mul_hi_u32 s5, s4, s5
	s_delay_alu instid0(SALU_CYCLE_1) | instskip(NEXT) | instid1(SALU_CYCLE_1)
	s_add_i32 s4, s4, s5
	s_mul_hi_u32 s4, s68, s4
	s_delay_alu instid0(SALU_CYCLE_1) | instskip(NEXT) | instid1(SALU_CYCLE_1)
	s_mul_i32 s4, s4, s54
	s_sub_i32 s4, s68, s4
	s_delay_alu instid0(SALU_CYCLE_1) | instskip(SKIP_2) | instid1(SALU_CYCLE_1)
	s_sub_i32 s5, s4, s54
	s_cmp_ge_u32 s4, s54
	s_cselect_b32 s4, s5, s4
	s_sub_i32 s5, s4, s54
	s_cmp_ge_u32 s4, s54
	s_cselect_b32 s4, s5, s4
	s_delay_alu instid0(SALU_CYCLE_1) | instskip(NEXT) | instid1(SALU_CYCLE_1)
	s_sub_i32 s52, s68, s4
	v_cmpx_gt_u32_e64 s52, v21
	s_cbranch_execz .LBB103_92
; %bb.89:                               ;   in Loop: Header=BB103_37 Depth=1
	v_dual_mov_b32 v33, v45 :: v_dual_lshlrev_b32 v32, 5, v31
	v_dual_mov_b32 v3, v21 :: v_dual_mov_b32 v4, v22
	s_and_b32 s100, s94, 0xfe
	s_mov_b32 s101, 0
	s_mov_b64 s[72:73], 0
	s_mov_b64 s[74:75], 0
	s_mov_b64 s[76:77], 0
.LBB103_90:                             ;   Parent Loop BB103_37 Depth=1
                                        ; =>  This Inner Loop Header: Depth=2
	ds_load_b128 v[7:10], v33
	ds_load_b128 v[11:14], v33 offset:16
	v_mov_b32_e32 v35, v16
	v_mov_b32_e32 v37, v16
	v_mov_b32_e32 v39, v16
	v_add_co_u32 v3, vcc_lo, v3, s54
	v_add_co_ci_u32_e32 v4, vcc_lo, 0, v4, vcc_lo
	s_delay_alu instid0(VALU_DEP_1)
	v_cmp_le_u64_e32 vcc_lo, s[52:53], v[3:4]
	s_waitcnt lgkmcnt(1)
	v_xor_b32_e32 v8, 0x80000000, v8
	s_waitcnt lgkmcnt(0)
	v_and_b32_e32 v52, s66, v11
	v_xor_b32_e32 v10, 0x80000000, v10
	v_xor_b32_e32 v12, 0x80000000, v12
	v_and_b32_e32 v48, s66, v7
	v_and_b32_e32 v49, s67, v8
	v_lshrrev_b64 v[7:8], s100, v[7:8]
	v_xor_b32_e32 v14, 0x80000000, v14
	v_and_b32_e32 v50, s66, v9
	v_lshrrev_b64 v[8:9], s100, v[9:10]
	v_and_b32_e32 v51, s67, v10
	v_lshrrev_b64 v[9:10], s100, v[11:12]
	v_lshrrev_b64 v[10:11], s100, v[13:14]
	v_and_b32_e32 v15, 3, v7
	v_and_b32_e32 v53, s67, v12
	;; [unrolled: 1-line block ×3, first 2 shown]
	v_cmp_eq_u64_e64 s4, s[64:65], v[48:49]
	v_and_b32_e32 v36, 3, v9
	v_cmp_eq_u64_e64 s8, 0, v[15:16]
	v_and_b32_e32 v54, s66, v13
	v_and_b32_e32 v55, s67, v14
	;; [unrolled: 1-line block ×3, first 2 shown]
	v_cmp_eq_u64_e64 s5, s[64:65], v[50:51]
	v_cmp_eq_u64_e64 s9, 0, v[34:35]
	;; [unrolled: 1-line block ×6, first 2 shown]
	s_and_b32 s8, s4, s8
	v_cmp_eq_u64_e64 s12, 1, v[15:16]
	v_cndmask_b32_e64 v7, 0, 1, s8
	s_and_b32 s8, s5, s9
	v_cmp_eq_u64_e64 s13, 1, v[34:35]
	v_cndmask_b32_e64 v8, 0, 1, s8
	;; [unrolled: 3-line block ×3, first 2 shown]
	s_and_b32 s8, s7, s11
	v_cmp_ne_u32_e64 s9, 0, v8
	v_cndmask_b32_e64 v10, 0, 1, s8
	v_cmp_ne_u32_e64 s8, 0, v7
	v_cmp_ne_u32_e64 s10, 0, v9
	v_cmp_eq_u64_e64 s15, 1, v[38:39]
	s_bcnt1_i32_b32 s9, s9
	v_cmp_ne_u32_e64 s11, 0, v10
	s_bcnt1_i32_b32 s8, s8
	s_bcnt1_i32_b32 s10, s10
	s_add_i32 s8, s9, s8
	v_cmp_eq_u64_e64 s16, 2, v[15:16]
	s_bcnt1_i32_b32 s11, s11
	s_add_i32 s8, s8, s10
	v_cmp_eq_u64_e64 s17, 2, v[34:35]
	s_add_i32 s8, s8, s11
	v_cmp_eq_u64_e64 s18, 2, v[36:37]
	s_add_u32 s76, s76, s8
	s_addc_u32 s77, s77, 0
	s_and_b32 s8, s4, s12
	v_cmp_eq_u64_e64 s19, 2, v[38:39]
	v_cndmask_b32_e64 v7, 0, 1, s8
	s_and_b32 s8, s5, s13
	v_cmp_eq_u64_e64 s20, 3, v[15:16]
	v_cndmask_b32_e64 v8, 0, 1, s8
	;; [unrolled: 3-line block ×3, first 2 shown]
	s_and_b32 s8, s7, s15
	v_cmp_ne_u32_e64 s9, 0, v8
	v_cndmask_b32_e64 v10, 0, 1, s8
	v_cmp_ne_u32_e64 s8, 0, v7
	v_cmp_ne_u32_e64 s10, 0, v9
	v_cmp_eq_u64_e64 s23, 3, v[38:39]
	s_bcnt1_i32_b32 s9, s9
	v_cmp_ne_u32_e64 s11, 0, v10
	s_bcnt1_i32_b32 s8, s8
	s_bcnt1_i32_b32 s10, s10
	s_add_i32 s8, s9, s8
	v_add_nc_u32_e32 v33, v33, v32
	s_bcnt1_i32_b32 s11, s11
	s_add_i32 s8, s8, s10
	s_delay_alu instid0(SALU_CYCLE_1) | instskip(NEXT) | instid1(SALU_CYCLE_1)
	s_add_i32 s8, s8, s11
	s_add_u32 s74, s74, s8
	s_addc_u32 s75, s75, 0
	s_and_b32 s8, s4, s16
	s_delay_alu instid0(SALU_CYCLE_1) | instskip(SKIP_1) | instid1(SALU_CYCLE_1)
	v_cndmask_b32_e64 v7, 0, 1, s8
	s_and_b32 s8, s5, s17
	v_cndmask_b32_e64 v8, 0, 1, s8
	s_and_b32 s8, s6, s18
	s_delay_alu instid0(SALU_CYCLE_1) | instskip(SKIP_1) | instid1(VALU_DEP_2)
	v_cndmask_b32_e64 v9, 0, 1, s8
	s_and_b32 s8, s7, s19
	v_cmp_ne_u32_e64 s9, 0, v8
	v_cndmask_b32_e64 v10, 0, 1, s8
	v_cmp_ne_u32_e64 s8, 0, v7
	v_cmp_ne_u32_e64 s10, 0, v9
	s_delay_alu instid0(VALU_DEP_4) | instskip(NEXT) | instid1(VALU_DEP_3)
	s_bcnt1_i32_b32 s9, s9
	v_cmp_ne_u32_e64 s11, 0, v10
	s_delay_alu instid0(VALU_DEP_3) | instskip(NEXT) | instid1(VALU_DEP_2)
	s_bcnt1_i32_b32 s8, s8
	s_bcnt1_i32_b32 s10, s10
	s_add_i32 s8, s9, s8
	s_delay_alu instid0(VALU_DEP_1) | instskip(SKIP_1) | instid1(SALU_CYCLE_1)
	s_bcnt1_i32_b32 s11, s11
	s_add_i32 s8, s8, s10
	s_add_i32 s8, s8, s11
	s_delay_alu instid0(SALU_CYCLE_1)
	s_add_u32 s72, s72, s8
	s_addc_u32 s73, s73, 0
	v_mov_b32_e32 v11, s72
	v_cmp_eq_u64_e64 s22, 3, v[36:37]
	s_and_b32 s4, s4, s20
	v_mov_b32_e32 v12, s73
	v_cndmask_b32_e64 v7, 0, 1, s4
	s_and_b32 s4, s5, s21
	s_delay_alu instid0(SALU_CYCLE_1) | instskip(SKIP_1) | instid1(SALU_CYCLE_1)
	v_cndmask_b32_e64 v8, 0, 1, s4
	s_and_b32 s4, s6, s22
	v_cndmask_b32_e64 v9, 0, 1, s4
	s_and_b32 s4, s7, s23
	s_delay_alu instid0(VALU_DEP_2) | instskip(SKIP_4) | instid1(VALU_DEP_4)
	v_cmp_ne_u32_e64 s5, 0, v8
	v_cndmask_b32_e64 v10, 0, 1, s4
	v_cmp_ne_u32_e64 s4, 0, v7
	v_cmp_ne_u32_e64 s6, 0, v9
	v_dual_mov_b32 v7, s76 :: v_dual_mov_b32 v8, s77
	v_cmp_ne_u32_e64 s7, 0, v10
	s_delay_alu instid0(VALU_DEP_4)
	s_bcnt1_i32_b32 s4, s4
	s_bcnt1_i32_b32 s5, s5
	;; [unrolled: 1-line block ×3, first 2 shown]
	s_add_i32 s4, s5, s4
	s_bcnt1_i32_b32 s5, s7
	s_add_i32 s4, s4, s6
	v_mov_b32_e32 v9, s74
	s_add_i32 s4, s4, s5
	v_mov_b32_e32 v10, s75
	s_add_u32 s70, s70, s4
	s_addc_u32 s71, s71, 0
	s_delay_alu instid0(SALU_CYCLE_1) | instskip(SKIP_1) | instid1(SALU_CYCLE_1)
	v_dual_mov_b32 v13, s70 :: v_dual_mov_b32 v14, s71
	s_or_b32 s101, vcc_lo, s101
	s_and_not1_b32 exec_lo, exec_lo, s101
	s_cbranch_execnz .LBB103_90
; %bb.91:                               ;   in Loop: Header=BB103_37 Depth=1
	s_or_b32 exec_lo, exec_lo, s101
.LBB103_92:                             ;   in Loop: Header=BB103_37 Depth=1
	s_delay_alu instid0(SALU_CYCLE_1) | instskip(SKIP_2) | instid1(VALU_DEP_1)
	s_or_b32 exec_lo, exec_lo, s69
	v_add_nc_u32_e32 v15, s52, v0
	s_mov_b32 s9, exec_lo
	v_cmpx_gt_u32_e64 s68, v15
	s_cbranch_execz .LBB103_96
; %bb.93:                               ;   in Loop: Header=BB103_37 Depth=1
	v_dual_mov_b32 v3, v15 :: v_dual_lshlrev_b32 v32, 3, v15
	v_dual_mov_b32 v4, v16 :: v_dual_lshlrev_b32 v33, 3, v31
	s_mov_b32 s11, 0
	s_and_b32 s10, s68, 0x7fffffff
	s_and_b32 s13, s94, 0xfe
	s_mov_b32 s12, s11
.LBB103_94:                             ;   Parent Loop BB103_37 Depth=1
                                        ; =>  This Inner Loop Header: Depth=2
	ds_load_b64 v[34:35], v32
	v_add_co_u32 v3, vcc_lo, v3, v31
	v_add_co_ci_u32_e32 v4, vcc_lo, 0, v4, vcc_lo
	v_add_nc_u32_e32 v32, v32, v33
	s_delay_alu instid0(VALU_DEP_2) | instskip(SKIP_3) | instid1(VALU_DEP_2)
	v_cmp_le_u64_e32 vcc_lo, s[10:11], v[3:4]
	s_waitcnt lgkmcnt(0)
	v_xor_b32_e32 v35, 0x80000000, v35
	v_and_b32_e32 v36, s66, v34
	v_and_b32_e32 v37, s67, v35
	v_lshrrev_b64 v[34:35], s13, v[34:35]
	s_delay_alu instid0(VALU_DEP_2) | instskip(NEXT) | instid1(VALU_DEP_2)
	v_cmp_eq_u64_e64 s4, s[64:65], v[36:37]
	v_and_b32_e32 v15, 3, v34
	s_delay_alu instid0(VALU_DEP_1) | instskip(SKIP_3) | instid1(VALU_DEP_4)
	v_cmp_eq_u64_e64 s5, 0, v[15:16]
	v_cmp_eq_u64_e64 s6, 1, v[15:16]
	;; [unrolled: 1-line block ×4, first 2 shown]
	s_and_b32 s5, s4, s5
	s_delay_alu instid0(SALU_CYCLE_1) | instskip(NEXT) | instid1(VALU_DEP_4)
	v_cndmask_b32_e64 v15, 0, 1, s5
	s_and_b32 s5, s4, s6
	s_delay_alu instid0(SALU_CYCLE_1)
	v_cndmask_b32_e64 v34, 0, 1, s5
	s_and_b32 s5, s4, s7
	s_and_b32 s4, s4, s8
	v_cndmask_b32_e64 v35, 0, 1, s5
	v_cndmask_b32_e64 v36, 0, 1, s4
	v_cmp_ne_u32_e64 s4, 0, v15
	v_cmp_ne_u32_e64 s5, 0, v34
	s_delay_alu instid0(VALU_DEP_4) | instskip(NEXT) | instid1(VALU_DEP_4)
	v_cmp_ne_u32_e64 s6, 0, v35
	v_cmp_ne_u32_e64 s7, 0, v36
	s_delay_alu instid0(VALU_DEP_4) | instskip(NEXT) | instid1(VALU_DEP_3)
	s_bcnt1_i32_b32 s4, s4
	s_bcnt1_i32_b32 s5, s5
	v_add_co_u32 v7, s4, v7, s4
	s_delay_alu instid0(VALU_DEP_1)
	v_add_co_ci_u32_e64 v8, s4, 0, v8, s4
	v_add_co_u32 v9, s4, v9, s5
	s_bcnt1_i32_b32 s6, s6
	v_add_co_ci_u32_e64 v10, s4, 0, v10, s4
	v_add_co_u32 v11, s4, v11, s6
	s_bcnt1_i32_b32 s7, s7
	v_add_co_ci_u32_e64 v12, s4, 0, v12, s4
	v_add_co_u32 v13, s4, v13, s7
	s_delay_alu instid0(VALU_DEP_1) | instskip(SKIP_1) | instid1(SALU_CYCLE_1)
	v_add_co_ci_u32_e64 v14, s4, 0, v14, s4
	s_or_b32 s12, vcc_lo, s12
	s_and_not1_b32 exec_lo, exec_lo, s12
	s_cbranch_execnz .LBB103_94
; %bb.95:                               ;   in Loop: Header=BB103_37 Depth=1
	s_or_b32 exec_lo, exec_lo, s12
.LBB103_96:                             ;   in Loop: Header=BB103_37 Depth=1
	s_delay_alu instid0(SALU_CYCLE_1)
	s_or_b32 exec_lo, exec_lo, s9
.LBB103_97:                             ;   in Loop: Header=BB103_37 Depth=1
	s_lshl_b32 s4, s98, 7
	s_and_saveexec_b32 s5, s1
	s_cbranch_execz .LBB103_99
; %bb.98:                               ;   in Loop: Header=BB103_37 Depth=1
	v_or_b32_e32 v3, s4, v44
	s_delay_alu instid0(VALU_DEP_1)
	v_lshlrev_b32_e32 v3, 3, v3
	ds_store_b128 v3, v[7:10] offset:3072
	ds_store_b128 v3, v[11:14] offset:3088
.LBB103_99:                             ;   in Loop: Header=BB103_37 Depth=1
	s_or_b32 exec_lo, exec_lo, s5
	s_waitcnt vmcnt(0) lgkmcnt(0)
	s_barrier
	buffer_gl0_inv
	s_and_saveexec_b32 s5, s80
	s_cbranch_execz .LBB103_110
; %bb.100:                              ;   in Loop: Header=BB103_37 Depth=1
	v_mov_b32_e32 v3, 0
	v_mov_b32_e32 v4, 0
	s_and_not1_b32 vcc_lo, exec_lo, s88
	s_cbranch_vccnz .LBB103_109
; %bb.101:                              ;   in Loop: Header=BB103_37 Depth=1
	v_mov_b32_e32 v3, 0
	v_mov_b32_e32 v4, 0
	s_and_not1_b32 vcc_lo, exec_lo, s86
	s_cbranch_vccnz .LBB103_106
; %bb.102:                              ;   in Loop: Header=BB103_37 Depth=1
	v_lshl_add_u32 v7, s98, 10, v47
	s_mov_b32 s6, 0
	s_set_inst_prefetch_distance 0x1
	.p2align	6
.LBB103_103:                            ;   Parent Loop BB103_37 Depth=1
                                        ; =>  This Inner Loop Header: Depth=2
	ds_load_2addr_b64 v[8:11], v7 offset1:4
	ds_load_2addr_b64 v[12:15], v7 offset0:8 offset1:12
	ds_load_2addr_b64 v[31:34], v7 offset0:16 offset1:20
	s_add_i32 s6, s6, 8
	s_delay_alu instid0(SALU_CYCLE_1) | instskip(SKIP_3) | instid1(VALU_DEP_2)
	s_cmp_eq_u32 s87, s6
	s_waitcnt lgkmcnt(2)
	v_add_co_u32 v3, vcc_lo, v8, v3
	v_add_co_ci_u32_e32 v4, vcc_lo, v9, v4, vcc_lo
	v_add_co_u32 v3, vcc_lo, v10, v3
	s_delay_alu instid0(VALU_DEP_2)
	v_add_co_ci_u32_e32 v4, vcc_lo, v11, v4, vcc_lo
	ds_load_2addr_b64 v[8:11], v7 offset0:24 offset1:28
	s_waitcnt lgkmcnt(2)
	v_add_co_u32 v3, vcc_lo, v12, v3
	v_add_co_ci_u32_e32 v4, vcc_lo, v13, v4, vcc_lo
	v_add_nc_u32_e32 v7, 0x100, v7
	s_delay_alu instid0(VALU_DEP_3) | instskip(NEXT) | instid1(VALU_DEP_3)
	v_add_co_u32 v3, vcc_lo, v14, v3
	v_add_co_ci_u32_e32 v4, vcc_lo, v15, v4, vcc_lo
	s_waitcnt lgkmcnt(1)
	s_delay_alu instid0(VALU_DEP_2) | instskip(NEXT) | instid1(VALU_DEP_2)
	v_add_co_u32 v3, vcc_lo, v31, v3
	v_add_co_ci_u32_e32 v4, vcc_lo, v32, v4, vcc_lo
	s_delay_alu instid0(VALU_DEP_2) | instskip(NEXT) | instid1(VALU_DEP_2)
	v_add_co_u32 v3, vcc_lo, v33, v3
	v_add_co_ci_u32_e32 v4, vcc_lo, v34, v4, vcc_lo
	s_waitcnt lgkmcnt(0)
	s_delay_alu instid0(VALU_DEP_2) | instskip(NEXT) | instid1(VALU_DEP_2)
	v_add_co_u32 v3, vcc_lo, v8, v3
	v_add_co_ci_u32_e32 v4, vcc_lo, v9, v4, vcc_lo
	s_delay_alu instid0(VALU_DEP_2) | instskip(NEXT) | instid1(VALU_DEP_2)
	v_add_co_u32 v3, vcc_lo, v10, v3
	v_add_co_ci_u32_e32 v4, vcc_lo, v11, v4, vcc_lo
	s_cbranch_scc0 .LBB103_103
; %bb.104:                              ;   in Loop: Header=BB103_37 Depth=1
	s_set_inst_prefetch_distance 0x2
	s_mov_b32 s6, s87
	s_and_not1_b32 vcc_lo, exec_lo, s89
	s_cbranch_vccz .LBB103_107
	s_branch .LBB103_109
.LBB103_105:                            ;   in Loop: Header=BB103_37 Depth=1
                                        ; implicit-def: $vgpr3_vgpr4
	s_branch .LBB103_73
.LBB103_106:                            ;   in Loop: Header=BB103_37 Depth=1
	s_mov_b32 s6, 0
	s_and_not1_b32 vcc_lo, exec_lo, s89
	s_cbranch_vccnz .LBB103_109
.LBB103_107:                            ;   in Loop: Header=BB103_37 Depth=1
	s_lshl_b32 s7, s98, 10
	s_lshl_b32 s6, s6, 5
	s_delay_alu instid0(SALU_CYCLE_1)
	v_add3_u32 v7, s7, s6, v47
	s_mov_b32 s6, s85
.LBB103_108:                            ;   Parent Loop BB103_37 Depth=1
                                        ; =>  This Inner Loop Header: Depth=2
	ds_load_b64 v[8:9], v7
	v_add_nc_u32_e32 v7, 32, v7
	s_add_i32 s6, s6, -1
	s_delay_alu instid0(SALU_CYCLE_1)
	s_cmp_lg_u32 s6, 0
	s_waitcnt lgkmcnt(0)
	v_add_co_u32 v3, vcc_lo, v8, v3
	v_add_co_ci_u32_e32 v4, vcc_lo, v9, v4, vcc_lo
	s_cbranch_scc1 .LBB103_108
.LBB103_109:                            ;   in Loop: Header=BB103_37 Depth=1
	v_add_lshl_u32 v7, s4, v41, 3
	ds_store_b64 v7, v[3:4] offset:3072
.LBB103_110:                            ;   in Loop: Header=BB103_37 Depth=1
	s_or_b32 exec_lo, exec_lo, s5
	s_lshl_b32 s4, s4, 3
	s_waitcnt lgkmcnt(0)
	v_mov_b32_e32 v3, s4
	s_barrier
	buffer_gl0_inv
	s_and_b32 s21, s94, 0xfe
	s_mov_b32 s22, -1
	ds_load_b128 v[7:10], v3 offset:3072
	ds_load_b128 v[11:14], v3 offset:3088
	s_lshl_b64 s[8:9], 3, s21
	s_delay_alu instid0(SALU_CYCLE_1)
	s_not_b64 s[12:13], s[8:9]
	s_waitcnt lgkmcnt(1)
	v_readfirstlane_b32 s17, v8
	v_readfirstlane_b32 s16, v7
	;; [unrolled: 1-line block ×4, first 2 shown]
	s_waitcnt lgkmcnt(0)
	v_readfirstlane_b32 s10, v11
	v_readfirstlane_b32 s11, v12
	s_cmp_eq_u64 s[16:17], 1
	v_readfirstlane_b32 s6, v13
	s_cselect_b32 s4, -1, 0
	s_cmp_eq_u64 s[46:47], 1
	v_readfirstlane_b32 s7, v14
	s_cselect_b32 s5, -1, 0
	s_delay_alu instid0(SALU_CYCLE_1) | instskip(NEXT) | instid1(SALU_CYCLE_1)
	s_and_b32 s23, s4, s5
	s_and_b32 vcc_lo, exec_lo, s23
	s_cbranch_vccz .LBB103_125
; %bb.111:                              ;   in Loop: Header=BB103_37 Depth=1
	ds_load_b64 v[3:4], v16 offset:5120
	s_waitcnt lgkmcnt(0)
	s_barrier
	buffer_gl0_inv
	v_readfirstlane_b32 s18, v3
	v_readfirstlane_b32 s19, v4
	s_and_saveexec_b32 s4, s3
	s_cbranch_execz .LBB103_113
; %bb.112:                              ;   in Loop: Header=BB103_37 Depth=1
	v_mov_b32_e32 v15, v16
	ds_store_b64 v43, v[15:16]
.LBB103_113:                            ;   in Loop: Header=BB103_37 Depth=1
	s_or_b32 exec_lo, exec_lo, s4
	s_and_b64 s[64:65], s[64:65], s[12:13]
	s_or_b64 s[66:67], s[66:67], s[8:9]
	s_cmp_eq_u64 s[18:19], 0
	s_waitcnt lgkmcnt(0)
	s_barrier
	buffer_gl0_inv
	s_cbranch_scc1 .LBB103_126
; %bb.114:                              ;   in Loop: Header=BB103_37 Depth=1
	s_add_u32 s20, s82, s18
	s_addc_u32 s5, s83, s19
	s_mov_b32 s4, s53
	s_delay_alu instid0(SALU_CYCLE_1)
	s_cmp_lg_u64 s[4:5], 0
	s_cbranch_scc0 .LBB103_171
; %bb.115:                              ;   in Loop: Header=BB103_37 Depth=1
	v_cvt_f32_u32_e32 v3, s33
	s_sub_u32 s54, 0, s33
	s_subb_u32 s68, 0, 0
	s_delay_alu instid0(VALU_DEP_1) | instskip(NEXT) | instid1(VALU_DEP_1)
	v_fmac_f32_e64 v3, 0, 0x4f800000
	v_rcp_f32_e32 v3, v3
	s_waitcnt_depctr 0xfff
	v_mul_f32_e32 v3, 0x5f7ffffc, v3
	s_delay_alu instid0(VALU_DEP_1) | instskip(NEXT) | instid1(VALU_DEP_1)
	v_mul_f32_e32 v4, 0x2f800000, v3
	v_trunc_f32_e32 v4, v4
	s_delay_alu instid0(VALU_DEP_1) | instskip(SKIP_1) | instid1(VALU_DEP_2)
	v_fmac_f32_e32 v3, 0xcf800000, v4
	v_cvt_u32_f32_e32 v4, v4
	v_cvt_u32_f32_e32 v3, v3
	s_delay_alu instid0(VALU_DEP_2) | instskip(NEXT) | instid1(VALU_DEP_2)
	v_readfirstlane_b32 s4, v4
	v_readfirstlane_b32 s52, v3
	s_delay_alu instid0(VALU_DEP_2) | instskip(NEXT) | instid1(VALU_DEP_1)
	s_mul_i32 s69, s54, s4
	s_mul_hi_u32 s71, s54, s52
	s_mul_i32 s70, s68, s52
	s_add_i32 s69, s71, s69
	s_mul_i32 s72, s54, s52
	s_add_i32 s69, s69, s70
	s_mul_hi_u32 s71, s52, s72
	s_mul_hi_u32 s73, s4, s72
	s_mul_i32 s70, s4, s72
	s_mul_hi_u32 s72, s52, s69
	s_mul_i32 s52, s52, s69
	s_mul_hi_u32 s74, s4, s69
	s_add_u32 s52, s71, s52
	s_addc_u32 s71, 0, s72
	s_add_u32 s52, s52, s70
	s_mul_i32 s69, s4, s69
	s_addc_u32 s52, s71, s73
	s_addc_u32 s70, s74, 0
	s_add_u32 s52, s52, s69
	s_addc_u32 s69, 0, s70
	v_add_co_u32 v3, s52, v3, s52
	s_delay_alu instid0(VALU_DEP_1) | instskip(SKIP_1) | instid1(VALU_DEP_1)
	s_cmp_lg_u32 s52, 0
	s_addc_u32 s4, s4, s69
	v_readfirstlane_b32 s52, v3
	s_mul_i32 s69, s54, s4
	s_delay_alu instid0(VALU_DEP_1)
	s_mul_hi_u32 s70, s54, s52
	s_mul_i32 s68, s68, s52
	s_add_i32 s69, s70, s69
	s_mul_i32 s54, s54, s52
	s_add_i32 s69, s69, s68
	s_mul_hi_u32 s70, s4, s54
	s_mul_i32 s71, s4, s54
	s_mul_hi_u32 s54, s52, s54
	s_mul_hi_u32 s72, s52, s69
	s_mul_i32 s52, s52, s69
	s_mul_hi_u32 s68, s4, s69
	s_add_u32 s52, s54, s52
	s_addc_u32 s54, 0, s72
	s_add_u32 s52, s52, s71
	s_mul_i32 s69, s4, s69
	s_addc_u32 s52, s54, s70
	s_addc_u32 s54, s68, 0
	s_add_u32 s52, s52, s69
	s_addc_u32 s54, 0, s54
	v_add_co_u32 v3, s52, v3, s52
	s_delay_alu instid0(VALU_DEP_1) | instskip(SKIP_1) | instid1(VALU_DEP_1)
	s_cmp_lg_u32 s52, 0
	s_addc_u32 s4, s4, s54
	v_readfirstlane_b32 s52, v3
	s_mul_i32 s68, s20, s4
	s_mul_hi_u32 s54, s20, s4
	s_mul_hi_u32 s69, s5, s4
	s_mul_i32 s4, s5, s4
	s_mul_hi_u32 s70, s20, s52
	s_mul_hi_u32 s71, s5, s52
	s_mul_i32 s52, s5, s52
	s_add_u32 s68, s70, s68
	s_addc_u32 s54, 0, s54
	s_add_u32 s52, s68, s52
	s_addc_u32 s52, s54, s71
	s_addc_u32 s54, s69, 0
	s_add_u32 s4, s52, s4
	s_addc_u32 s52, 0, s54
	s_mul_hi_u32 s54, s33, s4
	s_mul_i32 s4, s33, s4
	s_mul_i32 s52, s33, s52
	v_sub_co_u32 v3, s4, s20, s4
	s_add_i32 s54, s54, s52
	s_cmp_lg_u32 s4, 0
	s_delay_alu instid0(VALU_DEP_1) | instskip(SKIP_2) | instid1(VALU_DEP_1)
	v_sub_co_u32 v4, s4, v3, s33
	s_subb_u32 s52, s5, s54
	s_cmp_lg_u32 s4, 0
	v_cmp_le_u32_e32 vcc_lo, s33, v4
	v_sub_co_u32 v5, s4, v4, s33
	s_subb_u32 s54, s52, 0
	s_cmp_lg_u32 s4, 0
	v_cndmask_b32_e64 v6, 0, -1, vcc_lo
	s_subb_u32 s4, s54, 0
	s_cmp_eq_u32 s54, 0
	v_mov_b32_e32 v8, s4
	s_cselect_b32 vcc_lo, -1, 0
	s_cmp_eq_u32 s52, 0
	v_cndmask_b32_e32 v6, -1, v6, vcc_lo
	v_cmp_le_u32_e32 vcc_lo, s33, v3
	s_cselect_b32 s4, -1, 0
	v_cndmask_b32_e64 v7, 0, -1, vcc_lo
	s_delay_alu instid0(VALU_DEP_3) | instskip(NEXT) | instid1(VALU_DEP_2)
	v_cmp_ne_u32_e32 vcc_lo, 0, v6
	v_cndmask_b32_e64 v6, -1, v7, s4
	v_cndmask_b32_e32 v7, s54, v8, vcc_lo
	v_cndmask_b32_e32 v5, v4, v5, vcc_lo
	s_delay_alu instid0(VALU_DEP_3) | instskip(NEXT) | instid1(VALU_DEP_3)
	v_cmp_ne_u32_e32 vcc_lo, 0, v6
	v_cndmask_b32_e32 v4, s52, v7, vcc_lo
	s_delay_alu instid0(VALU_DEP_3)
	v_cndmask_b32_e32 v3, v3, v5, vcc_lo
	s_cbranch_execnz .LBB103_117
.LBB103_116:                            ;   in Loop: Header=BB103_37 Depth=1
	v_cvt_f32_u32_e32 v3, s33
	s_sub_i32 s4, 0, s33
	s_delay_alu instid0(VALU_DEP_1) | instskip(SKIP_2) | instid1(VALU_DEP_1)
	v_rcp_iflag_f32_e32 v3, v3
	s_waitcnt_depctr 0xfff
	v_mul_f32_e32 v3, 0x4f7ffffe, v3
	v_cvt_u32_f32_e32 v3, v3
	s_delay_alu instid0(VALU_DEP_1) | instskip(NEXT) | instid1(VALU_DEP_1)
	v_mul_lo_u32 v4, s4, v3
	v_mul_hi_u32 v4, v3, v4
	s_delay_alu instid0(VALU_DEP_1) | instskip(NEXT) | instid1(VALU_DEP_1)
	v_add_nc_u32_e32 v3, v3, v4
	v_mul_hi_u32 v3, s20, v3
	s_delay_alu instid0(VALU_DEP_1) | instskip(NEXT) | instid1(VALU_DEP_1)
	v_mul_lo_u32 v3, v3, s33
	v_sub_nc_u32_e32 v3, s20, v3
	s_delay_alu instid0(VALU_DEP_1) | instskip(SKIP_1) | instid1(VALU_DEP_2)
	v_subrev_nc_u32_e32 v4, s33, v3
	v_cmp_le_u32_e32 vcc_lo, s33, v3
	v_cndmask_b32_e32 v3, v3, v4, vcc_lo
	s_delay_alu instid0(VALU_DEP_1) | instskip(SKIP_1) | instid1(VALU_DEP_2)
	v_subrev_nc_u32_e32 v4, s33, v3
	v_cmp_le_u32_e32 vcc_lo, s33, v3
	v_cndmask_b32_e32 v15, v3, v4, vcc_lo
	s_delay_alu instid0(VALU_DEP_1)
	v_dual_mov_b32 v3, v15 :: v_dual_mov_b32 v4, v16
.LBB103_117:                            ;   in Loop: Header=BB103_37 Depth=1
	s_delay_alu instid0(VALU_DEP_1) | instskip(NEXT) | instid1(VALU_DEP_2)
	v_sub_co_u32 v7, vcc_lo, s20, v3
	v_sub_co_ci_u32_e32 v8, vcc_lo, s5, v4, vcc_lo
	s_mov_b32 s4, 0
	s_mov_b32 s5, exec_lo
                                        ; implicit-def: $vgpr5_vgpr6
	s_delay_alu instid0(VALU_DEP_1)
	v_cmpx_gt_u64_e64 v[7:8], v[0:1]
	s_cbranch_execz .LBB103_128
; %bb.118:                              ;   in Loop: Header=BB103_37 Depth=1
	v_dual_mov_b32 v11, v42 :: v_dual_mov_b32 v10, v1
	v_mov_b32_e32 v9, v0
	s_mov_b32 s20, 0
                                        ; implicit-def: $sgpr4
	s_set_inst_prefetch_distance 0x1
	s_branch .LBB103_120
	.p2align	6
.LBB103_119:                            ;   in Loop: Header=BB103_120 Depth=2
	s_or_b32 exec_lo, exec_lo, s52
	s_waitcnt lgkmcnt(0)
	s_barrier
	buffer_gl0_inv
	ds_load_b128 v[3:6], v16 offset:3072
	v_add_co_u32 v9, vcc_lo, v9, s33
	v_add_co_ci_u32_e32 v10, vcc_lo, 0, v10, vcc_lo
	v_add_nc_u32_e32 v11, s90, v11
	s_waitcnt lgkmcnt(0)
	s_barrier
	s_delay_alu instid0(VALU_DEP_2) | instskip(SKIP_3) | instid1(VALU_DEP_1)
	v_cmp_ge_u64_e32 vcc_lo, v[9:10], v[7:8]
	buffer_gl0_inv
	v_readfirstlane_b32 s69, v4
	v_readfirstlane_b32 s68, v3
	s_cmp_lg_u64 s[68:69], 0
	s_cselect_b32 s52, -1, 0
	s_delay_alu instid0(SALU_CYCLE_1) | instskip(NEXT) | instid1(SALU_CYCLE_1)
	s_or_b32 s54, vcc_lo, s52
	s_and_b32 s54, exec_lo, s54
	s_delay_alu instid0(SALU_CYCLE_1) | instskip(SKIP_2) | instid1(SALU_CYCLE_1)
	s_or_b32 s20, s54, s20
	s_and_not1_b32 s4, s4, exec_lo
	s_and_b32 s52, s52, exec_lo
	s_or_b32 s4, s4, s52
	s_and_not1_b32 exec_lo, exec_lo, s20
	s_cbranch_execz .LBB103_127
.LBB103_120:                            ;   Parent Loop BB103_37 Depth=1
                                        ; =>  This Inner Loop Header: Depth=2
	s_delay_alu instid0(VALU_DEP_1)
	v_cmp_gt_u64_e32 vcc_lo, s[18:19], v[9:10]
	v_mov_b32_e32 v4, 0
	v_mov_b32_e32 v5, 0
	s_and_saveexec_b32 s52, vcc_lo
	s_cbranch_execz .LBB103_122
; %bb.121:                              ;   in Loop: Header=BB103_120 Depth=2
	ds_load_b64 v[4:5], v11
.LBB103_122:                            ;   in Loop: Header=BB103_120 Depth=2
	s_or_b32 exec_lo, exec_lo, s52
	s_and_saveexec_b32 s52, vcc_lo
	s_cbranch_execz .LBB103_119
; %bb.123:                              ;   in Loop: Header=BB103_120 Depth=2
	s_waitcnt lgkmcnt(0)
	v_xor_b32_e32 v3, 0x80000000, v5
	v_and_b32_e32 v12, s66, v4
	s_delay_alu instid0(VALU_DEP_2) | instskip(NEXT) | instid1(VALU_DEP_1)
	v_and_b32_e32 v13, s67, v3
	v_cmp_eq_u64_e32 vcc_lo, s[64:65], v[12:13]
	s_and_b32 exec_lo, exec_lo, vcc_lo
	s_cbranch_execz .LBB103_119
; %bb.124:                              ;   in Loop: Header=BB103_120 Depth=2
	v_mov_b32_e32 v3, v16
	ds_store_b128 v16, v[2:5] offset:3072
	s_branch .LBB103_119
.LBB103_125:                            ;   in Loop: Header=BB103_37 Depth=1
	s_mov_b32 s4, -1
                                        ; implicit-def: $sgpr5
                                        ; implicit-def: $sgpr19
                                        ; implicit-def: $sgpr18
	s_branch .LBB103_142
.LBB103_126:                            ;   in Loop: Header=BB103_37 Depth=1
	s_mov_b32 s5, -1
	s_mov_b32 s4, 0
                                        ; implicit-def: $sgpr18
                                        ; implicit-def: $vgpr5_vgpr6
	s_mov_b32 s19, s5
	s_cbranch_execnz .LBB103_129
	s_branch .LBB103_142
.LBB103_127:                            ;   in Loop: Header=BB103_37 Depth=1
	s_set_inst_prefetch_distance 0x2
	s_or_b32 exec_lo, exec_lo, s20
	s_delay_alu instid0(SALU_CYCLE_1)
	s_and_b32 s4, s4, exec_lo
.LBB103_128:                            ;   in Loop: Header=BB103_37 Depth=1
	s_or_b32 exec_lo, exec_lo, s5
	s_mov_b32 s18, -1
	s_mov_b32 s5, 0
	s_delay_alu instid0(SALU_CYCLE_1)
	s_mov_b32 s19, s5
	s_branch .LBB103_142
.LBB103_129:                            ;   in Loop: Header=BB103_37 Depth=1
	s_mov_b32 s54, s53
	s_delay_alu instid0(SALU_CYCLE_1)
	s_cmp_lg_u64 s[54:55], 0
	s_cbranch_scc0 .LBB103_172
; %bb.130:                              ;   in Loop: Header=BB103_37 Depth=1
	v_cvt_f32_u32_e32 v3, s33
	s_sub_u32 s18, 0, s33
	s_subb_u32 s19, 0, 0
	s_delay_alu instid0(VALU_DEP_1) | instskip(NEXT) | instid1(VALU_DEP_1)
	v_fmac_f32_e64 v3, 0, 0x4f800000
	v_rcp_f32_e32 v3, v3
	s_waitcnt_depctr 0xfff
	v_mul_f32_e32 v3, 0x5f7ffffc, v3
	s_delay_alu instid0(VALU_DEP_1) | instskip(NEXT) | instid1(VALU_DEP_1)
	v_mul_f32_e32 v4, 0x2f800000, v3
	v_trunc_f32_e32 v4, v4
	s_delay_alu instid0(VALU_DEP_1) | instskip(SKIP_1) | instid1(VALU_DEP_2)
	v_fmac_f32_e32 v3, 0xcf800000, v4
	v_cvt_u32_f32_e32 v4, v4
	v_cvt_u32_f32_e32 v3, v3
	s_delay_alu instid0(VALU_DEP_2) | instskip(NEXT) | instid1(VALU_DEP_2)
	v_readfirstlane_b32 s4, v4
	v_readfirstlane_b32 s5, v3
	s_delay_alu instid0(VALU_DEP_2) | instskip(NEXT) | instid1(VALU_DEP_1)
	s_mul_i32 s20, s18, s4
	s_mul_hi_u32 s54, s18, s5
	s_mul_i32 s52, s19, s5
	s_add_i32 s20, s54, s20
	s_mul_i32 s68, s18, s5
	s_add_i32 s20, s20, s52
	s_mul_hi_u32 s54, s5, s68
	s_mul_hi_u32 s69, s4, s68
	s_mul_i32 s52, s4, s68
	s_mul_hi_u32 s68, s5, s20
	s_mul_i32 s5, s5, s20
	s_mul_hi_u32 s70, s4, s20
	s_add_u32 s5, s54, s5
	s_addc_u32 s54, 0, s68
	s_add_u32 s5, s5, s52
	s_mul_i32 s20, s4, s20
	s_addc_u32 s5, s54, s69
	s_addc_u32 s52, s70, 0
	s_add_u32 s5, s5, s20
	s_addc_u32 s20, 0, s52
	v_add_co_u32 v3, s5, v3, s5
	s_delay_alu instid0(VALU_DEP_1) | instskip(SKIP_1) | instid1(VALU_DEP_1)
	s_cmp_lg_u32 s5, 0
	s_addc_u32 s4, s4, s20
	v_readfirstlane_b32 s5, v3
	s_mul_i32 s20, s18, s4
	s_delay_alu instid0(VALU_DEP_1)
	s_mul_hi_u32 s52, s18, s5
	s_mul_i32 s19, s19, s5
	s_add_i32 s20, s52, s20
	s_mul_i32 s18, s18, s5
	s_add_i32 s20, s20, s19
	s_mul_hi_u32 s52, s4, s18
	s_mul_i32 s54, s4, s18
	s_mul_hi_u32 s18, s5, s18
	s_mul_hi_u32 s68, s5, s20
	s_mul_i32 s5, s5, s20
	s_mul_hi_u32 s19, s4, s20
	s_add_u32 s5, s18, s5
	s_addc_u32 s18, 0, s68
	s_add_u32 s5, s5, s54
	s_mul_i32 s20, s4, s20
	s_addc_u32 s5, s18, s52
	s_addc_u32 s18, s19, 0
	s_add_u32 s5, s5, s20
	s_addc_u32 s18, 0, s18
	v_add_co_u32 v3, s5, v3, s5
	s_delay_alu instid0(VALU_DEP_1) | instskip(SKIP_1) | instid1(VALU_DEP_1)
	s_cmp_lg_u32 s5, 0
	s_addc_u32 s4, s4, s18
	v_readfirstlane_b32 s5, v3
	s_mul_i32 s19, s84, s4
	s_mul_hi_u32 s18, s84, s4
	s_mul_hi_u32 s20, s55, s4
	s_mul_i32 s4, s55, s4
	s_mul_hi_u32 s52, s84, s5
	s_mul_hi_u32 s54, s55, s5
	s_mul_i32 s5, s55, s5
	s_add_u32 s19, s52, s19
	s_addc_u32 s18, 0, s18
	s_add_u32 s5, s19, s5
	s_addc_u32 s5, s18, s54
	s_addc_u32 s18, s20, 0
	s_add_u32 s4, s5, s4
	s_addc_u32 s5, 0, s18
	s_mul_hi_u32 s18, s33, s4
	s_mul_i32 s4, s33, s4
	s_mul_i32 s5, s33, s5
	v_sub_co_u32 v3, s4, s84, s4
	s_add_i32 s18, s18, s5
	s_cmp_lg_u32 s4, 0
	s_delay_alu instid0(VALU_DEP_1) | instskip(SKIP_2) | instid1(VALU_DEP_1)
	v_sub_co_u32 v4, s4, v3, s33
	s_subb_u32 s5, s55, s18
	s_cmp_lg_u32 s4, 0
	v_cmp_le_u32_e32 vcc_lo, s33, v4
	v_sub_co_u32 v5, s4, v4, s33
	s_subb_u32 s18, s5, 0
	s_cmp_lg_u32 s4, 0
	v_cndmask_b32_e64 v6, 0, -1, vcc_lo
	s_subb_u32 s4, s18, 0
	s_cmp_eq_u32 s18, 0
	v_mov_b32_e32 v8, s4
	s_cselect_b32 vcc_lo, -1, 0
	s_cmp_eq_u32 s5, 0
	v_cndmask_b32_e32 v6, -1, v6, vcc_lo
	v_cmp_le_u32_e32 vcc_lo, s33, v3
	s_cselect_b32 s4, -1, 0
	v_cndmask_b32_e64 v7, 0, -1, vcc_lo
	s_delay_alu instid0(VALU_DEP_3) | instskip(NEXT) | instid1(VALU_DEP_2)
	v_cmp_ne_u32_e32 vcc_lo, 0, v6
	v_cndmask_b32_e64 v6, -1, v7, s4
	v_cndmask_b32_e32 v7, s18, v8, vcc_lo
	v_cndmask_b32_e32 v5, v4, v5, vcc_lo
	s_delay_alu instid0(VALU_DEP_3) | instskip(NEXT) | instid1(VALU_DEP_3)
	v_cmp_ne_u32_e32 vcc_lo, 0, v6
	v_cndmask_b32_e32 v4, s5, v7, vcc_lo
	s_delay_alu instid0(VALU_DEP_3)
	v_cndmask_b32_e32 v3, v3, v5, vcc_lo
	s_cbranch_execnz .LBB103_132
.LBB103_131:                            ;   in Loop: Header=BB103_37 Depth=1
	v_cvt_f32_u32_e32 v3, s33
	s_sub_i32 s4, 0, s33
	s_delay_alu instid0(VALU_DEP_1) | instskip(SKIP_2) | instid1(VALU_DEP_1)
	v_rcp_iflag_f32_e32 v3, v3
	s_waitcnt_depctr 0xfff
	v_mul_f32_e32 v3, 0x4f7ffffe, v3
	v_cvt_u32_f32_e32 v3, v3
	s_delay_alu instid0(VALU_DEP_1) | instskip(NEXT) | instid1(VALU_DEP_1)
	v_mul_lo_u32 v4, s4, v3
	v_mul_hi_u32 v4, v3, v4
	s_delay_alu instid0(VALU_DEP_1) | instskip(NEXT) | instid1(VALU_DEP_1)
	v_add_nc_u32_e32 v3, v3, v4
	v_mul_hi_u32 v3, s84, v3
	s_delay_alu instid0(VALU_DEP_1) | instskip(NEXT) | instid1(VALU_DEP_1)
	v_mul_lo_u32 v3, v3, s33
	v_sub_nc_u32_e32 v3, s84, v3
	s_delay_alu instid0(VALU_DEP_1) | instskip(SKIP_1) | instid1(VALU_DEP_2)
	v_subrev_nc_u32_e32 v4, s33, v3
	v_cmp_le_u32_e32 vcc_lo, s33, v3
	v_cndmask_b32_e32 v3, v3, v4, vcc_lo
	s_delay_alu instid0(VALU_DEP_1) | instskip(SKIP_1) | instid1(VALU_DEP_2)
	v_subrev_nc_u32_e32 v4, s33, v3
	v_cmp_le_u32_e32 vcc_lo, s33, v3
	v_cndmask_b32_e32 v15, v3, v4, vcc_lo
	s_delay_alu instid0(VALU_DEP_1)
	v_dual_mov_b32 v3, v15 :: v_dual_mov_b32 v4, v16
.LBB103_132:                            ;   in Loop: Header=BB103_37 Depth=1
	s_delay_alu instid0(VALU_DEP_1) | instskip(NEXT) | instid1(VALU_DEP_2)
	v_sub_co_u32 v7, vcc_lo, s84, v3
	v_sub_co_ci_u32_e32 v8, vcc_lo, s55, v4, vcc_lo
	s_mov_b32 s4, 0
	s_mov_b32 s5, exec_lo
                                        ; implicit-def: $vgpr5_vgpr6
	s_delay_alu instid0(VALU_DEP_1)
	v_cmpx_gt_u64_e64 v[7:8], v[0:1]
	s_cbranch_execz .LBB103_141
; %bb.133:                              ;   in Loop: Header=BB103_37 Depth=1
	v_dual_mov_b32 v9, v17 :: v_dual_mov_b32 v10, v18
	v_dual_mov_b32 v12, v1 :: v_dual_mov_b32 v11, v0
	s_mov_b32 s18, 0
                                        ; implicit-def: $sgpr4
	s_set_inst_prefetch_distance 0x1
	s_branch .LBB103_135
	.p2align	6
.LBB103_134:                            ;   in Loop: Header=BB103_135 Depth=2
	s_or_b32 exec_lo, exec_lo, s19
	s_waitcnt vmcnt(0) lgkmcnt(0)
	s_barrier
	buffer_gl0_inv
	ds_load_b128 v[3:6], v16 offset:3072
	v_add_co_u32 v11, vcc_lo, v11, s33
	v_add_co_ci_u32_e32 v12, vcc_lo, 0, v12, vcc_lo
	s_waitcnt lgkmcnt(0)
	s_barrier
	buffer_gl0_inv
	v_cmp_ge_u64_e32 vcc_lo, v[11:12], v[7:8]
	v_readfirstlane_b32 s69, v4
	v_readfirstlane_b32 s68, v3
	s_delay_alu instid0(VALU_DEP_1) | instskip(SKIP_1) | instid1(SALU_CYCLE_1)
	s_cmp_lg_u64 s[68:69], 0
	s_cselect_b32 s19, -1, 0
	s_or_b32 s20, vcc_lo, s19
	v_add_co_u32 v9, vcc_lo, v9, s50
	s_and_b32 s20, exec_lo, s20
	v_add_co_ci_u32_e32 v10, vcc_lo, s51, v10, vcc_lo
	s_or_b32 s18, s20, s18
	s_and_not1_b32 s4, s4, exec_lo
	s_and_b32 s19, s19, exec_lo
	s_delay_alu instid0(SALU_CYCLE_1)
	s_or_b32 s4, s4, s19
	s_and_not1_b32 exec_lo, exec_lo, s18
	s_cbranch_execz .LBB103_140
.LBB103_135:                            ;   Parent Loop BB103_37 Depth=1
                                        ; =>  This Inner Loop Header: Depth=2
	s_delay_alu instid0(VALU_DEP_1)
	v_cmp_gt_u64_e32 vcc_lo, s[24:25], v[11:12]
	v_mov_b32_e32 v4, 0
	v_mov_b32_e32 v5, 0
	s_and_saveexec_b32 s19, vcc_lo
	s_cbranch_execz .LBB103_137
; %bb.136:                              ;   in Loop: Header=BB103_135 Depth=2
	global_load_b64 v[4:5], v[9:10], off
.LBB103_137:                            ;   in Loop: Header=BB103_135 Depth=2
	s_or_b32 exec_lo, exec_lo, s19
	s_and_saveexec_b32 s19, vcc_lo
	s_cbranch_execz .LBB103_134
; %bb.138:                              ;   in Loop: Header=BB103_135 Depth=2
	s_waitcnt vmcnt(0)
	v_xor_b32_e32 v3, 0x80000000, v5
	v_and_b32_e32 v13, s66, v4
	s_delay_alu instid0(VALU_DEP_2) | instskip(NEXT) | instid1(VALU_DEP_1)
	v_and_b32_e32 v14, s67, v3
	v_cmp_eq_u64_e32 vcc_lo, s[64:65], v[13:14]
	s_and_b32 exec_lo, exec_lo, vcc_lo
	s_cbranch_execz .LBB103_134
; %bb.139:                              ;   in Loop: Header=BB103_135 Depth=2
	v_mov_b32_e32 v3, v16
	ds_store_b128 v16, v[2:5] offset:3072
	s_branch .LBB103_134
.LBB103_140:                            ;   in Loop: Header=BB103_37 Depth=1
	s_set_inst_prefetch_distance 0x2
	s_or_b32 exec_lo, exec_lo, s18
	s_delay_alu instid0(SALU_CYCLE_1)
	s_and_b32 s4, s4, exec_lo
.LBB103_141:                            ;   in Loop: Header=BB103_37 Depth=1
	s_or_b32 exec_lo, exec_lo, s5
	s_mov_b32 s19, -1
	s_mov_b32 s5, 0
	s_mov_b32 s18, 0
.LBB103_142:                            ;   in Loop: Header=BB103_37 Depth=1
	s_and_not1_b32 s20, s96, exec_lo
	s_and_b32 s5, s5, exec_lo
	s_and_b32 s19, s19, exec_lo
	s_or_b32 s96, s20, s5
	s_and_not1_b32 s5, s99, exec_lo
	s_and_not1_b32 s20, s97, exec_lo
	s_and_b32 s18, s18, exec_lo
	s_or_b32 s99, s5, s19
	s_or_b32 s97, s20, s18
	s_and_saveexec_b32 s20, s4
	s_cbranch_execz .LBB103_36
; %bb.143:                              ;   in Loop: Header=BB103_37 Depth=1
	s_xor_b32 s4, s23, -1
	s_mov_b32 s54, 1
	s_and_not1_b32 vcc_lo, exec_lo, s4
	s_cbranch_vccnz .LBB103_154
; %bb.144:                              ;   in Loop: Header=BB103_37 Depth=1
	v_cmp_gt_u64_e64 s4, s[46:47], s[16:17]
	s_mov_b32 s22, -1
                                        ; implicit-def: $sgpr54
                                        ; implicit-def: $sgpr18_sgpr19
	s_delay_alu instid0(VALU_DEP_1)
	s_and_b32 vcc_lo, exec_lo, s4
                                        ; implicit-def: $sgpr4_sgpr5
	s_cbranch_vccnz .LBB103_150
; %bb.145:                              ;   in Loop: Header=BB103_37 Depth=1
	ds_load_b64 v[3:4], v16 offset:5120
	s_waitcnt lgkmcnt(0)
	v_cmp_ne_u64_e32 vcc_lo, 0, v[3:4]
	s_cbranch_vccnz .LBB103_149
; %bb.146:                              ;   in Loop: Header=BB103_37 Depth=1
	s_and_saveexec_b32 s4, s2
	s_cbranch_execz .LBB103_148
; %bb.147:                              ;   in Loop: Header=BB103_37 Depth=1
	v_dual_mov_b32 v3, s16 :: v_dual_mov_b32 v4, s17
	ds_store_b64 v16, v[3:4] offset:5128
.LBB103_148:                            ;   in Loop: Header=BB103_37 Depth=1
	s_or_b32 exec_lo, exec_lo, s4
	s_waitcnt lgkmcnt(0)
	s_barrier
	buffer_gl0_inv
.LBB103_149:                            ;   in Loop: Header=BB103_37 Depth=1
	s_and_b64 s[4:5], s[64:65], s[12:13]
	s_or_b64 s[18:19], s[66:67], s[8:9]
	s_mov_b32 s22, 0
	s_mov_b32 s54, 8
.LBB103_150:                            ;   in Loop: Header=BB103_37 Depth=1
	s_and_not1_b32 vcc_lo, exec_lo, s22
	s_cbranch_vccnz .LBB103_152
; %bb.151:                              ;   in Loop: Header=BB103_37 Depth=1
	s_sub_u32 s46, s46, s16
	s_subb_u32 s47, s47, s17
	s_mov_b32 s22, -1
	s_mov_b32 s54, 0
	s_mov_b64 s[4:5], s[64:65]
	s_mov_b64 s[18:19], s[66:67]
.LBB103_152:                            ;   in Loop: Header=BB103_37 Depth=1
	s_delay_alu instid0(SALU_CYCLE_1)
	s_mov_b64 s[66:67], s[18:19]
	s_mov_b64 s[64:65], s[4:5]
	s_and_b32 vcc_lo, exec_lo, s22
	s_mov_b32 s18, -1
	s_cbranch_vccnz .LBB103_155
.LBB103_153:                            ;   in Loop: Header=BB103_37 Depth=1
	s_mov_b32 s5, -1
                                        ; implicit-def: $sgpr19
                                        ; implicit-def: $sgpr23
                                        ; implicit-def: $sgpr22
	s_delay_alu instid0(SALU_CYCLE_1) | instskip(NEXT) | instid1(SALU_CYCLE_1)
	s_and_saveexec_b32 s4, s5
	s_xor_b32 s4, exec_lo, s4
	s_cbranch_execz .LBB103_35
	s_branch .LBB103_301
.LBB103_154:                            ;   in Loop: Header=BB103_37 Depth=1
	s_mov_b64 s[46:47], 1
	s_mov_b32 s18, -1
	s_branch .LBB103_153
.LBB103_155:                            ;   in Loop: Header=BB103_37 Depth=1
	s_cmp_eq_u64 s[14:15], 1
	s_cselect_b32 s4, -1, 0
	s_cmp_eq_u64 s[46:47], 1
	s_cselect_b32 s5, -1, 0
	s_delay_alu instid0(SALU_CYCLE_1)
	s_and_b32 s68, s4, s5
	s_mov_b32 s4, -1
	s_and_b32 vcc_lo, exec_lo, s68
	s_cbranch_vccz .LBB103_170
; %bb.156:                              ;   in Loop: Header=BB103_37 Depth=1
	ds_load_b64 v[3:4], v16 offset:5120
	s_waitcnt lgkmcnt(0)
	s_barrier
	buffer_gl0_inv
	v_readfirstlane_b32 s16, v3
	v_readfirstlane_b32 s17, v4
	s_and_saveexec_b32 s4, s3
	s_cbranch_execz .LBB103_158
; %bb.157:                              ;   in Loop: Header=BB103_37 Depth=1
	v_mov_b32_e32 v15, v16
	ds_store_b64 v43, v[15:16]
.LBB103_158:                            ;   in Loop: Header=BB103_37 Depth=1
	s_or_b32 exec_lo, exec_lo, s4
	s_lshl_b64 s[4:5], 1, s21
	s_and_b64 s[22:23], s[64:65], s[12:13]
	s_or_b64 s[66:67], s[66:67], s[8:9]
	s_or_b64 s[64:65], s[22:23], s[4:5]
	s_cmp_eq_u64 s[16:17], 0
	s_waitcnt lgkmcnt(0)
	s_barrier
	buffer_gl0_inv
	s_cbranch_scc1 .LBB103_173
; %bb.159:                              ;   in Loop: Header=BB103_37 Depth=1
	s_add_u32 s19, s82, s16
	s_addc_u32 s5, s83, s17
	s_mov_b32 s4, s53
	s_delay_alu instid0(SALU_CYCLE_1)
	s_cmp_lg_u64 s[4:5], 0
	s_cbranch_scc0 .LBB103_218
; %bb.160:                              ;   in Loop: Header=BB103_37 Depth=1
	v_cvt_f32_u32_e32 v3, s33
	s_sub_u32 s23, 0, s33
	s_subb_u32 s52, 0, 0
	s_delay_alu instid0(VALU_DEP_1) | instskip(NEXT) | instid1(VALU_DEP_1)
	v_fmac_f32_e64 v3, 0, 0x4f800000
	v_rcp_f32_e32 v3, v3
	s_waitcnt_depctr 0xfff
	v_mul_f32_e32 v3, 0x5f7ffffc, v3
	s_delay_alu instid0(VALU_DEP_1) | instskip(NEXT) | instid1(VALU_DEP_1)
	v_mul_f32_e32 v4, 0x2f800000, v3
	v_trunc_f32_e32 v4, v4
	s_delay_alu instid0(VALU_DEP_1) | instskip(SKIP_1) | instid1(VALU_DEP_2)
	v_fmac_f32_e32 v3, 0xcf800000, v4
	v_cvt_u32_f32_e32 v4, v4
	v_cvt_u32_f32_e32 v3, v3
	s_delay_alu instid0(VALU_DEP_2) | instskip(NEXT) | instid1(VALU_DEP_2)
	v_readfirstlane_b32 s4, v4
	v_readfirstlane_b32 s22, v3
	s_delay_alu instid0(VALU_DEP_2) | instskip(NEXT) | instid1(VALU_DEP_1)
	s_mul_i32 s54, s23, s4
	s_mul_hi_u32 s70, s23, s22
	s_mul_i32 s69, s52, s22
	s_add_i32 s54, s70, s54
	s_mul_i32 s71, s23, s22
	s_add_i32 s54, s54, s69
	s_mul_hi_u32 s70, s22, s71
	s_mul_hi_u32 s72, s4, s71
	s_mul_i32 s69, s4, s71
	s_mul_hi_u32 s71, s22, s54
	s_mul_i32 s22, s22, s54
	s_mul_hi_u32 s73, s4, s54
	s_add_u32 s22, s70, s22
	s_addc_u32 s70, 0, s71
	s_add_u32 s22, s22, s69
	s_mul_i32 s54, s4, s54
	s_addc_u32 s22, s70, s72
	s_addc_u32 s69, s73, 0
	s_add_u32 s22, s22, s54
	s_addc_u32 s54, 0, s69
	v_add_co_u32 v3, s22, v3, s22
	s_delay_alu instid0(VALU_DEP_1) | instskip(SKIP_1) | instid1(VALU_DEP_1)
	s_cmp_lg_u32 s22, 0
	s_addc_u32 s4, s4, s54
	v_readfirstlane_b32 s22, v3
	s_mul_i32 s54, s23, s4
	s_delay_alu instid0(VALU_DEP_1)
	s_mul_hi_u32 s69, s23, s22
	s_mul_i32 s52, s52, s22
	s_add_i32 s54, s69, s54
	s_mul_i32 s23, s23, s22
	s_add_i32 s54, s54, s52
	s_mul_hi_u32 s69, s4, s23
	s_mul_i32 s70, s4, s23
	s_mul_hi_u32 s23, s22, s23
	s_mul_hi_u32 s71, s22, s54
	s_mul_i32 s22, s22, s54
	s_mul_hi_u32 s52, s4, s54
	s_add_u32 s22, s23, s22
	s_addc_u32 s23, 0, s71
	s_add_u32 s22, s22, s70
	s_mul_i32 s54, s4, s54
	s_addc_u32 s22, s23, s69
	s_addc_u32 s23, s52, 0
	s_add_u32 s22, s22, s54
	s_addc_u32 s23, 0, s23
	v_add_co_u32 v3, s22, v3, s22
	s_delay_alu instid0(VALU_DEP_1) | instskip(SKIP_1) | instid1(VALU_DEP_1)
	s_cmp_lg_u32 s22, 0
	s_addc_u32 s4, s4, s23
	v_readfirstlane_b32 s22, v3
	s_mul_i32 s52, s19, s4
	s_mul_hi_u32 s23, s19, s4
	s_mul_hi_u32 s54, s5, s4
	s_mul_i32 s4, s5, s4
	s_mul_hi_u32 s69, s19, s22
	s_mul_hi_u32 s70, s5, s22
	s_mul_i32 s22, s5, s22
	s_add_u32 s52, s69, s52
	s_addc_u32 s23, 0, s23
	s_add_u32 s22, s52, s22
	s_addc_u32 s22, s23, s70
	s_addc_u32 s23, s54, 0
	s_add_u32 s4, s22, s4
	s_addc_u32 s22, 0, s23
	s_mul_hi_u32 s23, s33, s4
	s_mul_i32 s4, s33, s4
	s_mul_i32 s22, s33, s22
	v_sub_co_u32 v3, s4, s19, s4
	s_add_i32 s23, s23, s22
	s_cmp_lg_u32 s4, 0
	s_delay_alu instid0(VALU_DEP_1) | instskip(SKIP_2) | instid1(VALU_DEP_1)
	v_sub_co_u32 v4, s4, v3, s33
	s_subb_u32 s22, s5, s23
	s_cmp_lg_u32 s4, 0
	v_cmp_le_u32_e32 vcc_lo, s33, v4
	v_sub_co_u32 v5, s4, v4, s33
	s_subb_u32 s23, s22, 0
	s_cmp_lg_u32 s4, 0
	v_cndmask_b32_e64 v6, 0, -1, vcc_lo
	s_subb_u32 s4, s23, 0
	s_cmp_eq_u32 s23, 0
	v_mov_b32_e32 v8, s4
	s_cselect_b32 vcc_lo, -1, 0
	s_cmp_eq_u32 s22, 0
	v_cndmask_b32_e32 v6, -1, v6, vcc_lo
	v_cmp_le_u32_e32 vcc_lo, s33, v3
	s_cselect_b32 s4, -1, 0
	v_cndmask_b32_e64 v7, 0, -1, vcc_lo
	s_delay_alu instid0(VALU_DEP_3) | instskip(NEXT) | instid1(VALU_DEP_2)
	v_cmp_ne_u32_e32 vcc_lo, 0, v6
	v_cndmask_b32_e64 v6, -1, v7, s4
	v_cndmask_b32_e32 v7, s23, v8, vcc_lo
	v_cndmask_b32_e32 v5, v4, v5, vcc_lo
	s_delay_alu instid0(VALU_DEP_3) | instskip(NEXT) | instid1(VALU_DEP_3)
	v_cmp_ne_u32_e32 vcc_lo, 0, v6
	v_cndmask_b32_e32 v4, s22, v7, vcc_lo
	s_delay_alu instid0(VALU_DEP_3)
	v_cndmask_b32_e32 v3, v3, v5, vcc_lo
	s_cbranch_execnz .LBB103_162
.LBB103_161:                            ;   in Loop: Header=BB103_37 Depth=1
	v_cvt_f32_u32_e32 v3, s33
	s_sub_i32 s4, 0, s33
	s_delay_alu instid0(VALU_DEP_1) | instskip(SKIP_2) | instid1(VALU_DEP_1)
	v_rcp_iflag_f32_e32 v3, v3
	s_waitcnt_depctr 0xfff
	v_mul_f32_e32 v3, 0x4f7ffffe, v3
	v_cvt_u32_f32_e32 v3, v3
	s_delay_alu instid0(VALU_DEP_1) | instskip(NEXT) | instid1(VALU_DEP_1)
	v_mul_lo_u32 v4, s4, v3
	v_mul_hi_u32 v4, v3, v4
	s_delay_alu instid0(VALU_DEP_1) | instskip(NEXT) | instid1(VALU_DEP_1)
	v_add_nc_u32_e32 v3, v3, v4
	v_mul_hi_u32 v3, s19, v3
	s_delay_alu instid0(VALU_DEP_1) | instskip(NEXT) | instid1(VALU_DEP_1)
	v_mul_lo_u32 v3, v3, s33
	v_sub_nc_u32_e32 v3, s19, v3
	s_delay_alu instid0(VALU_DEP_1) | instskip(SKIP_1) | instid1(VALU_DEP_2)
	v_subrev_nc_u32_e32 v4, s33, v3
	v_cmp_le_u32_e32 vcc_lo, s33, v3
	v_cndmask_b32_e32 v3, v3, v4, vcc_lo
	s_delay_alu instid0(VALU_DEP_1) | instskip(SKIP_1) | instid1(VALU_DEP_2)
	v_subrev_nc_u32_e32 v4, s33, v3
	v_cmp_le_u32_e32 vcc_lo, s33, v3
	v_cndmask_b32_e32 v15, v3, v4, vcc_lo
	s_delay_alu instid0(VALU_DEP_1)
	v_dual_mov_b32 v3, v15 :: v_dual_mov_b32 v4, v16
.LBB103_162:                            ;   in Loop: Header=BB103_37 Depth=1
	s_delay_alu instid0(VALU_DEP_1) | instskip(NEXT) | instid1(VALU_DEP_2)
	v_sub_co_u32 v7, vcc_lo, s19, v3
	v_sub_co_ci_u32_e32 v8, vcc_lo, s5, v4, vcc_lo
	s_mov_b32 s4, 0
	s_mov_b32 s5, exec_lo
                                        ; implicit-def: $vgpr5_vgpr6
	s_delay_alu instid0(VALU_DEP_1)
	v_cmpx_gt_u64_e64 v[7:8], v[0:1]
	s_cbranch_execz .LBB103_175
; %bb.163:                              ;   in Loop: Header=BB103_37 Depth=1
	v_dual_mov_b32 v11, v42 :: v_dual_mov_b32 v10, v1
	v_mov_b32_e32 v9, v0
	s_mov_b32 s19, 0
                                        ; implicit-def: $sgpr4
	s_set_inst_prefetch_distance 0x1
	s_branch .LBB103_165
	.p2align	6
.LBB103_164:                            ;   in Loop: Header=BB103_165 Depth=2
	s_or_b32 exec_lo, exec_lo, s22
	s_waitcnt lgkmcnt(0)
	s_barrier
	buffer_gl0_inv
	ds_load_b128 v[3:6], v16 offset:3072
	v_add_co_u32 v9, vcc_lo, v9, s33
	v_add_co_ci_u32_e32 v10, vcc_lo, 0, v10, vcc_lo
	v_add_nc_u32_e32 v11, s90, v11
	s_waitcnt lgkmcnt(0)
	s_barrier
	s_delay_alu instid0(VALU_DEP_2) | instskip(SKIP_3) | instid1(VALU_DEP_1)
	v_cmp_ge_u64_e32 vcc_lo, v[9:10], v[7:8]
	buffer_gl0_inv
	v_readfirstlane_b32 s23, v4
	v_readfirstlane_b32 s22, v3
	s_cmp_lg_u64 s[22:23], 0
	s_cselect_b32 s22, -1, 0
	s_delay_alu instid0(SALU_CYCLE_1) | instskip(NEXT) | instid1(SALU_CYCLE_1)
	s_or_b32 s23, vcc_lo, s22
	s_and_b32 s23, exec_lo, s23
	s_delay_alu instid0(SALU_CYCLE_1) | instskip(SKIP_2) | instid1(SALU_CYCLE_1)
	s_or_b32 s19, s23, s19
	s_and_not1_b32 s4, s4, exec_lo
	s_and_b32 s22, s22, exec_lo
	s_or_b32 s4, s4, s22
	s_and_not1_b32 exec_lo, exec_lo, s19
	s_cbranch_execz .LBB103_174
.LBB103_165:                            ;   Parent Loop BB103_37 Depth=1
                                        ; =>  This Inner Loop Header: Depth=2
	s_delay_alu instid0(VALU_DEP_1)
	v_cmp_gt_u64_e32 vcc_lo, s[16:17], v[9:10]
	v_mov_b32_e32 v4, 0
	v_mov_b32_e32 v5, 0
	s_and_saveexec_b32 s22, vcc_lo
	s_cbranch_execz .LBB103_167
; %bb.166:                              ;   in Loop: Header=BB103_165 Depth=2
	ds_load_b64 v[4:5], v11
.LBB103_167:                            ;   in Loop: Header=BB103_165 Depth=2
	s_or_b32 exec_lo, exec_lo, s22
	s_and_saveexec_b32 s22, vcc_lo
	s_cbranch_execz .LBB103_164
; %bb.168:                              ;   in Loop: Header=BB103_165 Depth=2
	s_waitcnt lgkmcnt(0)
	v_xor_b32_e32 v3, 0x80000000, v5
	v_and_b32_e32 v12, s66, v4
	s_delay_alu instid0(VALU_DEP_2) | instskip(NEXT) | instid1(VALU_DEP_1)
	v_and_b32_e32 v13, s67, v3
	v_cmp_eq_u64_e32 vcc_lo, s[64:65], v[12:13]
	s_and_b32 exec_lo, exec_lo, vcc_lo
	s_cbranch_execz .LBB103_164
; %bb.169:                              ;   in Loop: Header=BB103_165 Depth=2
	v_mov_b32_e32 v3, v16
	ds_store_b128 v16, v[2:5] offset:3072
	s_branch .LBB103_164
.LBB103_170:                            ;   in Loop: Header=BB103_37 Depth=1
                                        ; implicit-def: $sgpr22
                                        ; implicit-def: $sgpr23
                                        ; implicit-def: $sgpr19
	s_branch .LBB103_189
.LBB103_171:                            ;   in Loop: Header=BB103_37 Depth=1
                                        ; implicit-def: $vgpr3_vgpr4
	s_branch .LBB103_116
.LBB103_172:                            ;   in Loop: Header=BB103_37 Depth=1
                                        ; implicit-def: $vgpr3_vgpr4
	s_branch .LBB103_131
.LBB103_173:                            ;   in Loop: Header=BB103_37 Depth=1
	s_mov_b32 s22, -1
	s_mov_b32 s4, 0
                                        ; implicit-def: $sgpr19
                                        ; implicit-def: $vgpr5_vgpr6
	s_mov_b32 s23, s22
	s_cbranch_execnz .LBB103_176
	s_branch .LBB103_189
.LBB103_174:                            ;   in Loop: Header=BB103_37 Depth=1
	s_set_inst_prefetch_distance 0x2
	s_or_b32 exec_lo, exec_lo, s19
	s_delay_alu instid0(SALU_CYCLE_1)
	s_and_b32 s4, s4, exec_lo
.LBB103_175:                            ;   in Loop: Header=BB103_37 Depth=1
	s_or_b32 exec_lo, exec_lo, s5
	s_mov_b32 s19, -1
	s_mov_b32 s22, 0
	s_delay_alu instid0(SALU_CYCLE_1)
	s_mov_b32 s23, s22
	s_branch .LBB103_189
.LBB103_176:                            ;   in Loop: Header=BB103_37 Depth=1
	s_mov_b32 s54, s53
	s_delay_alu instid0(SALU_CYCLE_1)
	s_cmp_lg_u64 s[54:55], 0
	s_cbranch_scc0 .LBB103_219
; %bb.177:                              ;   in Loop: Header=BB103_37 Depth=1
	v_cvt_f32_u32_e32 v3, s33
	s_sub_u32 s16, 0, s33
	s_subb_u32 s17, 0, 0
	s_delay_alu instid0(VALU_DEP_1) | instskip(NEXT) | instid1(VALU_DEP_1)
	v_fmac_f32_e64 v3, 0, 0x4f800000
	v_rcp_f32_e32 v3, v3
	s_waitcnt_depctr 0xfff
	v_mul_f32_e32 v3, 0x5f7ffffc, v3
	s_delay_alu instid0(VALU_DEP_1) | instskip(NEXT) | instid1(VALU_DEP_1)
	v_mul_f32_e32 v4, 0x2f800000, v3
	v_trunc_f32_e32 v4, v4
	s_delay_alu instid0(VALU_DEP_1) | instskip(SKIP_1) | instid1(VALU_DEP_2)
	v_fmac_f32_e32 v3, 0xcf800000, v4
	v_cvt_u32_f32_e32 v4, v4
	v_cvt_u32_f32_e32 v3, v3
	s_delay_alu instid0(VALU_DEP_2) | instskip(NEXT) | instid1(VALU_DEP_2)
	v_readfirstlane_b32 s4, v4
	v_readfirstlane_b32 s5, v3
	s_delay_alu instid0(VALU_DEP_2) | instskip(NEXT) | instid1(VALU_DEP_1)
	s_mul_i32 s19, s16, s4
	s_mul_hi_u32 s23, s16, s5
	s_mul_i32 s22, s17, s5
	s_add_i32 s19, s23, s19
	s_mul_i32 s52, s16, s5
	s_add_i32 s19, s19, s22
	s_mul_hi_u32 s23, s5, s52
	s_mul_hi_u32 s54, s4, s52
	s_mul_i32 s22, s4, s52
	s_mul_hi_u32 s52, s5, s19
	s_mul_i32 s5, s5, s19
	s_mul_hi_u32 s69, s4, s19
	s_add_u32 s5, s23, s5
	s_addc_u32 s23, 0, s52
	s_add_u32 s5, s5, s22
	s_mul_i32 s19, s4, s19
	s_addc_u32 s5, s23, s54
	s_addc_u32 s22, s69, 0
	s_add_u32 s5, s5, s19
	s_addc_u32 s19, 0, s22
	v_add_co_u32 v3, s5, v3, s5
	s_delay_alu instid0(VALU_DEP_1) | instskip(SKIP_1) | instid1(VALU_DEP_1)
	s_cmp_lg_u32 s5, 0
	s_addc_u32 s4, s4, s19
	v_readfirstlane_b32 s5, v3
	s_mul_i32 s19, s16, s4
	s_delay_alu instid0(VALU_DEP_1)
	s_mul_hi_u32 s22, s16, s5
	s_mul_i32 s17, s17, s5
	s_add_i32 s19, s22, s19
	s_mul_i32 s16, s16, s5
	s_add_i32 s19, s19, s17
	s_mul_hi_u32 s22, s4, s16
	s_mul_i32 s23, s4, s16
	s_mul_hi_u32 s16, s5, s16
	s_mul_hi_u32 s52, s5, s19
	s_mul_i32 s5, s5, s19
	s_mul_hi_u32 s17, s4, s19
	s_add_u32 s5, s16, s5
	s_addc_u32 s16, 0, s52
	s_add_u32 s5, s5, s23
	s_mul_i32 s19, s4, s19
	s_addc_u32 s5, s16, s22
	s_addc_u32 s16, s17, 0
	s_add_u32 s5, s5, s19
	s_addc_u32 s16, 0, s16
	v_add_co_u32 v3, s5, v3, s5
	s_delay_alu instid0(VALU_DEP_1) | instskip(SKIP_1) | instid1(VALU_DEP_1)
	s_cmp_lg_u32 s5, 0
	s_addc_u32 s4, s4, s16
	v_readfirstlane_b32 s5, v3
	s_mul_i32 s17, s84, s4
	s_mul_hi_u32 s16, s84, s4
	s_mul_hi_u32 s19, s55, s4
	s_mul_i32 s4, s55, s4
	s_mul_hi_u32 s22, s84, s5
	s_mul_hi_u32 s23, s55, s5
	s_mul_i32 s5, s55, s5
	s_add_u32 s17, s22, s17
	s_addc_u32 s16, 0, s16
	s_add_u32 s5, s17, s5
	s_addc_u32 s5, s16, s23
	s_addc_u32 s16, s19, 0
	s_add_u32 s4, s5, s4
	s_addc_u32 s5, 0, s16
	s_mul_hi_u32 s16, s33, s4
	s_mul_i32 s4, s33, s4
	s_mul_i32 s5, s33, s5
	v_sub_co_u32 v3, s4, s84, s4
	s_add_i32 s16, s16, s5
	s_cmp_lg_u32 s4, 0
	s_delay_alu instid0(VALU_DEP_1) | instskip(SKIP_2) | instid1(VALU_DEP_1)
	v_sub_co_u32 v4, s4, v3, s33
	s_subb_u32 s5, s55, s16
	s_cmp_lg_u32 s4, 0
	v_cmp_le_u32_e32 vcc_lo, s33, v4
	v_sub_co_u32 v5, s4, v4, s33
	s_subb_u32 s16, s5, 0
	s_cmp_lg_u32 s4, 0
	v_cndmask_b32_e64 v6, 0, -1, vcc_lo
	s_subb_u32 s4, s16, 0
	s_cmp_eq_u32 s16, 0
	v_mov_b32_e32 v8, s4
	s_cselect_b32 vcc_lo, -1, 0
	s_cmp_eq_u32 s5, 0
	v_cndmask_b32_e32 v6, -1, v6, vcc_lo
	v_cmp_le_u32_e32 vcc_lo, s33, v3
	s_cselect_b32 s4, -1, 0
	v_cndmask_b32_e64 v7, 0, -1, vcc_lo
	s_delay_alu instid0(VALU_DEP_3) | instskip(NEXT) | instid1(VALU_DEP_2)
	v_cmp_ne_u32_e32 vcc_lo, 0, v6
	v_cndmask_b32_e64 v6, -1, v7, s4
	v_cndmask_b32_e32 v7, s16, v8, vcc_lo
	v_cndmask_b32_e32 v5, v4, v5, vcc_lo
	s_delay_alu instid0(VALU_DEP_3) | instskip(NEXT) | instid1(VALU_DEP_3)
	v_cmp_ne_u32_e32 vcc_lo, 0, v6
	v_cndmask_b32_e32 v4, s5, v7, vcc_lo
	s_delay_alu instid0(VALU_DEP_3)
	v_cndmask_b32_e32 v3, v3, v5, vcc_lo
	s_cbranch_execnz .LBB103_179
.LBB103_178:                            ;   in Loop: Header=BB103_37 Depth=1
	v_cvt_f32_u32_e32 v3, s33
	s_sub_i32 s4, 0, s33
	s_delay_alu instid0(VALU_DEP_1) | instskip(SKIP_2) | instid1(VALU_DEP_1)
	v_rcp_iflag_f32_e32 v3, v3
	s_waitcnt_depctr 0xfff
	v_mul_f32_e32 v3, 0x4f7ffffe, v3
	v_cvt_u32_f32_e32 v3, v3
	s_delay_alu instid0(VALU_DEP_1) | instskip(NEXT) | instid1(VALU_DEP_1)
	v_mul_lo_u32 v4, s4, v3
	v_mul_hi_u32 v4, v3, v4
	s_delay_alu instid0(VALU_DEP_1) | instskip(NEXT) | instid1(VALU_DEP_1)
	v_add_nc_u32_e32 v3, v3, v4
	v_mul_hi_u32 v3, s84, v3
	s_delay_alu instid0(VALU_DEP_1) | instskip(NEXT) | instid1(VALU_DEP_1)
	v_mul_lo_u32 v3, v3, s33
	v_sub_nc_u32_e32 v3, s84, v3
	s_delay_alu instid0(VALU_DEP_1) | instskip(SKIP_1) | instid1(VALU_DEP_2)
	v_subrev_nc_u32_e32 v4, s33, v3
	v_cmp_le_u32_e32 vcc_lo, s33, v3
	v_cndmask_b32_e32 v3, v3, v4, vcc_lo
	s_delay_alu instid0(VALU_DEP_1) | instskip(SKIP_1) | instid1(VALU_DEP_2)
	v_subrev_nc_u32_e32 v4, s33, v3
	v_cmp_le_u32_e32 vcc_lo, s33, v3
	v_cndmask_b32_e32 v15, v3, v4, vcc_lo
	s_delay_alu instid0(VALU_DEP_1)
	v_dual_mov_b32 v3, v15 :: v_dual_mov_b32 v4, v16
.LBB103_179:                            ;   in Loop: Header=BB103_37 Depth=1
	s_delay_alu instid0(VALU_DEP_1) | instskip(NEXT) | instid1(VALU_DEP_2)
	v_sub_co_u32 v7, vcc_lo, s84, v3
	v_sub_co_ci_u32_e32 v8, vcc_lo, s55, v4, vcc_lo
	s_mov_b32 s4, 0
	s_mov_b32 s5, exec_lo
                                        ; implicit-def: $vgpr5_vgpr6
	s_delay_alu instid0(VALU_DEP_1)
	v_cmpx_gt_u64_e64 v[7:8], v[0:1]
	s_cbranch_execz .LBB103_188
; %bb.180:                              ;   in Loop: Header=BB103_37 Depth=1
	v_dual_mov_b32 v9, v17 :: v_dual_mov_b32 v10, v18
	v_dual_mov_b32 v12, v1 :: v_dual_mov_b32 v11, v0
	s_mov_b32 s16, 0
                                        ; implicit-def: $sgpr4
	s_set_inst_prefetch_distance 0x1
	s_branch .LBB103_182
	.p2align	6
.LBB103_181:                            ;   in Loop: Header=BB103_182 Depth=2
	s_or_b32 exec_lo, exec_lo, s17
	s_waitcnt vmcnt(0) lgkmcnt(0)
	s_barrier
	buffer_gl0_inv
	ds_load_b128 v[3:6], v16 offset:3072
	v_add_co_u32 v11, vcc_lo, v11, s33
	v_add_co_ci_u32_e32 v12, vcc_lo, 0, v12, vcc_lo
	s_waitcnt lgkmcnt(0)
	s_barrier
	buffer_gl0_inv
	v_cmp_ge_u64_e32 vcc_lo, v[11:12], v[7:8]
	v_readfirstlane_b32 s23, v4
	v_readfirstlane_b32 s22, v3
	s_delay_alu instid0(VALU_DEP_1) | instskip(SKIP_1) | instid1(SALU_CYCLE_1)
	s_cmp_lg_u64 s[22:23], 0
	s_cselect_b32 s17, -1, 0
	s_or_b32 s19, vcc_lo, s17
	v_add_co_u32 v9, vcc_lo, v9, s50
	s_and_b32 s19, exec_lo, s19
	v_add_co_ci_u32_e32 v10, vcc_lo, s51, v10, vcc_lo
	s_or_b32 s16, s19, s16
	s_and_not1_b32 s4, s4, exec_lo
	s_and_b32 s17, s17, exec_lo
	s_delay_alu instid0(SALU_CYCLE_1)
	s_or_b32 s4, s4, s17
	s_and_not1_b32 exec_lo, exec_lo, s16
	s_cbranch_execz .LBB103_187
.LBB103_182:                            ;   Parent Loop BB103_37 Depth=1
                                        ; =>  This Inner Loop Header: Depth=2
	s_delay_alu instid0(VALU_DEP_1)
	v_cmp_gt_u64_e32 vcc_lo, s[24:25], v[11:12]
	v_mov_b32_e32 v4, 0
	v_mov_b32_e32 v5, 0
	s_and_saveexec_b32 s17, vcc_lo
	s_cbranch_execz .LBB103_184
; %bb.183:                              ;   in Loop: Header=BB103_182 Depth=2
	global_load_b64 v[4:5], v[9:10], off
.LBB103_184:                            ;   in Loop: Header=BB103_182 Depth=2
	s_or_b32 exec_lo, exec_lo, s17
	s_and_saveexec_b32 s17, vcc_lo
	s_cbranch_execz .LBB103_181
; %bb.185:                              ;   in Loop: Header=BB103_182 Depth=2
	s_waitcnt vmcnt(0)
	v_xor_b32_e32 v3, 0x80000000, v5
	v_and_b32_e32 v13, s66, v4
	s_delay_alu instid0(VALU_DEP_2) | instskip(NEXT) | instid1(VALU_DEP_1)
	v_and_b32_e32 v14, s67, v3
	v_cmp_eq_u64_e32 vcc_lo, s[64:65], v[13:14]
	s_and_b32 exec_lo, exec_lo, vcc_lo
	s_cbranch_execz .LBB103_181
; %bb.186:                              ;   in Loop: Header=BB103_182 Depth=2
	v_mov_b32_e32 v3, v16
	ds_store_b128 v16, v[2:5] offset:3072
	s_branch .LBB103_181
.LBB103_187:                            ;   in Loop: Header=BB103_37 Depth=1
	s_set_inst_prefetch_distance 0x2
	s_or_b32 exec_lo, exec_lo, s16
	s_delay_alu instid0(SALU_CYCLE_1)
	s_and_b32 s4, s4, exec_lo
.LBB103_188:                            ;   in Loop: Header=BB103_37 Depth=1
	s_or_b32 exec_lo, exec_lo, s5
	s_mov_b32 s23, -1
	s_mov_b32 s22, 0
	s_mov_b32 s19, 0
.LBB103_189:                            ;   in Loop: Header=BB103_37 Depth=1
	s_mov_b32 s5, 0
                                        ; implicit-def: $sgpr54
	s_and_saveexec_b32 s52, s4
	s_cbranch_execz .LBB103_300
; %bb.190:                              ;   in Loop: Header=BB103_37 Depth=1
	s_xor_b32 s4, s68, -1
	s_mov_b32 s54, 1
	s_and_not1_b32 vcc_lo, exec_lo, s4
	s_cbranch_vccnz .LBB103_201
; %bb.191:                              ;   in Loop: Header=BB103_37 Depth=1
	v_cmp_gt_u64_e64 s4, s[46:47], s[14:15]
	s_mov_b32 s68, -1
                                        ; implicit-def: $sgpr54
                                        ; implicit-def: $sgpr16_sgpr17
	s_delay_alu instid0(VALU_DEP_1)
	s_and_b32 vcc_lo, exec_lo, s4
                                        ; implicit-def: $sgpr4_sgpr5
	s_cbranch_vccnz .LBB103_197
; %bb.192:                              ;   in Loop: Header=BB103_37 Depth=1
	ds_load_b64 v[3:4], v16 offset:5120
	s_waitcnt lgkmcnt(0)
	v_cmp_ne_u64_e32 vcc_lo, 0, v[3:4]
	s_cbranch_vccnz .LBB103_196
; %bb.193:                              ;   in Loop: Header=BB103_37 Depth=1
	s_and_saveexec_b32 s4, s2
	s_cbranch_execz .LBB103_195
; %bb.194:                              ;   in Loop: Header=BB103_37 Depth=1
	v_dual_mov_b32 v3, s14 :: v_dual_mov_b32 v4, s15
	ds_store_b64 v16, v[3:4] offset:5128
.LBB103_195:                            ;   in Loop: Header=BB103_37 Depth=1
	s_or_b32 exec_lo, exec_lo, s4
	s_waitcnt lgkmcnt(0)
	s_barrier
	buffer_gl0_inv
.LBB103_196:                            ;   in Loop: Header=BB103_37 Depth=1
	s_lshl_b64 s[4:5], 1, s21
	s_and_b64 s[16:17], s[64:65], s[12:13]
	s_mov_b32 s68, 0
	s_or_b64 s[4:5], s[16:17], s[4:5]
	s_or_b64 s[16:17], s[66:67], s[8:9]
	s_mov_b32 s54, 8
.LBB103_197:                            ;   in Loop: Header=BB103_37 Depth=1
	s_and_not1_b32 vcc_lo, exec_lo, s68
	s_cbranch_vccnz .LBB103_199
; %bb.198:                              ;   in Loop: Header=BB103_37 Depth=1
	s_sub_u32 s46, s46, s14
	s_subb_u32 s47, s47, s15
	s_mov_b32 s68, -1
	s_mov_b32 s54, 0
	s_mov_b64 s[4:5], s[64:65]
	s_mov_b64 s[16:17], s[66:67]
.LBB103_199:                            ;   in Loop: Header=BB103_37 Depth=1
	s_delay_alu instid0(SALU_CYCLE_1)
	s_mov_b64 s[66:67], s[16:17]
	s_mov_b64 s[64:65], s[4:5]
	s_and_not1_b32 vcc_lo, exec_lo, s68
	s_mov_b32 s5, -1
	s_cbranch_vccz .LBB103_202
.LBB103_200:                            ;   in Loop: Header=BB103_37 Depth=1
                                        ; implicit-def: $sgpr17
                                        ; implicit-def: $sgpr68
                                        ; implicit-def: $sgpr16
	s_branch .LBB103_299
.LBB103_201:                            ;   in Loop: Header=BB103_37 Depth=1
	s_mov_b64 s[46:47], 1
	s_mov_b32 s5, -1
	s_cbranch_execnz .LBB103_200
.LBB103_202:                            ;   in Loop: Header=BB103_37 Depth=1
	s_cmp_eq_u64 s[10:11], 1
	s_cselect_b32 s4, -1, 0
	s_cmp_eq_u64 s[46:47], 1
	s_cselect_b32 s5, -1, 0
	s_delay_alu instid0(SALU_CYCLE_1)
	s_and_b32 s70, s4, s5
	s_mov_b32 s4, -1
	s_and_b32 vcc_lo, exec_lo, s70
	s_cbranch_vccz .LBB103_217
; %bb.203:                              ;   in Loop: Header=BB103_37 Depth=1
	ds_load_b64 v[3:4], v16 offset:5120
	s_waitcnt lgkmcnt(0)
	s_barrier
	buffer_gl0_inv
	v_readfirstlane_b32 s14, v3
	v_readfirstlane_b32 s15, v4
	s_and_saveexec_b32 s4, s3
	s_cbranch_execz .LBB103_205
; %bb.204:                              ;   in Loop: Header=BB103_37 Depth=1
	v_mov_b32_e32 v15, v16
	ds_store_b64 v43, v[15:16]
.LBB103_205:                            ;   in Loop: Header=BB103_37 Depth=1
	s_or_b32 exec_lo, exec_lo, s4
	s_lshl_b64 s[4:5], 2, s21
	s_and_b64 s[16:17], s[64:65], s[12:13]
	s_or_b64 s[66:67], s[66:67], s[8:9]
	s_or_b64 s[64:65], s[16:17], s[4:5]
	s_cmp_eq_u64 s[14:15], 0
	s_waitcnt lgkmcnt(0)
	s_barrier
	buffer_gl0_inv
	s_cbranch_scc1 .LBB103_220
; %bb.206:                              ;   in Loop: Header=BB103_37 Depth=1
	s_add_u32 s16, s82, s14
	s_addc_u32 s5, s83, s15
	s_mov_b32 s4, s53
	s_delay_alu instid0(SALU_CYCLE_1)
	s_cmp_lg_u64 s[4:5], 0
	s_cbranch_scc0 .LBB103_265
; %bb.207:                              ;   in Loop: Header=BB103_37 Depth=1
	v_cvt_f32_u32_e32 v3, s33
	s_sub_u32 s54, 0, s33
	s_subb_u32 s68, 0, 0
	s_delay_alu instid0(VALU_DEP_1) | instskip(NEXT) | instid1(VALU_DEP_1)
	v_fmac_f32_e64 v3, 0, 0x4f800000
	v_rcp_f32_e32 v3, v3
	s_waitcnt_depctr 0xfff
	v_mul_f32_e32 v3, 0x5f7ffffc, v3
	s_delay_alu instid0(VALU_DEP_1) | instskip(NEXT) | instid1(VALU_DEP_1)
	v_mul_f32_e32 v4, 0x2f800000, v3
	v_trunc_f32_e32 v4, v4
	s_delay_alu instid0(VALU_DEP_1) | instskip(SKIP_1) | instid1(VALU_DEP_2)
	v_fmac_f32_e32 v3, 0xcf800000, v4
	v_cvt_u32_f32_e32 v4, v4
	v_cvt_u32_f32_e32 v3, v3
	s_delay_alu instid0(VALU_DEP_2) | instskip(NEXT) | instid1(VALU_DEP_2)
	v_readfirstlane_b32 s4, v4
	v_readfirstlane_b32 s17, v3
	s_delay_alu instid0(VALU_DEP_2) | instskip(NEXT) | instid1(VALU_DEP_1)
	s_mul_i32 s69, s54, s4
	s_mul_hi_u32 s72, s54, s17
	s_mul_i32 s71, s68, s17
	s_add_i32 s69, s72, s69
	s_mul_i32 s73, s54, s17
	s_add_i32 s69, s69, s71
	s_mul_hi_u32 s72, s17, s73
	s_mul_hi_u32 s74, s4, s73
	s_mul_i32 s71, s4, s73
	s_mul_hi_u32 s73, s17, s69
	s_mul_i32 s17, s17, s69
	s_mul_hi_u32 s75, s4, s69
	s_add_u32 s17, s72, s17
	s_addc_u32 s72, 0, s73
	s_add_u32 s17, s17, s71
	s_mul_i32 s69, s4, s69
	s_addc_u32 s17, s72, s74
	s_addc_u32 s71, s75, 0
	s_add_u32 s17, s17, s69
	s_addc_u32 s69, 0, s71
	v_add_co_u32 v3, s17, v3, s17
	s_delay_alu instid0(VALU_DEP_1) | instskip(SKIP_1) | instid1(VALU_DEP_1)
	s_cmp_lg_u32 s17, 0
	s_addc_u32 s4, s4, s69
	v_readfirstlane_b32 s17, v3
	s_mul_i32 s69, s54, s4
	s_delay_alu instid0(VALU_DEP_1)
	s_mul_hi_u32 s71, s54, s17
	s_mul_i32 s68, s68, s17
	s_add_i32 s69, s71, s69
	s_mul_i32 s54, s54, s17
	s_add_i32 s69, s69, s68
	s_mul_hi_u32 s71, s4, s54
	s_mul_i32 s72, s4, s54
	s_mul_hi_u32 s54, s17, s54
	s_mul_hi_u32 s73, s17, s69
	s_mul_i32 s17, s17, s69
	s_mul_hi_u32 s68, s4, s69
	s_add_u32 s17, s54, s17
	s_addc_u32 s54, 0, s73
	s_add_u32 s17, s17, s72
	s_mul_i32 s69, s4, s69
	s_addc_u32 s17, s54, s71
	s_addc_u32 s54, s68, 0
	s_add_u32 s17, s17, s69
	s_addc_u32 s54, 0, s54
	v_add_co_u32 v3, s17, v3, s17
	s_delay_alu instid0(VALU_DEP_1) | instskip(SKIP_1) | instid1(VALU_DEP_1)
	s_cmp_lg_u32 s17, 0
	s_addc_u32 s4, s4, s54
	v_readfirstlane_b32 s17, v3
	s_mul_i32 s68, s16, s4
	s_mul_hi_u32 s54, s16, s4
	s_mul_hi_u32 s69, s5, s4
	s_mul_i32 s4, s5, s4
	s_mul_hi_u32 s71, s16, s17
	s_mul_hi_u32 s72, s5, s17
	s_mul_i32 s17, s5, s17
	s_add_u32 s68, s71, s68
	s_addc_u32 s54, 0, s54
	s_add_u32 s17, s68, s17
	s_addc_u32 s17, s54, s72
	s_addc_u32 s54, s69, 0
	s_add_u32 s4, s17, s4
	s_addc_u32 s17, 0, s54
	s_mul_hi_u32 s54, s33, s4
	s_mul_i32 s4, s33, s4
	s_mul_i32 s17, s33, s17
	v_sub_co_u32 v3, s4, s16, s4
	s_add_i32 s54, s54, s17
	s_cmp_lg_u32 s4, 0
	s_delay_alu instid0(VALU_DEP_1) | instskip(SKIP_2) | instid1(VALU_DEP_1)
	v_sub_co_u32 v4, s4, v3, s33
	s_subb_u32 s17, s5, s54
	s_cmp_lg_u32 s4, 0
	v_cmp_le_u32_e32 vcc_lo, s33, v4
	v_sub_co_u32 v5, s4, v4, s33
	s_subb_u32 s54, s17, 0
	s_cmp_lg_u32 s4, 0
	v_cndmask_b32_e64 v6, 0, -1, vcc_lo
	s_subb_u32 s4, s54, 0
	s_cmp_eq_u32 s54, 0
	v_mov_b32_e32 v8, s4
	s_cselect_b32 vcc_lo, -1, 0
	s_cmp_eq_u32 s17, 0
	v_cndmask_b32_e32 v6, -1, v6, vcc_lo
	v_cmp_le_u32_e32 vcc_lo, s33, v3
	s_cselect_b32 s4, -1, 0
	v_cndmask_b32_e64 v7, 0, -1, vcc_lo
	s_delay_alu instid0(VALU_DEP_3) | instskip(NEXT) | instid1(VALU_DEP_2)
	v_cmp_ne_u32_e32 vcc_lo, 0, v6
	v_cndmask_b32_e64 v6, -1, v7, s4
	v_cndmask_b32_e32 v7, s54, v8, vcc_lo
	v_cndmask_b32_e32 v5, v4, v5, vcc_lo
	s_delay_alu instid0(VALU_DEP_3) | instskip(NEXT) | instid1(VALU_DEP_3)
	v_cmp_ne_u32_e32 vcc_lo, 0, v6
	v_cndmask_b32_e32 v4, s17, v7, vcc_lo
	s_delay_alu instid0(VALU_DEP_3)
	v_cndmask_b32_e32 v3, v3, v5, vcc_lo
	s_cbranch_execnz .LBB103_209
.LBB103_208:                            ;   in Loop: Header=BB103_37 Depth=1
	v_cvt_f32_u32_e32 v3, s33
	s_sub_i32 s4, 0, s33
	s_delay_alu instid0(VALU_DEP_1) | instskip(SKIP_2) | instid1(VALU_DEP_1)
	v_rcp_iflag_f32_e32 v3, v3
	s_waitcnt_depctr 0xfff
	v_mul_f32_e32 v3, 0x4f7ffffe, v3
	v_cvt_u32_f32_e32 v3, v3
	s_delay_alu instid0(VALU_DEP_1) | instskip(NEXT) | instid1(VALU_DEP_1)
	v_mul_lo_u32 v4, s4, v3
	v_mul_hi_u32 v4, v3, v4
	s_delay_alu instid0(VALU_DEP_1) | instskip(NEXT) | instid1(VALU_DEP_1)
	v_add_nc_u32_e32 v3, v3, v4
	v_mul_hi_u32 v3, s16, v3
	s_delay_alu instid0(VALU_DEP_1) | instskip(NEXT) | instid1(VALU_DEP_1)
	v_mul_lo_u32 v3, v3, s33
	v_sub_nc_u32_e32 v3, s16, v3
	s_delay_alu instid0(VALU_DEP_1) | instskip(SKIP_1) | instid1(VALU_DEP_2)
	v_subrev_nc_u32_e32 v4, s33, v3
	v_cmp_le_u32_e32 vcc_lo, s33, v3
	v_cndmask_b32_e32 v3, v3, v4, vcc_lo
	s_delay_alu instid0(VALU_DEP_1) | instskip(SKIP_1) | instid1(VALU_DEP_2)
	v_subrev_nc_u32_e32 v4, s33, v3
	v_cmp_le_u32_e32 vcc_lo, s33, v3
	v_cndmask_b32_e32 v15, v3, v4, vcc_lo
	s_delay_alu instid0(VALU_DEP_1)
	v_dual_mov_b32 v3, v15 :: v_dual_mov_b32 v4, v16
.LBB103_209:                            ;   in Loop: Header=BB103_37 Depth=1
	s_delay_alu instid0(VALU_DEP_1) | instskip(NEXT) | instid1(VALU_DEP_2)
	v_sub_co_u32 v7, vcc_lo, s16, v3
	v_sub_co_ci_u32_e32 v8, vcc_lo, s5, v4, vcc_lo
	s_mov_b32 s4, 0
	s_mov_b32 s5, exec_lo
                                        ; implicit-def: $vgpr5_vgpr6
	s_delay_alu instid0(VALU_DEP_1)
	v_cmpx_gt_u64_e64 v[7:8], v[0:1]
	s_cbranch_execz .LBB103_222
; %bb.210:                              ;   in Loop: Header=BB103_37 Depth=1
	v_dual_mov_b32 v11, v42 :: v_dual_mov_b32 v10, v1
	v_mov_b32_e32 v9, v0
	s_mov_b32 s16, 0
                                        ; implicit-def: $sgpr4
	s_set_inst_prefetch_distance 0x1
	s_branch .LBB103_212
	.p2align	6
.LBB103_211:                            ;   in Loop: Header=BB103_212 Depth=2
	s_or_b32 exec_lo, exec_lo, s17
	s_waitcnt lgkmcnt(0)
	s_barrier
	buffer_gl0_inv
	ds_load_b128 v[3:6], v16 offset:3072
	v_add_co_u32 v9, vcc_lo, v9, s33
	v_add_co_ci_u32_e32 v10, vcc_lo, 0, v10, vcc_lo
	v_add_nc_u32_e32 v11, s90, v11
	s_waitcnt lgkmcnt(0)
	s_barrier
	s_delay_alu instid0(VALU_DEP_2) | instskip(SKIP_3) | instid1(VALU_DEP_1)
	v_cmp_ge_u64_e32 vcc_lo, v[9:10], v[7:8]
	buffer_gl0_inv
	v_readfirstlane_b32 s69, v4
	v_readfirstlane_b32 s68, v3
	s_cmp_lg_u64 s[68:69], 0
	s_cselect_b32 s17, -1, 0
	s_delay_alu instid0(SALU_CYCLE_1) | instskip(NEXT) | instid1(SALU_CYCLE_1)
	s_or_b32 s54, vcc_lo, s17
	s_and_b32 s54, exec_lo, s54
	s_delay_alu instid0(SALU_CYCLE_1) | instskip(SKIP_2) | instid1(SALU_CYCLE_1)
	s_or_b32 s16, s54, s16
	s_and_not1_b32 s4, s4, exec_lo
	s_and_b32 s17, s17, exec_lo
	s_or_b32 s4, s4, s17
	s_and_not1_b32 exec_lo, exec_lo, s16
	s_cbranch_execz .LBB103_221
.LBB103_212:                            ;   Parent Loop BB103_37 Depth=1
                                        ; =>  This Inner Loop Header: Depth=2
	s_delay_alu instid0(VALU_DEP_1)
	v_cmp_gt_u64_e32 vcc_lo, s[14:15], v[9:10]
	v_mov_b32_e32 v4, 0
	v_mov_b32_e32 v5, 0
	s_and_saveexec_b32 s17, vcc_lo
	s_cbranch_execz .LBB103_214
; %bb.213:                              ;   in Loop: Header=BB103_212 Depth=2
	ds_load_b64 v[4:5], v11
.LBB103_214:                            ;   in Loop: Header=BB103_212 Depth=2
	s_or_b32 exec_lo, exec_lo, s17
	s_and_saveexec_b32 s17, vcc_lo
	s_cbranch_execz .LBB103_211
; %bb.215:                              ;   in Loop: Header=BB103_212 Depth=2
	s_waitcnt lgkmcnt(0)
	v_xor_b32_e32 v3, 0x80000000, v5
	v_and_b32_e32 v12, s66, v4
	s_delay_alu instid0(VALU_DEP_2) | instskip(NEXT) | instid1(VALU_DEP_1)
	v_and_b32_e32 v13, s67, v3
	v_cmp_eq_u64_e32 vcc_lo, s[64:65], v[12:13]
	s_and_b32 exec_lo, exec_lo, vcc_lo
	s_cbranch_execz .LBB103_211
; %bb.216:                              ;   in Loop: Header=BB103_212 Depth=2
	v_mov_b32_e32 v3, v16
	ds_store_b128 v16, v[2:5] offset:3072
	s_branch .LBB103_211
.LBB103_217:                            ;   in Loop: Header=BB103_37 Depth=1
                                        ; implicit-def: $sgpr16
                                        ; implicit-def: $sgpr68
                                        ; implicit-def: $sgpr17
	s_branch .LBB103_236
.LBB103_218:                            ;   in Loop: Header=BB103_37 Depth=1
                                        ; implicit-def: $vgpr3_vgpr4
	s_branch .LBB103_161
.LBB103_219:                            ;   in Loop: Header=BB103_37 Depth=1
                                        ; implicit-def: $vgpr3_vgpr4
	s_branch .LBB103_178
.LBB103_220:                            ;   in Loop: Header=BB103_37 Depth=1
	s_mov_b32 s16, -1
	s_mov_b32 s4, 0
                                        ; implicit-def: $sgpr17
                                        ; implicit-def: $vgpr5_vgpr6
	s_mov_b32 s68, s16
	s_cbranch_execnz .LBB103_223
	s_branch .LBB103_236
.LBB103_221:                            ;   in Loop: Header=BB103_37 Depth=1
	s_set_inst_prefetch_distance 0x2
	s_or_b32 exec_lo, exec_lo, s16
	s_delay_alu instid0(SALU_CYCLE_1)
	s_and_b32 s4, s4, exec_lo
.LBB103_222:                            ;   in Loop: Header=BB103_37 Depth=1
	s_or_b32 exec_lo, exec_lo, s5
	s_mov_b32 s17, -1
	s_mov_b32 s16, 0
	s_delay_alu instid0(SALU_CYCLE_1)
	s_mov_b32 s68, s16
	s_branch .LBB103_236
.LBB103_223:                            ;   in Loop: Header=BB103_37 Depth=1
	s_mov_b32 s54, s53
	s_delay_alu instid0(SALU_CYCLE_1)
	s_cmp_lg_u64 s[54:55], 0
	s_cbranch_scc0 .LBB103_266
; %bb.224:                              ;   in Loop: Header=BB103_37 Depth=1
	v_cvt_f32_u32_e32 v3, s33
	s_sub_u32 s14, 0, s33
	s_subb_u32 s15, 0, 0
	s_delay_alu instid0(VALU_DEP_1) | instskip(NEXT) | instid1(VALU_DEP_1)
	v_fmac_f32_e64 v3, 0, 0x4f800000
	v_rcp_f32_e32 v3, v3
	s_waitcnt_depctr 0xfff
	v_mul_f32_e32 v3, 0x5f7ffffc, v3
	s_delay_alu instid0(VALU_DEP_1) | instskip(NEXT) | instid1(VALU_DEP_1)
	v_mul_f32_e32 v4, 0x2f800000, v3
	v_trunc_f32_e32 v4, v4
	s_delay_alu instid0(VALU_DEP_1) | instskip(SKIP_1) | instid1(VALU_DEP_2)
	v_fmac_f32_e32 v3, 0xcf800000, v4
	v_cvt_u32_f32_e32 v4, v4
	v_cvt_u32_f32_e32 v3, v3
	s_delay_alu instid0(VALU_DEP_2) | instskip(NEXT) | instid1(VALU_DEP_2)
	v_readfirstlane_b32 s4, v4
	v_readfirstlane_b32 s5, v3
	s_delay_alu instid0(VALU_DEP_2) | instskip(NEXT) | instid1(VALU_DEP_1)
	s_mul_i32 s16, s14, s4
	s_mul_hi_u32 s54, s14, s5
	s_mul_i32 s17, s15, s5
	s_add_i32 s16, s54, s16
	s_mul_i32 s68, s14, s5
	s_add_i32 s16, s16, s17
	s_mul_hi_u32 s54, s5, s68
	s_mul_hi_u32 s69, s4, s68
	s_mul_i32 s17, s4, s68
	s_mul_hi_u32 s68, s5, s16
	s_mul_i32 s5, s5, s16
	s_mul_hi_u32 s71, s4, s16
	s_add_u32 s5, s54, s5
	s_addc_u32 s54, 0, s68
	s_add_u32 s5, s5, s17
	s_mul_i32 s16, s4, s16
	s_addc_u32 s5, s54, s69
	s_addc_u32 s17, s71, 0
	s_add_u32 s5, s5, s16
	s_addc_u32 s16, 0, s17
	v_add_co_u32 v3, s5, v3, s5
	s_delay_alu instid0(VALU_DEP_1) | instskip(SKIP_1) | instid1(VALU_DEP_1)
	s_cmp_lg_u32 s5, 0
	s_addc_u32 s4, s4, s16
	v_readfirstlane_b32 s5, v3
	s_mul_i32 s16, s14, s4
	s_delay_alu instid0(VALU_DEP_1)
	s_mul_hi_u32 s17, s14, s5
	s_mul_i32 s15, s15, s5
	s_add_i32 s16, s17, s16
	s_mul_i32 s14, s14, s5
	s_add_i32 s16, s16, s15
	s_mul_hi_u32 s17, s4, s14
	s_mul_i32 s54, s4, s14
	s_mul_hi_u32 s14, s5, s14
	s_mul_hi_u32 s68, s5, s16
	s_mul_i32 s5, s5, s16
	s_mul_hi_u32 s15, s4, s16
	s_add_u32 s5, s14, s5
	s_addc_u32 s14, 0, s68
	s_add_u32 s5, s5, s54
	s_mul_i32 s16, s4, s16
	s_addc_u32 s5, s14, s17
	s_addc_u32 s14, s15, 0
	s_add_u32 s5, s5, s16
	s_addc_u32 s14, 0, s14
	v_add_co_u32 v3, s5, v3, s5
	s_delay_alu instid0(VALU_DEP_1) | instskip(SKIP_1) | instid1(VALU_DEP_1)
	s_cmp_lg_u32 s5, 0
	s_addc_u32 s4, s4, s14
	v_readfirstlane_b32 s5, v3
	s_mul_i32 s15, s84, s4
	s_mul_hi_u32 s14, s84, s4
	s_mul_hi_u32 s16, s55, s4
	s_mul_i32 s4, s55, s4
	s_mul_hi_u32 s17, s84, s5
	s_mul_hi_u32 s54, s55, s5
	s_mul_i32 s5, s55, s5
	s_add_u32 s15, s17, s15
	s_addc_u32 s14, 0, s14
	s_add_u32 s5, s15, s5
	s_addc_u32 s5, s14, s54
	s_addc_u32 s14, s16, 0
	s_add_u32 s4, s5, s4
	s_addc_u32 s5, 0, s14
	s_mul_hi_u32 s14, s33, s4
	s_mul_i32 s4, s33, s4
	s_mul_i32 s5, s33, s5
	v_sub_co_u32 v3, s4, s84, s4
	s_add_i32 s14, s14, s5
	s_cmp_lg_u32 s4, 0
	s_delay_alu instid0(VALU_DEP_1) | instskip(SKIP_2) | instid1(VALU_DEP_1)
	v_sub_co_u32 v4, s4, v3, s33
	s_subb_u32 s5, s55, s14
	s_cmp_lg_u32 s4, 0
	v_cmp_le_u32_e32 vcc_lo, s33, v4
	v_sub_co_u32 v5, s4, v4, s33
	s_subb_u32 s14, s5, 0
	s_cmp_lg_u32 s4, 0
	v_cndmask_b32_e64 v6, 0, -1, vcc_lo
	s_subb_u32 s4, s14, 0
	s_cmp_eq_u32 s14, 0
	v_mov_b32_e32 v8, s4
	s_cselect_b32 vcc_lo, -1, 0
	s_cmp_eq_u32 s5, 0
	v_cndmask_b32_e32 v6, -1, v6, vcc_lo
	v_cmp_le_u32_e32 vcc_lo, s33, v3
	s_cselect_b32 s4, -1, 0
	v_cndmask_b32_e64 v7, 0, -1, vcc_lo
	s_delay_alu instid0(VALU_DEP_3) | instskip(NEXT) | instid1(VALU_DEP_2)
	v_cmp_ne_u32_e32 vcc_lo, 0, v6
	v_cndmask_b32_e64 v6, -1, v7, s4
	v_cndmask_b32_e32 v7, s14, v8, vcc_lo
	v_cndmask_b32_e32 v5, v4, v5, vcc_lo
	s_delay_alu instid0(VALU_DEP_3) | instskip(NEXT) | instid1(VALU_DEP_3)
	v_cmp_ne_u32_e32 vcc_lo, 0, v6
	v_cndmask_b32_e32 v4, s5, v7, vcc_lo
	s_delay_alu instid0(VALU_DEP_3)
	v_cndmask_b32_e32 v3, v3, v5, vcc_lo
	s_cbranch_execnz .LBB103_226
.LBB103_225:                            ;   in Loop: Header=BB103_37 Depth=1
	v_cvt_f32_u32_e32 v3, s33
	s_sub_i32 s4, 0, s33
	s_delay_alu instid0(VALU_DEP_1) | instskip(SKIP_2) | instid1(VALU_DEP_1)
	v_rcp_iflag_f32_e32 v3, v3
	s_waitcnt_depctr 0xfff
	v_mul_f32_e32 v3, 0x4f7ffffe, v3
	v_cvt_u32_f32_e32 v3, v3
	s_delay_alu instid0(VALU_DEP_1) | instskip(NEXT) | instid1(VALU_DEP_1)
	v_mul_lo_u32 v4, s4, v3
	v_mul_hi_u32 v4, v3, v4
	s_delay_alu instid0(VALU_DEP_1) | instskip(NEXT) | instid1(VALU_DEP_1)
	v_add_nc_u32_e32 v3, v3, v4
	v_mul_hi_u32 v3, s84, v3
	s_delay_alu instid0(VALU_DEP_1) | instskip(NEXT) | instid1(VALU_DEP_1)
	v_mul_lo_u32 v3, v3, s33
	v_sub_nc_u32_e32 v3, s84, v3
	s_delay_alu instid0(VALU_DEP_1) | instskip(SKIP_1) | instid1(VALU_DEP_2)
	v_subrev_nc_u32_e32 v4, s33, v3
	v_cmp_le_u32_e32 vcc_lo, s33, v3
	v_cndmask_b32_e32 v3, v3, v4, vcc_lo
	s_delay_alu instid0(VALU_DEP_1) | instskip(SKIP_1) | instid1(VALU_DEP_2)
	v_subrev_nc_u32_e32 v4, s33, v3
	v_cmp_le_u32_e32 vcc_lo, s33, v3
	v_cndmask_b32_e32 v15, v3, v4, vcc_lo
	s_delay_alu instid0(VALU_DEP_1)
	v_dual_mov_b32 v3, v15 :: v_dual_mov_b32 v4, v16
.LBB103_226:                            ;   in Loop: Header=BB103_37 Depth=1
	s_delay_alu instid0(VALU_DEP_1) | instskip(NEXT) | instid1(VALU_DEP_2)
	v_sub_co_u32 v7, vcc_lo, s84, v3
	v_sub_co_ci_u32_e32 v8, vcc_lo, s55, v4, vcc_lo
	s_mov_b32 s4, 0
	s_mov_b32 s5, exec_lo
                                        ; implicit-def: $vgpr5_vgpr6
	s_delay_alu instid0(VALU_DEP_1)
	v_cmpx_gt_u64_e64 v[7:8], v[0:1]
	s_cbranch_execz .LBB103_235
; %bb.227:                              ;   in Loop: Header=BB103_37 Depth=1
	v_dual_mov_b32 v9, v17 :: v_dual_mov_b32 v10, v18
	v_dual_mov_b32 v12, v1 :: v_dual_mov_b32 v11, v0
	s_mov_b32 s14, 0
                                        ; implicit-def: $sgpr4
	s_set_inst_prefetch_distance 0x1
	s_branch .LBB103_229
	.p2align	6
.LBB103_228:                            ;   in Loop: Header=BB103_229 Depth=2
	s_or_b32 exec_lo, exec_lo, s15
	s_waitcnt vmcnt(0) lgkmcnt(0)
	s_barrier
	buffer_gl0_inv
	ds_load_b128 v[3:6], v16 offset:3072
	v_add_co_u32 v11, vcc_lo, v11, s33
	v_add_co_ci_u32_e32 v12, vcc_lo, 0, v12, vcc_lo
	s_waitcnt lgkmcnt(0)
	s_barrier
	buffer_gl0_inv
	v_cmp_ge_u64_e32 vcc_lo, v[11:12], v[7:8]
	v_readfirstlane_b32 s17, v4
	v_readfirstlane_b32 s16, v3
	s_delay_alu instid0(VALU_DEP_1) | instskip(SKIP_1) | instid1(SALU_CYCLE_1)
	s_cmp_lg_u64 s[16:17], 0
	s_cselect_b32 s15, -1, 0
	s_or_b32 s16, vcc_lo, s15
	v_add_co_u32 v9, vcc_lo, v9, s50
	s_and_b32 s16, exec_lo, s16
	v_add_co_ci_u32_e32 v10, vcc_lo, s51, v10, vcc_lo
	s_or_b32 s14, s16, s14
	s_and_not1_b32 s4, s4, exec_lo
	s_and_b32 s15, s15, exec_lo
	s_delay_alu instid0(SALU_CYCLE_1)
	s_or_b32 s4, s4, s15
	s_and_not1_b32 exec_lo, exec_lo, s14
	s_cbranch_execz .LBB103_234
.LBB103_229:                            ;   Parent Loop BB103_37 Depth=1
                                        ; =>  This Inner Loop Header: Depth=2
	s_delay_alu instid0(VALU_DEP_1)
	v_cmp_gt_u64_e32 vcc_lo, s[24:25], v[11:12]
	v_mov_b32_e32 v4, 0
	v_mov_b32_e32 v5, 0
	s_and_saveexec_b32 s15, vcc_lo
	s_cbranch_execz .LBB103_231
; %bb.230:                              ;   in Loop: Header=BB103_229 Depth=2
	global_load_b64 v[4:5], v[9:10], off
.LBB103_231:                            ;   in Loop: Header=BB103_229 Depth=2
	s_or_b32 exec_lo, exec_lo, s15
	s_and_saveexec_b32 s15, vcc_lo
	s_cbranch_execz .LBB103_228
; %bb.232:                              ;   in Loop: Header=BB103_229 Depth=2
	s_waitcnt vmcnt(0)
	v_xor_b32_e32 v3, 0x80000000, v5
	v_and_b32_e32 v13, s66, v4
	s_delay_alu instid0(VALU_DEP_2) | instskip(NEXT) | instid1(VALU_DEP_1)
	v_and_b32_e32 v14, s67, v3
	v_cmp_eq_u64_e32 vcc_lo, s[64:65], v[13:14]
	s_and_b32 exec_lo, exec_lo, vcc_lo
	s_cbranch_execz .LBB103_228
; %bb.233:                              ;   in Loop: Header=BB103_229 Depth=2
	v_mov_b32_e32 v3, v16
	ds_store_b128 v16, v[2:5] offset:3072
	s_branch .LBB103_228
.LBB103_234:                            ;   in Loop: Header=BB103_37 Depth=1
	s_set_inst_prefetch_distance 0x2
	s_or_b32 exec_lo, exec_lo, s14
	s_delay_alu instid0(SALU_CYCLE_1)
	s_and_b32 s4, s4, exec_lo
.LBB103_235:                            ;   in Loop: Header=BB103_37 Depth=1
	s_or_b32 exec_lo, exec_lo, s5
	s_mov_b32 s68, -1
	s_mov_b32 s16, 0
	s_mov_b32 s17, 0
.LBB103_236:                            ;   in Loop: Header=BB103_37 Depth=1
	s_mov_b32 s5, 0
                                        ; implicit-def: $sgpr54
	s_and_saveexec_b32 s69, s4
	s_cbranch_execz .LBB103_298
; %bb.237:                              ;   in Loop: Header=BB103_37 Depth=1
	s_xor_b32 s4, s70, -1
	s_mov_b32 s54, 1
	s_and_not1_b32 vcc_lo, exec_lo, s4
	s_cbranch_vccnz .LBB103_248
; %bb.238:                              ;   in Loop: Header=BB103_37 Depth=1
	v_cmp_gt_u64_e64 s4, s[46:47], s[10:11]
	s_mov_b32 s70, -1
                                        ; implicit-def: $sgpr54
                                        ; implicit-def: $sgpr14_sgpr15
	s_delay_alu instid0(VALU_DEP_1)
	s_and_b32 vcc_lo, exec_lo, s4
                                        ; implicit-def: $sgpr4_sgpr5
	s_cbranch_vccnz .LBB103_244
; %bb.239:                              ;   in Loop: Header=BB103_37 Depth=1
	ds_load_b64 v[3:4], v16 offset:5120
	s_waitcnt lgkmcnt(0)
	v_cmp_ne_u64_e32 vcc_lo, 0, v[3:4]
	s_cbranch_vccnz .LBB103_243
; %bb.240:                              ;   in Loop: Header=BB103_37 Depth=1
	s_and_saveexec_b32 s4, s2
	s_cbranch_execz .LBB103_242
; %bb.241:                              ;   in Loop: Header=BB103_37 Depth=1
	v_dual_mov_b32 v3, s10 :: v_dual_mov_b32 v4, s11
	ds_store_b64 v16, v[3:4] offset:5128
.LBB103_242:                            ;   in Loop: Header=BB103_37 Depth=1
	s_or_b32 exec_lo, exec_lo, s4
	s_waitcnt lgkmcnt(0)
	s_barrier
	buffer_gl0_inv
.LBB103_243:                            ;   in Loop: Header=BB103_37 Depth=1
	s_lshl_b64 s[4:5], 2, s21
	s_and_b64 s[12:13], s[64:65], s[12:13]
	s_or_b64 s[14:15], s[66:67], s[8:9]
	s_or_b64 s[4:5], s[12:13], s[4:5]
	s_mov_b32 s70, 0
	s_mov_b32 s54, 8
.LBB103_244:                            ;   in Loop: Header=BB103_37 Depth=1
	s_and_not1_b32 vcc_lo, exec_lo, s70
	s_cbranch_vccnz .LBB103_246
; %bb.245:                              ;   in Loop: Header=BB103_37 Depth=1
	s_sub_u32 s46, s46, s10
	s_subb_u32 s47, s47, s11
	s_mov_b32 s70, -1
	s_mov_b32 s54, 0
	s_mov_b64 s[4:5], s[64:65]
	s_mov_b64 s[14:15], s[66:67]
.LBB103_246:                            ;   in Loop: Header=BB103_37 Depth=1
	s_delay_alu instid0(SALU_CYCLE_1)
	s_mov_b64 s[66:67], s[14:15]
	s_mov_b64 s[64:65], s[4:5]
	s_and_not1_b32 vcc_lo, exec_lo, s70
	s_mov_b32 s10, -1
	s_cbranch_vccz .LBB103_249
.LBB103_247:                            ;   in Loop: Header=BB103_37 Depth=1
                                        ; implicit-def: $sgpr13
                                        ; implicit-def: $sgpr15
                                        ; implicit-def: $sgpr14
	s_branch .LBB103_297
.LBB103_248:                            ;   in Loop: Header=BB103_37 Depth=1
	s_mov_b64 s[46:47], 1
	s_mov_b32 s10, -1
	s_cbranch_execnz .LBB103_247
.LBB103_249:                            ;   in Loop: Header=BB103_37 Depth=1
	s_cmp_eq_u64 s[6:7], 1
	s_mov_b32 s21, -1
	s_cselect_b32 s4, -1, 0
	s_cmp_eq_u64 s[46:47], 1
	s_cselect_b32 s5, -1, 0
	s_delay_alu instid0(SALU_CYCLE_1) | instskip(NEXT) | instid1(SALU_CYCLE_1)
	s_and_b32 s12, s4, s5
	s_and_b32 vcc_lo, exec_lo, s12
	s_cbranch_vccz .LBB103_264
; %bb.250:                              ;   in Loop: Header=BB103_37 Depth=1
	ds_load_b64 v[3:4], v16 offset:5120
	s_waitcnt lgkmcnt(0)
	s_barrier
	buffer_gl0_inv
	v_readfirstlane_b32 s10, v3
	v_readfirstlane_b32 s11, v4
	s_and_saveexec_b32 s4, s3
	s_cbranch_execz .LBB103_252
; %bb.251:                              ;   in Loop: Header=BB103_37 Depth=1
	v_mov_b32_e32 v15, v16
	ds_store_b64 v43, v[15:16]
.LBB103_252:                            ;   in Loop: Header=BB103_37 Depth=1
	s_or_b32 exec_lo, exec_lo, s4
	s_or_b64 s[64:65], s[64:65], s[8:9]
	s_or_b64 s[66:67], s[66:67], s[8:9]
	s_cmp_eq_u64 s[10:11], 0
	s_waitcnt lgkmcnt(0)
	s_barrier
	buffer_gl0_inv
	s_cbranch_scc1 .LBB103_267
; %bb.253:                              ;   in Loop: Header=BB103_37 Depth=1
	s_add_u32 s13, s82, s10
	s_addc_u32 s5, s83, s11
	s_mov_b32 s4, s53
	s_delay_alu instid0(SALU_CYCLE_1)
	s_cmp_lg_u64 s[4:5], 0
	s_cbranch_scc0 .LBB103_303
; %bb.254:                              ;   in Loop: Header=BB103_37 Depth=1
	v_cvt_f32_u32_e32 v3, s33
	s_sub_u32 s15, 0, s33
	s_subb_u32 s21, 0, 0
	s_delay_alu instid0(VALU_DEP_1) | instskip(NEXT) | instid1(VALU_DEP_1)
	v_fmac_f32_e64 v3, 0, 0x4f800000
	v_rcp_f32_e32 v3, v3
	s_waitcnt_depctr 0xfff
	v_mul_f32_e32 v3, 0x5f7ffffc, v3
	s_delay_alu instid0(VALU_DEP_1) | instskip(NEXT) | instid1(VALU_DEP_1)
	v_mul_f32_e32 v4, 0x2f800000, v3
	v_trunc_f32_e32 v4, v4
	s_delay_alu instid0(VALU_DEP_1) | instskip(SKIP_1) | instid1(VALU_DEP_2)
	v_fmac_f32_e32 v3, 0xcf800000, v4
	v_cvt_u32_f32_e32 v4, v4
	v_cvt_u32_f32_e32 v3, v3
	s_delay_alu instid0(VALU_DEP_2) | instskip(NEXT) | instid1(VALU_DEP_2)
	v_readfirstlane_b32 s4, v4
	v_readfirstlane_b32 s14, v3
	s_delay_alu instid0(VALU_DEP_2) | instskip(NEXT) | instid1(VALU_DEP_1)
	s_mul_i32 s54, s15, s4
	s_mul_hi_u32 s71, s15, s14
	s_mul_i32 s70, s21, s14
	s_add_i32 s54, s71, s54
	s_mul_i32 s72, s15, s14
	s_add_i32 s54, s54, s70
	s_mul_hi_u32 s71, s14, s72
	s_mul_hi_u32 s73, s4, s72
	s_mul_i32 s70, s4, s72
	s_mul_hi_u32 s72, s14, s54
	s_mul_i32 s14, s14, s54
	s_mul_hi_u32 s74, s4, s54
	s_add_u32 s14, s71, s14
	s_addc_u32 s71, 0, s72
	s_add_u32 s14, s14, s70
	s_mul_i32 s54, s4, s54
	s_addc_u32 s14, s71, s73
	s_addc_u32 s70, s74, 0
	s_add_u32 s14, s14, s54
	s_addc_u32 s54, 0, s70
	v_add_co_u32 v3, s14, v3, s14
	s_delay_alu instid0(VALU_DEP_1) | instskip(SKIP_1) | instid1(VALU_DEP_1)
	s_cmp_lg_u32 s14, 0
	s_addc_u32 s4, s4, s54
	v_readfirstlane_b32 s14, v3
	s_mul_i32 s54, s15, s4
	s_delay_alu instid0(VALU_DEP_1)
	s_mul_hi_u32 s70, s15, s14
	s_mul_i32 s21, s21, s14
	s_add_i32 s54, s70, s54
	s_mul_i32 s15, s15, s14
	s_add_i32 s54, s54, s21
	s_mul_hi_u32 s70, s4, s15
	s_mul_i32 s71, s4, s15
	s_mul_hi_u32 s15, s14, s15
	s_mul_hi_u32 s72, s14, s54
	s_mul_i32 s14, s14, s54
	s_mul_hi_u32 s21, s4, s54
	s_add_u32 s14, s15, s14
	s_addc_u32 s15, 0, s72
	s_add_u32 s14, s14, s71
	s_mul_i32 s54, s4, s54
	s_addc_u32 s14, s15, s70
	s_addc_u32 s15, s21, 0
	s_add_u32 s14, s14, s54
	s_addc_u32 s15, 0, s15
	v_add_co_u32 v3, s14, v3, s14
	s_delay_alu instid0(VALU_DEP_1) | instskip(SKIP_1) | instid1(VALU_DEP_1)
	s_cmp_lg_u32 s14, 0
	s_addc_u32 s4, s4, s15
	v_readfirstlane_b32 s14, v3
	s_mul_i32 s21, s13, s4
	s_mul_hi_u32 s15, s13, s4
	s_mul_hi_u32 s54, s5, s4
	s_mul_i32 s4, s5, s4
	s_mul_hi_u32 s70, s13, s14
	s_mul_hi_u32 s71, s5, s14
	s_mul_i32 s14, s5, s14
	s_add_u32 s21, s70, s21
	s_addc_u32 s15, 0, s15
	s_add_u32 s14, s21, s14
	s_addc_u32 s14, s15, s71
	s_addc_u32 s15, s54, 0
	s_add_u32 s4, s14, s4
	s_addc_u32 s14, 0, s15
	s_mul_hi_u32 s15, s33, s4
	s_mul_i32 s4, s33, s4
	s_mul_i32 s14, s33, s14
	v_sub_co_u32 v3, s4, s13, s4
	s_add_i32 s15, s15, s14
	s_cmp_lg_u32 s4, 0
	s_delay_alu instid0(VALU_DEP_1) | instskip(SKIP_2) | instid1(VALU_DEP_1)
	v_sub_co_u32 v4, s4, v3, s33
	s_subb_u32 s14, s5, s15
	s_cmp_lg_u32 s4, 0
	v_cmp_le_u32_e32 vcc_lo, s33, v4
	v_sub_co_u32 v5, s4, v4, s33
	s_subb_u32 s15, s14, 0
	s_cmp_lg_u32 s4, 0
	v_cndmask_b32_e64 v6, 0, -1, vcc_lo
	s_subb_u32 s4, s15, 0
	s_cmp_eq_u32 s15, 0
	v_mov_b32_e32 v8, s4
	s_cselect_b32 vcc_lo, -1, 0
	s_cmp_eq_u32 s14, 0
	v_cndmask_b32_e32 v6, -1, v6, vcc_lo
	v_cmp_le_u32_e32 vcc_lo, s33, v3
	s_cselect_b32 s4, -1, 0
	v_cndmask_b32_e64 v7, 0, -1, vcc_lo
	s_delay_alu instid0(VALU_DEP_3) | instskip(NEXT) | instid1(VALU_DEP_2)
	v_cmp_ne_u32_e32 vcc_lo, 0, v6
	v_cndmask_b32_e64 v6, -1, v7, s4
	v_cndmask_b32_e32 v7, s15, v8, vcc_lo
	v_cndmask_b32_e32 v5, v4, v5, vcc_lo
	s_delay_alu instid0(VALU_DEP_3) | instskip(NEXT) | instid1(VALU_DEP_3)
	v_cmp_ne_u32_e32 vcc_lo, 0, v6
	v_cndmask_b32_e32 v4, s14, v7, vcc_lo
	s_delay_alu instid0(VALU_DEP_3)
	v_cndmask_b32_e32 v3, v3, v5, vcc_lo
	s_cbranch_execnz .LBB103_256
.LBB103_255:                            ;   in Loop: Header=BB103_37 Depth=1
	v_cvt_f32_u32_e32 v3, s33
	s_sub_i32 s4, 0, s33
	s_delay_alu instid0(VALU_DEP_1) | instskip(SKIP_2) | instid1(VALU_DEP_1)
	v_rcp_iflag_f32_e32 v3, v3
	s_waitcnt_depctr 0xfff
	v_mul_f32_e32 v3, 0x4f7ffffe, v3
	v_cvt_u32_f32_e32 v3, v3
	s_delay_alu instid0(VALU_DEP_1) | instskip(NEXT) | instid1(VALU_DEP_1)
	v_mul_lo_u32 v4, s4, v3
	v_mul_hi_u32 v4, v3, v4
	s_delay_alu instid0(VALU_DEP_1) | instskip(NEXT) | instid1(VALU_DEP_1)
	v_add_nc_u32_e32 v3, v3, v4
	v_mul_hi_u32 v3, s13, v3
	s_delay_alu instid0(VALU_DEP_1) | instskip(NEXT) | instid1(VALU_DEP_1)
	v_mul_lo_u32 v3, v3, s33
	v_sub_nc_u32_e32 v3, s13, v3
	s_delay_alu instid0(VALU_DEP_1) | instskip(SKIP_1) | instid1(VALU_DEP_2)
	v_subrev_nc_u32_e32 v4, s33, v3
	v_cmp_le_u32_e32 vcc_lo, s33, v3
	v_cndmask_b32_e32 v3, v3, v4, vcc_lo
	s_delay_alu instid0(VALU_DEP_1) | instskip(SKIP_1) | instid1(VALU_DEP_2)
	v_subrev_nc_u32_e32 v4, s33, v3
	v_cmp_le_u32_e32 vcc_lo, s33, v3
	v_cndmask_b32_e32 v15, v3, v4, vcc_lo
	s_delay_alu instid0(VALU_DEP_1)
	v_dual_mov_b32 v3, v15 :: v_dual_mov_b32 v4, v16
.LBB103_256:                            ;   in Loop: Header=BB103_37 Depth=1
	s_delay_alu instid0(VALU_DEP_1) | instskip(NEXT) | instid1(VALU_DEP_2)
	v_sub_co_u32 v7, vcc_lo, s13, v3
	v_sub_co_ci_u32_e32 v8, vcc_lo, s5, v4, vcc_lo
	s_mov_b32 s21, 0
	s_mov_b32 s4, exec_lo
                                        ; implicit-def: $vgpr5_vgpr6
	s_delay_alu instid0(VALU_DEP_1)
	v_cmpx_gt_u64_e64 v[7:8], v[0:1]
	s_cbranch_execz .LBB103_269
; %bb.257:                              ;   in Loop: Header=BB103_37 Depth=1
	v_dual_mov_b32 v11, v42 :: v_dual_mov_b32 v10, v1
	v_mov_b32_e32 v9, v0
	s_mov_b32 s13, 0
                                        ; implicit-def: $sgpr5
	s_set_inst_prefetch_distance 0x1
	s_branch .LBB103_259
	.p2align	6
.LBB103_258:                            ;   in Loop: Header=BB103_259 Depth=2
	s_or_b32 exec_lo, exec_lo, s14
	s_waitcnt lgkmcnt(0)
	s_barrier
	buffer_gl0_inv
	ds_load_b128 v[3:6], v16 offset:3072
	v_add_co_u32 v9, vcc_lo, v9, s33
	v_add_co_ci_u32_e32 v10, vcc_lo, 0, v10, vcc_lo
	v_add_nc_u32_e32 v11, s90, v11
	s_waitcnt lgkmcnt(0)
	s_barrier
	s_delay_alu instid0(VALU_DEP_2) | instskip(SKIP_3) | instid1(VALU_DEP_1)
	v_cmp_ge_u64_e32 vcc_lo, v[9:10], v[7:8]
	buffer_gl0_inv
	v_readfirstlane_b32 s15, v4
	v_readfirstlane_b32 s14, v3
	s_cmp_lg_u64 s[14:15], 0
	s_cselect_b32 s14, -1, 0
	s_delay_alu instid0(SALU_CYCLE_1) | instskip(NEXT) | instid1(SALU_CYCLE_1)
	s_or_b32 s15, vcc_lo, s14
	s_and_b32 s15, exec_lo, s15
	s_delay_alu instid0(SALU_CYCLE_1) | instskip(SKIP_2) | instid1(SALU_CYCLE_1)
	s_or_b32 s13, s15, s13
	s_and_not1_b32 s5, s5, exec_lo
	s_and_b32 s14, s14, exec_lo
	s_or_b32 s5, s5, s14
	s_and_not1_b32 exec_lo, exec_lo, s13
	s_cbranch_execz .LBB103_268
.LBB103_259:                            ;   Parent Loop BB103_37 Depth=1
                                        ; =>  This Inner Loop Header: Depth=2
	s_delay_alu instid0(VALU_DEP_1)
	v_cmp_gt_u64_e32 vcc_lo, s[10:11], v[9:10]
	v_mov_b32_e32 v4, 0
	v_mov_b32_e32 v5, 0
	s_and_saveexec_b32 s14, vcc_lo
	s_cbranch_execz .LBB103_261
; %bb.260:                              ;   in Loop: Header=BB103_259 Depth=2
	ds_load_b64 v[4:5], v11
.LBB103_261:                            ;   in Loop: Header=BB103_259 Depth=2
	s_or_b32 exec_lo, exec_lo, s14
	s_and_saveexec_b32 s14, vcc_lo
	s_cbranch_execz .LBB103_258
; %bb.262:                              ;   in Loop: Header=BB103_259 Depth=2
	s_waitcnt lgkmcnt(0)
	v_xor_b32_e32 v3, 0x80000000, v5
	v_and_b32_e32 v12, s66, v4
	s_delay_alu instid0(VALU_DEP_2) | instskip(NEXT) | instid1(VALU_DEP_1)
	v_and_b32_e32 v13, s67, v3
	v_cmp_eq_u64_e32 vcc_lo, s[64:65], v[12:13]
	s_and_b32 exec_lo, exec_lo, vcc_lo
	s_cbranch_execz .LBB103_258
; %bb.263:                              ;   in Loop: Header=BB103_259 Depth=2
	v_mov_b32_e32 v3, v16
	ds_store_b128 v16, v[2:5] offset:3072
	s_branch .LBB103_258
.LBB103_264:                            ;   in Loop: Header=BB103_37 Depth=1
                                        ; implicit-def: $sgpr13
                                        ; implicit-def: $sgpr15
                                        ; implicit-def: $sgpr14
	s_branch .LBB103_283
.LBB103_265:                            ;   in Loop: Header=BB103_37 Depth=1
                                        ; implicit-def: $vgpr3_vgpr4
	s_branch .LBB103_208
.LBB103_266:                            ;   in Loop: Header=BB103_37 Depth=1
                                        ; implicit-def: $vgpr3_vgpr4
	s_branch .LBB103_225
.LBB103_267:                            ;   in Loop: Header=BB103_37 Depth=1
	s_mov_b32 s13, -1
	s_mov_b32 s21, 0
                                        ; implicit-def: $sgpr14
                                        ; implicit-def: $vgpr5_vgpr6
	s_mov_b32 s15, s13
	s_cbranch_execnz .LBB103_270
	s_branch .LBB103_283
.LBB103_268:                            ;   in Loop: Header=BB103_37 Depth=1
	s_set_inst_prefetch_distance 0x2
	s_or_b32 exec_lo, exec_lo, s13
	s_delay_alu instid0(SALU_CYCLE_1)
	s_and_b32 s21, s5, exec_lo
.LBB103_269:                            ;   in Loop: Header=BB103_37 Depth=1
	s_or_b32 exec_lo, exec_lo, s4
	s_mov_b32 s14, -1
	s_mov_b32 s13, 0
	s_delay_alu instid0(SALU_CYCLE_1)
	s_mov_b32 s15, s13
	s_branch .LBB103_283
.LBB103_270:                            ;   in Loop: Header=BB103_37 Depth=1
	s_mov_b32 s54, s53
	s_delay_alu instid0(SALU_CYCLE_1)
	s_cmp_lg_u64 s[54:55], 0
	s_cbranch_scc0 .LBB103_304
; %bb.271:                              ;   in Loop: Header=BB103_37 Depth=1
	v_cvt_f32_u32_e32 v3, s33
	s_sub_u32 s10, 0, s33
	s_subb_u32 s11, 0, 0
	s_delay_alu instid0(VALU_DEP_1) | instskip(NEXT) | instid1(VALU_DEP_1)
	v_fmac_f32_e64 v3, 0, 0x4f800000
	v_rcp_f32_e32 v3, v3
	s_waitcnt_depctr 0xfff
	v_mul_f32_e32 v3, 0x5f7ffffc, v3
	s_delay_alu instid0(VALU_DEP_1) | instskip(NEXT) | instid1(VALU_DEP_1)
	v_mul_f32_e32 v4, 0x2f800000, v3
	v_trunc_f32_e32 v4, v4
	s_delay_alu instid0(VALU_DEP_1) | instskip(SKIP_1) | instid1(VALU_DEP_2)
	v_fmac_f32_e32 v3, 0xcf800000, v4
	v_cvt_u32_f32_e32 v4, v4
	v_cvt_u32_f32_e32 v3, v3
	s_delay_alu instid0(VALU_DEP_2) | instskip(NEXT) | instid1(VALU_DEP_2)
	v_readfirstlane_b32 s4, v4
	v_readfirstlane_b32 s5, v3
	s_delay_alu instid0(VALU_DEP_2) | instskip(NEXT) | instid1(VALU_DEP_1)
	s_mul_i32 s13, s10, s4
	s_mul_hi_u32 s15, s10, s5
	s_mul_i32 s14, s11, s5
	s_add_i32 s13, s15, s13
	s_mul_i32 s21, s10, s5
	s_add_i32 s13, s13, s14
	s_mul_hi_u32 s15, s5, s21
	s_mul_hi_u32 s54, s4, s21
	s_mul_i32 s14, s4, s21
	s_mul_hi_u32 s21, s5, s13
	s_mul_i32 s5, s5, s13
	s_mul_hi_u32 s70, s4, s13
	s_add_u32 s5, s15, s5
	s_addc_u32 s15, 0, s21
	s_add_u32 s5, s5, s14
	s_mul_i32 s13, s4, s13
	s_addc_u32 s5, s15, s54
	s_addc_u32 s14, s70, 0
	s_add_u32 s5, s5, s13
	s_addc_u32 s13, 0, s14
	v_add_co_u32 v3, s5, v3, s5
	s_delay_alu instid0(VALU_DEP_1) | instskip(SKIP_1) | instid1(VALU_DEP_1)
	s_cmp_lg_u32 s5, 0
	s_addc_u32 s4, s4, s13
	v_readfirstlane_b32 s5, v3
	s_mul_i32 s13, s10, s4
	s_delay_alu instid0(VALU_DEP_1)
	s_mul_hi_u32 s14, s10, s5
	s_mul_i32 s11, s11, s5
	s_add_i32 s13, s14, s13
	s_mul_i32 s10, s10, s5
	s_add_i32 s13, s13, s11
	s_mul_hi_u32 s14, s4, s10
	s_mul_i32 s15, s4, s10
	s_mul_hi_u32 s10, s5, s10
	s_mul_hi_u32 s21, s5, s13
	s_mul_i32 s5, s5, s13
	s_mul_hi_u32 s11, s4, s13
	s_add_u32 s5, s10, s5
	s_addc_u32 s10, 0, s21
	s_add_u32 s5, s5, s15
	s_mul_i32 s13, s4, s13
	s_addc_u32 s5, s10, s14
	s_addc_u32 s10, s11, 0
	s_add_u32 s5, s5, s13
	s_addc_u32 s10, 0, s10
	v_add_co_u32 v3, s5, v3, s5
	s_delay_alu instid0(VALU_DEP_1) | instskip(SKIP_1) | instid1(VALU_DEP_1)
	s_cmp_lg_u32 s5, 0
	s_addc_u32 s4, s4, s10
	v_readfirstlane_b32 s5, v3
	s_mul_i32 s11, s84, s4
	s_mul_hi_u32 s10, s84, s4
	s_mul_hi_u32 s13, s55, s4
	s_mul_i32 s4, s55, s4
	s_mul_hi_u32 s14, s84, s5
	s_mul_hi_u32 s15, s55, s5
	s_mul_i32 s5, s55, s5
	s_add_u32 s11, s14, s11
	s_addc_u32 s10, 0, s10
	s_add_u32 s5, s11, s5
	s_addc_u32 s5, s10, s15
	s_addc_u32 s10, s13, 0
	s_add_u32 s4, s5, s4
	s_addc_u32 s5, 0, s10
	s_mul_hi_u32 s10, s33, s4
	s_mul_i32 s4, s33, s4
	s_mul_i32 s5, s33, s5
	v_sub_co_u32 v3, s4, s84, s4
	s_add_i32 s10, s10, s5
	s_cmp_lg_u32 s4, 0
	s_delay_alu instid0(VALU_DEP_1) | instskip(SKIP_2) | instid1(VALU_DEP_1)
	v_sub_co_u32 v4, s4, v3, s33
	s_subb_u32 s5, s55, s10
	s_cmp_lg_u32 s4, 0
	v_cmp_le_u32_e32 vcc_lo, s33, v4
	v_sub_co_u32 v5, s4, v4, s33
	s_subb_u32 s10, s5, 0
	s_cmp_lg_u32 s4, 0
	v_cndmask_b32_e64 v6, 0, -1, vcc_lo
	s_subb_u32 s4, s10, 0
	s_cmp_eq_u32 s10, 0
	v_mov_b32_e32 v8, s4
	s_cselect_b32 vcc_lo, -1, 0
	s_cmp_eq_u32 s5, 0
	v_cndmask_b32_e32 v6, -1, v6, vcc_lo
	v_cmp_le_u32_e32 vcc_lo, s33, v3
	s_cselect_b32 s4, -1, 0
	v_cndmask_b32_e64 v7, 0, -1, vcc_lo
	s_delay_alu instid0(VALU_DEP_3) | instskip(NEXT) | instid1(VALU_DEP_2)
	v_cmp_ne_u32_e32 vcc_lo, 0, v6
	v_cndmask_b32_e64 v6, -1, v7, s4
	v_cndmask_b32_e32 v7, s10, v8, vcc_lo
	v_cndmask_b32_e32 v5, v4, v5, vcc_lo
	s_delay_alu instid0(VALU_DEP_3) | instskip(NEXT) | instid1(VALU_DEP_3)
	v_cmp_ne_u32_e32 vcc_lo, 0, v6
	v_cndmask_b32_e32 v4, s5, v7, vcc_lo
	s_delay_alu instid0(VALU_DEP_3)
	v_cndmask_b32_e32 v3, v3, v5, vcc_lo
	s_cbranch_execnz .LBB103_273
.LBB103_272:                            ;   in Loop: Header=BB103_37 Depth=1
	v_cvt_f32_u32_e32 v3, s33
	s_sub_i32 s4, 0, s33
	s_delay_alu instid0(VALU_DEP_1) | instskip(SKIP_2) | instid1(VALU_DEP_1)
	v_rcp_iflag_f32_e32 v3, v3
	s_waitcnt_depctr 0xfff
	v_mul_f32_e32 v3, 0x4f7ffffe, v3
	v_cvt_u32_f32_e32 v3, v3
	s_delay_alu instid0(VALU_DEP_1) | instskip(NEXT) | instid1(VALU_DEP_1)
	v_mul_lo_u32 v4, s4, v3
	v_mul_hi_u32 v4, v3, v4
	s_delay_alu instid0(VALU_DEP_1) | instskip(NEXT) | instid1(VALU_DEP_1)
	v_add_nc_u32_e32 v3, v3, v4
	v_mul_hi_u32 v3, s84, v3
	s_delay_alu instid0(VALU_DEP_1) | instskip(NEXT) | instid1(VALU_DEP_1)
	v_mul_lo_u32 v3, v3, s33
	v_sub_nc_u32_e32 v3, s84, v3
	s_delay_alu instid0(VALU_DEP_1) | instskip(SKIP_1) | instid1(VALU_DEP_2)
	v_subrev_nc_u32_e32 v4, s33, v3
	v_cmp_le_u32_e32 vcc_lo, s33, v3
	v_cndmask_b32_e32 v3, v3, v4, vcc_lo
	s_delay_alu instid0(VALU_DEP_1) | instskip(SKIP_1) | instid1(VALU_DEP_2)
	v_subrev_nc_u32_e32 v4, s33, v3
	v_cmp_le_u32_e32 vcc_lo, s33, v3
	v_cndmask_b32_e32 v15, v3, v4, vcc_lo
	s_delay_alu instid0(VALU_DEP_1)
	v_dual_mov_b32 v3, v15 :: v_dual_mov_b32 v4, v16
.LBB103_273:                            ;   in Loop: Header=BB103_37 Depth=1
	s_delay_alu instid0(VALU_DEP_1) | instskip(NEXT) | instid1(VALU_DEP_2)
	v_sub_co_u32 v7, vcc_lo, s84, v3
	v_sub_co_ci_u32_e32 v8, vcc_lo, s55, v4, vcc_lo
	s_mov_b32 s21, 0
	s_mov_b32 s4, exec_lo
                                        ; implicit-def: $vgpr5_vgpr6
	s_delay_alu instid0(VALU_DEP_1)
	v_cmpx_gt_u64_e64 v[7:8], v[0:1]
	s_cbranch_execz .LBB103_282
; %bb.274:                              ;   in Loop: Header=BB103_37 Depth=1
	v_dual_mov_b32 v9, v17 :: v_dual_mov_b32 v10, v18
	v_dual_mov_b32 v12, v1 :: v_dual_mov_b32 v11, v0
	s_mov_b32 s10, 0
                                        ; implicit-def: $sgpr5
	s_set_inst_prefetch_distance 0x1
	s_branch .LBB103_276
	.p2align	6
.LBB103_275:                            ;   in Loop: Header=BB103_276 Depth=2
	s_or_b32 exec_lo, exec_lo, s11
	s_waitcnt vmcnt(0) lgkmcnt(0)
	s_barrier
	buffer_gl0_inv
	ds_load_b128 v[3:6], v16 offset:3072
	v_add_co_u32 v11, vcc_lo, v11, s33
	v_add_co_ci_u32_e32 v12, vcc_lo, 0, v12, vcc_lo
	s_waitcnt lgkmcnt(0)
	s_barrier
	buffer_gl0_inv
	v_cmp_ge_u64_e32 vcc_lo, v[11:12], v[7:8]
	v_readfirstlane_b32 s15, v4
	v_readfirstlane_b32 s14, v3
	s_delay_alu instid0(VALU_DEP_1) | instskip(SKIP_1) | instid1(SALU_CYCLE_1)
	s_cmp_lg_u64 s[14:15], 0
	s_cselect_b32 s11, -1, 0
	s_or_b32 s13, vcc_lo, s11
	v_add_co_u32 v9, vcc_lo, v9, s50
	s_and_b32 s13, exec_lo, s13
	v_add_co_ci_u32_e32 v10, vcc_lo, s51, v10, vcc_lo
	s_or_b32 s10, s13, s10
	s_and_not1_b32 s5, s5, exec_lo
	s_and_b32 s11, s11, exec_lo
	s_delay_alu instid0(SALU_CYCLE_1)
	s_or_b32 s5, s5, s11
	s_and_not1_b32 exec_lo, exec_lo, s10
	s_cbranch_execz .LBB103_281
.LBB103_276:                            ;   Parent Loop BB103_37 Depth=1
                                        ; =>  This Inner Loop Header: Depth=2
	s_delay_alu instid0(VALU_DEP_1)
	v_cmp_gt_u64_e32 vcc_lo, s[24:25], v[11:12]
	v_mov_b32_e32 v4, 0
	v_mov_b32_e32 v5, 0
	s_and_saveexec_b32 s11, vcc_lo
	s_cbranch_execz .LBB103_278
; %bb.277:                              ;   in Loop: Header=BB103_276 Depth=2
	global_load_b64 v[4:5], v[9:10], off
.LBB103_278:                            ;   in Loop: Header=BB103_276 Depth=2
	s_or_b32 exec_lo, exec_lo, s11
	s_and_saveexec_b32 s11, vcc_lo
	s_cbranch_execz .LBB103_275
; %bb.279:                              ;   in Loop: Header=BB103_276 Depth=2
	s_waitcnt vmcnt(0)
	v_xor_b32_e32 v3, 0x80000000, v5
	v_and_b32_e32 v13, s66, v4
	s_delay_alu instid0(VALU_DEP_2) | instskip(NEXT) | instid1(VALU_DEP_1)
	v_and_b32_e32 v14, s67, v3
	v_cmp_eq_u64_e32 vcc_lo, s[64:65], v[13:14]
	s_and_b32 exec_lo, exec_lo, vcc_lo
	s_cbranch_execz .LBB103_275
; %bb.280:                              ;   in Loop: Header=BB103_276 Depth=2
	v_mov_b32_e32 v3, v16
	ds_store_b128 v16, v[2:5] offset:3072
	s_branch .LBB103_275
.LBB103_281:                            ;   in Loop: Header=BB103_37 Depth=1
	s_set_inst_prefetch_distance 0x2
	s_or_b32 exec_lo, exec_lo, s10
	s_delay_alu instid0(SALU_CYCLE_1)
	s_and_b32 s21, s5, exec_lo
.LBB103_282:                            ;   in Loop: Header=BB103_37 Depth=1
	s_or_b32 exec_lo, exec_lo, s4
	s_mov_b32 s15, -1
	s_mov_b32 s13, 0
	s_mov_b32 s14, 0
.LBB103_283:                            ;   in Loop: Header=BB103_37 Depth=1
	s_mov_b32 s10, 0
                                        ; implicit-def: $sgpr54
                                        ; implicit-def: $sgpr4_sgpr5
	s_and_saveexec_b32 s70, s21
	s_cbranch_execz .LBB103_296
; %bb.284:                              ;   in Loop: Header=BB103_37 Depth=1
	s_xor_b32 s10, s12, -1
	s_mov_b64 s[4:5], 1
	s_and_not1_b32 vcc_lo, exec_lo, s10
	s_mov_b32 s54, 1
	s_cbranch_vccnz .LBB103_295
; %bb.285:                              ;   in Loop: Header=BB103_37 Depth=1
	v_cmp_gt_u64_e64 s4, s[46:47], s[6:7]
	s_delay_alu instid0(VALU_DEP_1)
	s_and_b32 vcc_lo, exec_lo, s4
	s_cbranch_vccnz .LBB103_291
; %bb.286:                              ;   in Loop: Header=BB103_37 Depth=1
	ds_load_b64 v[3:4], v16 offset:5120
	s_waitcnt lgkmcnt(0)
	v_cmp_ne_u64_e32 vcc_lo, 0, v[3:4]
	s_cbranch_vccnz .LBB103_290
; %bb.287:                              ;   in Loop: Header=BB103_37 Depth=1
	s_and_saveexec_b32 s4, s2
	s_cbranch_execz .LBB103_289
; %bb.288:                              ;   in Loop: Header=BB103_37 Depth=1
	v_dual_mov_b32 v3, s6 :: v_dual_mov_b32 v4, s7
	ds_store_b64 v16, v[3:4] offset:5128
.LBB103_289:                            ;   in Loop: Header=BB103_37 Depth=1
	s_or_b32 exec_lo, exec_lo, s4
	s_waitcnt lgkmcnt(0)
	s_barrier
	buffer_gl0_inv
.LBB103_290:                            ;   in Loop: Header=BB103_37 Depth=1
	s_or_b64 s[10:11], s[64:65], s[8:9]
	s_or_b64 s[8:9], s[66:67], s[8:9]
	s_mov_b32 s4, 0
	s_mov_b32 s54, 8
	s_branch .LBB103_292
.LBB103_291:                            ;   in Loop: Header=BB103_37 Depth=1
	s_mov_b32 s4, -1
                                        ; implicit-def: $sgpr54
                                        ; implicit-def: $sgpr10_sgpr11
                                        ; implicit-def: $sgpr8_sgpr9
.LBB103_292:                            ;   in Loop: Header=BB103_37 Depth=1
	s_delay_alu instid0(SALU_CYCLE_1)
	s_and_not1_b32 vcc_lo, exec_lo, s4
	s_cbranch_vccnz .LBB103_294
; %bb.293:                              ;   in Loop: Header=BB103_37 Depth=1
	s_sub_u32 s46, s46, s6
	s_subb_u32 s47, s47, s7
	s_mov_b32 s54, 8
	s_mov_b64 s[10:11], s[64:65]
	s_mov_b64 s[8:9], s[66:67]
.LBB103_294:                            ;   in Loop: Header=BB103_37 Depth=1
	s_mov_b64 s[4:5], s[46:47]
	s_mov_b64 s[64:65], s[10:11]
	;; [unrolled: 1-line block ×3, first 2 shown]
.LBB103_295:                            ;   in Loop: Header=BB103_37 Depth=1
	s_mov_b32 s10, exec_lo
.LBB103_296:                            ;   in Loop: Header=BB103_37 Depth=1
	s_or_b32 exec_lo, exec_lo, s70
	s_mov_b64 s[46:47], s[4:5]
.LBB103_297:                            ;   in Loop: Header=BB103_37 Depth=1
	s_and_not1_b32 s4, s16, exec_lo
	s_and_b32 s5, s13, exec_lo
	s_and_not1_b32 s6, s17, exec_lo
	s_or_b32 s16, s4, s5
	s_and_not1_b32 s4, s68, exec_lo
	s_and_b32 s5, s15, exec_lo
	s_and_b32 s7, s14, exec_lo
	s_or_b32 s68, s4, s5
	s_or_b32 s17, s6, s7
	s_and_b32 s5, s10, exec_lo
.LBB103_298:                            ;   in Loop: Header=BB103_37 Depth=1
	s_or_b32 exec_lo, exec_lo, s69
.LBB103_299:                            ;   in Loop: Header=BB103_37 Depth=1
	s_delay_alu instid0(SALU_CYCLE_1)
	s_and_not1_b32 s4, s22, exec_lo
	s_and_b32 s6, s16, exec_lo
	s_and_not1_b32 s7, s19, exec_lo
	s_or_b32 s22, s4, s6
	s_and_not1_b32 s4, s23, exec_lo
	s_and_b32 s6, s68, exec_lo
	s_and_b32 s8, s17, exec_lo
	s_or_b32 s23, s4, s6
	s_or_b32 s19, s7, s8
	s_and_b32 s5, s5, exec_lo
.LBB103_300:                            ;   in Loop: Header=BB103_37 Depth=1
	s_or_b32 exec_lo, exec_lo, s52
	s_and_saveexec_b32 s4, s5
	s_delay_alu instid0(SALU_CYCLE_1)
	s_xor_b32 s4, exec_lo, s4
	s_cbranch_execz .LBB103_35
.LBB103_301:                            ;   in Loop: Header=BB103_37 Depth=1
	s_and_b32 s5, s54, -9
	s_delay_alu instid0(SALU_CYCLE_1)
	s_cmp_eq_u32 s5, 0
	s_cbranch_scc1 .LBB103_33
; %bb.302:                              ;   in Loop: Header=BB103_37 Depth=1
	s_mov_b32 s5, -1
	s_mov_b32 s6, -1
                                        ; implicit-def: $sgpr66_sgpr67
                                        ; implicit-def: $sgpr46_sgpr47
                                        ; implicit-def: $sgpr94
                                        ; implicit-def: $sgpr98
	s_branch .LBB103_34
.LBB103_303:                            ;   in Loop: Header=BB103_37 Depth=1
                                        ; implicit-def: $vgpr3_vgpr4
	s_branch .LBB103_255
.LBB103_304:                            ;   in Loop: Header=BB103_37 Depth=1
                                        ; implicit-def: $vgpr3_vgpr4
	s_branch .LBB103_272
.LBB103_305:
	s_or_b32 exec_lo, exec_lo, s91
	s_xor_b32 s4, s95, -1
	s_xor_b32 s1, s92, -1
	;; [unrolled: 1-line block ×3, first 2 shown]
	s_mov_b32 s2, 0
	s_and_saveexec_b32 s5, s1
	s_delay_alu instid0(SALU_CYCLE_1)
	s_xor_b32 s1, exec_lo, s5
	s_cbranch_execz .LBB103_319
; %bb.306:
	s_and_saveexec_b32 s2, s4
	s_delay_alu instid0(SALU_CYCLE_1)
	s_xor_b32 s2, exec_lo, s2
	s_cbranch_execz .LBB103_317
; %bb.307:
	s_and_saveexec_b32 s4, s3
	s_delay_alu instid0(SALU_CYCLE_1)
	s_xor_b32 s3, exec_lo, s4
; %bb.308:
	v_xor_b32_e32 v4, 0x80000000, v4
	s_delay_alu instid0(VALU_DEP_1)
	v_dual_mov_b32 v6, v4 :: v_dual_mov_b32 v5, v3
; %bb.309:
	s_or_b32 exec_lo, exec_lo, s3
	s_mul_i32 s3, s36, s35
	s_mul_hi_u32 s4, s36, s34
	s_mul_i32 s5, s37, s34
	s_add_i32 s3, s4, s3
	s_mul_i32 s4, s36, s34
	s_add_i32 s5, s3, s5
	v_mov_b32_e32 v2, 0
	s_lshl_b64 s[4:5], s[4:5], 3
	s_delay_alu instid0(SALU_CYCLE_1) | instskip(SKIP_2) | instid1(SALU_CYCLE_1)
	s_add_u32 s3, s44, s4
	s_addc_u32 s6, s45, s5
	s_lshl_b64 s[4:5], s[26:27], 3
	s_add_u32 s4, s3, s4
	s_addc_u32 s5, s6, s5
	global_store_b64 v2, v[5:6], s[4:5]
	s_and_saveexec_b32 s3, s0
	s_cbranch_execz .LBB103_316
; %bb.310:
	s_mov_b32 s4, 0
                                        ; implicit-def: $sgpr5
                                        ; implicit-def: $sgpr7
                                        ; implicit-def: $sgpr6
	s_set_inst_prefetch_distance 0x1
	s_branch .LBB103_312
	.p2align	6
.LBB103_311:                            ;   in Loop: Header=BB103_312 Depth=1
	s_or_b32 exec_lo, exec_lo, s8
	s_delay_alu instid0(SALU_CYCLE_1) | instskip(NEXT) | instid1(SALU_CYCLE_1)
	s_and_b32 s0, exec_lo, s7
	s_or_b32 s4, s0, s4
	s_and_not1_b32 s0, s5, exec_lo
	s_and_b32 s5, s6, exec_lo
	s_delay_alu instid0(SALU_CYCLE_1)
	s_or_b32 s5, s0, s5
	s_and_not1_b32 exec_lo, exec_lo, s4
	s_cbranch_execz .LBB103_314
.LBB103_312:                            ; =>This Inner Loop Header: Depth=1
	global_load_b64 v[2:3], v[17:18], off
	s_or_b32 s6, s6, exec_lo
	s_or_b32 s7, s7, exec_lo
	s_waitcnt vmcnt(0)
	v_cmp_ne_u64_e32 vcc_lo, v[2:3], v[5:6]
	v_dual_mov_b32 v3, v1 :: v_dual_mov_b32 v2, v0
                                        ; implicit-def: $vgpr0_vgpr1
	s_and_saveexec_b32 s8, vcc_lo
	s_cbranch_execz .LBB103_311
; %bb.313:                              ;   in Loop: Header=BB103_312 Depth=1
	s_delay_alu instid0(VALU_DEP_1) | instskip(NEXT) | instid1(VALU_DEP_2)
	v_add_co_u32 v0, vcc_lo, v2, s33
	v_add_co_ci_u32_e32 v1, vcc_lo, 0, v3, vcc_lo
	v_add_co_u32 v17, s0, v17, s50
	s_delay_alu instid0(VALU_DEP_1) | instskip(NEXT) | instid1(VALU_DEP_3)
	v_add_co_ci_u32_e64 v18, s0, s51, v18, s0
	v_cmp_le_u64_e32 vcc_lo, s[24:25], v[0:1]
	s_and_not1_b32 s0, s7, exec_lo
	s_and_not1_b32 s6, s6, exec_lo
	s_and_b32 s7, vcc_lo, exec_lo
	s_delay_alu instid0(SALU_CYCLE_1)
	s_or_b32 s7, s0, s7
	s_branch .LBB103_311
.LBB103_314:
	s_set_inst_prefetch_distance 0x2
	s_or_b32 exec_lo, exec_lo, s4
	s_and_saveexec_b32 s0, s5
	s_delay_alu instid0(SALU_CYCLE_1)
	s_xor_b32 s0, exec_lo, s0
	s_cbranch_execz .LBB103_316
; %bb.315:
	s_mul_i32 s0, s40, s39
	s_mul_hi_u32 s4, s40, s38
	s_mul_i32 s5, s41, s38
	s_add_i32 s0, s4, s0
	s_mul_i32 s4, s40, s38
	s_add_i32 s5, s0, s5
	v_mov_b32_e32 v0, 0
	s_lshl_b64 s[4:5], s[4:5], 3
	s_delay_alu instid0(SALU_CYCLE_1) | instskip(SKIP_2) | instid1(SALU_CYCLE_1)
	s_add_u32 s0, s42, s4
	s_addc_u32 s6, s43, s5
	s_lshl_b64 s[4:5], s[30:31], 3
	s_add_u32 s4, s0, s4
	s_addc_u32 s5, s6, s5
	global_store_b64 v0, v[2:3], s[4:5]
.LBB103_316:
	s_or_b32 exec_lo, exec_lo, s3
.LBB103_317:
	s_or_saveexec_b32 s0, s2
	s_mov_b32 s2, 0
	s_xor_b32 exec_lo, exec_lo, s0
	s_cbranch_execnz .LBB103_325
.LBB103_318:
	s_or_b32 exec_lo, exec_lo, s0
	s_delay_alu instid0(SALU_CYCLE_1)
	s_and_b32 s2, s2, exec_lo
.LBB103_319:
	s_and_not1_saveexec_b32 s0, s1
	s_cbranch_execnz .LBB103_323
; %bb.320:
	s_or_b32 exec_lo, exec_lo, s0
	s_and_saveexec_b32 s0, s2
.LBB103_321:
	; divergent unreachable
.LBB103_322:
	s_nop 0
	s_sendmsg sendmsg(MSG_DEALLOC_VGPRS)
	s_endpgm
.LBB103_323:
	s_cbranch_execnz .LBB103_327
; %bb.324:
	s_or_b32 s2, s2, exec_lo
	s_or_b32 exec_lo, exec_lo, s0
	s_and_saveexec_b32 s0, s2
	s_cbranch_execnz .LBB103_321
	s_branch .LBB103_322
.LBB103_325:
	s_cbranch_execnz .LBB103_329
; %bb.326:
	s_mov_b32 s2, exec_lo
	s_branch .LBB103_318
.LBB103_327:
	s_trap 2
	s_sendmsg_rtn_b32 s0, sendmsg(MSG_RTN_GET_DOORBELL)
	s_mov_b32 ttmp2, m0
	s_waitcnt lgkmcnt(0)
	s_and_b32 s0, s0, 0x3ff
	s_delay_alu instid0(SALU_CYCLE_1) | instskip(NEXT) | instid1(SALU_CYCLE_1)
	s_bitset1_b32 s0, 10
	s_mov_b32 m0, s0
	s_sendmsg sendmsg(MSG_INTERRUPT)
	s_mov_b32 m0, ttmp2
.LBB103_328:                            ; =>This Inner Loop Header: Depth=1
	s_sethalt 5
	s_branch .LBB103_328
.LBB103_329:
	s_trap 2
	s_sendmsg_rtn_b32 s0, sendmsg(MSG_RTN_GET_DOORBELL)
	s_mov_b32 ttmp2, m0
	s_waitcnt lgkmcnt(0)
	s_and_b32 s0, s0, 0x3ff
	s_delay_alu instid0(SALU_CYCLE_1) | instskip(NEXT) | instid1(SALU_CYCLE_1)
	s_bitset1_b32 s0, 10
	s_mov_b32 m0, s0
	s_sendmsg sendmsg(MSG_INTERRUPT)
	s_mov_b32 m0, ttmp2
.LBB103_330:                            ; =>This Inner Loop Header: Depth=1
	s_sethalt 5
	s_branch .LBB103_330
	.section	.rodata,"a",@progbits
	.p2align	6, 0x0
	.amdhsa_kernel _ZN2at6native12_GLOBAL__N_112gatherMedianIlmLin1EEEvNS_4cuda6detail10TensorInfoIT_T0_EENS5_IlS7_EENS5_IKS6_S7_EES7_S7_S7_b
		.amdhsa_group_segment_fixed_size 5152
		.amdhsa_private_segment_fixed_size 0
		.amdhsa_kernarg_size 1536
		.amdhsa_user_sgpr_count 13
		.amdhsa_user_sgpr_dispatch_ptr 0
		.amdhsa_user_sgpr_queue_ptr 0
		.amdhsa_user_sgpr_kernarg_segment_ptr 1
		.amdhsa_user_sgpr_dispatch_id 0
		.amdhsa_user_sgpr_private_segment_size 0
		.amdhsa_wavefront_size32 1
		.amdhsa_uses_dynamic_stack 0
		.amdhsa_enable_private_segment 0
		.amdhsa_system_sgpr_workgroup_id_x 1
		.amdhsa_system_sgpr_workgroup_id_y 1
		.amdhsa_system_sgpr_workgroup_id_z 1
		.amdhsa_system_sgpr_workgroup_info 0
		.amdhsa_system_vgpr_workitem_id 0
		.amdhsa_next_free_vgpr 62
		.amdhsa_next_free_sgpr 104
		.amdhsa_reserve_vcc 1
		.amdhsa_float_round_mode_32 0
		.amdhsa_float_round_mode_16_64 0
		.amdhsa_float_denorm_mode_32 3
		.amdhsa_float_denorm_mode_16_64 3
		.amdhsa_dx10_clamp 1
		.amdhsa_ieee_mode 1
		.amdhsa_fp16_overflow 0
		.amdhsa_workgroup_processor_mode 1
		.amdhsa_memory_ordered 1
		.amdhsa_forward_progress 0
		.amdhsa_shared_vgpr_count 0
		.amdhsa_exception_fp_ieee_invalid_op 0
		.amdhsa_exception_fp_denorm_src 0
		.amdhsa_exception_fp_ieee_div_zero 0
		.amdhsa_exception_fp_ieee_overflow 0
		.amdhsa_exception_fp_ieee_underflow 0
		.amdhsa_exception_fp_ieee_inexact 0
		.amdhsa_exception_int_div_zero 0
	.end_amdhsa_kernel
	.section	.text._ZN2at6native12_GLOBAL__N_112gatherMedianIlmLin1EEEvNS_4cuda6detail10TensorInfoIT_T0_EENS5_IlS7_EENS5_IKS6_S7_EES7_S7_S7_b,"axG",@progbits,_ZN2at6native12_GLOBAL__N_112gatherMedianIlmLin1EEEvNS_4cuda6detail10TensorInfoIT_T0_EENS5_IlS7_EENS5_IKS6_S7_EES7_S7_S7_b,comdat
.Lfunc_end103:
	.size	_ZN2at6native12_GLOBAL__N_112gatherMedianIlmLin1EEEvNS_4cuda6detail10TensorInfoIT_T0_EENS5_IlS7_EENS5_IKS6_S7_EES7_S7_S7_b, .Lfunc_end103-_ZN2at6native12_GLOBAL__N_112gatherMedianIlmLin1EEEvNS_4cuda6detail10TensorInfoIT_T0_EENS5_IlS7_EENS5_IKS6_S7_EES7_S7_S7_b
                                        ; -- End function
	.section	.AMDGPU.csdata,"",@progbits
; Kernel info:
; codeLenInByte = 19480
; NumSgprs: 106
; NumVgprs: 62
; ScratchSize: 0
; MemoryBound: 0
; FloatMode: 240
; IeeeMode: 1
; LDSByteSize: 5152 bytes/workgroup (compile time only)
; SGPRBlocks: 13
; VGPRBlocks: 7
; NumSGPRsForWavesPerEU: 106
; NumVGPRsForWavesPerEU: 62
; Occupancy: 16
; WaveLimiterHint : 1
; COMPUTE_PGM_RSRC2:SCRATCH_EN: 0
; COMPUTE_PGM_RSRC2:USER_SGPR: 13
; COMPUTE_PGM_RSRC2:TRAP_HANDLER: 0
; COMPUTE_PGM_RSRC2:TGID_X_EN: 1
; COMPUTE_PGM_RSRC2:TGID_Y_EN: 1
; COMPUTE_PGM_RSRC2:TGID_Z_EN: 1
; COMPUTE_PGM_RSRC2:TIDIG_COMP_CNT: 0
	.section	.text._ZN2at6native12_GLOBAL__N_112gatherMedianIsjLi1EEEvNS_4cuda6detail10TensorInfoIT_T0_EENS5_IlS7_EENS5_IKS6_S7_EES7_S7_S7_b,"axG",@progbits,_ZN2at6native12_GLOBAL__N_112gatherMedianIsjLi1EEEvNS_4cuda6detail10TensorInfoIT_T0_EENS5_IlS7_EENS5_IKS6_S7_EES7_S7_S7_b,comdat
	.globl	_ZN2at6native12_GLOBAL__N_112gatherMedianIsjLi1EEEvNS_4cuda6detail10TensorInfoIT_T0_EENS5_IlS7_EENS5_IKS6_S7_EES7_S7_S7_b ; -- Begin function _ZN2at6native12_GLOBAL__N_112gatherMedianIsjLi1EEEvNS_4cuda6detail10TensorInfoIT_T0_EENS5_IlS7_EENS5_IKS6_S7_EES7_S7_S7_b
	.p2align	8
	.type	_ZN2at6native12_GLOBAL__N_112gatherMedianIsjLi1EEEvNS_4cuda6detail10TensorInfoIT_T0_EENS5_IlS7_EENS5_IKS6_S7_EES7_S7_S7_b,@function
_ZN2at6native12_GLOBAL__N_112gatherMedianIsjLi1EEEvNS_4cuda6detail10TensorInfoIT_T0_EENS5_IlS7_EENS5_IKS6_S7_EES7_S7_S7_b: ; @_ZN2at6native12_GLOBAL__N_112gatherMedianIsjLi1EEEvNS_4cuda6detail10TensorInfoIT_T0_EENS5_IlS7_EENS5_IKS6_S7_EES7_S7_S7_b
; %bb.0:
	s_clause 0x1
	s_load_b64 s[6:7], s[0:1], 0x298
	s_load_b128 s[28:31], s[0:1], 0x288
	s_add_u32 s4, s0, 0x298
	s_addc_u32 s5, s1, 0
	s_waitcnt lgkmcnt(0)
	s_mul_i32 s2, s7, s15
	s_delay_alu instid0(SALU_CYCLE_1) | instskip(NEXT) | instid1(SALU_CYCLE_1)
	s_add_i32 s2, s2, s14
	s_mul_i32 s33, s2, s6
	s_delay_alu instid0(SALU_CYCLE_1) | instskip(NEXT) | instid1(SALU_CYCLE_1)
	s_add_i32 s33, s33, s13
	s_cmp_ge_u32 s33, s29
	s_cbranch_scc1 .LBB104_259
; %bb.1:
	v_cmp_eq_u32_e64 s2, 0, v0
	s_delay_alu instid0(VALU_DEP_1)
	s_and_saveexec_b32 s3, s2
	s_cbranch_execz .LBB104_3
; %bb.2:
	v_mov_b32_e32 v1, 0
	s_delay_alu instid0(VALU_DEP_1)
	v_mov_b32_e32 v2, v1
	ds_store_b64 v1, v[1:2] offset:4096
.LBB104_3:
	s_or_b32 exec_lo, exec_lo, s3
	v_mov_b32_e32 v1, 0
	s_waitcnt lgkmcnt(0)
	s_barrier
	buffer_gl0_inv
	s_barrier
	buffer_gl0_inv
	ds_load_b64 v[1:2], v1 offset:4096
	s_load_b64 s[8:9], s[0:1], 0x1b0
	s_bitcmp1_b32 s31, 0
	s_mov_b32 s70, s28
	s_cselect_b32 s3, -1, 0
	s_waitcnt lgkmcnt(0)
	v_cmp_gt_i64_e32 vcc_lo, 1, v[1:2]
	s_or_b32 s3, s3, vcc_lo
	s_delay_alu instid0(SALU_CYCLE_1)
	s_and_not1_b32 vcc_lo, exec_lo, s3
	s_cbranch_vccnz .LBB104_5
; %bb.4:
	v_not_b32_e32 v1, v1
	v_not_b32_e32 v2, v2
	s_delay_alu instid0(VALU_DEP_2) | instskip(NEXT) | instid1(VALU_DEP_2)
	v_add_co_u32 v1, vcc_lo, v1, s28
	v_add_co_ci_u32_e32 v2, vcc_lo, 0, v2, vcc_lo
	s_delay_alu instid0(VALU_DEP_1) | instskip(NEXT) | instid1(VALU_DEP_1)
	v_lshrrev_b32_e32 v3, 31, v2
	v_add_co_u32 v1, vcc_lo, v1, v3
	v_add_co_ci_u32_e32 v2, vcc_lo, 0, v2, vcc_lo
	s_delay_alu instid0(VALU_DEP_1) | instskip(NEXT) | instid1(VALU_DEP_1)
	v_alignbit_b32 v1, v2, v1, 1
	v_readfirstlane_b32 s3, v1
	s_delay_alu instid0(VALU_DEP_1)
	s_add_i32 s70, s3, 1
.LBB104_5:
	s_clause 0x2
	s_load_b32 s3, s[0:1], 0x21c
	s_load_b64 s[34:35], s[0:1], 0xd8
	s_load_b64 s[36:37], s[0:1], 0x0
	s_and_saveexec_b32 s7, s2
	s_cbranch_execz .LBB104_7
; %bb.6:
	v_dual_mov_b32 v1, 0 :: v_dual_mov_b32 v2, s28
	ds_store_b32 v1, v1 offset:4112
	ds_store_b64 v1, v[1:2] offset:4104
.LBB104_7:
	s_or_b32 exec_lo, exec_lo, s7
	s_waitcnt lgkmcnt(0)
	s_barrier
	buffer_gl0_inv
	s_load_b32 s7, s[4:5], 0xc
	s_mul_i32 s26, s3, s33
	s_mov_b32 s27, 0
	v_mbcnt_lo_u32_b32 v14, -1, 0
	s_lshl_b64 s[10:11], s[26:27], 1
	v_cmp_gt_u32_e32 vcc_lo, 32, v0
	s_add_u32 s31, s8, s10
	s_addc_u32 s40, s9, s11
	v_cmp_gt_i32_e64 s3, 4, v14
	s_clause 0x1
	s_load_b32 s29, s[0:1], 0x144
	s_load_b32 s42, s[0:1], 0x6c
	v_mul_lo_u32 v5, v0, s30
	v_cmp_gt_u32_e64 s0, s28, v0
	v_lshlrev_b32_e32 v24, 3, v0
	s_and_b32 s44, vcc_lo, s3
	v_lshl_or_b32 v25, v14, 2, 0xc00
	s_mov_b32 s63, 14
	s_mov_b32 s66, s27
	;; [unrolled: 1-line block ×4, first 2 shown]
                                        ; implicit-def: $sgpr60
                                        ; implicit-def: $sgpr62
                                        ; implicit-def: $sgpr61
                                        ; implicit-def: $sgpr65
                                        ; implicit-def: $sgpr67
                                        ; implicit-def: $sgpr64
	v_lshlrev_b32_e32 v16, 1, v0
	s_waitcnt lgkmcnt(0)
	s_and_b32 s41, s7, 0xffff
	s_bfe_u32 s1, s7, 0xb0005
	s_lshl_b32 s43, s41, 2
	s_add_i32 s46, s41, -1
	v_cvt_f32_u32_e32 v1, s43
	s_add_i32 s7, s46, s28
	s_cmpk_gt_u32 s28, 0x600
	v_cvt_f32_u32_e32 v2, s41
	s_cselect_b32 s47, -1, 0
	v_rcp_iflag_f32_e32 v1, v1
	s_cmp_gt_u32 s41, 31
	s_mul_i32 s45, s30, s41
	s_cselect_b32 s48, -1, 0
	s_cmp_lt_u32 s13, s6
	v_rcp_iflag_f32_e32 v2, v2
	s_cselect_b32 s3, 12, 18
	v_dual_mov_b32 v26, 0 :: v_dual_add_nc_u32 v17, 0xc00, v16
	s_add_u32 s38, s4, s3
	s_waitcnt_depctr 0xfff
	v_mul_f32_e32 v1, 0x4f7ffffe, v1
	s_addc_u32 s39, s5, 0
	s_add_i32 s3, s1, -1
	s_bfe_u32 s49, s41, 0x30005
	s_cmp_gt_u32 s3, 6
	v_cvt_u32_f32_e32 v1, v1
	s_cselect_b32 s50, -1, 0
	s_and_b32 s51, s1, 0x7f8
	s_cmp_lg_u32 s49, 0
	v_lshlrev_b32_e32 v22, 2, v5
	v_readfirstlane_b32 s3, v1
	s_cselect_b32 s52, -1, 0
	s_sub_i32 s4, 0, s43
	v_mul_f32_e32 v1, 0x4f7ffffe, v2
	v_lshrrev_b32_e32 v2, 3, v0
	s_mul_i32 s4, s4, s3
	v_mov_b32_e32 v7, 0
	s_mul_hi_u32 s4, s3, s4
	v_cvt_u32_f32_e32 v1, v1
	v_and_b32_e32 v18, 0x7c, v2
	s_add_i32 s53, s3, s4
	v_dual_mov_b32 v6, v7 :: v_dual_lshlrev_b32 v15, 2, v0
	s_mul_hi_u32 s3, s28, s53
	v_cmp_gt_u32_e64 s1, 2, v0
	s_mul_i32 s4, s3, s43
	s_delay_alu instid0(VALU_DEP_2)
	v_mad_u64_u32 v[12:13], null, s30, v15, s[30:31]
	s_sub_i32 s4, s28, s4
	v_cmp_eq_u32_e64 s3, 0, v14
	s_sub_i32 s5, s4, s43
	s_cmp_ge_u32 s4, s43
	s_cselect_b32 s4, s5, s4
	v_readfirstlane_b32 s5, v1
	s_sub_i32 s6, s4, s43
	s_cmp_ge_u32 s4, s43
	v_lshlrev_b64 v[1:2], v14, -1
	s_cselect_b32 s8, s6, s4
	v_lshlrev_b64 v[2:3], 1, v[5:6]
	s_sub_i32 s54, s28, s8
	s_sub_i32 s4, 0, s41
	v_add_nc_u32_e32 v19, s54, v0
	s_mul_i32 s4, s4, s5
	v_not_b32_e32 v20, v1
	s_mul_hi_u32 s4, s5, s4
	v_add_co_u32 v8, vcc_lo, s31, v2
	v_mul_lo_u32 v6, v19, s30
	s_add_i32 s55, s5, s4
	v_add_co_ci_u32_e32 v9, vcc_lo, s40, v3, vcc_lo
	s_mul_hi_u32 s4, s7, s55
	v_or_b32_e32 v3, 3, v15
	s_mul_i32 s4, s4, s41
	s_delay_alu instid0(VALU_DEP_3) | instskip(SKIP_1) | instid1(VALU_DEP_2)
	v_lshlrev_b64 v[1:2], 1, v[6:7]
	s_sub_i32 s4, s7, s4
	v_mul_lo_u32 v21, s30, v3
	s_sub_i32 s5, s4, s41
	s_cmp_ge_u32 s4, s41
	s_delay_alu instid0(VALU_DEP_2) | instskip(SKIP_4) | instid1(VALU_DEP_3)
	v_add_co_u32 v10, vcc_lo, s31, v1
	v_add3_u32 v1, s41, s28, v0
	s_cselect_b32 s5, s5, s4
	v_add_co_ci_u32_e32 v11, vcc_lo, s40, v2, vcc_lo
	v_or_b32_e32 v2, 2, v15
	v_subrev_nc_u32_e32 v1, s8, v1
	s_sub_i32 s6, s5, s41
	s_cmp_ge_u32 s5, s41
	v_cmp_gt_u32_e64 s4, s54, v15
	s_cselect_b32 s6, s6, s5
	v_mul_lo_u32 v13, s30, v2
	v_mul_lo_u32 v23, s30, v1
	s_sub_i32 s56, s7, s6
	v_cmp_gt_u32_e64 s5, s28, v19
	v_cmp_gt_u32_e64 s6, s56, v0
	s_lshl_b32 s57, s45, 2
	s_lshl_b32 s58, s41, 3
	;; [unrolled: 1-line block ×3, first 2 shown]
	s_branch .LBB104_12
.LBB104_8:                              ;   in Loop: Header=BB104_12 Depth=1
	s_xor_b32 s66, s66, 1
	s_add_i32 s11, s63, -2
	s_cmp_eq_u32 s63, 0
	s_mov_b32 s7, 0
	s_cselect_b32 s10, -1, 0
	s_mov_b32 s63, s11
.LBB104_9:                              ;   in Loop: Header=BB104_12 Depth=1
	s_and_not1_b32 s11, s13, exec_lo
	s_and_b32 s7, s7, exec_lo
	s_and_not1_b32 s15, s15, exec_lo
	s_or_b32 s13, s11, s7
	s_and_not1_b32 s12, s12, exec_lo
	s_or_not1_b32 s11, s10, exec_lo
	s_mov_b32 s70, s20
.LBB104_10:                             ;   in Loop: Header=BB104_12 Depth=1
	s_or_b32 exec_lo, exec_lo, s8
	s_delay_alu instid0(SALU_CYCLE_1)
	s_and_not1_b32 s7, s64, exec_lo
	s_and_b32 s8, s13, exec_lo
	s_and_not1_b32 s10, s65, exec_lo
	s_or_b32 s64, s7, s8
	s_and_not1_b32 s7, s67, exec_lo
	s_and_b32 s8, s15, exec_lo
	s_and_b32 s12, s12, exec_lo
	s_or_b32 s67, s7, s8
	s_or_b32 s65, s10, s12
	s_or_not1_b32 s12, s11, exec_lo
.LBB104_11:                             ;   in Loop: Header=BB104_12 Depth=1
	s_or_b32 exec_lo, exec_lo, s9
	s_delay_alu instid0(SALU_CYCLE_1)
	s_and_b32 s7, exec_lo, s12
	v_mov_b32_e32 v1, s68
	s_or_b32 s27, s7, s27
	s_and_not1_b32 s7, s61, exec_lo
	s_and_b32 s8, s64, exec_lo
	s_and_not1_b32 s9, s60, exec_lo
	s_or_b32 s61, s7, s8
	s_and_not1_b32 s7, s62, exec_lo
	s_and_b32 s8, s67, exec_lo
	s_and_b32 s10, s65, exec_lo
	s_or_b32 s62, s7, s8
	s_or_b32 s60, s9, s10
	s_and_not1_b32 exec_lo, exec_lo, s27
	s_cbranch_execz .LBB104_242
.LBB104_12:                             ; =>This Loop Header: Depth=1
                                        ;     Child Loop BB104_17 Depth 2
                                        ;     Child Loop BB104_32 Depth 2
	;; [unrolled: 1-line block ×16, first 2 shown]
	ds_load_b64 v[1:2], v7 offset:4104
	s_waitcnt lgkmcnt(0)
	v_readfirstlane_b32 s71, v1
	s_delay_alu instid0(VALU_DEP_1)
	s_cmp_lg_u32 s71, 0
	s_cbranch_scc1 .LBB104_39
; %bb.13:                               ;   in Loop: Header=BB104_12 Depth=1
	s_and_b32 vcc_lo, exec_lo, s47
	s_cbranch_vccz .LBB104_25
; %bb.14:                               ;   in Loop: Header=BB104_12 Depth=1
	v_cmp_gt_u32_e32 vcc_lo, 0x601, v2
	s_mov_b32 s71, 0
	s_mov_b32 s7, 0
	s_cbranch_vccz .LBB104_26
; %bb.15:                               ;   in Loop: Header=BB104_12 Depth=1
	global_load_u16 v1, v7, s[38:39]
	global_load_u16 v3, v[8:9], off
	v_mov_b32_e32 v4, v0
	s_mov_b32 s9, 0
	s_waitcnt vmcnt(1)
	v_add_nc_u32_e32 v2, v0, v1
	s_delay_alu instid0(VALU_DEP_1)
	v_mul_lo_u32 v6, s30, v2
	v_mul_lo_u32 v2, s30, v1
	s_branch .LBB104_17
.LBB104_16:                             ;   in Loop: Header=BB104_17 Depth=2
	s_or_b32 exec_lo, exec_lo, s8
	v_dual_mov_b32 v3, v27 :: v_dual_add_nc_u32 v6, v6, v2
	s_and_not1_b32 exec_lo, exec_lo, s9
	s_cbranch_execz .LBB104_127
.LBB104_17:                             ;   Parent Loop BB104_12 Depth=1
                                        ; =>  This Inner Loop Header: Depth=2
	v_dual_mov_b32 v27, 0 :: v_dual_add_nc_u32 v4, v4, v1
	s_waitcnt lgkmcnt(0)
	v_mov_b32_e32 v28, 0
	s_mov_b32 s8, exec_lo
	s_delay_alu instid0(VALU_DEP_2)
	v_cmp_le_u32_e32 vcc_lo, s28, v4
	v_cmpx_gt_u32_e64 s28, v4
	s_cbranch_execz .LBB104_19
; %bb.18:                               ;   in Loop: Header=BB104_17 Depth=2
	v_lshlrev_b64 v[29:30], 1, v[6:7]
	s_delay_alu instid0(VALU_DEP_1) | instskip(NEXT) | instid1(VALU_DEP_1)
	v_add_co_u32 v29, s7, s31, v29
	v_add_co_ci_u32_e64 v30, s7, s40, v30, s7
	global_load_u16 v27, v[29:30], off
.LBB104_19:                             ;   in Loop: Header=BB104_17 Depth=2
	s_or_b32 exec_lo, exec_lo, s8
	s_waitcnt vmcnt(0)
	v_bfe_i32 v29, v3, 0, 16
	s_delay_alu instid0(VALU_DEP_1) | instskip(NEXT) | instid1(VALU_DEP_1)
	v_add_nc_u32_e32 v29, 0x8000, v29
	v_and_b32_e32 v29, s69, v29
	s_delay_alu instid0(VALU_DEP_1) | instskip(NEXT) | instid1(VALU_DEP_1)
	v_cmp_eq_u32_e64 s7, s68, v29
	s_cmp_lg_u32 s7, 0
	s_cselect_b32 s8, -1, 0
	s_delay_alu instid0(SALU_CYCLE_1) | instskip(NEXT) | instid1(SALU_CYCLE_1)
	s_and_b32 s8, s3, s8
	s_and_saveexec_b32 s10, s8
	s_cbranch_execz .LBB104_23
; %bb.20:                               ;   in Loop: Header=BB104_17 Depth=2
	s_mov_b32 s13, exec_lo
	s_bcnt1_i32_b32 s11, s7
	v_mbcnt_lo_u32_b32 v28, s13, 0
	s_mov_b32 s12, exec_lo
                                        ; implicit-def: $vgpr29
	s_delay_alu instid0(VALU_DEP_1)
	v_cmpx_eq_u32_e32 0, v28
	s_cbranch_execz .LBB104_22
; %bb.21:                               ;   in Loop: Header=BB104_17 Depth=2
	s_bcnt1_i32_b32 s8, s13
	s_delay_alu instid0(SALU_CYCLE_1) | instskip(NEXT) | instid1(SALU_CYCLE_1)
	s_mul_i32 s8, s11, s8
	v_mov_b32_e32 v29, s8
	ds_add_rtn_u32 v29, v7, v29 offset:4112
.LBB104_22:                             ;   in Loop: Header=BB104_17 Depth=2
	s_or_b32 exec_lo, exec_lo, s12
	s_waitcnt lgkmcnt(0)
	v_readfirstlane_b32 s8, v29
	s_delay_alu instid0(VALU_DEP_1)
	v_mad_u32_u24 v28, s11, v28, s8
.LBB104_23:                             ;   in Loop: Header=BB104_17 Depth=2
	s_or_b32 exec_lo, exec_lo, s10
	ds_bpermute_b32 v28, v7, v28
	s_and_b32 s8, exec_lo, vcc_lo
	s_delay_alu instid0(SALU_CYCLE_1)
	s_or_b32 s9, s8, s9
	s_and_saveexec_b32 s8, s7
	s_cbranch_execz .LBB104_16
; %bb.24:                               ;   in Loop: Header=BB104_17 Depth=2
	v_and_b32_e32 v29, s7, v20
	s_delay_alu instid0(VALU_DEP_1) | instskip(NEXT) | instid1(VALU_DEP_1)
	v_bcnt_u32_b32 v29, v29, 0
	v_lshlrev_b32_e32 v29, 1, v29
	s_waitcnt lgkmcnt(0)
	s_delay_alu instid0(VALU_DEP_1)
	v_lshl_add_u32 v28, v28, 1, v29
	ds_store_b16 v28, v3
	s_branch .LBB104_16
.LBB104_25:                             ;   in Loop: Header=BB104_12 Depth=1
	s_mov_b32 s71, -1
	s_mov_b32 s7, 0
.LBB104_26:                             ;   in Loop: Header=BB104_12 Depth=1
	s_and_b32 vcc_lo, exec_lo, s71
	s_cbranch_vccz .LBB104_37
.LBB104_27:                             ;   in Loop: Header=BB104_12 Depth=1
	v_mov_b32_e32 v1, 0
	s_and_saveexec_b32 s7, s0
	s_cbranch_execz .LBB104_29
; %bb.28:                               ;   in Loop: Header=BB104_12 Depth=1
	global_load_u16 v1, v[8:9], off
.LBB104_29:                             ;   in Loop: Header=BB104_12 Depth=1
	s_or_b32 exec_lo, exec_lo, s7
	s_and_saveexec_b32 s8, s0
	s_cbranch_execz .LBB104_34
; %bb.30:                               ;   in Loop: Header=BB104_12 Depth=1
	global_load_u16 v2, v7, s[38:39]
	v_mov_b32_e32 v28, v0
	s_mov_b32 s9, 0
	v_mov_b32_e32 v27, v16
	s_waitcnt vmcnt(0)
	v_add_nc_u32_e32 v3, v0, v2
	v_lshlrev_b32_e32 v4, 1, v2
	s_delay_alu instid0(VALU_DEP_2)
	v_mul_lo_u32 v6, s30, v3
	v_mul_lo_u32 v3, s30, v2
	s_set_inst_prefetch_distance 0x1
	s_branch .LBB104_32
	.p2align	6
.LBB104_31:                             ;   in Loop: Header=BB104_32 Depth=2
	s_or_b32 exec_lo, exec_lo, s10
	ds_store_b16 v27, v1
	v_add_nc_u32_e32 v27, v27, v4
	s_waitcnt vmcnt(0)
	v_dual_mov_b32 v1, v29 :: v_dual_add_nc_u32 v6, v6, v3
	s_and_b32 s7, exec_lo, vcc_lo
	s_delay_alu instid0(SALU_CYCLE_1) | instskip(NEXT) | instid1(SALU_CYCLE_1)
	s_or_b32 s9, s7, s9
	s_and_not1_b32 exec_lo, exec_lo, s9
	s_cbranch_execz .LBB104_34
.LBB104_32:                             ;   Parent Loop BB104_12 Depth=1
                                        ; =>  This Inner Loop Header: Depth=2
	v_dual_mov_b32 v29, 0 :: v_dual_add_nc_u32 v28, v28, v2
	s_mov_b32 s10, exec_lo
	s_delay_alu instid0(VALU_DEP_1)
	v_cmp_le_u32_e32 vcc_lo, s28, v28
	v_cmpx_gt_u32_e64 s28, v28
	s_cbranch_execz .LBB104_31
; %bb.33:                               ;   in Loop: Header=BB104_32 Depth=2
	v_lshlrev_b64 v[29:30], 1, v[6:7]
	s_delay_alu instid0(VALU_DEP_1) | instskip(NEXT) | instid1(VALU_DEP_1)
	v_add_co_u32 v29, s7, s31, v29
	v_add_co_ci_u32_e64 v30, s7, s40, v30, s7
	global_load_u16 v29, v[29:30], off
	s_branch .LBB104_31
.LBB104_34:                             ;   in Loop: Header=BB104_12 Depth=1
	s_set_inst_prefetch_distance 0x2
	s_or_b32 exec_lo, exec_lo, s8
	s_waitcnt vmcnt(0) lgkmcnt(0)
	s_barrier
	buffer_gl0_inv
	s_and_saveexec_b32 s7, s2
	s_cbranch_execz .LBB104_36
; %bb.35:                               ;   in Loop: Header=BB104_12 Depth=1
	v_mov_b32_e32 v1, s28
	ds_store_b32 v7, v1 offset:4104
.LBB104_36:                             ;   in Loop: Header=BB104_12 Depth=1
	s_or_b32 exec_lo, exec_lo, s7
	s_mov_b32 s7, -1
	s_waitcnt lgkmcnt(0)
	s_barrier
                                        ; implicit-def: $sgpr71
.LBB104_37:                             ;   in Loop: Header=BB104_12 Depth=1
	s_and_b32 vcc_lo, exec_lo, s7
	s_cbranch_vccz .LBB104_39
; %bb.38:                               ;   in Loop: Header=BB104_12 Depth=1
	buffer_gl0_inv
	ds_load_b32 v1, v7 offset:4104
	s_waitcnt lgkmcnt(0)
	v_readfirstlane_b32 s71, v1
.LBB104_39:                             ;   in Loop: Header=BB104_12 Depth=1
	s_delay_alu instid0(VALU_DEP_1)
	s_cmp_lt_i32 s71, 1
	s_cbranch_scc0 .LBB104_43
; %bb.40:                               ;   in Loop: Header=BB104_12 Depth=1
	v_dual_mov_b32 v1, 0 :: v_dual_mov_b32 v2, 0
	v_dual_mov_b32 v3, 0 :: v_dual_mov_b32 v4, 0
	s_mov_b32 s19, 0
	s_and_saveexec_b32 s18, s4
	s_cbranch_execnz .LBB104_44
; %bb.41:                               ;   in Loop: Header=BB104_12 Depth=1
	s_or_b32 exec_lo, exec_lo, s18
	v_mov_b32_e32 v28, 0
	s_and_saveexec_b32 s7, s5
	s_cbranch_execnz .LBB104_47
.LBB104_42:                             ;   in Loop: Header=BB104_12 Depth=1
	s_or_b32 exec_lo, exec_lo, s7
	s_and_saveexec_b32 s11, s5
	s_cbranch_execnz .LBB104_48
	s_branch .LBB104_53
.LBB104_43:                             ;   in Loop: Header=BB104_12 Depth=1
                                        ; implicit-def: $vgpr4
	s_cbranch_execnz .LBB104_54
	s_branch .LBB104_63
.LBB104_44:                             ;   in Loop: Header=BB104_12 Depth=1
	v_mov_b32_e32 v27, v15
	s_and_b32 s20, s63, 0xfe
	s_mov_b32 s21, 0
	s_mov_b32 s22, 0
	;; [unrolled: 1-line block ×5, first 2 shown]
.LBB104_45:                             ;   Parent Loop BB104_12 Depth=1
                                        ; =>  This Inner Loop Header: Depth=2
	v_add_nc_u32_e32 v6, s21, v22
	s_delay_alu instid0(VALU_DEP_1) | instskip(SKIP_1) | instid1(VALU_DEP_1)
	v_lshlrev_b64 v[1:2], 1, v[6:7]
	v_add_nc_u32_e32 v6, s21, v12
	v_lshlrev_b64 v[3:4], 1, v[6:7]
	v_add_nc_u32_e32 v6, s21, v13
	s_delay_alu instid0(VALU_DEP_4) | instskip(SKIP_1) | instid1(VALU_DEP_3)
	v_add_co_u32 v1, vcc_lo, s31, v1
	v_add_co_ci_u32_e32 v2, vcc_lo, s40, v2, vcc_lo
	v_lshlrev_b64 v[28:29], 1, v[6:7]
	v_add_nc_u32_e32 v6, s21, v21
	s_add_i32 s21, s21, s57
	global_load_i16 v30, v[1:2], off
	v_add_co_u32 v1, vcc_lo, s31, v3
	v_add_co_ci_u32_e32 v2, vcc_lo, s40, v4, vcc_lo
	v_add_co_u32 v28, vcc_lo, s31, v28
	v_add_co_ci_u32_e32 v29, vcc_lo, s40, v29, vcc_lo
	v_lshlrev_b64 v[3:4], 1, v[6:7]
	s_clause 0x1
	global_load_i16 v6, v[1:2], off
	global_load_i16 v28, v[28:29], off
	v_add_co_u32 v1, vcc_lo, s31, v3
	v_add_co_ci_u32_e32 v2, vcc_lo, s40, v4, vcc_lo
	global_load_i16 v1, v[1:2], off
	s_waitcnt vmcnt(3)
	v_add_nc_u32_e32 v2, 0x8000, v30
	s_delay_alu instid0(VALU_DEP_1)
	v_and_b32_e32 v3, s69, v2
	v_bfe_u32 v2, v2, s20, 2
	s_waitcnt vmcnt(2)
	v_add_nc_u32_e32 v4, 0x8000, v6
	s_waitcnt vmcnt(1)
	v_add_nc_u32_e32 v6, 0x8000, v28
	v_cmp_eq_u32_e64 s7, s68, v3
	v_cmp_eq_u32_e64 s8, 0, v2
	;; [unrolled: 1-line block ×3, first 2 shown]
	v_and_b32_e32 v3, s69, v4
	v_bfe_u32 v4, v4, s20, 2
	v_cmp_eq_u32_e64 s10, 2, v2
	v_cmp_eq_u32_e64 s11, 3, v2
	v_and_b32_e32 v2, s69, v6
	v_cmp_eq_u32_e64 s12, s68, v3
	v_bfe_u32 v3, v6, s20, 2
	s_and_b32 s8, s7, s8
	s_waitcnt vmcnt(0)
	v_add_nc_u32_e32 v1, 0x8000, v1
	v_cmp_eq_u32_e64 s13, 0, v4
	v_cndmask_b32_e64 v6, 0, 1, s8
	v_cmp_eq_u32_e64 s8, 1, v4
	s_and_b32 s9, s7, s9
	s_and_b32 s10, s7, s10
	;; [unrolled: 1-line block ×3, first 2 shown]
	v_cndmask_b32_e64 v28, 0, 1, s9
	v_cmp_eq_u32_e64 s9, 2, v4
	v_cndmask_b32_e64 v29, 0, 1, s10
	v_cmp_eq_u32_e64 s10, 3, v4
	;; [unrolled: 2-line block ×3, first 2 shown]
	v_cmp_eq_u32_e64 s11, 0, v3
	v_and_b32_e32 v2, s69, v1
	v_bfe_u32 v1, v1, s20, 2
	s_and_b32 s13, s12, s13
	s_and_b32 s8, s12, s8
	v_cmp_ne_u32_e64 s14, 0, v6
	v_cndmask_b32_e64 v6, 0, 1, s13
	v_cmp_eq_u32_e64 s13, 1, v3
	v_cmp_ne_u32_e64 s15, 0, v28
	v_cndmask_b32_e64 v28, 0, 1, s8
	v_cmp_eq_u32_e64 s8, 2, v3
	s_and_b32 s9, s12, s9
	s_and_b32 s10, s12, s10
	;; [unrolled: 1-line block ×3, first 2 shown]
	v_cmp_ne_u32_e64 s16, 0, v29
	v_cndmask_b32_e64 v29, 0, 1, s9
	v_cmp_eq_u32_e64 s9, 3, v3
	v_cndmask_b32_e64 v3, 0, 1, s10
	v_cmp_eq_u32_e64 s10, s68, v2
	;; [unrolled: 2-line block ×3, first 2 shown]
	v_cmp_ne_u32_e64 s17, 0, v4
	v_cmp_eq_u32_e64 s12, 0, v1
	s_and_b32 s13, s7, s13
	s_and_b32 s8, s7, s8
	s_bcnt1_i32_b32 s26, s14
	v_cmp_ne_u32_e64 s14, 0, v6
	v_cndmask_b32_e64 v4, 0, 1, s13
	v_cmp_eq_u32_e64 s13, 2, v1
	v_cndmask_b32_e64 v6, 0, 1, s8
	v_cmp_eq_u32_e64 s8, 3, v1
	s_and_b32 s7, s7, s9
	s_and_b32 s11, s10, s11
	s_bcnt1_i32_b32 s74, s17
	v_cmp_ne_u32_e64 s17, 0, v3
	v_cndmask_b32_e64 v1, 0, 1, s7
	v_cndmask_b32_e64 v3, 0, 1, s11
	s_bcnt1_i32_b32 s72, s15
	v_cmp_ne_u32_e64 s15, 0, v28
	s_and_b32 s9, s10, s12
	v_cmp_ne_u32_e64 s7, 0, v2
	v_cndmask_b32_e64 v2, 0, 1, s9
	v_cmp_ne_u32_e64 s9, 0, v4
	s_and_b32 s12, s10, s13
	s_and_b32 s8, s10, s8
	v_cndmask_b32_e64 v4, 0, 1, s12
	v_cmp_ne_u32_e64 s12, 0, v1
	v_cndmask_b32_e64 v1, 0, 1, s8
	v_cmp_ne_u32_e64 s8, 0, v3
	s_bcnt1_i32_b32 s73, s16
	v_cmp_ne_u32_e64 s16, 0, v29
	s_add_i32 s24, s72, s24
	s_add_i32 s22, s74, s22
	s_bcnt1_i32_b32 s15, s15
	s_bcnt1_i32_b32 s13, s17
	v_cmp_ne_u32_e64 s11, 0, v6
	s_add_i32 s15, s24, s15
	s_add_i32 s13, s22, s13
	s_bcnt1_i32_b32 s22, s9
	s_bcnt1_i32_b32 s17, s7
	v_cmp_ne_u32_e64 s7, 0, v2
	v_cmp_ne_u32_e64 s9, 0, v4
	;; [unrolled: 1-line block ×3, first 2 shown]
	s_add_i32 s15, s15, s22
	s_bcnt1_i32_b32 s8, s8
	s_add_i32 s25, s26, s25
	s_add_i32 s23, s73, s23
	s_bcnt1_i32_b32 s14, s14
	s_bcnt1_i32_b32 s16, s16
	s_add_i32 s24, s15, s8
	s_delay_alu instid0(SALU_CYCLE_1)
	v_dual_mov_b32 v2, s24 :: v_dual_add_nc_u32 v27, s43, v27
	s_add_i32 s14, s25, s14
	s_add_i32 s16, s23, s16
	s_bcnt1_i32_b32 s11, s11
	s_bcnt1_i32_b32 s12, s12
	s_add_i32 s14, s14, s17
	s_add_i32 s11, s16, s11
	;; [unrolled: 1-line block ×3, first 2 shown]
	s_bcnt1_i32_b32 s7, s7
	s_bcnt1_i32_b32 s9, s9
	;; [unrolled: 1-line block ×3, first 2 shown]
	v_cmp_le_u32_e32 vcc_lo, s54, v27
	s_add_i32 s25, s14, s7
	s_add_i32 s23, s11, s9
	;; [unrolled: 1-line block ×3, first 2 shown]
	v_mov_b32_e32 v1, s25
	v_dual_mov_b32 v3, s23 :: v_dual_mov_b32 v4, s22
	s_or_b32 s19, vcc_lo, s19
	s_delay_alu instid0(SALU_CYCLE_1)
	s_and_not1_b32 exec_lo, exec_lo, s19
	s_cbranch_execnz .LBB104_45
; %bb.46:                               ;   in Loop: Header=BB104_12 Depth=1
	s_or_b32 exec_lo, exec_lo, s19
	s_delay_alu instid0(SALU_CYCLE_1)
	s_or_b32 exec_lo, exec_lo, s18
	v_mov_b32_e32 v28, 0
	s_and_saveexec_b32 s7, s5
	s_cbranch_execz .LBB104_42
.LBB104_47:                             ;   in Loop: Header=BB104_12 Depth=1
	global_load_u16 v28, v[10:11], off
	s_or_b32 exec_lo, exec_lo, s7
	s_and_saveexec_b32 s11, s5
	s_cbranch_execz .LBB104_53
.LBB104_48:                             ;   in Loop: Header=BB104_12 Depth=1
	v_mov_b32_e32 v6, v23
	v_mov_b32_e32 v27, v19
	s_and_b32 s13, s63, 0xfe
	s_mov_b32 s12, 0
	s_branch .LBB104_50
.LBB104_49:                             ;   in Loop: Header=BB104_50 Depth=2
	s_or_b32 exec_lo, exec_lo, s8
	s_waitcnt vmcnt(0)
	v_bfe_i32 v28, v28, 0, 16
	s_and_b32 s8, exec_lo, vcc_lo
	v_add_nc_u32_e32 v6, s45, v6
	s_or_b32 s12, s8, s12
	s_delay_alu instid0(VALU_DEP_2) | instskip(NEXT) | instid1(VALU_DEP_1)
	v_add_nc_u32_e32 v28, 0x8000, v28
	v_and_b32_e32 v30, s69, v28
	v_bfe_u32 v28, v28, s13, 2
	s_delay_alu instid0(VALU_DEP_2) | instskip(NEXT) | instid1(VALU_DEP_2)
	v_cmp_eq_u32_e32 vcc_lo, s68, v30
	v_cmp_eq_u32_e64 s7, 0, v28
	v_cmp_eq_u32_e64 s8, 1, v28
	;; [unrolled: 1-line block ×4, first 2 shown]
	s_delay_alu instid0(VALU_DEP_4) | instskip(NEXT) | instid1(SALU_CYCLE_1)
	s_and_b32 s7, vcc_lo, s7
	v_cndmask_b32_e64 v28, 0, 1, s7
	s_and_b32 s7, vcc_lo, s8
	s_delay_alu instid0(SALU_CYCLE_1) | instskip(SKIP_1) | instid1(SALU_CYCLE_1)
	v_cndmask_b32_e64 v30, 0, 1, s7
	s_and_b32 s7, vcc_lo, s9
	v_cndmask_b32_e64 v31, 0, 1, s7
	s_and_b32 s7, vcc_lo, s10
	v_cmp_ne_u32_e32 vcc_lo, 0, v28
	v_cndmask_b32_e64 v32, 0, 1, s7
	v_cmp_ne_u32_e64 s7, 0, v30
	v_cmp_ne_u32_e64 s8, 0, v31
	v_mov_b32_e32 v28, v29
	s_bcnt1_i32_b32 s10, vcc_lo
	v_cmp_ne_u32_e64 s9, 0, v32
	s_bcnt1_i32_b32 s7, s7
	s_bcnt1_i32_b32 s8, s8
	v_add_nc_u32_e32 v1, s10, v1
	v_add_nc_u32_e32 v2, s7, v2
	s_bcnt1_i32_b32 s9, s9
	v_add_nc_u32_e32 v3, s8, v3
	v_add_nc_u32_e32 v4, s9, v4
	s_and_not1_b32 exec_lo, exec_lo, s12
	s_cbranch_execz .LBB104_52
.LBB104_50:                             ;   Parent Loop BB104_12 Depth=1
                                        ; =>  This Inner Loop Header: Depth=2
	s_delay_alu instid0(VALU_DEP_1) | instskip(SKIP_2) | instid1(VALU_DEP_2)
	v_add_nc_u32_e32 v27, s41, v27
	v_mov_b32_e32 v29, 0
	s_mov_b32 s8, exec_lo
	v_cmp_le_u32_e32 vcc_lo, s28, v27
	v_cmpx_gt_u32_e64 s28, v27
	s_cbranch_execz .LBB104_49
; %bb.51:                               ;   in Loop: Header=BB104_50 Depth=2
	v_lshlrev_b64 v[29:30], 1, v[6:7]
	s_delay_alu instid0(VALU_DEP_1) | instskip(NEXT) | instid1(VALU_DEP_1)
	v_add_co_u32 v29, s7, s31, v29
	v_add_co_ci_u32_e64 v30, s7, s40, v30, s7
	global_load_u16 v29, v[29:30], off
	s_branch .LBB104_49
.LBB104_52:                             ;   in Loop: Header=BB104_12 Depth=1
	s_or_b32 exec_lo, exec_lo, s12
.LBB104_53:                             ;   in Loop: Header=BB104_12 Depth=1
	s_delay_alu instid0(SALU_CYCLE_1)
	s_or_b32 exec_lo, exec_lo, s11
	s_branch .LBB104_63
.LBB104_54:                             ;   in Loop: Header=BB104_12 Depth=1
	s_mul_hi_u32 s7, s71, s53
	v_dual_mov_b32 v1, 0 :: v_dual_mov_b32 v2, 0
	s_mul_i32 s7, s7, s43
	v_dual_mov_b32 v3, 0 :: v_dual_mov_b32 v4, 0
	s_sub_i32 s7, s71, s7
	s_mov_b32 s74, 0
	s_sub_i32 s8, s7, s43
	s_cmp_ge_u32 s7, s43
	s_mov_b32 s73, exec_lo
	s_cselect_b32 s7, s8, s7
	s_delay_alu instid0(SALU_CYCLE_1) | instskip(SKIP_2) | instid1(SALU_CYCLE_1)
	s_sub_i32 s8, s7, s43
	s_cmp_ge_u32 s7, s43
	s_cselect_b32 s7, s8, s7
	s_sub_i32 s72, s71, s7
	s_delay_alu instid0(SALU_CYCLE_1)
	v_cmpx_gt_u32_e64 s72, v15
	s_cbranch_execz .LBB104_58
; %bb.55:                               ;   in Loop: Header=BB104_12 Depth=1
	v_dual_mov_b32 v6, v24 :: v_dual_mov_b32 v27, v15
	s_and_b32 s75, s63, 0xfe
	s_mov_b32 s76, 0
	s_mov_b32 s77, 0
	;; [unrolled: 1-line block ×4, first 2 shown]
.LBB104_56:                             ;   Parent Loop BB104_12 Depth=1
                                        ; =>  This Inner Loop Header: Depth=2
	ds_load_b64 v[1:2], v6
	s_waitcnt lgkmcnt(0)
	v_bfe_i32 v3, v1, 0, 16
	v_ashrrev_i32_e32 v1, 16, v1
	v_bfe_i32 v4, v2, 0, 16
	v_ashrrev_i32_e32 v2, 16, v2
	s_delay_alu instid0(VALU_DEP_4) | instskip(NEXT) | instid1(VALU_DEP_4)
	v_add_nc_u32_e32 v3, 0x8000, v3
	v_add_nc_u32_e32 v1, 0x8000, v1
	s_delay_alu instid0(VALU_DEP_4) | instskip(NEXT) | instid1(VALU_DEP_4)
	v_add_nc_u32_e32 v4, 0x8000, v4
	v_add_nc_u32_e32 v2, 0x8000, v2
	s_waitcnt vmcnt(0)
	v_and_b32_e32 v28, s69, v3
	v_bfe_u32 v3, v3, s75, 2
	v_and_b32_e32 v29, s69, v1
	v_bfe_u32 v1, v1, s75, 2
	;; [unrolled: 2-line block ×3, first 2 shown]
	v_cmp_eq_u32_e64 s7, s68, v28
	v_cmp_eq_u32_e64 s11, 0, v3
	v_and_b32_e32 v31, s69, v2
	v_bfe_u32 v2, v2, s75, 2
	v_cmp_eq_u32_e64 s8, s68, v29
	v_cmp_eq_u32_e64 s12, 0, v1
	;; [unrolled: 1-line block ×4, first 2 shown]
	s_and_b32 s11, s7, s11
	v_cmp_eq_u32_e64 s10, s68, v31
	v_cmp_eq_u32_e64 s14, 0, v2
	;; [unrolled: 1-line block ×5, first 2 shown]
	v_cndmask_b32_e64 v1, 0, 1, s11
	s_and_b32 s11, s8, s12
	v_cmp_eq_u32_e64 s15, 1, v3
	v_cmp_eq_u32_e64 s18, 1, v2
	;; [unrolled: 1-line block ×4, first 2 shown]
	v_cndmask_b32_e64 v2, 0, 1, s11
	s_and_b32 s11, s9, s13
	v_cmp_eq_u32_e64 s19, 2, v3
	v_cmp_eq_u32_e64 s23, 3, v3
	v_cndmask_b32_e64 v3, 0, 1, s11
	s_and_b32 s11, s10, s14
	v_cmp_eq_u32_e64 s17, 1, v4
	v_cmp_eq_u32_e64 s21, 2, v4
	;; [unrolled: 1-line block ×3, first 2 shown]
	v_cndmask_b32_e64 v4, 0, 1, s11
	s_and_b32 s11, s7, s15
	s_delay_alu instid0(SALU_CYCLE_1) | instskip(SKIP_1) | instid1(SALU_CYCLE_1)
	v_cndmask_b32_e64 v28, 0, 1, s11
	s_and_b32 s11, s8, s16
	v_cndmask_b32_e64 v29, 0, 1, s11
	s_and_b32 s11, s9, s17
	s_delay_alu instid0(SALU_CYCLE_1) | instskip(SKIP_1) | instid1(VALU_DEP_2)
	v_cndmask_b32_e64 v30, 0, 1, s11
	s_and_b32 s11, s10, s18
	v_cmp_ne_u32_e64 s12, 0, v29
	v_cndmask_b32_e64 v31, 0, 1, s11
	s_and_b32 s11, s7, s19
	s_and_b32 s7, s7, s23
	v_cndmask_b32_e64 v32, 0, 1, s11
	s_and_b32 s11, s8, s20
	v_cndmask_b32_e64 v36, 0, 1, s7
	;; [unrolled: 2-line block ×7, first 2 shown]
	v_cndmask_b32_e64 v39, 0, 1, s7
	v_cmp_ne_u32_e64 s7, 0, v1
	v_cmp_ne_u32_e64 s11, 0, v28
	;; [unrolled: 1-line block ×6, first 2 shown]
	s_bcnt1_i32_b32 s7, s7
	s_bcnt1_i32_b32 s11, s11
	v_cmp_ne_u32_e64 s14, 0, v31
	v_cmp_ne_u32_e64 s16, 0, v33
	;; [unrolled: 1-line block ×3, first 2 shown]
	s_bcnt1_i32_b32 s8, s8
	s_bcnt1_i32_b32 s12, s12
	s_add_i32 s7, s7, s79
	s_add_i32 s11, s11, s78
	v_cmp_ne_u32_e64 s9, 0, v3
	v_cmp_ne_u32_e64 s17, 0, v34
	;; [unrolled: 1-line block ×3, first 2 shown]
	s_bcnt1_i32_b32 s13, s13
	s_add_i32 s7, s7, s8
	s_add_i32 s8, s11, s12
	s_bcnt1_i32_b32 s15, s15
	s_bcnt1_i32_b32 s19, s19
	v_cmp_ne_u32_e64 s10, 0, v4
	v_cmp_ne_u32_e64 s18, 0, v35
	;; [unrolled: 1-line block ×3, first 2 shown]
	s_bcnt1_i32_b32 s14, s14
	s_add_i32 s8, s8, s13
	s_bcnt1_i32_b32 s16, s16
	s_bcnt1_i32_b32 s20, s20
	s_add_i32 s15, s15, s77
	s_add_i32 s19, s19, s76
	;; [unrolled: 1-line block ×3, first 2 shown]
	s_delay_alu instid0(SALU_CYCLE_1)
	v_dual_mov_b32 v2, s78 :: v_dual_add_nc_u32 v27, s43, v27
	s_bcnt1_i32_b32 s9, s9
	s_bcnt1_i32_b32 s17, s17
	;; [unrolled: 1-line block ×3, first 2 shown]
	s_add_i32 s11, s15, s16
	s_add_i32 s12, s19, s20
	s_bcnt1_i32_b32 s10, s10
	s_bcnt1_i32_b32 s18, s18
	;; [unrolled: 1-line block ×3, first 2 shown]
	s_add_i32 s7, s7, s9
	s_add_i32 s9, s11, s17
	;; [unrolled: 1-line block ×3, first 2 shown]
	v_cmp_le_u32_e32 vcc_lo, s72, v27
	s_add_i32 s79, s7, s10
	s_add_i32 s77, s9, s18
	;; [unrolled: 1-line block ×3, first 2 shown]
	v_dual_mov_b32 v1, s79 :: v_dual_add_nc_u32 v6, s58, v6
	v_dual_mov_b32 v3, s77 :: v_dual_mov_b32 v4, s76
	s_or_b32 s74, vcc_lo, s74
	s_delay_alu instid0(SALU_CYCLE_1)
	s_and_not1_b32 exec_lo, exec_lo, s74
	s_cbranch_execnz .LBB104_56
; %bb.57:                               ;   in Loop: Header=BB104_12 Depth=1
	s_or_b32 exec_lo, exec_lo, s74
.LBB104_58:                             ;   in Loop: Header=BB104_12 Depth=1
	s_delay_alu instid0(SALU_CYCLE_1) | instskip(SKIP_2) | instid1(VALU_DEP_1)
	s_or_b32 exec_lo, exec_lo, s73
	v_add_nc_u32_e32 v6, s72, v0
	s_mov_b32 s12, exec_lo
	v_cmpx_gt_u32_e64 s71, v6
	s_cbranch_execz .LBB104_62
; %bb.59:                               ;   in Loop: Header=BB104_12 Depth=1
	v_lshlrev_b32_e32 v27, 1, v6
	s_and_b32 s14, s63, 0xfe
	s_mov_b32 s13, 0
.LBB104_60:                             ;   Parent Loop BB104_12 Depth=1
                                        ; =>  This Inner Loop Header: Depth=2
	s_waitcnt vmcnt(0)
	ds_load_i16 v28, v27
	v_add_nc_u32_e32 v6, s41, v6
	v_add_nc_u32_e32 v27, s59, v27
	s_delay_alu instid0(VALU_DEP_2) | instskip(SKIP_2) | instid1(VALU_DEP_1)
	v_cmp_le_u32_e32 vcc_lo, s71, v6
	s_waitcnt lgkmcnt(0)
	v_add_nc_u32_e32 v28, 0x8000, v28
	v_and_b32_e32 v29, s69, v28
	v_bfe_u32 v28, v28, s14, 2
	s_delay_alu instid0(VALU_DEP_2) | instskip(NEXT) | instid1(VALU_DEP_2)
	v_cmp_eq_u32_e64 s7, s68, v29
	v_cmp_eq_u32_e64 s8, 0, v28
	;; [unrolled: 1-line block ×5, first 2 shown]
	s_delay_alu instid0(VALU_DEP_4) | instskip(NEXT) | instid1(SALU_CYCLE_1)
	s_and_b32 s8, s7, s8
	v_cndmask_b32_e64 v28, 0, 1, s8
	s_and_b32 s8, s7, s9
	s_delay_alu instid0(SALU_CYCLE_1)
	v_cndmask_b32_e64 v29, 0, 1, s8
	s_and_b32 s8, s7, s10
	s_and_b32 s7, s7, s11
	v_cndmask_b32_e64 v30, 0, 1, s8
	v_cndmask_b32_e64 v31, 0, 1, s7
	v_cmp_ne_u32_e64 s7, 0, v28
	v_cmp_ne_u32_e64 s8, 0, v29
	s_delay_alu instid0(VALU_DEP_4) | instskip(NEXT) | instid1(VALU_DEP_4)
	v_cmp_ne_u32_e64 s9, 0, v30
	v_cmp_ne_u32_e64 s10, 0, v31
	s_delay_alu instid0(VALU_DEP_4) | instskip(NEXT) | instid1(VALU_DEP_3)
	s_bcnt1_i32_b32 s7, s7
	s_bcnt1_i32_b32 s8, s8
	v_add_nc_u32_e32 v1, s7, v1
	s_bcnt1_i32_b32 s9, s9
	s_bcnt1_i32_b32 s10, s10
	v_add_nc_u32_e32 v2, s8, v2
	v_add_nc_u32_e32 v3, s9, v3
	;; [unrolled: 1-line block ×3, first 2 shown]
	s_or_b32 s13, vcc_lo, s13
	s_delay_alu instid0(SALU_CYCLE_1)
	s_and_not1_b32 exec_lo, exec_lo, s13
	s_cbranch_execnz .LBB104_60
; %bb.61:                               ;   in Loop: Header=BB104_12 Depth=1
	s_or_b32 exec_lo, exec_lo, s13
.LBB104_62:                             ;   in Loop: Header=BB104_12 Depth=1
	s_delay_alu instid0(SALU_CYCLE_1)
	s_or_b32 exec_lo, exec_lo, s12
.LBB104_63:                             ;   in Loop: Header=BB104_12 Depth=1
	s_lshl_b32 s7, s66, 7
	s_and_saveexec_b32 s8, s3
	s_cbranch_execz .LBB104_65
; %bb.64:                               ;   in Loop: Header=BB104_12 Depth=1
	v_or_b32_e32 v6, s7, v18
	s_delay_alu instid0(VALU_DEP_1)
	v_lshlrev_b32_e32 v6, 2, v6
	ds_store_b128 v6, v[1:4] offset:3072
.LBB104_65:                             ;   in Loop: Header=BB104_12 Depth=1
	s_or_b32 exec_lo, exec_lo, s8
	s_waitcnt vmcnt(0) lgkmcnt(0)
	s_barrier
	buffer_gl0_inv
	s_and_saveexec_b32 s8, s44
	s_cbranch_execz .LBB104_75
; %bb.66:                               ;   in Loop: Header=BB104_12 Depth=1
	v_mov_b32_e32 v1, 0
	s_and_not1_b32 vcc_lo, exec_lo, s48
	s_cbranch_vccnz .LBB104_74
; %bb.67:                               ;   in Loop: Header=BB104_12 Depth=1
	v_mov_b32_e32 v1, 0
	s_and_not1_b32 vcc_lo, exec_lo, s50
	s_mov_b32 s9, 0
	s_cbranch_vccnz .LBB104_71
; %bb.68:                               ;   in Loop: Header=BB104_12 Depth=1
	v_lshl_add_u32 v2, s66, 9, v25
	v_mov_b32_e32 v1, 0
	.p2align	6
.LBB104_69:                             ;   Parent Loop BB104_12 Depth=1
                                        ; =>  This Inner Loop Header: Depth=2
	ds_load_2addr_b32 v[3:4], v2 offset1:4
	ds_load_2addr_b32 v[27:28], v2 offset0:8 offset1:12
	ds_load_2addr_b32 v[29:30], v2 offset0:16 offset1:20
	;; [unrolled: 1-line block ×3, first 2 shown]
	v_add_nc_u32_e32 v2, 0x80, v2
	s_add_i32 s9, s9, 8
	s_delay_alu instid0(SALU_CYCLE_1) | instskip(SKIP_3) | instid1(VALU_DEP_1)
	s_cmp_eq_u32 s51, s9
	s_waitcnt lgkmcnt(3)
	v_add3_u32 v1, v3, v1, v4
	s_waitcnt lgkmcnt(2)
	v_add3_u32 v1, v27, v1, v28
	s_waitcnt lgkmcnt(1)
	s_delay_alu instid0(VALU_DEP_1) | instskip(SKIP_1) | instid1(VALU_DEP_1)
	v_add3_u32 v1, v29, v1, v30
	s_waitcnt lgkmcnt(0)
	v_add3_u32 v1, v31, v1, v32
	s_cbranch_scc0 .LBB104_69
; %bb.70:                               ;   in Loop: Header=BB104_12 Depth=1
	s_mov_b32 s9, s51
.LBB104_71:                             ;   in Loop: Header=BB104_12 Depth=1
	s_and_not1_b32 vcc_lo, exec_lo, s52
	s_cbranch_vccnz .LBB104_74
; %bb.72:                               ;   in Loop: Header=BB104_12 Depth=1
	s_lshl_b32 s10, s66, 9
	s_lshl_b32 s9, s9, 4
	s_delay_alu instid0(SALU_CYCLE_1)
	v_add3_u32 v2, s10, s9, v25
	s_mov_b32 s9, s49
.LBB104_73:                             ;   Parent Loop BB104_12 Depth=1
                                        ; =>  This Inner Loop Header: Depth=2
	ds_load_b32 v3, v2
	v_add_nc_u32_e32 v2, 16, v2
	s_add_i32 s9, s9, -1
	s_delay_alu instid0(SALU_CYCLE_1)
	s_cmp_lg_u32 s9, 0
	s_waitcnt lgkmcnt(0)
	v_add_nc_u32_e32 v1, v3, v1
	s_cbranch_scc1 .LBB104_73
.LBB104_74:                             ;   in Loop: Header=BB104_12 Depth=1
	v_add_lshl_u32 v2, s7, v14, 2
	ds_store_b32 v2, v1 offset:3072
.LBB104_75:                             ;   in Loop: Header=BB104_12 Depth=1
	s_or_b32 exec_lo, exec_lo, s8
	s_lshl_b32 s7, s7, 2
	s_waitcnt lgkmcnt(0)
	v_mov_b32_e32 v1, s7
	s_barrier
	buffer_gl0_inv
	s_and_b32 s16, s63, 0xfe
	s_mov_b32 s12, -1
	ds_load_b128 v[1:4], v1 offset:3072
	s_lshl_b32 s10, 3, s16
	s_delay_alu instid0(SALU_CYCLE_1) | instskip(SKIP_4) | instid1(VALU_DEP_3)
	s_not_b32 s17, s10
	s_waitcnt lgkmcnt(0)
	v_readfirstlane_b32 s11, v1
	v_readfirstlane_b32 s19, v2
	;; [unrolled: 1-line block ×3, first 2 shown]
	s_cmp_eq_u32 s11, 1
	s_cselect_b32 s7, -1, 0
	s_cmp_eq_u32 s70, 1
	s_cselect_b32 s8, -1, 0
	s_delay_alu instid0(SALU_CYCLE_1)
	s_and_b32 s13, s7, s8
	v_readfirstlane_b32 s8, v4
	s_and_b32 vcc_lo, exec_lo, s13
	s_cbranch_vccz .LBB104_87
; %bb.76:                               ;   in Loop: Header=BB104_12 Depth=1
	ds_load_b32 v1, v7 offset:4104
	s_waitcnt lgkmcnt(0)
	s_barrier
	buffer_gl0_inv
	v_readfirstlane_b32 s9, v1
	s_and_saveexec_b32 s7, s1
	s_cbranch_execz .LBB104_78
; %bb.77:                               ;   in Loop: Header=BB104_12 Depth=1
	ds_store_b16 v17, v7
.LBB104_78:                             ;   in Loop: Header=BB104_12 Depth=1
	s_or_b32 exec_lo, exec_lo, s7
	s_and_b32 s68, s68, s17
	s_or_b32 s69, s69, s10
	s_cmp_eq_u32 s9, 0
	s_waitcnt lgkmcnt(0)
	s_barrier
	buffer_gl0_inv
	s_cbranch_scc1 .LBB104_88
; %bb.79:                               ;   in Loop: Header=BB104_12 Depth=1
	s_add_i32 s7, s9, s46
                                        ; implicit-def: $vgpr26
	s_delay_alu instid0(SALU_CYCLE_1) | instskip(NEXT) | instid1(SALU_CYCLE_1)
	s_mul_hi_u32 s15, s7, s55
	s_mul_i32 s15, s15, s41
	s_delay_alu instid0(SALU_CYCLE_1) | instskip(NEXT) | instid1(SALU_CYCLE_1)
	s_sub_i32 s15, s7, s15
	s_sub_i32 s18, s15, s41
	s_cmp_ge_u32 s15, s41
	s_cselect_b32 s15, s18, s15
	s_delay_alu instid0(SALU_CYCLE_1) | instskip(SKIP_2) | instid1(SALU_CYCLE_1)
	s_sub_i32 s18, s15, s41
	s_cmp_ge_u32 s15, s41
	s_cselect_b32 s15, s18, s15
	s_sub_i32 s18, s7, s15
	s_mov_b32 s7, 0
	s_mov_b32 s15, exec_lo
	v_cmpx_gt_u32_e64 s18, v0
	s_cbranch_execz .LBB104_90
; %bb.80:                               ;   in Loop: Header=BB104_12 Depth=1
	v_mov_b32_e32 v1, v16
	v_mov_b32_e32 v2, v0
	s_mov_b32 s20, 0
                                        ; implicit-def: $sgpr21
	s_set_inst_prefetch_distance 0x1
	s_branch .LBB104_82
	.p2align	6
.LBB104_81:                             ;   in Loop: Header=BB104_82 Depth=2
	s_or_b32 exec_lo, exec_lo, s7
	s_waitcnt lgkmcnt(0)
	s_barrier
	buffer_gl0_inv
	ds_load_b32 v3, v7 offset:3072
	v_add_nc_u32_e32 v2, s41, v2
	v_add_nc_u32_e32 v1, s59, v1
	s_waitcnt lgkmcnt(0)
	s_barrier
	buffer_gl0_inv
	v_cmp_le_u32_e32 vcc_lo, s18, v2
	v_cmp_ne_u16_e64 s7, 0, v3
	s_delay_alu instid0(VALU_DEP_1) | instskip(NEXT) | instid1(SALU_CYCLE_1)
	s_or_b32 s22, vcc_lo, s7
	s_and_b32 s22, exec_lo, s22
	s_delay_alu instid0(SALU_CYCLE_1) | instskip(SKIP_2) | instid1(SALU_CYCLE_1)
	s_or_b32 s20, s22, s20
	s_and_not1_b32 s21, s21, exec_lo
	s_and_b32 s7, s7, exec_lo
	s_or_b32 s21, s21, s7
	s_and_not1_b32 exec_lo, exec_lo, s20
	s_cbranch_execz .LBB104_89
.LBB104_82:                             ;   Parent Loop BB104_12 Depth=1
                                        ; =>  This Inner Loop Header: Depth=2
	s_delay_alu instid0(VALU_DEP_1)
	v_cmp_gt_u32_e32 vcc_lo, s9, v2
	v_mov_b32_e32 v3, 0
	s_and_saveexec_b32 s7, vcc_lo
	s_cbranch_execz .LBB104_84
; %bb.83:                               ;   in Loop: Header=BB104_82 Depth=2
	ds_load_u16 v3, v1
.LBB104_84:                             ;   in Loop: Header=BB104_82 Depth=2
	s_or_b32 exec_lo, exec_lo, s7
	s_and_saveexec_b32 s7, vcc_lo
	s_cbranch_execz .LBB104_81
; %bb.85:                               ;   in Loop: Header=BB104_82 Depth=2
	s_waitcnt lgkmcnt(0)
	v_bfe_i32 v4, v3, 0, 16
	s_delay_alu instid0(VALU_DEP_1) | instskip(NEXT) | instid1(VALU_DEP_1)
	v_add_nc_u32_e32 v4, 0x8000, v4
	v_and_b32_e32 v4, s69, v4
	s_delay_alu instid0(VALU_DEP_1)
	v_cmp_eq_u32_e32 vcc_lo, s68, v4
	s_and_b32 exec_lo, exec_lo, vcc_lo
	s_cbranch_execz .LBB104_81
; %bb.86:                               ;   in Loop: Header=BB104_82 Depth=2
	v_perm_b32 v3, v3, 1, 0x5040100
	ds_store_b32 v7, v3 offset:3072
	s_branch .LBB104_81
.LBB104_87:                             ;   in Loop: Header=BB104_12 Depth=1
	s_mov_b32 s7, -1
                                        ; implicit-def: $sgpr9
                                        ; implicit-def: $sgpr18
                                        ; implicit-def: $sgpr15
	s_branch .LBB104_101
.LBB104_88:                             ;   in Loop: Header=BB104_12 Depth=1
	s_mov_b32 s9, -1
	s_mov_b32 s7, 0
                                        ; implicit-def: $sgpr15
                                        ; implicit-def: $vgpr26
	s_mov_b32 s18, s9
	s_cbranch_execnz .LBB104_91
	s_branch .LBB104_101
.LBB104_89:                             ;   in Loop: Header=BB104_12 Depth=1
	s_set_inst_prefetch_distance 0x2
	s_or_b32 exec_lo, exec_lo, s20
	v_lshrrev_b32_e32 v26, 16, v3
	s_and_b32 s7, s21, exec_lo
.LBB104_90:                             ;   in Loop: Header=BB104_12 Depth=1
	s_or_b32 exec_lo, exec_lo, s15
	s_mov_b32 s15, -1
	s_mov_b32 s9, 0
	s_delay_alu instid0(SALU_CYCLE_1)
	s_mov_b32 s18, s9
	s_branch .LBB104_101
.LBB104_91:                             ;   in Loop: Header=BB104_12 Depth=1
	s_mov_b32 s7, 0
                                        ; implicit-def: $vgpr26
	s_and_saveexec_b32 s9, s6
	s_cbranch_execz .LBB104_100
; %bb.92:                               ;   in Loop: Header=BB104_12 Depth=1
	v_dual_mov_b32 v6, v5 :: v_dual_mov_b32 v1, v0
	s_mov_b32 s15, 0
                                        ; implicit-def: $sgpr18
	s_set_inst_prefetch_distance 0x1
	s_branch .LBB104_94
	.p2align	6
.LBB104_93:                             ;   in Loop: Header=BB104_94 Depth=2
	s_or_b32 exec_lo, exec_lo, s7
	s_waitcnt vmcnt(0) lgkmcnt(0)
	s_barrier
	buffer_gl0_inv
	ds_load_b32 v2, v7 offset:3072
	v_add_nc_u32_e32 v1, s41, v1
	v_add_nc_u32_e32 v6, s45, v6
	s_waitcnt lgkmcnt(0)
	s_barrier
	buffer_gl0_inv
	v_cmp_le_u32_e32 vcc_lo, s56, v1
	v_cmp_ne_u16_e64 s7, 0, v2
	s_delay_alu instid0(VALU_DEP_1) | instskip(NEXT) | instid1(SALU_CYCLE_1)
	s_or_b32 s20, vcc_lo, s7
	s_and_b32 s20, exec_lo, s20
	s_delay_alu instid0(SALU_CYCLE_1) | instskip(SKIP_2) | instid1(SALU_CYCLE_1)
	s_or_b32 s15, s20, s15
	s_and_not1_b32 s18, s18, exec_lo
	s_and_b32 s7, s7, exec_lo
	s_or_b32 s18, s18, s7
	s_and_not1_b32 exec_lo, exec_lo, s15
	s_cbranch_execz .LBB104_99
.LBB104_94:                             ;   Parent Loop BB104_12 Depth=1
                                        ; =>  This Inner Loop Header: Depth=2
	s_delay_alu instid0(VALU_DEP_1)
	v_cmp_gt_u32_e32 vcc_lo, s28, v1
	v_mov_b32_e32 v2, 0
	s_and_saveexec_b32 s20, vcc_lo
	s_cbranch_execz .LBB104_96
; %bb.95:                               ;   in Loop: Header=BB104_94 Depth=2
	v_lshlrev_b64 v[2:3], 1, v[6:7]
	s_delay_alu instid0(VALU_DEP_1) | instskip(NEXT) | instid1(VALU_DEP_1)
	v_add_co_u32 v2, s7, s31, v2
	v_add_co_ci_u32_e64 v3, s7, s40, v3, s7
	global_load_u16 v2, v[2:3], off
.LBB104_96:                             ;   in Loop: Header=BB104_94 Depth=2
	s_or_b32 exec_lo, exec_lo, s20
	s_and_saveexec_b32 s7, vcc_lo
	s_cbranch_execz .LBB104_93
; %bb.97:                               ;   in Loop: Header=BB104_94 Depth=2
	s_waitcnt vmcnt(0)
	v_bfe_i32 v3, v2, 0, 16
	s_delay_alu instid0(VALU_DEP_1) | instskip(NEXT) | instid1(VALU_DEP_1)
	v_add_nc_u32_e32 v3, 0x8000, v3
	v_and_b32_e32 v3, s69, v3
	s_delay_alu instid0(VALU_DEP_1)
	v_cmp_eq_u32_e32 vcc_lo, s68, v3
	s_and_b32 exec_lo, exec_lo, vcc_lo
	s_cbranch_execz .LBB104_93
; %bb.98:                               ;   in Loop: Header=BB104_94 Depth=2
	v_perm_b32 v2, v2, 1, 0x5040100
	ds_store_b32 v7, v2 offset:3072
	s_branch .LBB104_93
.LBB104_99:                             ;   in Loop: Header=BB104_12 Depth=1
	s_set_inst_prefetch_distance 0x2
	s_or_b32 exec_lo, exec_lo, s15
	v_lshrrev_b32_e32 v26, 16, v2
	s_and_b32 s7, s18, exec_lo
.LBB104_100:                            ;   in Loop: Header=BB104_12 Depth=1
	s_or_b32 exec_lo, exec_lo, s9
	s_mov_b32 s18, -1
	s_mov_b32 s9, 0
	s_mov_b32 s15, 0
.LBB104_101:                            ;   in Loop: Header=BB104_12 Depth=1
	s_and_not1_b32 s20, s64, exec_lo
	s_and_b32 s9, s9, exec_lo
	s_and_b32 s18, s18, exec_lo
	s_or_b32 s64, s20, s9
	s_and_not1_b32 s9, s67, exec_lo
	s_and_not1_b32 s20, s65, exec_lo
	s_and_b32 s15, s15, exec_lo
	s_or_b32 s67, s9, s18
	s_or_b32 s65, s20, s15
	s_and_saveexec_b32 s9, s7
	s_cbranch_execz .LBB104_11
; %bb.102:                              ;   in Loop: Header=BB104_12 Depth=1
	s_xor_b32 s7, s13, -1
	s_mov_b32 s12, 0
	s_and_not1_b32 vcc_lo, exec_lo, s7
	s_mov_b32 s20, 1
	s_cbranch_vccnz .LBB104_113
; %bb.103:                              ;   in Loop: Header=BB104_12 Depth=1
	s_cmp_gt_u32 s70, s11
	s_mov_b32 s12, -1
                                        ; implicit-def: $sgpr7
                                        ; implicit-def: $sgpr13
                                        ; implicit-def: $sgpr15
	s_cbranch_scc1 .LBB104_109
; %bb.104:                              ;   in Loop: Header=BB104_12 Depth=1
	ds_load_b32 v1, v7 offset:4104
	s_waitcnt lgkmcnt(0)
	v_cmp_ne_u32_e32 vcc_lo, 0, v1
	s_cbranch_vccnz .LBB104_108
; %bb.105:                              ;   in Loop: Header=BB104_12 Depth=1
	s_and_saveexec_b32 s7, s2
	s_cbranch_execz .LBB104_107
; %bb.106:                              ;   in Loop: Header=BB104_12 Depth=1
	v_mov_b32_e32 v1, s11
	ds_store_b32 v7, v1 offset:4108
.LBB104_107:                            ;   in Loop: Header=BB104_12 Depth=1
	s_or_b32 exec_lo, exec_lo, s7
	s_waitcnt lgkmcnt(0)
	s_barrier
	buffer_gl0_inv
.LBB104_108:                            ;   in Loop: Header=BB104_12 Depth=1
	s_and_b32 s13, s68, s17
	s_or_b32 s15, s69, s10
	s_mov_b32 s12, 0
	s_mov_b32 s7, 8
.LBB104_109:                            ;   in Loop: Header=BB104_12 Depth=1
	s_and_not1_b32 vcc_lo, exec_lo, s12
	s_cbranch_vccnz .LBB104_111
; %bb.110:                              ;   in Loop: Header=BB104_12 Depth=1
	s_sub_i32 s70, s70, s11
	s_mov_b32 s12, -1
	s_mov_b32 s7, 0
	s_mov_b32 s13, s68
	;; [unrolled: 1-line block ×3, first 2 shown]
.LBB104_111:                            ;   in Loop: Header=BB104_12 Depth=1
	s_delay_alu instid0(SALU_CYCLE_1)
	s_mov_b32 s69, s15
	s_mov_b32 s68, s13
	;; [unrolled: 1-line block ×3, first 2 shown]
	s_and_b32 vcc_lo, exec_lo, s12
	s_mov_b32 s11, -1
	s_cbranch_vccnz .LBB104_114
.LBB104_112:                            ;   in Loop: Header=BB104_12 Depth=1
	s_mov_b32 s23, -1
                                        ; implicit-def: $sgpr12
                                        ; implicit-def: $sgpr15
                                        ; implicit-def: $sgpr13
                                        ; implicit-def: $sgpr70
	s_delay_alu instid0(SALU_CYCLE_1) | instskip(NEXT) | instid1(SALU_CYCLE_1)
	s_and_saveexec_b32 s8, s23
	s_xor_b32 s8, exec_lo, s8
	s_cbranch_execz .LBB104_10
	s_branch .LBB104_240
.LBB104_113:                            ;   in Loop: Header=BB104_12 Depth=1
	s_mov_b32 s7, 1
	s_and_b32 vcc_lo, exec_lo, s12
	s_mov_b32 s11, -1
	s_cbranch_vccz .LBB104_112
.LBB104_114:                            ;   in Loop: Header=BB104_12 Depth=1
	s_cmp_eq_u32 s19, 1
	s_mov_b32 s22, -1
	s_cselect_b32 s7, -1, 0
	s_cmp_eq_u32 s20, 1
	s_cselect_b32 s12, -1, 0
	s_delay_alu instid0(SALU_CYCLE_1) | instskip(NEXT) | instid1(SALU_CYCLE_1)
	s_and_b32 s21, s7, s12
	s_and_b32 vcc_lo, exec_lo, s21
	s_cbranch_vccz .LBB104_126
; %bb.115:                              ;   in Loop: Header=BB104_12 Depth=1
	ds_load_b32 v1, v7 offset:4104
	s_waitcnt lgkmcnt(0)
	s_barrier
	buffer_gl0_inv
	v_readfirstlane_b32 s12, v1
	s_and_saveexec_b32 s7, s1
	s_cbranch_execz .LBB104_117
; %bb.116:                              ;   in Loop: Header=BB104_12 Depth=1
	ds_store_b16 v17, v7
.LBB104_117:                            ;   in Loop: Header=BB104_12 Depth=1
	s_or_b32 exec_lo, exec_lo, s7
	s_lshl_b32 s7, 1, s16
	s_and_b32 s13, s68, s17
	s_or_b32 s69, s69, s10
	s_or_b32 s68, s13, s7
	s_cmp_eq_u32 s12, 0
	s_waitcnt lgkmcnt(0)
	s_barrier
	buffer_gl0_inv
	s_cbranch_scc1 .LBB104_130
; %bb.118:                              ;   in Loop: Header=BB104_12 Depth=1
	s_add_i32 s7, s12, s46
	s_mov_b32 s22, 0
	s_mul_hi_u32 s13, s7, s55
                                        ; implicit-def: $vgpr26
	s_delay_alu instid0(SALU_CYCLE_1) | instskip(NEXT) | instid1(SALU_CYCLE_1)
	s_mul_i32 s13, s13, s41
	s_sub_i32 s13, s7, s13
	s_delay_alu instid0(SALU_CYCLE_1) | instskip(SKIP_2) | instid1(SALU_CYCLE_1)
	s_sub_i32 s15, s13, s41
	s_cmp_ge_u32 s13, s41
	s_cselect_b32 s13, s15, s13
	s_sub_i32 s15, s13, s41
	s_cmp_ge_u32 s13, s41
	s_cselect_b32 s13, s15, s13
	s_delay_alu instid0(SALU_CYCLE_1)
	s_sub_i32 s15, s7, s13
	s_mov_b32 s13, exec_lo
	v_cmpx_gt_u32_e64 s15, v0
	s_cbranch_execz .LBB104_132
; %bb.119:                              ;   in Loop: Header=BB104_12 Depth=1
	v_mov_b32_e32 v1, v16
	v_mov_b32_e32 v2, v0
	s_mov_b32 s18, 0
                                        ; implicit-def: $sgpr22
	s_set_inst_prefetch_distance 0x1
	s_branch .LBB104_121
	.p2align	6
.LBB104_120:                            ;   in Loop: Header=BB104_121 Depth=2
	s_or_b32 exec_lo, exec_lo, s7
	s_waitcnt lgkmcnt(0)
	s_barrier
	buffer_gl0_inv
	ds_load_b32 v3, v7 offset:3072
	v_add_nc_u32_e32 v2, s41, v2
	v_add_nc_u32_e32 v1, s59, v1
	s_waitcnt lgkmcnt(0)
	s_barrier
	buffer_gl0_inv
	v_cmp_le_u32_e32 vcc_lo, s15, v2
	v_cmp_ne_u16_e64 s7, 0, v3
	s_delay_alu instid0(VALU_DEP_1) | instskip(NEXT) | instid1(SALU_CYCLE_1)
	s_or_b32 s23, vcc_lo, s7
	s_and_b32 s23, exec_lo, s23
	s_delay_alu instid0(SALU_CYCLE_1) | instskip(SKIP_2) | instid1(SALU_CYCLE_1)
	s_or_b32 s18, s23, s18
	s_and_not1_b32 s22, s22, exec_lo
	s_and_b32 s7, s7, exec_lo
	s_or_b32 s22, s22, s7
	s_and_not1_b32 exec_lo, exec_lo, s18
	s_cbranch_execz .LBB104_131
.LBB104_121:                            ;   Parent Loop BB104_12 Depth=1
                                        ; =>  This Inner Loop Header: Depth=2
	s_delay_alu instid0(VALU_DEP_1)
	v_cmp_gt_u32_e32 vcc_lo, s12, v2
	v_mov_b32_e32 v3, 0
	s_and_saveexec_b32 s7, vcc_lo
	s_cbranch_execz .LBB104_123
; %bb.122:                              ;   in Loop: Header=BB104_121 Depth=2
	ds_load_u16 v3, v1
.LBB104_123:                            ;   in Loop: Header=BB104_121 Depth=2
	s_or_b32 exec_lo, exec_lo, s7
	s_and_saveexec_b32 s7, vcc_lo
	s_cbranch_execz .LBB104_120
; %bb.124:                              ;   in Loop: Header=BB104_121 Depth=2
	s_waitcnt lgkmcnt(0)
	v_bfe_i32 v4, v3, 0, 16
	s_delay_alu instid0(VALU_DEP_1) | instskip(NEXT) | instid1(VALU_DEP_1)
	v_add_nc_u32_e32 v4, 0x8000, v4
	v_and_b32_e32 v4, s69, v4
	s_delay_alu instid0(VALU_DEP_1)
	v_cmp_eq_u32_e32 vcc_lo, s68, v4
	s_and_b32 exec_lo, exec_lo, vcc_lo
	s_cbranch_execz .LBB104_120
; %bb.125:                              ;   in Loop: Header=BB104_121 Depth=2
	v_perm_b32 v3, v3, 1, 0x5040100
	ds_store_b32 v7, v3 offset:3072
	s_branch .LBB104_120
.LBB104_126:                            ;   in Loop: Header=BB104_12 Depth=1
                                        ; implicit-def: $sgpr13
                                        ; implicit-def: $sgpr15
                                        ; implicit-def: $sgpr12
	s_branch .LBB104_143
.LBB104_127:                            ;   in Loop: Header=BB104_12 Depth=1
	s_or_b32 exec_lo, exec_lo, s9
	s_waitcnt lgkmcnt(0)
	s_barrier
	buffer_gl0_inv
	s_and_saveexec_b32 s7, s2
	s_cbranch_execz .LBB104_129
; %bb.128:                              ;   in Loop: Header=BB104_12 Depth=1
	ds_load_b32 v1, v7 offset:4112
	s_waitcnt lgkmcnt(0)
	ds_store_b32 v7, v1 offset:4104
.LBB104_129:                            ;   in Loop: Header=BB104_12 Depth=1
	s_or_b32 exec_lo, exec_lo, s7
	s_waitcnt lgkmcnt(0)
	s_mov_b32 s7, -1
	s_barrier
	s_and_b32 vcc_lo, exec_lo, s71
	s_cbranch_vccnz .LBB104_27
	s_branch .LBB104_37
.LBB104_130:                            ;   in Loop: Header=BB104_12 Depth=1
	s_mov_b32 s13, -1
	s_mov_b32 s22, 0
                                        ; implicit-def: $sgpr12
                                        ; implicit-def: $vgpr26
	s_mov_b32 s15, s13
	s_cbranch_execnz .LBB104_133
	s_branch .LBB104_143
.LBB104_131:                            ;   in Loop: Header=BB104_12 Depth=1
	s_set_inst_prefetch_distance 0x2
	s_or_b32 exec_lo, exec_lo, s18
	v_lshrrev_b32_e32 v26, 16, v3
	s_and_b32 s22, s22, exec_lo
.LBB104_132:                            ;   in Loop: Header=BB104_12 Depth=1
	s_or_b32 exec_lo, exec_lo, s13
	s_mov_b32 s12, -1
	s_mov_b32 s13, 0
	s_delay_alu instid0(SALU_CYCLE_1)
	s_mov_b32 s15, s13
	s_branch .LBB104_143
.LBB104_133:                            ;   in Loop: Header=BB104_12 Depth=1
	s_mov_b32 s22, 0
                                        ; implicit-def: $vgpr26
	s_and_saveexec_b32 s12, s6
	s_cbranch_execz .LBB104_142
; %bb.134:                              ;   in Loop: Header=BB104_12 Depth=1
	v_dual_mov_b32 v6, v5 :: v_dual_mov_b32 v1, v0
	s_mov_b32 s13, 0
                                        ; implicit-def: $sgpr15
	s_set_inst_prefetch_distance 0x1
	s_branch .LBB104_136
	.p2align	6
.LBB104_135:                            ;   in Loop: Header=BB104_136 Depth=2
	s_or_b32 exec_lo, exec_lo, s7
	s_waitcnt vmcnt(0) lgkmcnt(0)
	s_barrier
	buffer_gl0_inv
	ds_load_b32 v2, v7 offset:3072
	v_add_nc_u32_e32 v1, s41, v1
	v_add_nc_u32_e32 v6, s45, v6
	s_waitcnt lgkmcnt(0)
	s_barrier
	buffer_gl0_inv
	v_cmp_le_u32_e32 vcc_lo, s56, v1
	v_cmp_ne_u16_e64 s7, 0, v2
	s_delay_alu instid0(VALU_DEP_1) | instskip(NEXT) | instid1(SALU_CYCLE_1)
	s_or_b32 s18, vcc_lo, s7
	s_and_b32 s18, exec_lo, s18
	s_delay_alu instid0(SALU_CYCLE_1) | instskip(SKIP_2) | instid1(SALU_CYCLE_1)
	s_or_b32 s13, s18, s13
	s_and_not1_b32 s15, s15, exec_lo
	s_and_b32 s7, s7, exec_lo
	s_or_b32 s15, s15, s7
	s_and_not1_b32 exec_lo, exec_lo, s13
	s_cbranch_execz .LBB104_141
.LBB104_136:                            ;   Parent Loop BB104_12 Depth=1
                                        ; =>  This Inner Loop Header: Depth=2
	s_delay_alu instid0(VALU_DEP_1)
	v_cmp_gt_u32_e32 vcc_lo, s28, v1
	v_mov_b32_e32 v2, 0
	s_and_saveexec_b32 s18, vcc_lo
	s_cbranch_execz .LBB104_138
; %bb.137:                              ;   in Loop: Header=BB104_136 Depth=2
	v_lshlrev_b64 v[2:3], 1, v[6:7]
	s_delay_alu instid0(VALU_DEP_1) | instskip(NEXT) | instid1(VALU_DEP_1)
	v_add_co_u32 v2, s7, s31, v2
	v_add_co_ci_u32_e64 v3, s7, s40, v3, s7
	global_load_u16 v2, v[2:3], off
.LBB104_138:                            ;   in Loop: Header=BB104_136 Depth=2
	s_or_b32 exec_lo, exec_lo, s18
	s_and_saveexec_b32 s7, vcc_lo
	s_cbranch_execz .LBB104_135
; %bb.139:                              ;   in Loop: Header=BB104_136 Depth=2
	s_waitcnt vmcnt(0)
	v_bfe_i32 v3, v2, 0, 16
	s_delay_alu instid0(VALU_DEP_1) | instskip(NEXT) | instid1(VALU_DEP_1)
	v_add_nc_u32_e32 v3, 0x8000, v3
	v_and_b32_e32 v3, s69, v3
	s_delay_alu instid0(VALU_DEP_1)
	v_cmp_eq_u32_e32 vcc_lo, s68, v3
	s_and_b32 exec_lo, exec_lo, vcc_lo
	s_cbranch_execz .LBB104_135
; %bb.140:                              ;   in Loop: Header=BB104_136 Depth=2
	v_perm_b32 v2, v2, 1, 0x5040100
	ds_store_b32 v7, v2 offset:3072
	s_branch .LBB104_135
.LBB104_141:                            ;   in Loop: Header=BB104_12 Depth=1
	s_set_inst_prefetch_distance 0x2
	s_or_b32 exec_lo, exec_lo, s13
	v_lshrrev_b32_e32 v26, 16, v2
	s_and_b32 s22, s15, exec_lo
.LBB104_142:                            ;   in Loop: Header=BB104_12 Depth=1
	s_or_b32 exec_lo, exec_lo, s12
	s_mov_b32 s15, -1
	s_mov_b32 s13, 0
	s_mov_b32 s12, 0
.LBB104_143:                            ;   in Loop: Header=BB104_12 Depth=1
	s_mov_b32 s23, 0
                                        ; implicit-def: $sgpr7
	s_and_saveexec_b32 s18, s22
	s_cbranch_execz .LBB104_239
; %bb.144:                              ;   in Loop: Header=BB104_12 Depth=1
	s_xor_b32 s7, s21, -1
	s_mov_b32 s21, 0
	s_and_not1_b32 vcc_lo, exec_lo, s7
	s_mov_b32 s24, 1
	s_cbranch_vccnz .LBB104_155
; %bb.145:                              ;   in Loop: Header=BB104_12 Depth=1
	s_cmp_gt_u32 s20, s19
	s_mov_b32 s21, -1
                                        ; implicit-def: $sgpr7
                                        ; implicit-def: $sgpr22
                                        ; implicit-def: $sgpr23
	s_cbranch_scc1 .LBB104_151
; %bb.146:                              ;   in Loop: Header=BB104_12 Depth=1
	ds_load_b32 v1, v7 offset:4104
	s_waitcnt lgkmcnt(0)
	v_cmp_ne_u32_e32 vcc_lo, 0, v1
	s_cbranch_vccnz .LBB104_150
; %bb.147:                              ;   in Loop: Header=BB104_12 Depth=1
	s_and_saveexec_b32 s7, s2
	s_cbranch_execz .LBB104_149
; %bb.148:                              ;   in Loop: Header=BB104_12 Depth=1
	v_mov_b32_e32 v1, s19
	ds_store_b32 v7, v1 offset:4108
.LBB104_149:                            ;   in Loop: Header=BB104_12 Depth=1
	s_or_b32 exec_lo, exec_lo, s7
	s_waitcnt lgkmcnt(0)
	s_barrier
	buffer_gl0_inv
.LBB104_150:                            ;   in Loop: Header=BB104_12 Depth=1
	s_lshl_b32 s7, 1, s16
	s_and_b32 s21, s68, s17
	s_or_b32 s23, s69, s10
	s_or_b32 s22, s21, s7
	s_mov_b32 s21, 0
	s_mov_b32 s7, 8
.LBB104_151:                            ;   in Loop: Header=BB104_12 Depth=1
	s_and_not1_b32 vcc_lo, exec_lo, s21
	s_cbranch_vccnz .LBB104_153
; %bb.152:                              ;   in Loop: Header=BB104_12 Depth=1
	s_sub_i32 s20, s20, s19
	s_mov_b32 s21, -1
	s_mov_b32 s7, 0
	s_mov_b32 s22, s68
	;; [unrolled: 1-line block ×3, first 2 shown]
.LBB104_153:                            ;   in Loop: Header=BB104_12 Depth=1
	s_delay_alu instid0(SALU_CYCLE_1)
	s_mov_b32 s69, s23
	s_mov_b32 s68, s22
	;; [unrolled: 1-line block ×3, first 2 shown]
	s_and_not1_b32 vcc_lo, exec_lo, s21
	s_mov_b32 s26, -1
	s_cbranch_vccz .LBB104_156
.LBB104_154:                            ;   in Loop: Header=BB104_12 Depth=1
                                        ; implicit-def: $sgpr20
                                        ; implicit-def: $sgpr21
                                        ; implicit-def: $sgpr19
	s_branch .LBB104_238
.LBB104_155:                            ;   in Loop: Header=BB104_12 Depth=1
	s_mov_b32 s7, 1
	s_and_not1_b32 vcc_lo, exec_lo, s21
	s_mov_b32 s26, -1
	s_cbranch_vccnz .LBB104_154
.LBB104_156:                            ;   in Loop: Header=BB104_12 Depth=1
	s_cmp_eq_u32 s14, 1
	s_mov_b32 s25, -1
	s_cselect_b32 s7, -1, 0
	s_cmp_eq_u32 s24, 1
	s_cselect_b32 s19, -1, 0
	s_delay_alu instid0(SALU_CYCLE_1) | instskip(NEXT) | instid1(SALU_CYCLE_1)
	s_and_b32 s23, s7, s19
	s_and_b32 vcc_lo, exec_lo, s23
	s_cbranch_vccz .LBB104_168
; %bb.157:                              ;   in Loop: Header=BB104_12 Depth=1
	ds_load_b32 v1, v7 offset:4104
	s_waitcnt lgkmcnt(0)
	s_barrier
	buffer_gl0_inv
	v_readfirstlane_b32 s19, v1
	s_and_saveexec_b32 s7, s1
	s_cbranch_execz .LBB104_159
; %bb.158:                              ;   in Loop: Header=BB104_12 Depth=1
	ds_store_b16 v17, v7
.LBB104_159:                            ;   in Loop: Header=BB104_12 Depth=1
	s_or_b32 exec_lo, exec_lo, s7
	s_lshl_b32 s7, 2, s16
	s_and_b32 s20, s68, s17
	s_or_b32 s69, s69, s10
	s_or_b32 s68, s20, s7
	s_cmp_eq_u32 s19, 0
	s_waitcnt lgkmcnt(0)
	s_barrier
	buffer_gl0_inv
	s_cbranch_scc1 .LBB104_169
; %bb.160:                              ;   in Loop: Header=BB104_12 Depth=1
	s_add_i32 s7, s19, s46
	s_mov_b32 s25, 0
	s_mul_hi_u32 s20, s7, s55
                                        ; implicit-def: $vgpr26
	s_delay_alu instid0(SALU_CYCLE_1) | instskip(NEXT) | instid1(SALU_CYCLE_1)
	s_mul_i32 s20, s20, s41
	s_sub_i32 s20, s7, s20
	s_delay_alu instid0(SALU_CYCLE_1) | instskip(SKIP_2) | instid1(SALU_CYCLE_1)
	s_sub_i32 s21, s20, s41
	s_cmp_ge_u32 s20, s41
	s_cselect_b32 s20, s21, s20
	s_sub_i32 s21, s20, s41
	s_cmp_ge_u32 s20, s41
	s_cselect_b32 s20, s21, s20
	s_delay_alu instid0(SALU_CYCLE_1)
	s_sub_i32 s21, s7, s20
	s_mov_b32 s20, exec_lo
	v_cmpx_gt_u32_e64 s21, v0
	s_cbranch_execz .LBB104_171
; %bb.161:                              ;   in Loop: Header=BB104_12 Depth=1
	v_mov_b32_e32 v1, v16
	v_mov_b32_e32 v2, v0
	s_mov_b32 s22, 0
                                        ; implicit-def: $sgpr25
	s_set_inst_prefetch_distance 0x1
	s_branch .LBB104_163
	.p2align	6
.LBB104_162:                            ;   in Loop: Header=BB104_163 Depth=2
	s_or_b32 exec_lo, exec_lo, s7
	s_waitcnt lgkmcnt(0)
	s_barrier
	buffer_gl0_inv
	ds_load_b32 v3, v7 offset:3072
	v_add_nc_u32_e32 v2, s41, v2
	v_add_nc_u32_e32 v1, s59, v1
	s_waitcnt lgkmcnt(0)
	s_barrier
	buffer_gl0_inv
	v_cmp_le_u32_e32 vcc_lo, s21, v2
	v_cmp_ne_u16_e64 s7, 0, v3
	s_delay_alu instid0(VALU_DEP_1) | instskip(NEXT) | instid1(SALU_CYCLE_1)
	s_or_b32 s26, vcc_lo, s7
	s_and_b32 s26, exec_lo, s26
	s_delay_alu instid0(SALU_CYCLE_1) | instskip(SKIP_2) | instid1(SALU_CYCLE_1)
	s_or_b32 s22, s26, s22
	s_and_not1_b32 s25, s25, exec_lo
	s_and_b32 s7, s7, exec_lo
	s_or_b32 s25, s25, s7
	s_and_not1_b32 exec_lo, exec_lo, s22
	s_cbranch_execz .LBB104_170
.LBB104_163:                            ;   Parent Loop BB104_12 Depth=1
                                        ; =>  This Inner Loop Header: Depth=2
	s_delay_alu instid0(VALU_DEP_1)
	v_cmp_gt_u32_e32 vcc_lo, s19, v2
	v_mov_b32_e32 v3, 0
	s_and_saveexec_b32 s7, vcc_lo
	s_cbranch_execz .LBB104_165
; %bb.164:                              ;   in Loop: Header=BB104_163 Depth=2
	ds_load_u16 v3, v1
.LBB104_165:                            ;   in Loop: Header=BB104_163 Depth=2
	s_or_b32 exec_lo, exec_lo, s7
	s_and_saveexec_b32 s7, vcc_lo
	s_cbranch_execz .LBB104_162
; %bb.166:                              ;   in Loop: Header=BB104_163 Depth=2
	s_waitcnt lgkmcnt(0)
	v_bfe_i32 v4, v3, 0, 16
	s_delay_alu instid0(VALU_DEP_1) | instskip(NEXT) | instid1(VALU_DEP_1)
	v_add_nc_u32_e32 v4, 0x8000, v4
	v_and_b32_e32 v4, s69, v4
	s_delay_alu instid0(VALU_DEP_1)
	v_cmp_eq_u32_e32 vcc_lo, s68, v4
	s_and_b32 exec_lo, exec_lo, vcc_lo
	s_cbranch_execz .LBB104_162
; %bb.167:                              ;   in Loop: Header=BB104_163 Depth=2
	v_perm_b32 v3, v3, 1, 0x5040100
	ds_store_b32 v7, v3 offset:3072
	s_branch .LBB104_162
.LBB104_168:                            ;   in Loop: Header=BB104_12 Depth=1
                                        ; implicit-def: $sgpr19
                                        ; implicit-def: $sgpr21
                                        ; implicit-def: $sgpr20
	s_branch .LBB104_182
.LBB104_169:                            ;   in Loop: Header=BB104_12 Depth=1
	s_mov_b32 s19, -1
	s_mov_b32 s25, 0
                                        ; implicit-def: $sgpr20
                                        ; implicit-def: $vgpr26
	s_mov_b32 s21, s19
	s_cbranch_execnz .LBB104_172
	s_branch .LBB104_182
.LBB104_170:                            ;   in Loop: Header=BB104_12 Depth=1
	s_set_inst_prefetch_distance 0x2
	s_or_b32 exec_lo, exec_lo, s22
	v_lshrrev_b32_e32 v26, 16, v3
	s_and_b32 s25, s25, exec_lo
.LBB104_171:                            ;   in Loop: Header=BB104_12 Depth=1
	s_or_b32 exec_lo, exec_lo, s20
	s_mov_b32 s20, -1
	s_mov_b32 s19, 0
	s_delay_alu instid0(SALU_CYCLE_1)
	s_mov_b32 s21, s19
	s_branch .LBB104_182
.LBB104_172:                            ;   in Loop: Header=BB104_12 Depth=1
	s_mov_b32 s25, 0
                                        ; implicit-def: $vgpr26
	s_and_saveexec_b32 s19, s6
	s_cbranch_execz .LBB104_181
; %bb.173:                              ;   in Loop: Header=BB104_12 Depth=1
	v_dual_mov_b32 v6, v5 :: v_dual_mov_b32 v1, v0
	s_mov_b32 s20, 0
                                        ; implicit-def: $sgpr21
	s_set_inst_prefetch_distance 0x1
	s_branch .LBB104_175
	.p2align	6
.LBB104_174:                            ;   in Loop: Header=BB104_175 Depth=2
	s_or_b32 exec_lo, exec_lo, s7
	s_waitcnt vmcnt(0) lgkmcnt(0)
	s_barrier
	buffer_gl0_inv
	ds_load_b32 v2, v7 offset:3072
	v_add_nc_u32_e32 v1, s41, v1
	v_add_nc_u32_e32 v6, s45, v6
	s_waitcnt lgkmcnt(0)
	s_barrier
	buffer_gl0_inv
	v_cmp_le_u32_e32 vcc_lo, s56, v1
	v_cmp_ne_u16_e64 s7, 0, v2
	s_delay_alu instid0(VALU_DEP_1) | instskip(NEXT) | instid1(SALU_CYCLE_1)
	s_or_b32 s22, vcc_lo, s7
	s_and_b32 s22, exec_lo, s22
	s_delay_alu instid0(SALU_CYCLE_1) | instskip(SKIP_2) | instid1(SALU_CYCLE_1)
	s_or_b32 s20, s22, s20
	s_and_not1_b32 s21, s21, exec_lo
	s_and_b32 s7, s7, exec_lo
	s_or_b32 s21, s21, s7
	s_and_not1_b32 exec_lo, exec_lo, s20
	s_cbranch_execz .LBB104_180
.LBB104_175:                            ;   Parent Loop BB104_12 Depth=1
                                        ; =>  This Inner Loop Header: Depth=2
	s_delay_alu instid0(VALU_DEP_1)
	v_cmp_gt_u32_e32 vcc_lo, s28, v1
	v_mov_b32_e32 v2, 0
	s_and_saveexec_b32 s22, vcc_lo
	s_cbranch_execz .LBB104_177
; %bb.176:                              ;   in Loop: Header=BB104_175 Depth=2
	v_lshlrev_b64 v[2:3], 1, v[6:7]
	s_delay_alu instid0(VALU_DEP_1) | instskip(NEXT) | instid1(VALU_DEP_1)
	v_add_co_u32 v2, s7, s31, v2
	v_add_co_ci_u32_e64 v3, s7, s40, v3, s7
	global_load_u16 v2, v[2:3], off
.LBB104_177:                            ;   in Loop: Header=BB104_175 Depth=2
	s_or_b32 exec_lo, exec_lo, s22
	s_and_saveexec_b32 s7, vcc_lo
	s_cbranch_execz .LBB104_174
; %bb.178:                              ;   in Loop: Header=BB104_175 Depth=2
	s_waitcnt vmcnt(0)
	v_bfe_i32 v3, v2, 0, 16
	s_delay_alu instid0(VALU_DEP_1) | instskip(NEXT) | instid1(VALU_DEP_1)
	v_add_nc_u32_e32 v3, 0x8000, v3
	v_and_b32_e32 v3, s69, v3
	s_delay_alu instid0(VALU_DEP_1)
	v_cmp_eq_u32_e32 vcc_lo, s68, v3
	s_and_b32 exec_lo, exec_lo, vcc_lo
	s_cbranch_execz .LBB104_174
; %bb.179:                              ;   in Loop: Header=BB104_175 Depth=2
	v_perm_b32 v2, v2, 1, 0x5040100
	ds_store_b32 v7, v2 offset:3072
	s_branch .LBB104_174
.LBB104_180:                            ;   in Loop: Header=BB104_12 Depth=1
	s_set_inst_prefetch_distance 0x2
	s_or_b32 exec_lo, exec_lo, s20
	v_lshrrev_b32_e32 v26, 16, v2
	s_and_b32 s25, s21, exec_lo
.LBB104_181:                            ;   in Loop: Header=BB104_12 Depth=1
	s_or_b32 exec_lo, exec_lo, s19
	s_mov_b32 s21, -1
	s_mov_b32 s19, 0
	s_mov_b32 s20, 0
.LBB104_182:                            ;   in Loop: Header=BB104_12 Depth=1
	s_mov_b32 s26, 0
                                        ; implicit-def: $sgpr7
	s_and_saveexec_b32 s22, s25
	s_cbranch_execz .LBB104_237
; %bb.183:                              ;   in Loop: Header=BB104_12 Depth=1
	s_xor_b32 s7, s23, -1
	s_mov_b32 s25, 0
	s_and_not1_b32 vcc_lo, exec_lo, s7
	s_mov_b32 s23, 1
	s_cbranch_vccnz .LBB104_194
; %bb.184:                              ;   in Loop: Header=BB104_12 Depth=1
	s_cmp_gt_u32 s24, s14
	s_mov_b32 s25, -1
                                        ; implicit-def: $sgpr7
                                        ; implicit-def: $sgpr23
                                        ; implicit-def: $sgpr26
	s_cbranch_scc1 .LBB104_190
; %bb.185:                              ;   in Loop: Header=BB104_12 Depth=1
	ds_load_b32 v1, v7 offset:4104
	s_waitcnt lgkmcnt(0)
	v_cmp_ne_u32_e32 vcc_lo, 0, v1
	s_cbranch_vccnz .LBB104_189
; %bb.186:                              ;   in Loop: Header=BB104_12 Depth=1
	s_and_saveexec_b32 s7, s2
	s_cbranch_execz .LBB104_188
; %bb.187:                              ;   in Loop: Header=BB104_12 Depth=1
	v_mov_b32_e32 v1, s14
	ds_store_b32 v7, v1 offset:4108
.LBB104_188:                            ;   in Loop: Header=BB104_12 Depth=1
	s_or_b32 exec_lo, exec_lo, s7
	s_waitcnt lgkmcnt(0)
	s_barrier
	buffer_gl0_inv
.LBB104_189:                            ;   in Loop: Header=BB104_12 Depth=1
	s_lshl_b32 s7, 2, s16
	s_and_b32 s16, s68, s17
	s_or_b32 s26, s69, s10
	s_or_b32 s23, s16, s7
	s_mov_b32 s25, 0
	s_mov_b32 s7, 8
.LBB104_190:                            ;   in Loop: Header=BB104_12 Depth=1
	s_and_not1_b32 vcc_lo, exec_lo, s25
	s_cbranch_vccnz .LBB104_192
; %bb.191:                              ;   in Loop: Header=BB104_12 Depth=1
	s_sub_i32 s24, s24, s14
	s_mov_b32 s25, -1
	s_mov_b32 s7, 0
	s_mov_b32 s23, s68
	;; [unrolled: 1-line block ×3, first 2 shown]
.LBB104_192:                            ;   in Loop: Header=BB104_12 Depth=1
	s_delay_alu instid0(SALU_CYCLE_1)
	s_mov_b32 s69, s26
	s_mov_b32 s68, s23
	;; [unrolled: 1-line block ×3, first 2 shown]
	s_and_not1_b32 vcc_lo, exec_lo, s25
	s_mov_b32 s70, -1
	s_cbranch_vccz .LBB104_195
.LBB104_193:                            ;   in Loop: Header=BB104_12 Depth=1
                                        ; implicit-def: $sgpr16
                                        ; implicit-def: $sgpr24
                                        ; implicit-def: $sgpr17
	s_branch .LBB104_236
.LBB104_194:                            ;   in Loop: Header=BB104_12 Depth=1
	s_mov_b32 s7, 1
	s_and_not1_b32 vcc_lo, exec_lo, s25
	s_mov_b32 s70, -1
	s_cbranch_vccnz .LBB104_193
.LBB104_195:                            ;   in Loop: Header=BB104_12 Depth=1
	s_cmp_eq_u32 s8, 1
	s_mov_b32 s25, -1
	s_cselect_b32 s7, -1, 0
	s_cmp_eq_u32 s23, 1
	s_cselect_b32 s14, -1, 0
	s_delay_alu instid0(SALU_CYCLE_1) | instskip(NEXT) | instid1(SALU_CYCLE_1)
	s_and_b32 s14, s7, s14
	s_and_b32 vcc_lo, exec_lo, s14
	s_cbranch_vccz .LBB104_207
; %bb.196:                              ;   in Loop: Header=BB104_12 Depth=1
	ds_load_b32 v1, v7 offset:4104
	s_waitcnt lgkmcnt(0)
	s_barrier
	buffer_gl0_inv
	v_readfirstlane_b32 s16, v1
	s_and_saveexec_b32 s7, s1
	s_cbranch_execz .LBB104_198
; %bb.197:                              ;   in Loop: Header=BB104_12 Depth=1
	ds_store_b16 v17, v7
.LBB104_198:                            ;   in Loop: Header=BB104_12 Depth=1
	s_or_b32 exec_lo, exec_lo, s7
	s_or_b32 s68, s68, s10
	s_or_b32 s69, s69, s10
	s_cmp_eq_u32 s16, 0
	s_waitcnt lgkmcnt(0)
	s_barrier
	buffer_gl0_inv
	s_cbranch_scc1 .LBB104_208
; %bb.199:                              ;   in Loop: Header=BB104_12 Depth=1
	s_add_i32 s7, s16, s46
	s_mov_b32 s25, 0
	s_mul_hi_u32 s17, s7, s55
                                        ; implicit-def: $vgpr26
	s_delay_alu instid0(SALU_CYCLE_1) | instskip(NEXT) | instid1(SALU_CYCLE_1)
	s_mul_i32 s17, s17, s41
	s_sub_i32 s17, s7, s17
	s_delay_alu instid0(SALU_CYCLE_1) | instskip(SKIP_2) | instid1(SALU_CYCLE_1)
	s_sub_i32 s24, s17, s41
	s_cmp_ge_u32 s17, s41
	s_cselect_b32 s17, s24, s17
	s_sub_i32 s24, s17, s41
	s_cmp_ge_u32 s17, s41
	s_cselect_b32 s17, s24, s17
	s_delay_alu instid0(SALU_CYCLE_1)
	s_sub_i32 s24, s7, s17
	s_mov_b32 s17, exec_lo
	v_cmpx_gt_u32_e64 s24, v0
	s_cbranch_execz .LBB104_210
; %bb.200:                              ;   in Loop: Header=BB104_12 Depth=1
	v_mov_b32_e32 v1, v16
	v_mov_b32_e32 v2, v0
                                        ; implicit-def: $sgpr26
	s_set_inst_prefetch_distance 0x1
	s_branch .LBB104_202
	.p2align	6
.LBB104_201:                            ;   in Loop: Header=BB104_202 Depth=2
	s_or_b32 exec_lo, exec_lo, s7
	s_waitcnt lgkmcnt(0)
	s_barrier
	buffer_gl0_inv
	ds_load_b32 v3, v7 offset:3072
	v_add_nc_u32_e32 v2, s41, v2
	v_add_nc_u32_e32 v1, s59, v1
	s_waitcnt lgkmcnt(0)
	s_barrier
	buffer_gl0_inv
	v_cmp_le_u32_e32 vcc_lo, s24, v2
	v_cmp_ne_u16_e64 s7, 0, v3
	s_delay_alu instid0(VALU_DEP_1) | instskip(NEXT) | instid1(SALU_CYCLE_1)
	s_or_b32 s70, vcc_lo, s7
	s_and_b32 s70, exec_lo, s70
	s_delay_alu instid0(SALU_CYCLE_1) | instskip(SKIP_2) | instid1(SALU_CYCLE_1)
	s_or_b32 s25, s70, s25
	s_and_not1_b32 s26, s26, exec_lo
	s_and_b32 s7, s7, exec_lo
	s_or_b32 s26, s26, s7
	s_and_not1_b32 exec_lo, exec_lo, s25
	s_cbranch_execz .LBB104_209
.LBB104_202:                            ;   Parent Loop BB104_12 Depth=1
                                        ; =>  This Inner Loop Header: Depth=2
	s_delay_alu instid0(VALU_DEP_1)
	v_cmp_gt_u32_e32 vcc_lo, s16, v2
	v_mov_b32_e32 v3, 0
	s_and_saveexec_b32 s7, vcc_lo
	s_cbranch_execz .LBB104_204
; %bb.203:                              ;   in Loop: Header=BB104_202 Depth=2
	ds_load_u16 v3, v1
.LBB104_204:                            ;   in Loop: Header=BB104_202 Depth=2
	s_or_b32 exec_lo, exec_lo, s7
	s_and_saveexec_b32 s7, vcc_lo
	s_cbranch_execz .LBB104_201
; %bb.205:                              ;   in Loop: Header=BB104_202 Depth=2
	s_waitcnt lgkmcnt(0)
	v_bfe_i32 v4, v3, 0, 16
	s_delay_alu instid0(VALU_DEP_1) | instskip(NEXT) | instid1(VALU_DEP_1)
	v_add_nc_u32_e32 v4, 0x8000, v4
	v_and_b32_e32 v4, s69, v4
	s_delay_alu instid0(VALU_DEP_1)
	v_cmp_eq_u32_e32 vcc_lo, s68, v4
	s_and_b32 exec_lo, exec_lo, vcc_lo
	s_cbranch_execz .LBB104_201
; %bb.206:                              ;   in Loop: Header=BB104_202 Depth=2
	v_perm_b32 v3, v3, 1, 0x5040100
	ds_store_b32 v7, v3 offset:3072
	s_branch .LBB104_201
.LBB104_207:                            ;   in Loop: Header=BB104_12 Depth=1
                                        ; implicit-def: $sgpr16
                                        ; implicit-def: $sgpr24
                                        ; implicit-def: $sgpr17
	s_branch .LBB104_221
.LBB104_208:                            ;   in Loop: Header=BB104_12 Depth=1
	s_mov_b32 s16, -1
	s_mov_b32 s25, 0
                                        ; implicit-def: $sgpr17
                                        ; implicit-def: $vgpr26
	s_mov_b32 s24, s16
	s_cbranch_execnz .LBB104_211
	s_branch .LBB104_221
.LBB104_209:                            ;   in Loop: Header=BB104_12 Depth=1
	s_set_inst_prefetch_distance 0x2
	s_or_b32 exec_lo, exec_lo, s25
	v_lshrrev_b32_e32 v26, 16, v3
	s_and_b32 s25, s26, exec_lo
.LBB104_210:                            ;   in Loop: Header=BB104_12 Depth=1
	s_or_b32 exec_lo, exec_lo, s17
	s_mov_b32 s17, -1
	s_mov_b32 s16, 0
	s_delay_alu instid0(SALU_CYCLE_1)
	s_mov_b32 s24, s16
	s_branch .LBB104_221
.LBB104_211:                            ;   in Loop: Header=BB104_12 Depth=1
	s_mov_b32 s25, 0
                                        ; implicit-def: $vgpr26
	s_and_saveexec_b32 s16, s6
	s_cbranch_execz .LBB104_220
; %bb.212:                              ;   in Loop: Header=BB104_12 Depth=1
	v_dual_mov_b32 v6, v5 :: v_dual_mov_b32 v1, v0
	s_mov_b32 s17, 0
                                        ; implicit-def: $sgpr24
	s_set_inst_prefetch_distance 0x1
	s_branch .LBB104_214
	.p2align	6
.LBB104_213:                            ;   in Loop: Header=BB104_214 Depth=2
	s_or_b32 exec_lo, exec_lo, s7
	s_waitcnt vmcnt(0) lgkmcnt(0)
	s_barrier
	buffer_gl0_inv
	ds_load_b32 v2, v7 offset:3072
	v_add_nc_u32_e32 v1, s41, v1
	v_add_nc_u32_e32 v6, s45, v6
	s_waitcnt lgkmcnt(0)
	s_barrier
	buffer_gl0_inv
	v_cmp_le_u32_e32 vcc_lo, s56, v1
	v_cmp_ne_u16_e64 s7, 0, v2
	s_delay_alu instid0(VALU_DEP_1) | instskip(NEXT) | instid1(SALU_CYCLE_1)
	s_or_b32 s25, vcc_lo, s7
	s_and_b32 s25, exec_lo, s25
	s_delay_alu instid0(SALU_CYCLE_1) | instskip(SKIP_2) | instid1(SALU_CYCLE_1)
	s_or_b32 s17, s25, s17
	s_and_not1_b32 s24, s24, exec_lo
	s_and_b32 s7, s7, exec_lo
	s_or_b32 s24, s24, s7
	s_and_not1_b32 exec_lo, exec_lo, s17
	s_cbranch_execz .LBB104_219
.LBB104_214:                            ;   Parent Loop BB104_12 Depth=1
                                        ; =>  This Inner Loop Header: Depth=2
	s_delay_alu instid0(VALU_DEP_1)
	v_cmp_gt_u32_e32 vcc_lo, s28, v1
	v_mov_b32_e32 v2, 0
	s_and_saveexec_b32 s25, vcc_lo
	s_cbranch_execz .LBB104_216
; %bb.215:                              ;   in Loop: Header=BB104_214 Depth=2
	v_lshlrev_b64 v[2:3], 1, v[6:7]
	s_delay_alu instid0(VALU_DEP_1) | instskip(NEXT) | instid1(VALU_DEP_1)
	v_add_co_u32 v2, s7, s31, v2
	v_add_co_ci_u32_e64 v3, s7, s40, v3, s7
	global_load_u16 v2, v[2:3], off
.LBB104_216:                            ;   in Loop: Header=BB104_214 Depth=2
	s_or_b32 exec_lo, exec_lo, s25
	s_and_saveexec_b32 s7, vcc_lo
	s_cbranch_execz .LBB104_213
; %bb.217:                              ;   in Loop: Header=BB104_214 Depth=2
	s_waitcnt vmcnt(0)
	v_bfe_i32 v3, v2, 0, 16
	s_delay_alu instid0(VALU_DEP_1) | instskip(NEXT) | instid1(VALU_DEP_1)
	v_add_nc_u32_e32 v3, 0x8000, v3
	v_and_b32_e32 v3, s69, v3
	s_delay_alu instid0(VALU_DEP_1)
	v_cmp_eq_u32_e32 vcc_lo, s68, v3
	s_and_b32 exec_lo, exec_lo, vcc_lo
	s_cbranch_execz .LBB104_213
; %bb.218:                              ;   in Loop: Header=BB104_214 Depth=2
	v_perm_b32 v2, v2, 1, 0x5040100
	ds_store_b32 v7, v2 offset:3072
	s_branch .LBB104_213
.LBB104_219:                            ;   in Loop: Header=BB104_12 Depth=1
	s_set_inst_prefetch_distance 0x2
	s_or_b32 exec_lo, exec_lo, s17
	v_lshrrev_b32_e32 v26, 16, v2
	s_and_b32 s25, s24, exec_lo
.LBB104_220:                            ;   in Loop: Header=BB104_12 Depth=1
	s_or_b32 exec_lo, exec_lo, s16
	s_mov_b32 s24, -1
	s_mov_b32 s16, 0
	s_mov_b32 s17, 0
.LBB104_221:                            ;   in Loop: Header=BB104_12 Depth=1
	s_mov_b32 s70, 0
                                        ; implicit-def: $sgpr7
	s_and_saveexec_b32 s26, s25
	s_cbranch_execz .LBB104_235
; %bb.222:                              ;   in Loop: Header=BB104_12 Depth=1
	s_xor_b32 s7, s14, -1
	s_delay_alu instid0(SALU_CYCLE_1)
	s_and_not1_b32 vcc_lo, exec_lo, s7
	s_mov_b32 s7, 1
	s_cbranch_vccnz .LBB104_229
; %bb.223:                              ;   in Loop: Header=BB104_12 Depth=1
	s_cmp_gt_u32 s23, s8
	s_cbranch_scc1 .LBB104_230
; %bb.224:                              ;   in Loop: Header=BB104_12 Depth=1
	ds_load_b32 v1, v7 offset:4104
	s_waitcnt lgkmcnt(0)
	v_cmp_ne_u32_e32 vcc_lo, 0, v1
	s_cbranch_vccnz .LBB104_228
; %bb.225:                              ;   in Loop: Header=BB104_12 Depth=1
	s_and_saveexec_b32 s7, s2
	s_cbranch_execz .LBB104_227
; %bb.226:                              ;   in Loop: Header=BB104_12 Depth=1
	v_mov_b32_e32 v1, s8
	ds_store_b32 v7, v1 offset:4108
.LBB104_227:                            ;   in Loop: Header=BB104_12 Depth=1
	s_or_b32 exec_lo, exec_lo, s7
	s_waitcnt lgkmcnt(0)
	s_barrier
	buffer_gl0_inv
.LBB104_228:                            ;   in Loop: Header=BB104_12 Depth=1
	s_or_b32 s14, s68, s10
	s_or_b32 s10, s69, s10
	s_mov_b32 s25, 0
	s_mov_b32 s7, 8
	s_branch .LBB104_231
.LBB104_229:                            ;   in Loop: Header=BB104_12 Depth=1
	s_mov_b32 s23, 1
	s_branch .LBB104_234
.LBB104_230:                            ;   in Loop: Header=BB104_12 Depth=1
	s_mov_b32 s25, -1
                                        ; implicit-def: $sgpr7
                                        ; implicit-def: $sgpr14
                                        ; implicit-def: $sgpr10
.LBB104_231:                            ;   in Loop: Header=BB104_12 Depth=1
	s_delay_alu instid0(SALU_CYCLE_1)
	s_and_not1_b32 vcc_lo, exec_lo, s25
	s_cbranch_vccnz .LBB104_233
; %bb.232:                              ;   in Loop: Header=BB104_12 Depth=1
	s_sub_i32 s23, s23, s8
	s_mov_b32 s7, 8
	s_mov_b32 s14, s68
	;; [unrolled: 1-line block ×3, first 2 shown]
.LBB104_233:                            ;   in Loop: Header=BB104_12 Depth=1
	s_mov_b32 s68, s14
	s_mov_b32 s69, s10
.LBB104_234:                            ;   in Loop: Header=BB104_12 Depth=1
	s_mov_b32 s70, exec_lo
.LBB104_235:                            ;   in Loop: Header=BB104_12 Depth=1
	s_or_b32 exec_lo, exec_lo, s26
.LBB104_236:                            ;   in Loop: Header=BB104_12 Depth=1
	s_delay_alu instid0(SALU_CYCLE_1)
	s_and_not1_b32 s8, s19, exec_lo
	s_and_b32 s10, s16, exec_lo
	s_and_not1_b32 s14, s20, exec_lo
	s_or_b32 s19, s8, s10
	s_and_not1_b32 s8, s21, exec_lo
	s_and_b32 s10, s24, exec_lo
	s_and_b32 s16, s17, exec_lo
	s_or_b32 s21, s8, s10
	s_or_b32 s20, s14, s16
	s_and_b32 s26, s70, exec_lo
	s_mov_b32 s24, s23
.LBB104_237:                            ;   in Loop: Header=BB104_12 Depth=1
	s_or_b32 exec_lo, exec_lo, s22
.LBB104_238:                            ;   in Loop: Header=BB104_12 Depth=1
	s_delay_alu instid0(SALU_CYCLE_1)
	s_and_not1_b32 s8, s13, exec_lo
	s_and_b32 s10, s19, exec_lo
	s_and_not1_b32 s12, s12, exec_lo
	s_or_b32 s13, s8, s10
	s_and_not1_b32 s8, s15, exec_lo
	s_and_b32 s10, s21, exec_lo
	s_and_b32 s14, s20, exec_lo
	s_or_b32 s15, s8, s10
	s_or_b32 s12, s12, s14
	s_and_b32 s23, s26, exec_lo
	s_mov_b32 s20, s24
.LBB104_239:                            ;   in Loop: Header=BB104_12 Depth=1
	s_or_b32 exec_lo, exec_lo, s18
                                        ; implicit-def: $sgpr70
	s_and_saveexec_b32 s8, s23
	s_delay_alu instid0(SALU_CYCLE_1)
	s_xor_b32 s8, exec_lo, s8
	s_cbranch_execz .LBB104_10
.LBB104_240:                            ;   in Loop: Header=BB104_12 Depth=1
	s_and_b32 s7, s7, -9
	s_delay_alu instid0(SALU_CYCLE_1)
	s_cmp_eq_u32 s7, 0
	s_cbranch_scc1 .LBB104_8
; %bb.241:                              ;   in Loop: Header=BB104_12 Depth=1
	s_mov_b32 s7, -1
	s_mov_b32 s10, -1
                                        ; implicit-def: $sgpr69
                                        ; implicit-def: $sgpr20
                                        ; implicit-def: $sgpr63
                                        ; implicit-def: $sgpr66
	s_branch .LBB104_9
.LBB104_242:
	s_or_b32 exec_lo, exec_lo, s27
	s_xor_b32 s4, s62, -1
	s_xor_b32 s1, s60, -1
	;; [unrolled: 1-line block ×3, first 2 shown]
	s_mov_b32 s2, 0
	s_and_saveexec_b32 s5, s1
	s_delay_alu instid0(SALU_CYCLE_1)
	s_xor_b32 s1, exec_lo, s5
	s_cbranch_execz .LBB104_256
; %bb.243:
	s_and_saveexec_b32 s2, s4
	s_delay_alu instid0(SALU_CYCLE_1)
	s_xor_b32 s4, exec_lo, s2
	s_cbranch_execz .LBB104_254
; %bb.244:
	s_and_saveexec_b32 s2, s3
	s_delay_alu instid0(SALU_CYCLE_1)
	s_xor_b32 s2, exec_lo, s2
; %bb.245:
	v_xor_b32_e32 v26, 0xffff8000, v1
; %bb.246:
	s_or_b32 exec_lo, exec_lo, s2
	s_mul_i32 s2, s42, s33
	s_mov_b32 s3, 0
	v_mov_b32_e32 v6, 0
	s_lshl_b64 s[6:7], s[2:3], 1
	s_delay_alu instid0(SALU_CYCLE_1)
	s_add_u32 s6, s36, s6
	s_addc_u32 s7, s37, s7
	global_store_b16 v6, v26, s[6:7]
	s_and_saveexec_b32 s2, s0
	s_cbranch_execz .LBB104_253
; %bb.247:
                                        ; implicit-def: $sgpr0
                                        ; implicit-def: $sgpr6
                                        ; implicit-def: $sgpr5
	s_set_inst_prefetch_distance 0x1
	s_branch .LBB104_249
	.p2align	6
.LBB104_248:                            ;   in Loop: Header=BB104_249 Depth=1
	s_or_b32 exec_lo, exec_lo, s7
	s_delay_alu instid0(SALU_CYCLE_1) | instskip(NEXT) | instid1(SALU_CYCLE_1)
	s_and_b32 s7, exec_lo, s6
	s_or_b32 s3, s7, s3
	s_and_not1_b32 s0, s0, exec_lo
	s_and_b32 s7, s5, exec_lo
	s_delay_alu instid0(SALU_CYCLE_1)
	s_or_b32 s0, s0, s7
	s_and_not1_b32 exec_lo, exec_lo, s3
	s_cbranch_execz .LBB104_251
.LBB104_249:                            ; =>This Inner Loop Header: Depth=1
	v_lshlrev_b64 v[1:2], 1, v[5:6]
	s_or_b32 s5, s5, exec_lo
	s_or_b32 s6, s6, exec_lo
	s_mov_b32 s7, exec_lo
	s_delay_alu instid0(VALU_DEP_1) | instskip(NEXT) | instid1(VALU_DEP_2)
	v_add_co_u32 v1, vcc_lo, s31, v1
	v_add_co_ci_u32_e32 v2, vcc_lo, s40, v2, vcc_lo
	global_load_u16 v2, v[1:2], off
	v_mov_b32_e32 v1, v0
                                        ; implicit-def: $vgpr0
	s_waitcnt vmcnt(0)
	v_cmpx_ne_u16_e64 v2, v26
	s_cbranch_execz .LBB104_248
; %bb.250:                              ;   in Loop: Header=BB104_249 Depth=1
	s_delay_alu instid0(VALU_DEP_2) | instskip(SKIP_3) | instid1(VALU_DEP_2)
	v_add_nc_u32_e32 v0, s41, v1
	s_and_not1_b32 s6, s6, exec_lo
	v_add_nc_u32_e32 v5, s45, v5
	s_and_not1_b32 s5, s5, exec_lo
	v_cmp_le_u32_e32 vcc_lo, s28, v0
	s_and_b32 s8, vcc_lo, exec_lo
	s_delay_alu instid0(SALU_CYCLE_1)
	s_or_b32 s6, s6, s8
	s_branch .LBB104_248
.LBB104_251:
	s_set_inst_prefetch_distance 0x2
	s_or_b32 exec_lo, exec_lo, s3
	s_and_saveexec_b32 s3, s0
	s_delay_alu instid0(SALU_CYCLE_1)
	s_xor_b32 s3, exec_lo, s3
	s_cbranch_execz .LBB104_253
; %bb.252:
	s_mul_i32 s6, s29, s33
	s_mov_b32 s7, 0
	v_mov_b32_e32 v2, 0
	s_lshl_b64 s[6:7], s[6:7], 3
	s_delay_alu instid0(SALU_CYCLE_1)
	s_add_u32 s6, s34, s6
	s_addc_u32 s7, s35, s7
	global_store_b64 v2, v[1:2], s[6:7]
.LBB104_253:
	s_or_b32 exec_lo, exec_lo, s2
.LBB104_254:
	s_or_saveexec_b32 s0, s4
	s_mov_b32 s2, 0
	s_xor_b32 exec_lo, exec_lo, s0
	s_cbranch_execnz .LBB104_262
.LBB104_255:
	s_or_b32 exec_lo, exec_lo, s0
	s_delay_alu instid0(SALU_CYCLE_1)
	s_and_b32 s2, s2, exec_lo
.LBB104_256:
	s_and_not1_saveexec_b32 s0, s1
	s_cbranch_execnz .LBB104_260
; %bb.257:
	s_or_b32 exec_lo, exec_lo, s0
	s_and_saveexec_b32 s0, s2
.LBB104_258:
	; divergent unreachable
.LBB104_259:
	s_nop 0
	s_sendmsg sendmsg(MSG_DEALLOC_VGPRS)
	s_endpgm
.LBB104_260:
	s_cbranch_execnz .LBB104_264
; %bb.261:
	s_or_b32 s2, s2, exec_lo
	s_or_b32 exec_lo, exec_lo, s0
	s_and_saveexec_b32 s0, s2
	s_cbranch_execnz .LBB104_258
	s_branch .LBB104_259
.LBB104_262:
	s_cbranch_execnz .LBB104_266
; %bb.263:
	s_mov_b32 s2, exec_lo
	s_branch .LBB104_255
.LBB104_264:
	s_trap 2
	s_sendmsg_rtn_b32 s0, sendmsg(MSG_RTN_GET_DOORBELL)
	s_mov_b32 ttmp2, m0
	s_waitcnt lgkmcnt(0)
	s_and_b32 s0, s0, 0x3ff
	s_delay_alu instid0(SALU_CYCLE_1) | instskip(NEXT) | instid1(SALU_CYCLE_1)
	s_bitset1_b32 s0, 10
	s_mov_b32 m0, s0
	s_sendmsg sendmsg(MSG_INTERRUPT)
	s_mov_b32 m0, ttmp2
.LBB104_265:                            ; =>This Inner Loop Header: Depth=1
	s_sethalt 5
	s_branch .LBB104_265
.LBB104_266:
	s_trap 2
	s_sendmsg_rtn_b32 s0, sendmsg(MSG_RTN_GET_DOORBELL)
	s_mov_b32 ttmp2, m0
	s_waitcnt lgkmcnt(0)
	s_and_b32 s0, s0, 0x3ff
	s_delay_alu instid0(SALU_CYCLE_1) | instskip(NEXT) | instid1(SALU_CYCLE_1)
	s_bitset1_b32 s0, 10
	s_mov_b32 m0, s0
	s_sendmsg sendmsg(MSG_INTERRUPT)
	s_mov_b32 m0, ttmp2
.LBB104_267:                            ; =>This Inner Loop Header: Depth=1
	s_sethalt 5
	s_branch .LBB104_267
	.section	.rodata,"a",@progbits
	.p2align	6, 0x0
	.amdhsa_kernel _ZN2at6native12_GLOBAL__N_112gatherMedianIsjLi1EEEvNS_4cuda6detail10TensorInfoIT_T0_EENS5_IlS7_EENS5_IKS6_S7_EES7_S7_S7_b
		.amdhsa_group_segment_fixed_size 4120
		.amdhsa_private_segment_fixed_size 0
		.amdhsa_kernarg_size 920
		.amdhsa_user_sgpr_count 13
		.amdhsa_user_sgpr_dispatch_ptr 0
		.amdhsa_user_sgpr_queue_ptr 0
		.amdhsa_user_sgpr_kernarg_segment_ptr 1
		.amdhsa_user_sgpr_dispatch_id 0
		.amdhsa_user_sgpr_private_segment_size 0
		.amdhsa_wavefront_size32 1
		.amdhsa_uses_dynamic_stack 0
		.amdhsa_enable_private_segment 0
		.amdhsa_system_sgpr_workgroup_id_x 1
		.amdhsa_system_sgpr_workgroup_id_y 1
		.amdhsa_system_sgpr_workgroup_id_z 1
		.amdhsa_system_sgpr_workgroup_info 0
		.amdhsa_system_vgpr_workitem_id 0
		.amdhsa_next_free_vgpr 40
		.amdhsa_next_free_sgpr 80
		.amdhsa_reserve_vcc 1
		.amdhsa_float_round_mode_32 0
		.amdhsa_float_round_mode_16_64 0
		.amdhsa_float_denorm_mode_32 3
		.amdhsa_float_denorm_mode_16_64 3
		.amdhsa_dx10_clamp 1
		.amdhsa_ieee_mode 1
		.amdhsa_fp16_overflow 0
		.amdhsa_workgroup_processor_mode 1
		.amdhsa_memory_ordered 1
		.amdhsa_forward_progress 0
		.amdhsa_shared_vgpr_count 0
		.amdhsa_exception_fp_ieee_invalid_op 0
		.amdhsa_exception_fp_denorm_src 0
		.amdhsa_exception_fp_ieee_div_zero 0
		.amdhsa_exception_fp_ieee_overflow 0
		.amdhsa_exception_fp_ieee_underflow 0
		.amdhsa_exception_fp_ieee_inexact 0
		.amdhsa_exception_int_div_zero 0
	.end_amdhsa_kernel
	.section	.text._ZN2at6native12_GLOBAL__N_112gatherMedianIsjLi1EEEvNS_4cuda6detail10TensorInfoIT_T0_EENS5_IlS7_EENS5_IKS6_S7_EES7_S7_S7_b,"axG",@progbits,_ZN2at6native12_GLOBAL__N_112gatherMedianIsjLi1EEEvNS_4cuda6detail10TensorInfoIT_T0_EENS5_IlS7_EENS5_IKS6_S7_EES7_S7_S7_b,comdat
.Lfunc_end104:
	.size	_ZN2at6native12_GLOBAL__N_112gatherMedianIsjLi1EEEvNS_4cuda6detail10TensorInfoIT_T0_EENS5_IlS7_EENS5_IKS6_S7_EES7_S7_S7_b, .Lfunc_end104-_ZN2at6native12_GLOBAL__N_112gatherMedianIsjLi1EEEvNS_4cuda6detail10TensorInfoIT_T0_EENS5_IlS7_EENS5_IKS6_S7_EES7_S7_S7_b
                                        ; -- End function
	.section	.AMDGPU.csdata,"",@progbits
; Kernel info:
; codeLenInByte = 9616
; NumSgprs: 82
; NumVgprs: 40
; ScratchSize: 0
; MemoryBound: 0
; FloatMode: 240
; IeeeMode: 1
; LDSByteSize: 4120 bytes/workgroup (compile time only)
; SGPRBlocks: 10
; VGPRBlocks: 4
; NumSGPRsForWavesPerEU: 82
; NumVGPRsForWavesPerEU: 40
; Occupancy: 16
; WaveLimiterHint : 1
; COMPUTE_PGM_RSRC2:SCRATCH_EN: 0
; COMPUTE_PGM_RSRC2:USER_SGPR: 13
; COMPUTE_PGM_RSRC2:TRAP_HANDLER: 0
; COMPUTE_PGM_RSRC2:TGID_X_EN: 1
; COMPUTE_PGM_RSRC2:TGID_Y_EN: 1
; COMPUTE_PGM_RSRC2:TGID_Z_EN: 1
; COMPUTE_PGM_RSRC2:TIDIG_COMP_CNT: 0
	.section	.text._ZN2at6native12_GLOBAL__N_112gatherMedianIsjLi2EEEvNS_4cuda6detail10TensorInfoIT_T0_EENS5_IlS7_EENS5_IKS6_S7_EES7_S7_S7_b,"axG",@progbits,_ZN2at6native12_GLOBAL__N_112gatherMedianIsjLi2EEEvNS_4cuda6detail10TensorInfoIT_T0_EENS5_IlS7_EENS5_IKS6_S7_EES7_S7_S7_b,comdat
	.globl	_ZN2at6native12_GLOBAL__N_112gatherMedianIsjLi2EEEvNS_4cuda6detail10TensorInfoIT_T0_EENS5_IlS7_EENS5_IKS6_S7_EES7_S7_S7_b ; -- Begin function _ZN2at6native12_GLOBAL__N_112gatherMedianIsjLi2EEEvNS_4cuda6detail10TensorInfoIT_T0_EENS5_IlS7_EENS5_IKS6_S7_EES7_S7_S7_b
	.p2align	8
	.type	_ZN2at6native12_GLOBAL__N_112gatherMedianIsjLi2EEEvNS_4cuda6detail10TensorInfoIT_T0_EENS5_IlS7_EENS5_IKS6_S7_EES7_S7_S7_b,@function
_ZN2at6native12_GLOBAL__N_112gatherMedianIsjLi2EEEvNS_4cuda6detail10TensorInfoIT_T0_EENS5_IlS7_EENS5_IKS6_S7_EES7_S7_S7_b: ; @_ZN2at6native12_GLOBAL__N_112gatherMedianIsjLi2EEEvNS_4cuda6detail10TensorInfoIT_T0_EENS5_IlS7_EENS5_IKS6_S7_EES7_S7_S7_b
; %bb.0:
	s_clause 0x1
	s_load_b64 s[6:7], s[0:1], 0x298
	s_load_b128 s[28:31], s[0:1], 0x288
	s_add_u32 s4, s0, 0x298
	s_addc_u32 s5, s1, 0
	s_waitcnt lgkmcnt(0)
	s_mul_i32 s2, s7, s15
	s_delay_alu instid0(SALU_CYCLE_1) | instskip(NEXT) | instid1(SALU_CYCLE_1)
	s_add_i32 s2, s2, s14
	s_mul_i32 s33, s2, s6
	s_delay_alu instid0(SALU_CYCLE_1) | instskip(NEXT) | instid1(SALU_CYCLE_1)
	s_add_i32 s33, s33, s13
	s_cmp_ge_u32 s33, s29
	s_cbranch_scc1 .LBB105_259
; %bb.1:
	s_clause 0x2
	s_load_b32 s44, s[0:1], 0xc
	s_load_b32 s29, s[0:1], 0xe4
	s_load_b32 s3, s[0:1], 0x1bc
	v_cmp_eq_u32_e64 s2, 0, v0
	s_waitcnt lgkmcnt(0)
	v_cvt_f32_u32_e32 v1, s44
	v_cvt_f32_u32_e32 v2, s29
	;; [unrolled: 1-line block ×3, first 2 shown]
	s_sub_i32 s11, 0, s3
	s_sub_i32 s9, 0, s44
	v_rcp_iflag_f32_e32 v1, v1
	v_rcp_iflag_f32_e32 v2, v2
	;; [unrolled: 1-line block ×3, first 2 shown]
	s_sub_i32 s10, 0, s29
	s_waitcnt_depctr 0xfff
	v_dual_mul_f32 v1, 0x4f7ffffe, v1 :: v_dual_mul_f32 v2, 0x4f7ffffe, v2
	v_mul_f32_e32 v3, 0x4f7ffffe, v3
	s_delay_alu instid0(VALU_DEP_2) | instskip(NEXT) | instid1(VALU_DEP_3)
	v_cvt_u32_f32_e32 v1, v1
	v_cvt_u32_f32_e32 v2, v2
	s_delay_alu instid0(VALU_DEP_3) | instskip(NEXT) | instid1(VALU_DEP_3)
	v_cvt_u32_f32_e32 v3, v3
	v_readfirstlane_b32 s8, v1
	s_delay_alu instid0(VALU_DEP_3) | instskip(NEXT) | instid1(VALU_DEP_3)
	v_readfirstlane_b32 s7, v2
	v_readfirstlane_b32 s12, v3
	s_delay_alu instid0(VALU_DEP_3) | instskip(NEXT) | instid1(VALU_DEP_2)
	s_mul_i32 s9, s9, s8
	s_mul_i32 s10, s10, s7
	s_delay_alu instid0(VALU_DEP_1)
	s_mul_i32 s11, s11, s12
	s_mul_hi_u32 s9, s8, s9
	s_mul_hi_u32 s11, s12, s11
	;; [unrolled: 1-line block ×3, first 2 shown]
	s_add_i32 s12, s12, s11
	s_and_saveexec_b32 s10, s2
	s_cbranch_execz .LBB105_3
; %bb.2:
	v_mov_b32_e32 v1, 0
	s_delay_alu instid0(VALU_DEP_1)
	v_mov_b32_e32 v2, v1
	ds_store_b64 v1, v[1:2] offset:4096
.LBB105_3:
	s_or_b32 exec_lo, exec_lo, s10
	v_mov_b32_e32 v1, 0
	s_waitcnt lgkmcnt(0)
	s_barrier
	buffer_gl0_inv
	s_barrier
	buffer_gl0_inv
	ds_load_b64 v[1:2], v1 offset:4096
	s_add_i32 s15, s8, s9
	s_clause 0x1
	s_load_b64 s[10:11], s[0:1], 0x21c
	s_load_b64 s[8:9], s[0:1], 0x1b0
	s_add_i32 s14, s7, s14
	s_bitcmp1_b32 s31, 0
	s_mov_b32 s76, s28
	s_cselect_b32 s7, -1, 0
	s_waitcnt lgkmcnt(0)
	v_cmp_gt_i64_e32 vcc_lo, 1, v[1:2]
	s_or_b32 s16, s7, vcc_lo
	s_mul_hi_u32 s7, s33, s12
	s_and_not1_b32 vcc_lo, exec_lo, s16
	s_cbranch_vccnz .LBB105_5
; %bb.4:
	v_not_b32_e32 v1, v1
	v_not_b32_e32 v2, v2
	s_delay_alu instid0(VALU_DEP_2) | instskip(NEXT) | instid1(VALU_DEP_2)
	v_add_co_u32 v1, vcc_lo, v1, s28
	v_add_co_ci_u32_e32 v2, vcc_lo, 0, v2, vcc_lo
	s_delay_alu instid0(VALU_DEP_1) | instskip(NEXT) | instid1(VALU_DEP_1)
	v_lshrrev_b32_e32 v3, 31, v2
	v_add_co_u32 v1, vcc_lo, v1, v3
	v_add_co_ci_u32_e32 v2, vcc_lo, 0, v2, vcc_lo
	s_delay_alu instid0(VALU_DEP_1) | instskip(NEXT) | instid1(VALU_DEP_1)
	v_alignbit_b32 v1, v2, v1, 1
	v_readfirstlane_b32 s12, v1
	s_delay_alu instid0(VALU_DEP_1)
	s_add_i32 s76, s12, 1
.LBB105_5:
	s_clause 0x3
	s_load_b64 s[36:37], s[0:1], 0x144
	s_load_b64 s[34:35], s[0:1], 0xd8
	;; [unrolled: 1-line block ×4, first 2 shown]
	s_mul_hi_u32 s48, s33, s15
	s_mul_hi_u32 s31, s33, s14
	s_and_saveexec_b32 s0, s2
	s_cbranch_execz .LBB105_7
; %bb.6:
	v_dual_mov_b32 v1, 0 :: v_dual_mov_b32 v2, s28
	ds_store_b32 v1, v1 offset:4112
	ds_store_b64 v1, v[1:2] offset:4104
.LBB105_7:
	s_or_b32 exec_lo, exec_lo, s0
	s_mul_i32 s0, s7, s3
	s_add_i32 s1, s7, 1
	s_sub_i32 s0, s33, s0
	s_waitcnt lgkmcnt(0)
	s_sub_i32 s12, s0, s3
	s_cmp_ge_u32 s0, s3
	s_barrier
	buffer_gl0_inv
	s_load_b32 s14, s[4:5], 0xc
	s_cselect_b32 s1, s1, s7
	s_cselect_b32 s0, s12, s0
	s_add_i32 s7, s1, 1
	s_cmp_ge_u32 s0, s3
	s_mov_b32 s27, 0
	s_cselect_b32 s0, s7, s1
	v_mbcnt_lo_u32_b32 v14, -1, 0
	s_mul_i32 s1, s0, s3
	s_mul_i32 s0, s0, s10
	s_sub_i32 s1, s33, s1
	v_cmp_gt_u32_e32 vcc_lo, 32, v0
	s_mul_i32 s1, s1, s11
	v_mul_lo_u32 v5, v0, s30
	s_add_i32 s26, s0, s1
	v_lshrrev_b32_e32 v10, 3, v0
	s_lshl_b64 s[0:1], s[26:27], 1
	v_lshlrev_b64 v[3:4], v14, -1
	s_add_u32 s45, s8, s0
	s_addc_u32 s46, s9, s1
	s_waitcnt lgkmcnt(0)
	s_and_b32 s47, s14, 0xffff
	v_cmp_gt_i32_e64 s0, 4, v14
	s_lshl_b32 s49, s47, 2
	s_add_i32 s51, s47, -1
	v_cvt_f32_u32_e32 v1, s49
	s_bfe_u32 s1, s14, 0xb0005
	s_and_b32 s52, vcc_lo, s0
	s_add_i32 s7, s51, s28
	s_cmpk_gt_u32 s28, 0x600
	v_rcp_iflag_f32_e32 v1, v1
	s_cselect_b32 s53, -1, 0
	s_cmp_gt_u32 s47, 31
	v_cvt_f32_u32_e32 v2, s47
	s_cselect_b32 s54, -1, 0
	s_cmp_lt_u32 s13, s6
	v_and_b32_e32 v19, 0x7c, v10
	s_cselect_b32 s3, 12, 18
	v_lshlrev_b32_e32 v16, 1, v0
	s_add_u32 s42, s4, s3
	s_waitcnt_depctr 0xfff
	v_mul_f32_e32 v1, 0x4f7ffffe, v1
	s_addc_u32 s43, s5, 0
	s_add_i32 s3, s1, -1
	s_bfe_u32 s55, s47, 0x30005
	s_cmp_gt_u32 s3, 6
	v_cvt_u32_f32_e32 v1, v1
	s_cselect_b32 s56, -1, 0
	s_and_b32 s57, s1, 0x7f8
	s_cmp_lg_u32 s55, 0
	v_rcp_iflag_f32_e32 v2, v2
	v_readfirstlane_b32 s3, v1
	s_cselect_b32 s58, -1, 0
	s_sub_i32 s4, 0, s49
	v_lshlrev_b32_e32 v22, 2, v5
	v_not_b32_e32 v20, v3
	s_mul_i32 s4, s4, s3
	v_cmp_gt_u32_e64 s0, s28, v0
	s_mul_hi_u32 s4, s3, s4
	v_cmp_gt_u32_e64 s1, 2, v0
	s_add_i32 s59, s3, s4
	s_waitcnt_depctr 0xfff
	v_mul_f32_e32 v1, 0x4f7ffffe, v2
	s_mul_hi_u32 s4, s28, s59
	v_cmp_eq_u32_e64 s3, 0, v14
	s_mul_i32 s4, s4, s49
	v_dual_mov_b32 v26, 0 :: v_dual_add_nc_u32 v17, 0xc00, v16
	s_sub_i32 s4, s28, s4
	v_cvt_u32_f32_e32 v1, v1
	s_sub_i32 s5, s4, s49
	s_cmp_ge_u32 s4, s49
	v_lshlrev_b32_e32 v24, 3, v0
	s_cselect_b32 s4, s5, s4
	v_readfirstlane_b32 s5, v1
	s_sub_i32 s6, s4, s49
	s_cmp_ge_u32 s4, s49
	v_lshl_or_b32 v25, v14, 2, 0xc00
	s_cselect_b32 s8, s6, s4
	s_sub_i32 s4, 0, s47
	s_sub_i32 s60, s28, s8
	s_delay_alu instid0(SALU_CYCLE_1) | instskip(SKIP_3) | instid1(VALU_DEP_2)
	v_dual_mov_b32 v7, 0 :: v_dual_add_nc_u32 v18, s60, v0
	v_lshlrev_b32_e32 v15, 2, v0
	s_mul_i32 s4, s4, s5
	s_mul_i32 s50, s30, s47
	v_mov_b32_e32 v6, v7
	s_mul_hi_u32 s4, s5, s4
	v_or_b32_e32 v3, 3, v15
	s_add_i32 s61, s5, s4
	v_mad_u64_u32 v[12:13], null, s30, v15, s[30:31]
	v_lshlrev_b64 v[1:2], 1, v[5:6]
	v_mul_lo_u32 v6, v18, s30
	s_mul_hi_u32 s4, s7, s61
	v_mul_lo_u32 v21, s30, v3
	s_mul_i32 s4, s4, s47
	s_mov_b32 s69, 14
	v_add_co_u32 v8, vcc_lo, s45, v1
	v_add_co_ci_u32_e32 v9, vcc_lo, s46, v2, vcc_lo
	s_delay_alu instid0(VALU_DEP_4)
	v_lshlrev_b64 v[1:2], 1, v[6:7]
	s_sub_i32 s4, s7, s4
	s_mov_b32 s72, s27
	s_sub_i32 s5, s4, s47
	s_cmp_ge_u32 s4, s47
	s_mov_b32 s74, s27
	v_add_co_u32 v10, vcc_lo, s45, v1
	v_add3_u32 v1, s47, s28, v0
	s_cselect_b32 s5, s5, s4
	v_add_co_ci_u32_e32 v11, vcc_lo, s46, v2, vcc_lo
	v_or_b32_e32 v2, 2, v15
	s_delay_alu instid0(VALU_DEP_3)
	v_subrev_nc_u32_e32 v1, s8, v1
	s_sub_i32 s6, s5, s47
	s_cmp_ge_u32 s5, s47
	v_cmp_gt_u32_e64 s4, s60, v15
	s_cselect_b32 s6, s6, s5
	v_mul_lo_u32 v13, s30, v2
	v_mul_lo_u32 v23, s30, v1
	s_sub_i32 s62, s7, s6
	v_cmp_gt_u32_e64 s5, s28, v18
	v_cmp_gt_u32_e64 s6, s62, v0
	s_lshl_b32 s63, s50, 2
	s_lshl_b32 s64, s47, 3
	;; [unrolled: 1-line block ×3, first 2 shown]
	s_mov_b32 s75, s27
                                        ; implicit-def: $sgpr66
                                        ; implicit-def: $sgpr68
                                        ; implicit-def: $sgpr67
                                        ; implicit-def: $sgpr71
                                        ; implicit-def: $sgpr73
                                        ; implicit-def: $sgpr70
	s_branch .LBB105_12
.LBB105_8:                              ;   in Loop: Header=BB105_12 Depth=1
	s_xor_b32 s72, s72, 1
	s_add_i32 s11, s69, -2
	s_cmp_eq_u32 s69, 0
	s_mov_b32 s7, 0
	s_cselect_b32 s10, -1, 0
	s_mov_b32 s69, s11
.LBB105_9:                              ;   in Loop: Header=BB105_12 Depth=1
	s_and_not1_b32 s11, s13, exec_lo
	s_and_b32 s7, s7, exec_lo
	s_and_not1_b32 s15, s15, exec_lo
	s_or_b32 s13, s11, s7
	s_and_not1_b32 s12, s12, exec_lo
	s_or_not1_b32 s11, s10, exec_lo
	s_mov_b32 s76, s20
.LBB105_10:                             ;   in Loop: Header=BB105_12 Depth=1
	s_or_b32 exec_lo, exec_lo, s8
	s_delay_alu instid0(SALU_CYCLE_1)
	s_and_not1_b32 s7, s70, exec_lo
	s_and_b32 s8, s13, exec_lo
	s_and_not1_b32 s10, s71, exec_lo
	s_or_b32 s70, s7, s8
	s_and_not1_b32 s7, s73, exec_lo
	s_and_b32 s8, s15, exec_lo
	s_and_b32 s12, s12, exec_lo
	s_or_b32 s73, s7, s8
	s_or_b32 s71, s10, s12
	s_or_not1_b32 s12, s11, exec_lo
.LBB105_11:                             ;   in Loop: Header=BB105_12 Depth=1
	s_or_b32 exec_lo, exec_lo, s9
	s_delay_alu instid0(SALU_CYCLE_1)
	s_and_b32 s7, exec_lo, s12
	v_mov_b32_e32 v1, s74
	s_or_b32 s27, s7, s27
	s_and_not1_b32 s7, s67, exec_lo
	s_and_b32 s8, s70, exec_lo
	s_and_not1_b32 s9, s66, exec_lo
	s_or_b32 s67, s7, s8
	s_and_not1_b32 s7, s68, exec_lo
	s_and_b32 s8, s73, exec_lo
	s_and_b32 s10, s71, exec_lo
	s_or_b32 s68, s7, s8
	s_or_b32 s66, s9, s10
	s_and_not1_b32 exec_lo, exec_lo, s27
	s_cbranch_execz .LBB105_242
.LBB105_12:                             ; =>This Loop Header: Depth=1
                                        ;     Child Loop BB105_17 Depth 2
                                        ;     Child Loop BB105_32 Depth 2
	;; [unrolled: 1-line block ×16, first 2 shown]
	ds_load_b64 v[1:2], v7 offset:4104
	s_waitcnt lgkmcnt(0)
	v_readfirstlane_b32 s77, v1
	s_delay_alu instid0(VALU_DEP_1)
	s_cmp_lg_u32 s77, 0
	s_cbranch_scc1 .LBB105_39
; %bb.13:                               ;   in Loop: Header=BB105_12 Depth=1
	s_and_b32 vcc_lo, exec_lo, s53
	s_cbranch_vccz .LBB105_25
; %bb.14:                               ;   in Loop: Header=BB105_12 Depth=1
	v_cmp_gt_u32_e32 vcc_lo, 0x601, v2
	s_mov_b32 s77, 0
	s_mov_b32 s7, 0
	s_cbranch_vccz .LBB105_26
; %bb.15:                               ;   in Loop: Header=BB105_12 Depth=1
	global_load_u16 v1, v7, s[42:43]
	global_load_u16 v3, v[8:9], off
	v_mov_b32_e32 v4, v0
	s_mov_b32 s9, 0
	s_waitcnt vmcnt(1)
	v_add_nc_u32_e32 v2, v0, v1
	s_delay_alu instid0(VALU_DEP_1)
	v_mul_lo_u32 v6, s30, v2
	v_mul_lo_u32 v2, s30, v1
	s_branch .LBB105_17
.LBB105_16:                             ;   in Loop: Header=BB105_17 Depth=2
	s_or_b32 exec_lo, exec_lo, s8
	v_dual_mov_b32 v3, v27 :: v_dual_add_nc_u32 v6, v6, v2
	s_and_not1_b32 exec_lo, exec_lo, s9
	s_cbranch_execz .LBB105_127
.LBB105_17:                             ;   Parent Loop BB105_12 Depth=1
                                        ; =>  This Inner Loop Header: Depth=2
	v_dual_mov_b32 v27, 0 :: v_dual_add_nc_u32 v4, v4, v1
	s_waitcnt lgkmcnt(0)
	v_mov_b32_e32 v28, 0
	s_mov_b32 s8, exec_lo
	s_delay_alu instid0(VALU_DEP_2)
	v_cmp_le_u32_e32 vcc_lo, s28, v4
	v_cmpx_gt_u32_e64 s28, v4
	s_cbranch_execz .LBB105_19
; %bb.18:                               ;   in Loop: Header=BB105_17 Depth=2
	v_lshlrev_b64 v[29:30], 1, v[6:7]
	s_delay_alu instid0(VALU_DEP_1) | instskip(NEXT) | instid1(VALU_DEP_1)
	v_add_co_u32 v29, s7, s45, v29
	v_add_co_ci_u32_e64 v30, s7, s46, v30, s7
	global_load_u16 v27, v[29:30], off
.LBB105_19:                             ;   in Loop: Header=BB105_17 Depth=2
	s_or_b32 exec_lo, exec_lo, s8
	s_waitcnt vmcnt(0)
	v_bfe_i32 v29, v3, 0, 16
	s_delay_alu instid0(VALU_DEP_1) | instskip(NEXT) | instid1(VALU_DEP_1)
	v_add_nc_u32_e32 v29, 0x8000, v29
	v_and_b32_e32 v29, s75, v29
	s_delay_alu instid0(VALU_DEP_1) | instskip(NEXT) | instid1(VALU_DEP_1)
	v_cmp_eq_u32_e64 s7, s74, v29
	s_cmp_lg_u32 s7, 0
	s_cselect_b32 s8, -1, 0
	s_delay_alu instid0(SALU_CYCLE_1) | instskip(NEXT) | instid1(SALU_CYCLE_1)
	s_and_b32 s8, s3, s8
	s_and_saveexec_b32 s10, s8
	s_cbranch_execz .LBB105_23
; %bb.20:                               ;   in Loop: Header=BB105_17 Depth=2
	s_mov_b32 s13, exec_lo
	s_bcnt1_i32_b32 s11, s7
	v_mbcnt_lo_u32_b32 v28, s13, 0
	s_mov_b32 s12, exec_lo
                                        ; implicit-def: $vgpr29
	s_delay_alu instid0(VALU_DEP_1)
	v_cmpx_eq_u32_e32 0, v28
	s_cbranch_execz .LBB105_22
; %bb.21:                               ;   in Loop: Header=BB105_17 Depth=2
	s_bcnt1_i32_b32 s8, s13
	s_delay_alu instid0(SALU_CYCLE_1) | instskip(NEXT) | instid1(SALU_CYCLE_1)
	s_mul_i32 s8, s11, s8
	v_mov_b32_e32 v29, s8
	ds_add_rtn_u32 v29, v7, v29 offset:4112
.LBB105_22:                             ;   in Loop: Header=BB105_17 Depth=2
	s_or_b32 exec_lo, exec_lo, s12
	s_waitcnt lgkmcnt(0)
	v_readfirstlane_b32 s8, v29
	s_delay_alu instid0(VALU_DEP_1)
	v_mad_u32_u24 v28, s11, v28, s8
.LBB105_23:                             ;   in Loop: Header=BB105_17 Depth=2
	s_or_b32 exec_lo, exec_lo, s10
	ds_bpermute_b32 v28, v7, v28
	s_and_b32 s8, exec_lo, vcc_lo
	s_delay_alu instid0(SALU_CYCLE_1)
	s_or_b32 s9, s8, s9
	s_and_saveexec_b32 s8, s7
	s_cbranch_execz .LBB105_16
; %bb.24:                               ;   in Loop: Header=BB105_17 Depth=2
	v_and_b32_e32 v29, s7, v20
	s_delay_alu instid0(VALU_DEP_1) | instskip(NEXT) | instid1(VALU_DEP_1)
	v_bcnt_u32_b32 v29, v29, 0
	v_lshlrev_b32_e32 v29, 1, v29
	s_waitcnt lgkmcnt(0)
	s_delay_alu instid0(VALU_DEP_1)
	v_lshl_add_u32 v28, v28, 1, v29
	ds_store_b16 v28, v3
	s_branch .LBB105_16
.LBB105_25:                             ;   in Loop: Header=BB105_12 Depth=1
	s_mov_b32 s77, -1
	s_mov_b32 s7, 0
.LBB105_26:                             ;   in Loop: Header=BB105_12 Depth=1
	s_and_b32 vcc_lo, exec_lo, s77
	s_cbranch_vccz .LBB105_37
.LBB105_27:                             ;   in Loop: Header=BB105_12 Depth=1
	v_mov_b32_e32 v1, 0
	s_and_saveexec_b32 s7, s0
	s_cbranch_execz .LBB105_29
; %bb.28:                               ;   in Loop: Header=BB105_12 Depth=1
	global_load_u16 v1, v[8:9], off
.LBB105_29:                             ;   in Loop: Header=BB105_12 Depth=1
	s_or_b32 exec_lo, exec_lo, s7
	s_and_saveexec_b32 s8, s0
	s_cbranch_execz .LBB105_34
; %bb.30:                               ;   in Loop: Header=BB105_12 Depth=1
	global_load_u16 v2, v7, s[42:43]
	v_mov_b32_e32 v28, v0
	s_mov_b32 s9, 0
	v_mov_b32_e32 v27, v16
	s_waitcnt vmcnt(0)
	v_add_nc_u32_e32 v3, v0, v2
	v_lshlrev_b32_e32 v4, 1, v2
	s_delay_alu instid0(VALU_DEP_2)
	v_mul_lo_u32 v6, s30, v3
	v_mul_lo_u32 v3, s30, v2
	s_set_inst_prefetch_distance 0x1
	s_branch .LBB105_32
	.p2align	6
.LBB105_31:                             ;   in Loop: Header=BB105_32 Depth=2
	s_or_b32 exec_lo, exec_lo, s10
	ds_store_b16 v27, v1
	v_add_nc_u32_e32 v27, v27, v4
	s_waitcnt vmcnt(0)
	v_dual_mov_b32 v1, v29 :: v_dual_add_nc_u32 v6, v6, v3
	s_and_b32 s7, exec_lo, vcc_lo
	s_delay_alu instid0(SALU_CYCLE_1) | instskip(NEXT) | instid1(SALU_CYCLE_1)
	s_or_b32 s9, s7, s9
	s_and_not1_b32 exec_lo, exec_lo, s9
	s_cbranch_execz .LBB105_34
.LBB105_32:                             ;   Parent Loop BB105_12 Depth=1
                                        ; =>  This Inner Loop Header: Depth=2
	v_dual_mov_b32 v29, 0 :: v_dual_add_nc_u32 v28, v28, v2
	s_mov_b32 s10, exec_lo
	s_delay_alu instid0(VALU_DEP_1)
	v_cmp_le_u32_e32 vcc_lo, s28, v28
	v_cmpx_gt_u32_e64 s28, v28
	s_cbranch_execz .LBB105_31
; %bb.33:                               ;   in Loop: Header=BB105_32 Depth=2
	v_lshlrev_b64 v[29:30], 1, v[6:7]
	s_delay_alu instid0(VALU_DEP_1) | instskip(NEXT) | instid1(VALU_DEP_1)
	v_add_co_u32 v29, s7, s45, v29
	v_add_co_ci_u32_e64 v30, s7, s46, v30, s7
	global_load_u16 v29, v[29:30], off
	s_branch .LBB105_31
.LBB105_34:                             ;   in Loop: Header=BB105_12 Depth=1
	s_set_inst_prefetch_distance 0x2
	s_or_b32 exec_lo, exec_lo, s8
	s_waitcnt vmcnt(0) lgkmcnt(0)
	s_barrier
	buffer_gl0_inv
	s_and_saveexec_b32 s7, s2
	s_cbranch_execz .LBB105_36
; %bb.35:                               ;   in Loop: Header=BB105_12 Depth=1
	v_mov_b32_e32 v1, s28
	ds_store_b32 v7, v1 offset:4104
.LBB105_36:                             ;   in Loop: Header=BB105_12 Depth=1
	s_or_b32 exec_lo, exec_lo, s7
	s_mov_b32 s7, -1
	s_waitcnt lgkmcnt(0)
	s_barrier
                                        ; implicit-def: $sgpr77
.LBB105_37:                             ;   in Loop: Header=BB105_12 Depth=1
	s_and_b32 vcc_lo, exec_lo, s7
	s_cbranch_vccz .LBB105_39
; %bb.38:                               ;   in Loop: Header=BB105_12 Depth=1
	buffer_gl0_inv
	ds_load_b32 v1, v7 offset:4104
	s_waitcnt lgkmcnt(0)
	v_readfirstlane_b32 s77, v1
.LBB105_39:                             ;   in Loop: Header=BB105_12 Depth=1
	s_delay_alu instid0(VALU_DEP_1)
	s_cmp_lt_i32 s77, 1
	s_cbranch_scc0 .LBB105_43
; %bb.40:                               ;   in Loop: Header=BB105_12 Depth=1
	v_dual_mov_b32 v1, 0 :: v_dual_mov_b32 v2, 0
	v_dual_mov_b32 v3, 0 :: v_dual_mov_b32 v4, 0
	s_mov_b32 s19, 0
	s_and_saveexec_b32 s18, s4
	s_cbranch_execnz .LBB105_44
; %bb.41:                               ;   in Loop: Header=BB105_12 Depth=1
	s_or_b32 exec_lo, exec_lo, s18
	v_mov_b32_e32 v28, 0
	s_and_saveexec_b32 s7, s5
	s_cbranch_execnz .LBB105_47
.LBB105_42:                             ;   in Loop: Header=BB105_12 Depth=1
	s_or_b32 exec_lo, exec_lo, s7
	s_and_saveexec_b32 s11, s5
	s_cbranch_execnz .LBB105_48
	s_branch .LBB105_53
.LBB105_43:                             ;   in Loop: Header=BB105_12 Depth=1
                                        ; implicit-def: $vgpr4
	s_cbranch_execnz .LBB105_54
	s_branch .LBB105_63
.LBB105_44:                             ;   in Loop: Header=BB105_12 Depth=1
	v_mov_b32_e32 v27, v15
	s_and_b32 s20, s69, 0xfe
	s_mov_b32 s21, 0
	s_mov_b32 s22, 0
	;; [unrolled: 1-line block ×5, first 2 shown]
.LBB105_45:                             ;   Parent Loop BB105_12 Depth=1
                                        ; =>  This Inner Loop Header: Depth=2
	v_add_nc_u32_e32 v6, s21, v22
	s_delay_alu instid0(VALU_DEP_1) | instskip(SKIP_1) | instid1(VALU_DEP_1)
	v_lshlrev_b64 v[1:2], 1, v[6:7]
	v_add_nc_u32_e32 v6, s21, v12
	v_lshlrev_b64 v[3:4], 1, v[6:7]
	v_add_nc_u32_e32 v6, s21, v13
	s_delay_alu instid0(VALU_DEP_4) | instskip(SKIP_1) | instid1(VALU_DEP_3)
	v_add_co_u32 v1, vcc_lo, s45, v1
	v_add_co_ci_u32_e32 v2, vcc_lo, s46, v2, vcc_lo
	v_lshlrev_b64 v[28:29], 1, v[6:7]
	v_add_nc_u32_e32 v6, s21, v21
	s_add_i32 s21, s21, s63
	global_load_i16 v30, v[1:2], off
	v_add_co_u32 v1, vcc_lo, s45, v3
	v_add_co_ci_u32_e32 v2, vcc_lo, s46, v4, vcc_lo
	v_add_co_u32 v28, vcc_lo, s45, v28
	v_add_co_ci_u32_e32 v29, vcc_lo, s46, v29, vcc_lo
	v_lshlrev_b64 v[3:4], 1, v[6:7]
	s_clause 0x1
	global_load_i16 v6, v[1:2], off
	global_load_i16 v28, v[28:29], off
	v_add_co_u32 v1, vcc_lo, s45, v3
	v_add_co_ci_u32_e32 v2, vcc_lo, s46, v4, vcc_lo
	global_load_i16 v1, v[1:2], off
	s_waitcnt vmcnt(3)
	v_add_nc_u32_e32 v2, 0x8000, v30
	s_delay_alu instid0(VALU_DEP_1)
	v_and_b32_e32 v3, s75, v2
	v_bfe_u32 v2, v2, s20, 2
	s_waitcnt vmcnt(2)
	v_add_nc_u32_e32 v4, 0x8000, v6
	s_waitcnt vmcnt(1)
	v_add_nc_u32_e32 v6, 0x8000, v28
	v_cmp_eq_u32_e64 s7, s74, v3
	v_cmp_eq_u32_e64 s8, 0, v2
	;; [unrolled: 1-line block ×3, first 2 shown]
	v_and_b32_e32 v3, s75, v4
	v_bfe_u32 v4, v4, s20, 2
	v_cmp_eq_u32_e64 s10, 2, v2
	v_cmp_eq_u32_e64 s11, 3, v2
	v_and_b32_e32 v2, s75, v6
	v_cmp_eq_u32_e64 s12, s74, v3
	v_bfe_u32 v3, v6, s20, 2
	s_and_b32 s8, s7, s8
	s_waitcnt vmcnt(0)
	v_add_nc_u32_e32 v1, 0x8000, v1
	v_cmp_eq_u32_e64 s13, 0, v4
	v_cndmask_b32_e64 v6, 0, 1, s8
	v_cmp_eq_u32_e64 s8, 1, v4
	s_and_b32 s9, s7, s9
	s_and_b32 s10, s7, s10
	;; [unrolled: 1-line block ×3, first 2 shown]
	v_cndmask_b32_e64 v28, 0, 1, s9
	v_cmp_eq_u32_e64 s9, 2, v4
	v_cndmask_b32_e64 v29, 0, 1, s10
	v_cmp_eq_u32_e64 s10, 3, v4
	;; [unrolled: 2-line block ×3, first 2 shown]
	v_cmp_eq_u32_e64 s11, 0, v3
	v_and_b32_e32 v2, s75, v1
	v_bfe_u32 v1, v1, s20, 2
	s_and_b32 s13, s12, s13
	s_and_b32 s8, s12, s8
	v_cmp_ne_u32_e64 s14, 0, v6
	v_cndmask_b32_e64 v6, 0, 1, s13
	v_cmp_eq_u32_e64 s13, 1, v3
	v_cmp_ne_u32_e64 s15, 0, v28
	v_cndmask_b32_e64 v28, 0, 1, s8
	v_cmp_eq_u32_e64 s8, 2, v3
	s_and_b32 s9, s12, s9
	s_and_b32 s10, s12, s10
	;; [unrolled: 1-line block ×3, first 2 shown]
	v_cmp_ne_u32_e64 s16, 0, v29
	v_cndmask_b32_e64 v29, 0, 1, s9
	v_cmp_eq_u32_e64 s9, 3, v3
	v_cndmask_b32_e64 v3, 0, 1, s10
	v_cmp_eq_u32_e64 s10, s74, v2
	;; [unrolled: 2-line block ×3, first 2 shown]
	v_cmp_ne_u32_e64 s17, 0, v4
	v_cmp_eq_u32_e64 s12, 0, v1
	s_and_b32 s13, s7, s13
	s_and_b32 s8, s7, s8
	s_bcnt1_i32_b32 s26, s14
	v_cmp_ne_u32_e64 s14, 0, v6
	v_cndmask_b32_e64 v4, 0, 1, s13
	v_cmp_eq_u32_e64 s13, 2, v1
	v_cndmask_b32_e64 v6, 0, 1, s8
	v_cmp_eq_u32_e64 s8, 3, v1
	s_and_b32 s7, s7, s9
	s_and_b32 s11, s10, s11
	s_bcnt1_i32_b32 s80, s17
	v_cmp_ne_u32_e64 s17, 0, v3
	v_cndmask_b32_e64 v1, 0, 1, s7
	v_cndmask_b32_e64 v3, 0, 1, s11
	s_bcnt1_i32_b32 s78, s15
	v_cmp_ne_u32_e64 s15, 0, v28
	s_and_b32 s9, s10, s12
	v_cmp_ne_u32_e64 s7, 0, v2
	v_cndmask_b32_e64 v2, 0, 1, s9
	v_cmp_ne_u32_e64 s9, 0, v4
	s_and_b32 s12, s10, s13
	s_and_b32 s8, s10, s8
	v_cndmask_b32_e64 v4, 0, 1, s12
	v_cmp_ne_u32_e64 s12, 0, v1
	v_cndmask_b32_e64 v1, 0, 1, s8
	v_cmp_ne_u32_e64 s8, 0, v3
	s_bcnt1_i32_b32 s79, s16
	v_cmp_ne_u32_e64 s16, 0, v29
	s_add_i32 s24, s78, s24
	s_add_i32 s22, s80, s22
	s_bcnt1_i32_b32 s15, s15
	s_bcnt1_i32_b32 s13, s17
	v_cmp_ne_u32_e64 s11, 0, v6
	s_add_i32 s15, s24, s15
	s_add_i32 s13, s22, s13
	s_bcnt1_i32_b32 s22, s9
	s_bcnt1_i32_b32 s17, s7
	v_cmp_ne_u32_e64 s7, 0, v2
	v_cmp_ne_u32_e64 s9, 0, v4
	;; [unrolled: 1-line block ×3, first 2 shown]
	s_add_i32 s15, s15, s22
	s_bcnt1_i32_b32 s8, s8
	s_add_i32 s25, s26, s25
	s_add_i32 s23, s79, s23
	s_bcnt1_i32_b32 s14, s14
	s_bcnt1_i32_b32 s16, s16
	s_add_i32 s24, s15, s8
	s_delay_alu instid0(SALU_CYCLE_1)
	v_dual_mov_b32 v2, s24 :: v_dual_add_nc_u32 v27, s49, v27
	s_add_i32 s14, s25, s14
	s_add_i32 s16, s23, s16
	s_bcnt1_i32_b32 s11, s11
	s_bcnt1_i32_b32 s12, s12
	s_add_i32 s14, s14, s17
	s_add_i32 s11, s16, s11
	;; [unrolled: 1-line block ×3, first 2 shown]
	s_bcnt1_i32_b32 s7, s7
	s_bcnt1_i32_b32 s9, s9
	;; [unrolled: 1-line block ×3, first 2 shown]
	v_cmp_le_u32_e32 vcc_lo, s60, v27
	s_add_i32 s25, s14, s7
	s_add_i32 s23, s11, s9
	;; [unrolled: 1-line block ×3, first 2 shown]
	v_mov_b32_e32 v1, s25
	v_dual_mov_b32 v3, s23 :: v_dual_mov_b32 v4, s22
	s_or_b32 s19, vcc_lo, s19
	s_delay_alu instid0(SALU_CYCLE_1)
	s_and_not1_b32 exec_lo, exec_lo, s19
	s_cbranch_execnz .LBB105_45
; %bb.46:                               ;   in Loop: Header=BB105_12 Depth=1
	s_or_b32 exec_lo, exec_lo, s19
	s_delay_alu instid0(SALU_CYCLE_1)
	s_or_b32 exec_lo, exec_lo, s18
	v_mov_b32_e32 v28, 0
	s_and_saveexec_b32 s7, s5
	s_cbranch_execz .LBB105_42
.LBB105_47:                             ;   in Loop: Header=BB105_12 Depth=1
	global_load_u16 v28, v[10:11], off
	s_or_b32 exec_lo, exec_lo, s7
	s_and_saveexec_b32 s11, s5
	s_cbranch_execz .LBB105_53
.LBB105_48:                             ;   in Loop: Header=BB105_12 Depth=1
	v_dual_mov_b32 v6, v23 :: v_dual_mov_b32 v27, v18
	s_and_b32 s13, s69, 0xfe
	s_mov_b32 s12, 0
	s_branch .LBB105_50
.LBB105_49:                             ;   in Loop: Header=BB105_50 Depth=2
	s_or_b32 exec_lo, exec_lo, s8
	s_waitcnt vmcnt(0)
	v_bfe_i32 v28, v28, 0, 16
	s_and_b32 s8, exec_lo, vcc_lo
	v_add_nc_u32_e32 v6, s50, v6
	s_or_b32 s12, s8, s12
	s_delay_alu instid0(VALU_DEP_2) | instskip(NEXT) | instid1(VALU_DEP_1)
	v_add_nc_u32_e32 v28, 0x8000, v28
	v_and_b32_e32 v30, s75, v28
	v_bfe_u32 v28, v28, s13, 2
	s_delay_alu instid0(VALU_DEP_2) | instskip(NEXT) | instid1(VALU_DEP_2)
	v_cmp_eq_u32_e32 vcc_lo, s74, v30
	v_cmp_eq_u32_e64 s7, 0, v28
	v_cmp_eq_u32_e64 s8, 1, v28
	;; [unrolled: 1-line block ×4, first 2 shown]
	s_delay_alu instid0(VALU_DEP_4) | instskip(NEXT) | instid1(SALU_CYCLE_1)
	s_and_b32 s7, vcc_lo, s7
	v_cndmask_b32_e64 v28, 0, 1, s7
	s_and_b32 s7, vcc_lo, s8
	s_delay_alu instid0(SALU_CYCLE_1) | instskip(SKIP_1) | instid1(SALU_CYCLE_1)
	v_cndmask_b32_e64 v30, 0, 1, s7
	s_and_b32 s7, vcc_lo, s9
	v_cndmask_b32_e64 v31, 0, 1, s7
	s_and_b32 s7, vcc_lo, s10
	v_cmp_ne_u32_e32 vcc_lo, 0, v28
	v_cndmask_b32_e64 v32, 0, 1, s7
	v_cmp_ne_u32_e64 s7, 0, v30
	v_cmp_ne_u32_e64 s8, 0, v31
	v_mov_b32_e32 v28, v29
	s_bcnt1_i32_b32 s10, vcc_lo
	v_cmp_ne_u32_e64 s9, 0, v32
	s_bcnt1_i32_b32 s7, s7
	s_bcnt1_i32_b32 s8, s8
	v_add_nc_u32_e32 v1, s10, v1
	v_add_nc_u32_e32 v2, s7, v2
	s_bcnt1_i32_b32 s9, s9
	v_add_nc_u32_e32 v3, s8, v3
	v_add_nc_u32_e32 v4, s9, v4
	s_and_not1_b32 exec_lo, exec_lo, s12
	s_cbranch_execz .LBB105_52
.LBB105_50:                             ;   Parent Loop BB105_12 Depth=1
                                        ; =>  This Inner Loop Header: Depth=2
	s_delay_alu instid0(VALU_DEP_1) | instskip(SKIP_2) | instid1(VALU_DEP_2)
	v_add_nc_u32_e32 v27, s47, v27
	v_mov_b32_e32 v29, 0
	s_mov_b32 s8, exec_lo
	v_cmp_le_u32_e32 vcc_lo, s28, v27
	v_cmpx_gt_u32_e64 s28, v27
	s_cbranch_execz .LBB105_49
; %bb.51:                               ;   in Loop: Header=BB105_50 Depth=2
	v_lshlrev_b64 v[29:30], 1, v[6:7]
	s_delay_alu instid0(VALU_DEP_1) | instskip(NEXT) | instid1(VALU_DEP_1)
	v_add_co_u32 v29, s7, s45, v29
	v_add_co_ci_u32_e64 v30, s7, s46, v30, s7
	global_load_u16 v29, v[29:30], off
	s_branch .LBB105_49
.LBB105_52:                             ;   in Loop: Header=BB105_12 Depth=1
	s_or_b32 exec_lo, exec_lo, s12
.LBB105_53:                             ;   in Loop: Header=BB105_12 Depth=1
	s_delay_alu instid0(SALU_CYCLE_1)
	s_or_b32 exec_lo, exec_lo, s11
	s_branch .LBB105_63
.LBB105_54:                             ;   in Loop: Header=BB105_12 Depth=1
	s_mul_hi_u32 s7, s77, s59
	v_dual_mov_b32 v1, 0 :: v_dual_mov_b32 v2, 0
	s_mul_i32 s7, s7, s49
	v_dual_mov_b32 v3, 0 :: v_dual_mov_b32 v4, 0
	s_sub_i32 s7, s77, s7
	s_mov_b32 s80, 0
	s_sub_i32 s8, s7, s49
	s_cmp_ge_u32 s7, s49
	s_mov_b32 s79, exec_lo
	s_cselect_b32 s7, s8, s7
	s_delay_alu instid0(SALU_CYCLE_1) | instskip(SKIP_2) | instid1(SALU_CYCLE_1)
	s_sub_i32 s8, s7, s49
	s_cmp_ge_u32 s7, s49
	s_cselect_b32 s7, s8, s7
	s_sub_i32 s78, s77, s7
	s_delay_alu instid0(SALU_CYCLE_1)
	v_cmpx_gt_u32_e64 s78, v15
	s_cbranch_execz .LBB105_58
; %bb.55:                               ;   in Loop: Header=BB105_12 Depth=1
	v_dual_mov_b32 v6, v24 :: v_dual_mov_b32 v27, v15
	s_and_b32 s81, s69, 0xfe
	s_mov_b32 s82, 0
	s_mov_b32 s83, 0
	;; [unrolled: 1-line block ×4, first 2 shown]
.LBB105_56:                             ;   Parent Loop BB105_12 Depth=1
                                        ; =>  This Inner Loop Header: Depth=2
	ds_load_b64 v[1:2], v6
	s_waitcnt lgkmcnt(0)
	v_bfe_i32 v3, v1, 0, 16
	v_ashrrev_i32_e32 v1, 16, v1
	v_bfe_i32 v4, v2, 0, 16
	v_ashrrev_i32_e32 v2, 16, v2
	s_delay_alu instid0(VALU_DEP_4) | instskip(NEXT) | instid1(VALU_DEP_4)
	v_add_nc_u32_e32 v3, 0x8000, v3
	v_add_nc_u32_e32 v1, 0x8000, v1
	s_delay_alu instid0(VALU_DEP_4) | instskip(NEXT) | instid1(VALU_DEP_4)
	v_add_nc_u32_e32 v4, 0x8000, v4
	v_add_nc_u32_e32 v2, 0x8000, v2
	s_waitcnt vmcnt(0)
	v_and_b32_e32 v28, s75, v3
	v_bfe_u32 v3, v3, s81, 2
	v_and_b32_e32 v29, s75, v1
	v_bfe_u32 v1, v1, s81, 2
	;; [unrolled: 2-line block ×3, first 2 shown]
	v_cmp_eq_u32_e64 s7, s74, v28
	v_cmp_eq_u32_e64 s11, 0, v3
	v_and_b32_e32 v31, s75, v2
	v_bfe_u32 v2, v2, s81, 2
	v_cmp_eq_u32_e64 s8, s74, v29
	v_cmp_eq_u32_e64 s12, 0, v1
	;; [unrolled: 1-line block ×4, first 2 shown]
	s_and_b32 s11, s7, s11
	v_cmp_eq_u32_e64 s10, s74, v31
	v_cmp_eq_u32_e64 s14, 0, v2
	;; [unrolled: 1-line block ×5, first 2 shown]
	v_cndmask_b32_e64 v1, 0, 1, s11
	s_and_b32 s11, s8, s12
	v_cmp_eq_u32_e64 s15, 1, v3
	v_cmp_eq_u32_e64 s18, 1, v2
	;; [unrolled: 1-line block ×4, first 2 shown]
	v_cndmask_b32_e64 v2, 0, 1, s11
	s_and_b32 s11, s9, s13
	v_cmp_eq_u32_e64 s19, 2, v3
	v_cmp_eq_u32_e64 s23, 3, v3
	v_cndmask_b32_e64 v3, 0, 1, s11
	s_and_b32 s11, s10, s14
	v_cmp_eq_u32_e64 s17, 1, v4
	v_cmp_eq_u32_e64 s21, 2, v4
	;; [unrolled: 1-line block ×3, first 2 shown]
	v_cndmask_b32_e64 v4, 0, 1, s11
	s_and_b32 s11, s7, s15
	s_delay_alu instid0(SALU_CYCLE_1) | instskip(SKIP_1) | instid1(SALU_CYCLE_1)
	v_cndmask_b32_e64 v28, 0, 1, s11
	s_and_b32 s11, s8, s16
	v_cndmask_b32_e64 v29, 0, 1, s11
	s_and_b32 s11, s9, s17
	s_delay_alu instid0(SALU_CYCLE_1) | instskip(SKIP_1) | instid1(VALU_DEP_2)
	v_cndmask_b32_e64 v30, 0, 1, s11
	s_and_b32 s11, s10, s18
	v_cmp_ne_u32_e64 s12, 0, v29
	v_cndmask_b32_e64 v31, 0, 1, s11
	s_and_b32 s11, s7, s19
	s_and_b32 s7, s7, s23
	v_cndmask_b32_e64 v32, 0, 1, s11
	s_and_b32 s11, s8, s20
	v_cndmask_b32_e64 v36, 0, 1, s7
	;; [unrolled: 2-line block ×7, first 2 shown]
	v_cndmask_b32_e64 v39, 0, 1, s7
	v_cmp_ne_u32_e64 s7, 0, v1
	v_cmp_ne_u32_e64 s11, 0, v28
	;; [unrolled: 1-line block ×6, first 2 shown]
	s_bcnt1_i32_b32 s7, s7
	s_bcnt1_i32_b32 s11, s11
	v_cmp_ne_u32_e64 s14, 0, v31
	v_cmp_ne_u32_e64 s16, 0, v33
	;; [unrolled: 1-line block ×3, first 2 shown]
	s_bcnt1_i32_b32 s8, s8
	s_bcnt1_i32_b32 s12, s12
	s_add_i32 s7, s7, s85
	s_add_i32 s11, s11, s84
	v_cmp_ne_u32_e64 s9, 0, v3
	v_cmp_ne_u32_e64 s17, 0, v34
	;; [unrolled: 1-line block ×3, first 2 shown]
	s_bcnt1_i32_b32 s13, s13
	s_add_i32 s7, s7, s8
	s_add_i32 s8, s11, s12
	s_bcnt1_i32_b32 s15, s15
	s_bcnt1_i32_b32 s19, s19
	v_cmp_ne_u32_e64 s10, 0, v4
	v_cmp_ne_u32_e64 s18, 0, v35
	;; [unrolled: 1-line block ×3, first 2 shown]
	s_bcnt1_i32_b32 s14, s14
	s_add_i32 s8, s8, s13
	s_bcnt1_i32_b32 s16, s16
	s_bcnt1_i32_b32 s20, s20
	s_add_i32 s15, s15, s83
	s_add_i32 s19, s19, s82
	;; [unrolled: 1-line block ×3, first 2 shown]
	s_delay_alu instid0(SALU_CYCLE_1)
	v_dual_mov_b32 v2, s84 :: v_dual_add_nc_u32 v27, s49, v27
	s_bcnt1_i32_b32 s9, s9
	s_bcnt1_i32_b32 s17, s17
	;; [unrolled: 1-line block ×3, first 2 shown]
	s_add_i32 s11, s15, s16
	s_add_i32 s12, s19, s20
	s_bcnt1_i32_b32 s10, s10
	s_bcnt1_i32_b32 s18, s18
	;; [unrolled: 1-line block ×3, first 2 shown]
	s_add_i32 s7, s7, s9
	s_add_i32 s9, s11, s17
	;; [unrolled: 1-line block ×3, first 2 shown]
	v_cmp_le_u32_e32 vcc_lo, s78, v27
	s_add_i32 s85, s7, s10
	s_add_i32 s83, s9, s18
	;; [unrolled: 1-line block ×3, first 2 shown]
	v_dual_mov_b32 v1, s85 :: v_dual_add_nc_u32 v6, s64, v6
	v_dual_mov_b32 v3, s83 :: v_dual_mov_b32 v4, s82
	s_or_b32 s80, vcc_lo, s80
	s_delay_alu instid0(SALU_CYCLE_1)
	s_and_not1_b32 exec_lo, exec_lo, s80
	s_cbranch_execnz .LBB105_56
; %bb.57:                               ;   in Loop: Header=BB105_12 Depth=1
	s_or_b32 exec_lo, exec_lo, s80
.LBB105_58:                             ;   in Loop: Header=BB105_12 Depth=1
	s_delay_alu instid0(SALU_CYCLE_1) | instskip(SKIP_2) | instid1(VALU_DEP_1)
	s_or_b32 exec_lo, exec_lo, s79
	v_add_nc_u32_e32 v6, s78, v0
	s_mov_b32 s12, exec_lo
	v_cmpx_gt_u32_e64 s77, v6
	s_cbranch_execz .LBB105_62
; %bb.59:                               ;   in Loop: Header=BB105_12 Depth=1
	v_lshlrev_b32_e32 v27, 1, v6
	s_and_b32 s14, s69, 0xfe
	s_mov_b32 s13, 0
.LBB105_60:                             ;   Parent Loop BB105_12 Depth=1
                                        ; =>  This Inner Loop Header: Depth=2
	s_waitcnt vmcnt(0)
	ds_load_i16 v28, v27
	v_add_nc_u32_e32 v6, s47, v6
	v_add_nc_u32_e32 v27, s65, v27
	s_delay_alu instid0(VALU_DEP_2) | instskip(SKIP_2) | instid1(VALU_DEP_1)
	v_cmp_le_u32_e32 vcc_lo, s77, v6
	s_waitcnt lgkmcnt(0)
	v_add_nc_u32_e32 v28, 0x8000, v28
	v_and_b32_e32 v29, s75, v28
	v_bfe_u32 v28, v28, s14, 2
	s_delay_alu instid0(VALU_DEP_2) | instskip(NEXT) | instid1(VALU_DEP_2)
	v_cmp_eq_u32_e64 s7, s74, v29
	v_cmp_eq_u32_e64 s8, 0, v28
	v_cmp_eq_u32_e64 s9, 1, v28
	v_cmp_eq_u32_e64 s10, 2, v28
	v_cmp_eq_u32_e64 s11, 3, v28
	s_delay_alu instid0(VALU_DEP_4) | instskip(NEXT) | instid1(SALU_CYCLE_1)
	s_and_b32 s8, s7, s8
	v_cndmask_b32_e64 v28, 0, 1, s8
	s_and_b32 s8, s7, s9
	s_delay_alu instid0(SALU_CYCLE_1)
	v_cndmask_b32_e64 v29, 0, 1, s8
	s_and_b32 s8, s7, s10
	s_and_b32 s7, s7, s11
	v_cndmask_b32_e64 v30, 0, 1, s8
	v_cndmask_b32_e64 v31, 0, 1, s7
	v_cmp_ne_u32_e64 s7, 0, v28
	v_cmp_ne_u32_e64 s8, 0, v29
	s_delay_alu instid0(VALU_DEP_4) | instskip(NEXT) | instid1(VALU_DEP_4)
	v_cmp_ne_u32_e64 s9, 0, v30
	v_cmp_ne_u32_e64 s10, 0, v31
	s_delay_alu instid0(VALU_DEP_4) | instskip(NEXT) | instid1(VALU_DEP_3)
	s_bcnt1_i32_b32 s7, s7
	s_bcnt1_i32_b32 s8, s8
	v_add_nc_u32_e32 v1, s7, v1
	s_bcnt1_i32_b32 s9, s9
	s_bcnt1_i32_b32 s10, s10
	v_add_nc_u32_e32 v2, s8, v2
	v_add_nc_u32_e32 v3, s9, v3
	;; [unrolled: 1-line block ×3, first 2 shown]
	s_or_b32 s13, vcc_lo, s13
	s_delay_alu instid0(SALU_CYCLE_1)
	s_and_not1_b32 exec_lo, exec_lo, s13
	s_cbranch_execnz .LBB105_60
; %bb.61:                               ;   in Loop: Header=BB105_12 Depth=1
	s_or_b32 exec_lo, exec_lo, s13
.LBB105_62:                             ;   in Loop: Header=BB105_12 Depth=1
	s_delay_alu instid0(SALU_CYCLE_1)
	s_or_b32 exec_lo, exec_lo, s12
.LBB105_63:                             ;   in Loop: Header=BB105_12 Depth=1
	s_lshl_b32 s7, s72, 7
	s_and_saveexec_b32 s8, s3
	s_cbranch_execz .LBB105_65
; %bb.64:                               ;   in Loop: Header=BB105_12 Depth=1
	v_or_b32_e32 v6, s7, v19
	s_delay_alu instid0(VALU_DEP_1)
	v_lshlrev_b32_e32 v6, 2, v6
	ds_store_b128 v6, v[1:4] offset:3072
.LBB105_65:                             ;   in Loop: Header=BB105_12 Depth=1
	s_or_b32 exec_lo, exec_lo, s8
	s_waitcnt vmcnt(0) lgkmcnt(0)
	s_barrier
	buffer_gl0_inv
	s_and_saveexec_b32 s8, s52
	s_cbranch_execz .LBB105_75
; %bb.66:                               ;   in Loop: Header=BB105_12 Depth=1
	v_mov_b32_e32 v1, 0
	s_and_not1_b32 vcc_lo, exec_lo, s54
	s_cbranch_vccnz .LBB105_74
; %bb.67:                               ;   in Loop: Header=BB105_12 Depth=1
	v_mov_b32_e32 v1, 0
	s_and_not1_b32 vcc_lo, exec_lo, s56
	s_mov_b32 s9, 0
	s_cbranch_vccnz .LBB105_71
; %bb.68:                               ;   in Loop: Header=BB105_12 Depth=1
	v_lshl_add_u32 v2, s72, 9, v25
	v_mov_b32_e32 v1, 0
	.p2align	6
.LBB105_69:                             ;   Parent Loop BB105_12 Depth=1
                                        ; =>  This Inner Loop Header: Depth=2
	ds_load_2addr_b32 v[3:4], v2 offset1:4
	ds_load_2addr_b32 v[27:28], v2 offset0:8 offset1:12
	ds_load_2addr_b32 v[29:30], v2 offset0:16 offset1:20
	;; [unrolled: 1-line block ×3, first 2 shown]
	v_add_nc_u32_e32 v2, 0x80, v2
	s_add_i32 s9, s9, 8
	s_delay_alu instid0(SALU_CYCLE_1) | instskip(SKIP_3) | instid1(VALU_DEP_1)
	s_cmp_eq_u32 s57, s9
	s_waitcnt lgkmcnt(3)
	v_add3_u32 v1, v3, v1, v4
	s_waitcnt lgkmcnt(2)
	v_add3_u32 v1, v27, v1, v28
	s_waitcnt lgkmcnt(1)
	s_delay_alu instid0(VALU_DEP_1) | instskip(SKIP_1) | instid1(VALU_DEP_1)
	v_add3_u32 v1, v29, v1, v30
	s_waitcnt lgkmcnt(0)
	v_add3_u32 v1, v31, v1, v32
	s_cbranch_scc0 .LBB105_69
; %bb.70:                               ;   in Loop: Header=BB105_12 Depth=1
	s_mov_b32 s9, s57
.LBB105_71:                             ;   in Loop: Header=BB105_12 Depth=1
	s_and_not1_b32 vcc_lo, exec_lo, s58
	s_cbranch_vccnz .LBB105_74
; %bb.72:                               ;   in Loop: Header=BB105_12 Depth=1
	s_lshl_b32 s10, s72, 9
	s_lshl_b32 s9, s9, 4
	s_delay_alu instid0(SALU_CYCLE_1)
	v_add3_u32 v2, s10, s9, v25
	s_mov_b32 s9, s55
.LBB105_73:                             ;   Parent Loop BB105_12 Depth=1
                                        ; =>  This Inner Loop Header: Depth=2
	ds_load_b32 v3, v2
	v_add_nc_u32_e32 v2, 16, v2
	s_add_i32 s9, s9, -1
	s_delay_alu instid0(SALU_CYCLE_1)
	s_cmp_lg_u32 s9, 0
	s_waitcnt lgkmcnt(0)
	v_add_nc_u32_e32 v1, v3, v1
	s_cbranch_scc1 .LBB105_73
.LBB105_74:                             ;   in Loop: Header=BB105_12 Depth=1
	v_add_lshl_u32 v2, s7, v14, 2
	ds_store_b32 v2, v1 offset:3072
.LBB105_75:                             ;   in Loop: Header=BB105_12 Depth=1
	s_or_b32 exec_lo, exec_lo, s8
	s_lshl_b32 s7, s7, 2
	s_waitcnt lgkmcnt(0)
	v_mov_b32_e32 v1, s7
	s_barrier
	buffer_gl0_inv
	s_and_b32 s16, s69, 0xfe
	s_mov_b32 s12, -1
	ds_load_b128 v[1:4], v1 offset:3072
	s_lshl_b32 s10, 3, s16
	s_delay_alu instid0(SALU_CYCLE_1) | instskip(SKIP_4) | instid1(VALU_DEP_3)
	s_not_b32 s17, s10
	s_waitcnt lgkmcnt(0)
	v_readfirstlane_b32 s11, v1
	v_readfirstlane_b32 s19, v2
	;; [unrolled: 1-line block ×3, first 2 shown]
	s_cmp_eq_u32 s11, 1
	s_cselect_b32 s7, -1, 0
	s_cmp_eq_u32 s76, 1
	s_cselect_b32 s8, -1, 0
	s_delay_alu instid0(SALU_CYCLE_1)
	s_and_b32 s13, s7, s8
	v_readfirstlane_b32 s8, v4
	s_and_b32 vcc_lo, exec_lo, s13
	s_cbranch_vccz .LBB105_87
; %bb.76:                               ;   in Loop: Header=BB105_12 Depth=1
	ds_load_b32 v1, v7 offset:4104
	s_waitcnt lgkmcnt(0)
	s_barrier
	buffer_gl0_inv
	v_readfirstlane_b32 s9, v1
	s_and_saveexec_b32 s7, s1
	s_cbranch_execz .LBB105_78
; %bb.77:                               ;   in Loop: Header=BB105_12 Depth=1
	ds_store_b16 v17, v7
.LBB105_78:                             ;   in Loop: Header=BB105_12 Depth=1
	s_or_b32 exec_lo, exec_lo, s7
	s_and_b32 s74, s74, s17
	s_or_b32 s75, s75, s10
	s_cmp_eq_u32 s9, 0
	s_waitcnt lgkmcnt(0)
	s_barrier
	buffer_gl0_inv
	s_cbranch_scc1 .LBB105_88
; %bb.79:                               ;   in Loop: Header=BB105_12 Depth=1
	s_add_i32 s7, s9, s51
                                        ; implicit-def: $vgpr26
	s_delay_alu instid0(SALU_CYCLE_1) | instskip(NEXT) | instid1(SALU_CYCLE_1)
	s_mul_hi_u32 s15, s7, s61
	s_mul_i32 s15, s15, s47
	s_delay_alu instid0(SALU_CYCLE_1) | instskip(NEXT) | instid1(SALU_CYCLE_1)
	s_sub_i32 s15, s7, s15
	s_sub_i32 s18, s15, s47
	s_cmp_ge_u32 s15, s47
	s_cselect_b32 s15, s18, s15
	s_delay_alu instid0(SALU_CYCLE_1) | instskip(SKIP_2) | instid1(SALU_CYCLE_1)
	s_sub_i32 s18, s15, s47
	s_cmp_ge_u32 s15, s47
	s_cselect_b32 s15, s18, s15
	s_sub_i32 s18, s7, s15
	s_mov_b32 s7, 0
	s_mov_b32 s15, exec_lo
	v_cmpx_gt_u32_e64 s18, v0
	s_cbranch_execz .LBB105_90
; %bb.80:                               ;   in Loop: Header=BB105_12 Depth=1
	v_mov_b32_e32 v1, v16
	v_mov_b32_e32 v2, v0
	s_mov_b32 s20, 0
                                        ; implicit-def: $sgpr21
	s_set_inst_prefetch_distance 0x1
	s_branch .LBB105_82
	.p2align	6
.LBB105_81:                             ;   in Loop: Header=BB105_82 Depth=2
	s_or_b32 exec_lo, exec_lo, s7
	s_waitcnt lgkmcnt(0)
	s_barrier
	buffer_gl0_inv
	ds_load_b32 v3, v7 offset:3072
	v_add_nc_u32_e32 v2, s47, v2
	v_add_nc_u32_e32 v1, s65, v1
	s_waitcnt lgkmcnt(0)
	s_barrier
	buffer_gl0_inv
	v_cmp_le_u32_e32 vcc_lo, s18, v2
	v_cmp_ne_u16_e64 s7, 0, v3
	s_delay_alu instid0(VALU_DEP_1) | instskip(NEXT) | instid1(SALU_CYCLE_1)
	s_or_b32 s22, vcc_lo, s7
	s_and_b32 s22, exec_lo, s22
	s_delay_alu instid0(SALU_CYCLE_1) | instskip(SKIP_2) | instid1(SALU_CYCLE_1)
	s_or_b32 s20, s22, s20
	s_and_not1_b32 s21, s21, exec_lo
	s_and_b32 s7, s7, exec_lo
	s_or_b32 s21, s21, s7
	s_and_not1_b32 exec_lo, exec_lo, s20
	s_cbranch_execz .LBB105_89
.LBB105_82:                             ;   Parent Loop BB105_12 Depth=1
                                        ; =>  This Inner Loop Header: Depth=2
	s_delay_alu instid0(VALU_DEP_1)
	v_cmp_gt_u32_e32 vcc_lo, s9, v2
	v_mov_b32_e32 v3, 0
	s_and_saveexec_b32 s7, vcc_lo
	s_cbranch_execz .LBB105_84
; %bb.83:                               ;   in Loop: Header=BB105_82 Depth=2
	ds_load_u16 v3, v1
.LBB105_84:                             ;   in Loop: Header=BB105_82 Depth=2
	s_or_b32 exec_lo, exec_lo, s7
	s_and_saveexec_b32 s7, vcc_lo
	s_cbranch_execz .LBB105_81
; %bb.85:                               ;   in Loop: Header=BB105_82 Depth=2
	s_waitcnt lgkmcnt(0)
	v_bfe_i32 v4, v3, 0, 16
	s_delay_alu instid0(VALU_DEP_1) | instskip(NEXT) | instid1(VALU_DEP_1)
	v_add_nc_u32_e32 v4, 0x8000, v4
	v_and_b32_e32 v4, s75, v4
	s_delay_alu instid0(VALU_DEP_1)
	v_cmp_eq_u32_e32 vcc_lo, s74, v4
	s_and_b32 exec_lo, exec_lo, vcc_lo
	s_cbranch_execz .LBB105_81
; %bb.86:                               ;   in Loop: Header=BB105_82 Depth=2
	v_perm_b32 v3, v3, 1, 0x5040100
	ds_store_b32 v7, v3 offset:3072
	s_branch .LBB105_81
.LBB105_87:                             ;   in Loop: Header=BB105_12 Depth=1
	s_mov_b32 s7, -1
                                        ; implicit-def: $sgpr9
                                        ; implicit-def: $sgpr18
                                        ; implicit-def: $sgpr15
	s_branch .LBB105_101
.LBB105_88:                             ;   in Loop: Header=BB105_12 Depth=1
	s_mov_b32 s9, -1
	s_mov_b32 s7, 0
                                        ; implicit-def: $sgpr15
                                        ; implicit-def: $vgpr26
	s_mov_b32 s18, s9
	s_cbranch_execnz .LBB105_91
	s_branch .LBB105_101
.LBB105_89:                             ;   in Loop: Header=BB105_12 Depth=1
	s_set_inst_prefetch_distance 0x2
	s_or_b32 exec_lo, exec_lo, s20
	v_lshrrev_b32_e32 v26, 16, v3
	s_and_b32 s7, s21, exec_lo
.LBB105_90:                             ;   in Loop: Header=BB105_12 Depth=1
	s_or_b32 exec_lo, exec_lo, s15
	s_mov_b32 s15, -1
	s_mov_b32 s9, 0
	s_delay_alu instid0(SALU_CYCLE_1)
	s_mov_b32 s18, s9
	s_branch .LBB105_101
.LBB105_91:                             ;   in Loop: Header=BB105_12 Depth=1
	s_mov_b32 s7, 0
                                        ; implicit-def: $vgpr26
	s_and_saveexec_b32 s9, s6
	s_cbranch_execz .LBB105_100
; %bb.92:                               ;   in Loop: Header=BB105_12 Depth=1
	v_dual_mov_b32 v6, v5 :: v_dual_mov_b32 v1, v0
	s_mov_b32 s15, 0
                                        ; implicit-def: $sgpr18
	s_set_inst_prefetch_distance 0x1
	s_branch .LBB105_94
	.p2align	6
.LBB105_93:                             ;   in Loop: Header=BB105_94 Depth=2
	s_or_b32 exec_lo, exec_lo, s7
	s_waitcnt vmcnt(0) lgkmcnt(0)
	s_barrier
	buffer_gl0_inv
	ds_load_b32 v2, v7 offset:3072
	v_add_nc_u32_e32 v1, s47, v1
	v_add_nc_u32_e32 v6, s50, v6
	s_waitcnt lgkmcnt(0)
	s_barrier
	buffer_gl0_inv
	v_cmp_le_u32_e32 vcc_lo, s62, v1
	v_cmp_ne_u16_e64 s7, 0, v2
	s_delay_alu instid0(VALU_DEP_1) | instskip(NEXT) | instid1(SALU_CYCLE_1)
	s_or_b32 s20, vcc_lo, s7
	s_and_b32 s20, exec_lo, s20
	s_delay_alu instid0(SALU_CYCLE_1) | instskip(SKIP_2) | instid1(SALU_CYCLE_1)
	s_or_b32 s15, s20, s15
	s_and_not1_b32 s18, s18, exec_lo
	s_and_b32 s7, s7, exec_lo
	s_or_b32 s18, s18, s7
	s_and_not1_b32 exec_lo, exec_lo, s15
	s_cbranch_execz .LBB105_99
.LBB105_94:                             ;   Parent Loop BB105_12 Depth=1
                                        ; =>  This Inner Loop Header: Depth=2
	s_delay_alu instid0(VALU_DEP_1)
	v_cmp_gt_u32_e32 vcc_lo, s28, v1
	v_mov_b32_e32 v2, 0
	s_and_saveexec_b32 s20, vcc_lo
	s_cbranch_execz .LBB105_96
; %bb.95:                               ;   in Loop: Header=BB105_94 Depth=2
	v_lshlrev_b64 v[2:3], 1, v[6:7]
	s_delay_alu instid0(VALU_DEP_1) | instskip(NEXT) | instid1(VALU_DEP_1)
	v_add_co_u32 v2, s7, s45, v2
	v_add_co_ci_u32_e64 v3, s7, s46, v3, s7
	global_load_u16 v2, v[2:3], off
.LBB105_96:                             ;   in Loop: Header=BB105_94 Depth=2
	s_or_b32 exec_lo, exec_lo, s20
	s_and_saveexec_b32 s7, vcc_lo
	s_cbranch_execz .LBB105_93
; %bb.97:                               ;   in Loop: Header=BB105_94 Depth=2
	s_waitcnt vmcnt(0)
	v_bfe_i32 v3, v2, 0, 16
	s_delay_alu instid0(VALU_DEP_1) | instskip(NEXT) | instid1(VALU_DEP_1)
	v_add_nc_u32_e32 v3, 0x8000, v3
	v_and_b32_e32 v3, s75, v3
	s_delay_alu instid0(VALU_DEP_1)
	v_cmp_eq_u32_e32 vcc_lo, s74, v3
	s_and_b32 exec_lo, exec_lo, vcc_lo
	s_cbranch_execz .LBB105_93
; %bb.98:                               ;   in Loop: Header=BB105_94 Depth=2
	v_perm_b32 v2, v2, 1, 0x5040100
	ds_store_b32 v7, v2 offset:3072
	s_branch .LBB105_93
.LBB105_99:                             ;   in Loop: Header=BB105_12 Depth=1
	s_set_inst_prefetch_distance 0x2
	s_or_b32 exec_lo, exec_lo, s15
	v_lshrrev_b32_e32 v26, 16, v2
	s_and_b32 s7, s18, exec_lo
.LBB105_100:                            ;   in Loop: Header=BB105_12 Depth=1
	s_or_b32 exec_lo, exec_lo, s9
	s_mov_b32 s18, -1
	s_mov_b32 s9, 0
	s_mov_b32 s15, 0
.LBB105_101:                            ;   in Loop: Header=BB105_12 Depth=1
	s_and_not1_b32 s20, s70, exec_lo
	s_and_b32 s9, s9, exec_lo
	s_and_b32 s18, s18, exec_lo
	s_or_b32 s70, s20, s9
	s_and_not1_b32 s9, s73, exec_lo
	s_and_not1_b32 s20, s71, exec_lo
	s_and_b32 s15, s15, exec_lo
	s_or_b32 s73, s9, s18
	s_or_b32 s71, s20, s15
	s_and_saveexec_b32 s9, s7
	s_cbranch_execz .LBB105_11
; %bb.102:                              ;   in Loop: Header=BB105_12 Depth=1
	s_xor_b32 s7, s13, -1
	s_mov_b32 s12, 0
	s_and_not1_b32 vcc_lo, exec_lo, s7
	s_mov_b32 s20, 1
	s_cbranch_vccnz .LBB105_113
; %bb.103:                              ;   in Loop: Header=BB105_12 Depth=1
	s_cmp_gt_u32 s76, s11
	s_mov_b32 s12, -1
                                        ; implicit-def: $sgpr7
                                        ; implicit-def: $sgpr13
                                        ; implicit-def: $sgpr15
	s_cbranch_scc1 .LBB105_109
; %bb.104:                              ;   in Loop: Header=BB105_12 Depth=1
	ds_load_b32 v1, v7 offset:4104
	s_waitcnt lgkmcnt(0)
	v_cmp_ne_u32_e32 vcc_lo, 0, v1
	s_cbranch_vccnz .LBB105_108
; %bb.105:                              ;   in Loop: Header=BB105_12 Depth=1
	s_and_saveexec_b32 s7, s2
	s_cbranch_execz .LBB105_107
; %bb.106:                              ;   in Loop: Header=BB105_12 Depth=1
	v_mov_b32_e32 v1, s11
	ds_store_b32 v7, v1 offset:4108
.LBB105_107:                            ;   in Loop: Header=BB105_12 Depth=1
	s_or_b32 exec_lo, exec_lo, s7
	s_waitcnt lgkmcnt(0)
	s_barrier
	buffer_gl0_inv
.LBB105_108:                            ;   in Loop: Header=BB105_12 Depth=1
	s_and_b32 s13, s74, s17
	s_or_b32 s15, s75, s10
	s_mov_b32 s12, 0
	s_mov_b32 s7, 8
.LBB105_109:                            ;   in Loop: Header=BB105_12 Depth=1
	s_and_not1_b32 vcc_lo, exec_lo, s12
	s_cbranch_vccnz .LBB105_111
; %bb.110:                              ;   in Loop: Header=BB105_12 Depth=1
	s_sub_i32 s76, s76, s11
	s_mov_b32 s12, -1
	s_mov_b32 s7, 0
	s_mov_b32 s13, s74
	;; [unrolled: 1-line block ×3, first 2 shown]
.LBB105_111:                            ;   in Loop: Header=BB105_12 Depth=1
	s_delay_alu instid0(SALU_CYCLE_1)
	s_mov_b32 s75, s15
	s_mov_b32 s74, s13
	;; [unrolled: 1-line block ×3, first 2 shown]
	s_and_b32 vcc_lo, exec_lo, s12
	s_mov_b32 s11, -1
	s_cbranch_vccnz .LBB105_114
.LBB105_112:                            ;   in Loop: Header=BB105_12 Depth=1
	s_mov_b32 s23, -1
                                        ; implicit-def: $sgpr12
                                        ; implicit-def: $sgpr15
                                        ; implicit-def: $sgpr13
                                        ; implicit-def: $sgpr76
	s_delay_alu instid0(SALU_CYCLE_1) | instskip(NEXT) | instid1(SALU_CYCLE_1)
	s_and_saveexec_b32 s8, s23
	s_xor_b32 s8, exec_lo, s8
	s_cbranch_execz .LBB105_10
	s_branch .LBB105_240
.LBB105_113:                            ;   in Loop: Header=BB105_12 Depth=1
	s_mov_b32 s7, 1
	s_and_b32 vcc_lo, exec_lo, s12
	s_mov_b32 s11, -1
	s_cbranch_vccz .LBB105_112
.LBB105_114:                            ;   in Loop: Header=BB105_12 Depth=1
	s_cmp_eq_u32 s19, 1
	s_mov_b32 s22, -1
	s_cselect_b32 s7, -1, 0
	s_cmp_eq_u32 s20, 1
	s_cselect_b32 s12, -1, 0
	s_delay_alu instid0(SALU_CYCLE_1) | instskip(NEXT) | instid1(SALU_CYCLE_1)
	s_and_b32 s21, s7, s12
	s_and_b32 vcc_lo, exec_lo, s21
	s_cbranch_vccz .LBB105_126
; %bb.115:                              ;   in Loop: Header=BB105_12 Depth=1
	ds_load_b32 v1, v7 offset:4104
	s_waitcnt lgkmcnt(0)
	s_barrier
	buffer_gl0_inv
	v_readfirstlane_b32 s12, v1
	s_and_saveexec_b32 s7, s1
	s_cbranch_execz .LBB105_117
; %bb.116:                              ;   in Loop: Header=BB105_12 Depth=1
	ds_store_b16 v17, v7
.LBB105_117:                            ;   in Loop: Header=BB105_12 Depth=1
	s_or_b32 exec_lo, exec_lo, s7
	s_lshl_b32 s7, 1, s16
	s_and_b32 s13, s74, s17
	s_or_b32 s75, s75, s10
	s_or_b32 s74, s13, s7
	s_cmp_eq_u32 s12, 0
	s_waitcnt lgkmcnt(0)
	s_barrier
	buffer_gl0_inv
	s_cbranch_scc1 .LBB105_130
; %bb.118:                              ;   in Loop: Header=BB105_12 Depth=1
	s_add_i32 s7, s12, s51
	s_mov_b32 s22, 0
	s_mul_hi_u32 s13, s7, s61
                                        ; implicit-def: $vgpr26
	s_delay_alu instid0(SALU_CYCLE_1) | instskip(NEXT) | instid1(SALU_CYCLE_1)
	s_mul_i32 s13, s13, s47
	s_sub_i32 s13, s7, s13
	s_delay_alu instid0(SALU_CYCLE_1) | instskip(SKIP_2) | instid1(SALU_CYCLE_1)
	s_sub_i32 s15, s13, s47
	s_cmp_ge_u32 s13, s47
	s_cselect_b32 s13, s15, s13
	s_sub_i32 s15, s13, s47
	s_cmp_ge_u32 s13, s47
	s_cselect_b32 s13, s15, s13
	s_delay_alu instid0(SALU_CYCLE_1)
	s_sub_i32 s15, s7, s13
	s_mov_b32 s13, exec_lo
	v_cmpx_gt_u32_e64 s15, v0
	s_cbranch_execz .LBB105_132
; %bb.119:                              ;   in Loop: Header=BB105_12 Depth=1
	v_mov_b32_e32 v1, v16
	v_mov_b32_e32 v2, v0
	s_mov_b32 s18, 0
                                        ; implicit-def: $sgpr22
	s_set_inst_prefetch_distance 0x1
	s_branch .LBB105_121
	.p2align	6
.LBB105_120:                            ;   in Loop: Header=BB105_121 Depth=2
	s_or_b32 exec_lo, exec_lo, s7
	s_waitcnt lgkmcnt(0)
	s_barrier
	buffer_gl0_inv
	ds_load_b32 v3, v7 offset:3072
	v_add_nc_u32_e32 v2, s47, v2
	v_add_nc_u32_e32 v1, s65, v1
	s_waitcnt lgkmcnt(0)
	s_barrier
	buffer_gl0_inv
	v_cmp_le_u32_e32 vcc_lo, s15, v2
	v_cmp_ne_u16_e64 s7, 0, v3
	s_delay_alu instid0(VALU_DEP_1) | instskip(NEXT) | instid1(SALU_CYCLE_1)
	s_or_b32 s23, vcc_lo, s7
	s_and_b32 s23, exec_lo, s23
	s_delay_alu instid0(SALU_CYCLE_1) | instskip(SKIP_2) | instid1(SALU_CYCLE_1)
	s_or_b32 s18, s23, s18
	s_and_not1_b32 s22, s22, exec_lo
	s_and_b32 s7, s7, exec_lo
	s_or_b32 s22, s22, s7
	s_and_not1_b32 exec_lo, exec_lo, s18
	s_cbranch_execz .LBB105_131
.LBB105_121:                            ;   Parent Loop BB105_12 Depth=1
                                        ; =>  This Inner Loop Header: Depth=2
	s_delay_alu instid0(VALU_DEP_1)
	v_cmp_gt_u32_e32 vcc_lo, s12, v2
	v_mov_b32_e32 v3, 0
	s_and_saveexec_b32 s7, vcc_lo
	s_cbranch_execz .LBB105_123
; %bb.122:                              ;   in Loop: Header=BB105_121 Depth=2
	ds_load_u16 v3, v1
.LBB105_123:                            ;   in Loop: Header=BB105_121 Depth=2
	s_or_b32 exec_lo, exec_lo, s7
	s_and_saveexec_b32 s7, vcc_lo
	s_cbranch_execz .LBB105_120
; %bb.124:                              ;   in Loop: Header=BB105_121 Depth=2
	s_waitcnt lgkmcnt(0)
	v_bfe_i32 v4, v3, 0, 16
	s_delay_alu instid0(VALU_DEP_1) | instskip(NEXT) | instid1(VALU_DEP_1)
	v_add_nc_u32_e32 v4, 0x8000, v4
	v_and_b32_e32 v4, s75, v4
	s_delay_alu instid0(VALU_DEP_1)
	v_cmp_eq_u32_e32 vcc_lo, s74, v4
	s_and_b32 exec_lo, exec_lo, vcc_lo
	s_cbranch_execz .LBB105_120
; %bb.125:                              ;   in Loop: Header=BB105_121 Depth=2
	v_perm_b32 v3, v3, 1, 0x5040100
	ds_store_b32 v7, v3 offset:3072
	s_branch .LBB105_120
.LBB105_126:                            ;   in Loop: Header=BB105_12 Depth=1
                                        ; implicit-def: $sgpr13
                                        ; implicit-def: $sgpr15
                                        ; implicit-def: $sgpr12
	s_branch .LBB105_143
.LBB105_127:                            ;   in Loop: Header=BB105_12 Depth=1
	s_or_b32 exec_lo, exec_lo, s9
	s_waitcnt lgkmcnt(0)
	s_barrier
	buffer_gl0_inv
	s_and_saveexec_b32 s7, s2
	s_cbranch_execz .LBB105_129
; %bb.128:                              ;   in Loop: Header=BB105_12 Depth=1
	ds_load_b32 v1, v7 offset:4112
	s_waitcnt lgkmcnt(0)
	ds_store_b32 v7, v1 offset:4104
.LBB105_129:                            ;   in Loop: Header=BB105_12 Depth=1
	s_or_b32 exec_lo, exec_lo, s7
	s_waitcnt lgkmcnt(0)
	s_mov_b32 s7, -1
	s_barrier
	s_and_b32 vcc_lo, exec_lo, s77
	s_cbranch_vccnz .LBB105_27
	s_branch .LBB105_37
.LBB105_130:                            ;   in Loop: Header=BB105_12 Depth=1
	s_mov_b32 s13, -1
	s_mov_b32 s22, 0
                                        ; implicit-def: $sgpr12
                                        ; implicit-def: $vgpr26
	s_mov_b32 s15, s13
	s_cbranch_execnz .LBB105_133
	s_branch .LBB105_143
.LBB105_131:                            ;   in Loop: Header=BB105_12 Depth=1
	s_set_inst_prefetch_distance 0x2
	s_or_b32 exec_lo, exec_lo, s18
	v_lshrrev_b32_e32 v26, 16, v3
	s_and_b32 s22, s22, exec_lo
.LBB105_132:                            ;   in Loop: Header=BB105_12 Depth=1
	s_or_b32 exec_lo, exec_lo, s13
	s_mov_b32 s12, -1
	s_mov_b32 s13, 0
	s_delay_alu instid0(SALU_CYCLE_1)
	s_mov_b32 s15, s13
	s_branch .LBB105_143
.LBB105_133:                            ;   in Loop: Header=BB105_12 Depth=1
	s_mov_b32 s22, 0
                                        ; implicit-def: $vgpr26
	s_and_saveexec_b32 s12, s6
	s_cbranch_execz .LBB105_142
; %bb.134:                              ;   in Loop: Header=BB105_12 Depth=1
	v_dual_mov_b32 v6, v5 :: v_dual_mov_b32 v1, v0
	s_mov_b32 s13, 0
                                        ; implicit-def: $sgpr15
	s_set_inst_prefetch_distance 0x1
	s_branch .LBB105_136
	.p2align	6
.LBB105_135:                            ;   in Loop: Header=BB105_136 Depth=2
	s_or_b32 exec_lo, exec_lo, s7
	s_waitcnt vmcnt(0) lgkmcnt(0)
	s_barrier
	buffer_gl0_inv
	ds_load_b32 v2, v7 offset:3072
	v_add_nc_u32_e32 v1, s47, v1
	v_add_nc_u32_e32 v6, s50, v6
	s_waitcnt lgkmcnt(0)
	s_barrier
	buffer_gl0_inv
	v_cmp_le_u32_e32 vcc_lo, s62, v1
	v_cmp_ne_u16_e64 s7, 0, v2
	s_delay_alu instid0(VALU_DEP_1) | instskip(NEXT) | instid1(SALU_CYCLE_1)
	s_or_b32 s18, vcc_lo, s7
	s_and_b32 s18, exec_lo, s18
	s_delay_alu instid0(SALU_CYCLE_1) | instskip(SKIP_2) | instid1(SALU_CYCLE_1)
	s_or_b32 s13, s18, s13
	s_and_not1_b32 s15, s15, exec_lo
	s_and_b32 s7, s7, exec_lo
	s_or_b32 s15, s15, s7
	s_and_not1_b32 exec_lo, exec_lo, s13
	s_cbranch_execz .LBB105_141
.LBB105_136:                            ;   Parent Loop BB105_12 Depth=1
                                        ; =>  This Inner Loop Header: Depth=2
	s_delay_alu instid0(VALU_DEP_1)
	v_cmp_gt_u32_e32 vcc_lo, s28, v1
	v_mov_b32_e32 v2, 0
	s_and_saveexec_b32 s18, vcc_lo
	s_cbranch_execz .LBB105_138
; %bb.137:                              ;   in Loop: Header=BB105_136 Depth=2
	v_lshlrev_b64 v[2:3], 1, v[6:7]
	s_delay_alu instid0(VALU_DEP_1) | instskip(NEXT) | instid1(VALU_DEP_1)
	v_add_co_u32 v2, s7, s45, v2
	v_add_co_ci_u32_e64 v3, s7, s46, v3, s7
	global_load_u16 v2, v[2:3], off
.LBB105_138:                            ;   in Loop: Header=BB105_136 Depth=2
	s_or_b32 exec_lo, exec_lo, s18
	s_and_saveexec_b32 s7, vcc_lo
	s_cbranch_execz .LBB105_135
; %bb.139:                              ;   in Loop: Header=BB105_136 Depth=2
	s_waitcnt vmcnt(0)
	v_bfe_i32 v3, v2, 0, 16
	s_delay_alu instid0(VALU_DEP_1) | instskip(NEXT) | instid1(VALU_DEP_1)
	v_add_nc_u32_e32 v3, 0x8000, v3
	v_and_b32_e32 v3, s75, v3
	s_delay_alu instid0(VALU_DEP_1)
	v_cmp_eq_u32_e32 vcc_lo, s74, v3
	s_and_b32 exec_lo, exec_lo, vcc_lo
	s_cbranch_execz .LBB105_135
; %bb.140:                              ;   in Loop: Header=BB105_136 Depth=2
	v_perm_b32 v2, v2, 1, 0x5040100
	ds_store_b32 v7, v2 offset:3072
	s_branch .LBB105_135
.LBB105_141:                            ;   in Loop: Header=BB105_12 Depth=1
	s_set_inst_prefetch_distance 0x2
	s_or_b32 exec_lo, exec_lo, s13
	v_lshrrev_b32_e32 v26, 16, v2
	s_and_b32 s22, s15, exec_lo
.LBB105_142:                            ;   in Loop: Header=BB105_12 Depth=1
	s_or_b32 exec_lo, exec_lo, s12
	s_mov_b32 s15, -1
	s_mov_b32 s13, 0
	s_mov_b32 s12, 0
.LBB105_143:                            ;   in Loop: Header=BB105_12 Depth=1
	s_mov_b32 s23, 0
                                        ; implicit-def: $sgpr7
	s_and_saveexec_b32 s18, s22
	s_cbranch_execz .LBB105_239
; %bb.144:                              ;   in Loop: Header=BB105_12 Depth=1
	s_xor_b32 s7, s21, -1
	s_mov_b32 s21, 0
	s_and_not1_b32 vcc_lo, exec_lo, s7
	s_mov_b32 s24, 1
	s_cbranch_vccnz .LBB105_155
; %bb.145:                              ;   in Loop: Header=BB105_12 Depth=1
	s_cmp_gt_u32 s20, s19
	s_mov_b32 s21, -1
                                        ; implicit-def: $sgpr7
                                        ; implicit-def: $sgpr22
                                        ; implicit-def: $sgpr23
	s_cbranch_scc1 .LBB105_151
; %bb.146:                              ;   in Loop: Header=BB105_12 Depth=1
	ds_load_b32 v1, v7 offset:4104
	s_waitcnt lgkmcnt(0)
	v_cmp_ne_u32_e32 vcc_lo, 0, v1
	s_cbranch_vccnz .LBB105_150
; %bb.147:                              ;   in Loop: Header=BB105_12 Depth=1
	s_and_saveexec_b32 s7, s2
	s_cbranch_execz .LBB105_149
; %bb.148:                              ;   in Loop: Header=BB105_12 Depth=1
	v_mov_b32_e32 v1, s19
	ds_store_b32 v7, v1 offset:4108
.LBB105_149:                            ;   in Loop: Header=BB105_12 Depth=1
	s_or_b32 exec_lo, exec_lo, s7
	s_waitcnt lgkmcnt(0)
	s_barrier
	buffer_gl0_inv
.LBB105_150:                            ;   in Loop: Header=BB105_12 Depth=1
	s_lshl_b32 s7, 1, s16
	s_and_b32 s21, s74, s17
	s_or_b32 s23, s75, s10
	s_or_b32 s22, s21, s7
	s_mov_b32 s21, 0
	s_mov_b32 s7, 8
.LBB105_151:                            ;   in Loop: Header=BB105_12 Depth=1
	s_and_not1_b32 vcc_lo, exec_lo, s21
	s_cbranch_vccnz .LBB105_153
; %bb.152:                              ;   in Loop: Header=BB105_12 Depth=1
	s_sub_i32 s20, s20, s19
	s_mov_b32 s21, -1
	s_mov_b32 s7, 0
	s_mov_b32 s22, s74
	;; [unrolled: 1-line block ×3, first 2 shown]
.LBB105_153:                            ;   in Loop: Header=BB105_12 Depth=1
	s_delay_alu instid0(SALU_CYCLE_1)
	s_mov_b32 s75, s23
	s_mov_b32 s74, s22
	;; [unrolled: 1-line block ×3, first 2 shown]
	s_and_not1_b32 vcc_lo, exec_lo, s21
	s_mov_b32 s26, -1
	s_cbranch_vccz .LBB105_156
.LBB105_154:                            ;   in Loop: Header=BB105_12 Depth=1
                                        ; implicit-def: $sgpr20
                                        ; implicit-def: $sgpr21
                                        ; implicit-def: $sgpr19
	s_branch .LBB105_238
.LBB105_155:                            ;   in Loop: Header=BB105_12 Depth=1
	s_mov_b32 s7, 1
	s_and_not1_b32 vcc_lo, exec_lo, s21
	s_mov_b32 s26, -1
	s_cbranch_vccnz .LBB105_154
.LBB105_156:                            ;   in Loop: Header=BB105_12 Depth=1
	s_cmp_eq_u32 s14, 1
	s_mov_b32 s25, -1
	s_cselect_b32 s7, -1, 0
	s_cmp_eq_u32 s24, 1
	s_cselect_b32 s19, -1, 0
	s_delay_alu instid0(SALU_CYCLE_1) | instskip(NEXT) | instid1(SALU_CYCLE_1)
	s_and_b32 s23, s7, s19
	s_and_b32 vcc_lo, exec_lo, s23
	s_cbranch_vccz .LBB105_168
; %bb.157:                              ;   in Loop: Header=BB105_12 Depth=1
	ds_load_b32 v1, v7 offset:4104
	s_waitcnt lgkmcnt(0)
	s_barrier
	buffer_gl0_inv
	v_readfirstlane_b32 s19, v1
	s_and_saveexec_b32 s7, s1
	s_cbranch_execz .LBB105_159
; %bb.158:                              ;   in Loop: Header=BB105_12 Depth=1
	ds_store_b16 v17, v7
.LBB105_159:                            ;   in Loop: Header=BB105_12 Depth=1
	s_or_b32 exec_lo, exec_lo, s7
	s_lshl_b32 s7, 2, s16
	s_and_b32 s20, s74, s17
	s_or_b32 s75, s75, s10
	s_or_b32 s74, s20, s7
	s_cmp_eq_u32 s19, 0
	s_waitcnt lgkmcnt(0)
	s_barrier
	buffer_gl0_inv
	s_cbranch_scc1 .LBB105_169
; %bb.160:                              ;   in Loop: Header=BB105_12 Depth=1
	s_add_i32 s7, s19, s51
	s_mov_b32 s25, 0
	s_mul_hi_u32 s20, s7, s61
                                        ; implicit-def: $vgpr26
	s_delay_alu instid0(SALU_CYCLE_1) | instskip(NEXT) | instid1(SALU_CYCLE_1)
	s_mul_i32 s20, s20, s47
	s_sub_i32 s20, s7, s20
	s_delay_alu instid0(SALU_CYCLE_1) | instskip(SKIP_2) | instid1(SALU_CYCLE_1)
	s_sub_i32 s21, s20, s47
	s_cmp_ge_u32 s20, s47
	s_cselect_b32 s20, s21, s20
	s_sub_i32 s21, s20, s47
	s_cmp_ge_u32 s20, s47
	s_cselect_b32 s20, s21, s20
	s_delay_alu instid0(SALU_CYCLE_1)
	s_sub_i32 s21, s7, s20
	s_mov_b32 s20, exec_lo
	v_cmpx_gt_u32_e64 s21, v0
	s_cbranch_execz .LBB105_171
; %bb.161:                              ;   in Loop: Header=BB105_12 Depth=1
	v_mov_b32_e32 v1, v16
	v_mov_b32_e32 v2, v0
	s_mov_b32 s22, 0
                                        ; implicit-def: $sgpr25
	s_set_inst_prefetch_distance 0x1
	s_branch .LBB105_163
	.p2align	6
.LBB105_162:                            ;   in Loop: Header=BB105_163 Depth=2
	s_or_b32 exec_lo, exec_lo, s7
	s_waitcnt lgkmcnt(0)
	s_barrier
	buffer_gl0_inv
	ds_load_b32 v3, v7 offset:3072
	v_add_nc_u32_e32 v2, s47, v2
	v_add_nc_u32_e32 v1, s65, v1
	s_waitcnt lgkmcnt(0)
	s_barrier
	buffer_gl0_inv
	v_cmp_le_u32_e32 vcc_lo, s21, v2
	v_cmp_ne_u16_e64 s7, 0, v3
	s_delay_alu instid0(VALU_DEP_1) | instskip(NEXT) | instid1(SALU_CYCLE_1)
	s_or_b32 s26, vcc_lo, s7
	s_and_b32 s26, exec_lo, s26
	s_delay_alu instid0(SALU_CYCLE_1) | instskip(SKIP_2) | instid1(SALU_CYCLE_1)
	s_or_b32 s22, s26, s22
	s_and_not1_b32 s25, s25, exec_lo
	s_and_b32 s7, s7, exec_lo
	s_or_b32 s25, s25, s7
	s_and_not1_b32 exec_lo, exec_lo, s22
	s_cbranch_execz .LBB105_170
.LBB105_163:                            ;   Parent Loop BB105_12 Depth=1
                                        ; =>  This Inner Loop Header: Depth=2
	s_delay_alu instid0(VALU_DEP_1)
	v_cmp_gt_u32_e32 vcc_lo, s19, v2
	v_mov_b32_e32 v3, 0
	s_and_saveexec_b32 s7, vcc_lo
	s_cbranch_execz .LBB105_165
; %bb.164:                              ;   in Loop: Header=BB105_163 Depth=2
	ds_load_u16 v3, v1
.LBB105_165:                            ;   in Loop: Header=BB105_163 Depth=2
	s_or_b32 exec_lo, exec_lo, s7
	s_and_saveexec_b32 s7, vcc_lo
	s_cbranch_execz .LBB105_162
; %bb.166:                              ;   in Loop: Header=BB105_163 Depth=2
	s_waitcnt lgkmcnt(0)
	v_bfe_i32 v4, v3, 0, 16
	s_delay_alu instid0(VALU_DEP_1) | instskip(NEXT) | instid1(VALU_DEP_1)
	v_add_nc_u32_e32 v4, 0x8000, v4
	v_and_b32_e32 v4, s75, v4
	s_delay_alu instid0(VALU_DEP_1)
	v_cmp_eq_u32_e32 vcc_lo, s74, v4
	s_and_b32 exec_lo, exec_lo, vcc_lo
	s_cbranch_execz .LBB105_162
; %bb.167:                              ;   in Loop: Header=BB105_163 Depth=2
	v_perm_b32 v3, v3, 1, 0x5040100
	ds_store_b32 v7, v3 offset:3072
	s_branch .LBB105_162
.LBB105_168:                            ;   in Loop: Header=BB105_12 Depth=1
                                        ; implicit-def: $sgpr19
                                        ; implicit-def: $sgpr21
                                        ; implicit-def: $sgpr20
	s_branch .LBB105_182
.LBB105_169:                            ;   in Loop: Header=BB105_12 Depth=1
	s_mov_b32 s19, -1
	s_mov_b32 s25, 0
                                        ; implicit-def: $sgpr20
                                        ; implicit-def: $vgpr26
	s_mov_b32 s21, s19
	s_cbranch_execnz .LBB105_172
	s_branch .LBB105_182
.LBB105_170:                            ;   in Loop: Header=BB105_12 Depth=1
	s_set_inst_prefetch_distance 0x2
	s_or_b32 exec_lo, exec_lo, s22
	v_lshrrev_b32_e32 v26, 16, v3
	s_and_b32 s25, s25, exec_lo
.LBB105_171:                            ;   in Loop: Header=BB105_12 Depth=1
	s_or_b32 exec_lo, exec_lo, s20
	s_mov_b32 s20, -1
	s_mov_b32 s19, 0
	s_delay_alu instid0(SALU_CYCLE_1)
	s_mov_b32 s21, s19
	s_branch .LBB105_182
.LBB105_172:                            ;   in Loop: Header=BB105_12 Depth=1
	s_mov_b32 s25, 0
                                        ; implicit-def: $vgpr26
	s_and_saveexec_b32 s19, s6
	s_cbranch_execz .LBB105_181
; %bb.173:                              ;   in Loop: Header=BB105_12 Depth=1
	v_dual_mov_b32 v6, v5 :: v_dual_mov_b32 v1, v0
	s_mov_b32 s20, 0
                                        ; implicit-def: $sgpr21
	s_set_inst_prefetch_distance 0x1
	s_branch .LBB105_175
	.p2align	6
.LBB105_174:                            ;   in Loop: Header=BB105_175 Depth=2
	s_or_b32 exec_lo, exec_lo, s7
	s_waitcnt vmcnt(0) lgkmcnt(0)
	s_barrier
	buffer_gl0_inv
	ds_load_b32 v2, v7 offset:3072
	v_add_nc_u32_e32 v1, s47, v1
	v_add_nc_u32_e32 v6, s50, v6
	s_waitcnt lgkmcnt(0)
	s_barrier
	buffer_gl0_inv
	v_cmp_le_u32_e32 vcc_lo, s62, v1
	v_cmp_ne_u16_e64 s7, 0, v2
	s_delay_alu instid0(VALU_DEP_1) | instskip(NEXT) | instid1(SALU_CYCLE_1)
	s_or_b32 s22, vcc_lo, s7
	s_and_b32 s22, exec_lo, s22
	s_delay_alu instid0(SALU_CYCLE_1) | instskip(SKIP_2) | instid1(SALU_CYCLE_1)
	s_or_b32 s20, s22, s20
	s_and_not1_b32 s21, s21, exec_lo
	s_and_b32 s7, s7, exec_lo
	s_or_b32 s21, s21, s7
	s_and_not1_b32 exec_lo, exec_lo, s20
	s_cbranch_execz .LBB105_180
.LBB105_175:                            ;   Parent Loop BB105_12 Depth=1
                                        ; =>  This Inner Loop Header: Depth=2
	s_delay_alu instid0(VALU_DEP_1)
	v_cmp_gt_u32_e32 vcc_lo, s28, v1
	v_mov_b32_e32 v2, 0
	s_and_saveexec_b32 s22, vcc_lo
	s_cbranch_execz .LBB105_177
; %bb.176:                              ;   in Loop: Header=BB105_175 Depth=2
	v_lshlrev_b64 v[2:3], 1, v[6:7]
	s_delay_alu instid0(VALU_DEP_1) | instskip(NEXT) | instid1(VALU_DEP_1)
	v_add_co_u32 v2, s7, s45, v2
	v_add_co_ci_u32_e64 v3, s7, s46, v3, s7
	global_load_u16 v2, v[2:3], off
.LBB105_177:                            ;   in Loop: Header=BB105_175 Depth=2
	s_or_b32 exec_lo, exec_lo, s22
	s_and_saveexec_b32 s7, vcc_lo
	s_cbranch_execz .LBB105_174
; %bb.178:                              ;   in Loop: Header=BB105_175 Depth=2
	s_waitcnt vmcnt(0)
	v_bfe_i32 v3, v2, 0, 16
	s_delay_alu instid0(VALU_DEP_1) | instskip(NEXT) | instid1(VALU_DEP_1)
	v_add_nc_u32_e32 v3, 0x8000, v3
	v_and_b32_e32 v3, s75, v3
	s_delay_alu instid0(VALU_DEP_1)
	v_cmp_eq_u32_e32 vcc_lo, s74, v3
	s_and_b32 exec_lo, exec_lo, vcc_lo
	s_cbranch_execz .LBB105_174
; %bb.179:                              ;   in Loop: Header=BB105_175 Depth=2
	v_perm_b32 v2, v2, 1, 0x5040100
	ds_store_b32 v7, v2 offset:3072
	s_branch .LBB105_174
.LBB105_180:                            ;   in Loop: Header=BB105_12 Depth=1
	s_set_inst_prefetch_distance 0x2
	s_or_b32 exec_lo, exec_lo, s20
	v_lshrrev_b32_e32 v26, 16, v2
	s_and_b32 s25, s21, exec_lo
.LBB105_181:                            ;   in Loop: Header=BB105_12 Depth=1
	s_or_b32 exec_lo, exec_lo, s19
	s_mov_b32 s21, -1
	s_mov_b32 s19, 0
	s_mov_b32 s20, 0
.LBB105_182:                            ;   in Loop: Header=BB105_12 Depth=1
	s_mov_b32 s26, 0
                                        ; implicit-def: $sgpr7
	s_and_saveexec_b32 s22, s25
	s_cbranch_execz .LBB105_237
; %bb.183:                              ;   in Loop: Header=BB105_12 Depth=1
	s_xor_b32 s7, s23, -1
	s_mov_b32 s25, 0
	s_and_not1_b32 vcc_lo, exec_lo, s7
	s_mov_b32 s23, 1
	s_cbranch_vccnz .LBB105_194
; %bb.184:                              ;   in Loop: Header=BB105_12 Depth=1
	s_cmp_gt_u32 s24, s14
	s_mov_b32 s25, -1
                                        ; implicit-def: $sgpr7
                                        ; implicit-def: $sgpr23
                                        ; implicit-def: $sgpr26
	s_cbranch_scc1 .LBB105_190
; %bb.185:                              ;   in Loop: Header=BB105_12 Depth=1
	ds_load_b32 v1, v7 offset:4104
	s_waitcnt lgkmcnt(0)
	v_cmp_ne_u32_e32 vcc_lo, 0, v1
	s_cbranch_vccnz .LBB105_189
; %bb.186:                              ;   in Loop: Header=BB105_12 Depth=1
	s_and_saveexec_b32 s7, s2
	s_cbranch_execz .LBB105_188
; %bb.187:                              ;   in Loop: Header=BB105_12 Depth=1
	v_mov_b32_e32 v1, s14
	ds_store_b32 v7, v1 offset:4108
.LBB105_188:                            ;   in Loop: Header=BB105_12 Depth=1
	s_or_b32 exec_lo, exec_lo, s7
	s_waitcnt lgkmcnt(0)
	s_barrier
	buffer_gl0_inv
.LBB105_189:                            ;   in Loop: Header=BB105_12 Depth=1
	s_lshl_b32 s7, 2, s16
	s_and_b32 s16, s74, s17
	s_or_b32 s26, s75, s10
	s_or_b32 s23, s16, s7
	s_mov_b32 s25, 0
	s_mov_b32 s7, 8
.LBB105_190:                            ;   in Loop: Header=BB105_12 Depth=1
	s_and_not1_b32 vcc_lo, exec_lo, s25
	s_cbranch_vccnz .LBB105_192
; %bb.191:                              ;   in Loop: Header=BB105_12 Depth=1
	s_sub_i32 s24, s24, s14
	s_mov_b32 s25, -1
	s_mov_b32 s7, 0
	s_mov_b32 s23, s74
	;; [unrolled: 1-line block ×3, first 2 shown]
.LBB105_192:                            ;   in Loop: Header=BB105_12 Depth=1
	s_delay_alu instid0(SALU_CYCLE_1)
	s_mov_b32 s75, s26
	s_mov_b32 s74, s23
	;; [unrolled: 1-line block ×3, first 2 shown]
	s_and_not1_b32 vcc_lo, exec_lo, s25
	s_mov_b32 s76, -1
	s_cbranch_vccz .LBB105_195
.LBB105_193:                            ;   in Loop: Header=BB105_12 Depth=1
                                        ; implicit-def: $sgpr16
                                        ; implicit-def: $sgpr24
                                        ; implicit-def: $sgpr17
	s_branch .LBB105_236
.LBB105_194:                            ;   in Loop: Header=BB105_12 Depth=1
	s_mov_b32 s7, 1
	s_and_not1_b32 vcc_lo, exec_lo, s25
	s_mov_b32 s76, -1
	s_cbranch_vccnz .LBB105_193
.LBB105_195:                            ;   in Loop: Header=BB105_12 Depth=1
	s_cmp_eq_u32 s8, 1
	s_mov_b32 s25, -1
	s_cselect_b32 s7, -1, 0
	s_cmp_eq_u32 s23, 1
	s_cselect_b32 s14, -1, 0
	s_delay_alu instid0(SALU_CYCLE_1) | instskip(NEXT) | instid1(SALU_CYCLE_1)
	s_and_b32 s14, s7, s14
	s_and_b32 vcc_lo, exec_lo, s14
	s_cbranch_vccz .LBB105_207
; %bb.196:                              ;   in Loop: Header=BB105_12 Depth=1
	ds_load_b32 v1, v7 offset:4104
	s_waitcnt lgkmcnt(0)
	s_barrier
	buffer_gl0_inv
	v_readfirstlane_b32 s16, v1
	s_and_saveexec_b32 s7, s1
	s_cbranch_execz .LBB105_198
; %bb.197:                              ;   in Loop: Header=BB105_12 Depth=1
	ds_store_b16 v17, v7
.LBB105_198:                            ;   in Loop: Header=BB105_12 Depth=1
	s_or_b32 exec_lo, exec_lo, s7
	s_or_b32 s74, s74, s10
	s_or_b32 s75, s75, s10
	s_cmp_eq_u32 s16, 0
	s_waitcnt lgkmcnt(0)
	s_barrier
	buffer_gl0_inv
	s_cbranch_scc1 .LBB105_208
; %bb.199:                              ;   in Loop: Header=BB105_12 Depth=1
	s_add_i32 s7, s16, s51
	s_mov_b32 s25, 0
	s_mul_hi_u32 s17, s7, s61
                                        ; implicit-def: $vgpr26
	s_delay_alu instid0(SALU_CYCLE_1) | instskip(NEXT) | instid1(SALU_CYCLE_1)
	s_mul_i32 s17, s17, s47
	s_sub_i32 s17, s7, s17
	s_delay_alu instid0(SALU_CYCLE_1) | instskip(SKIP_2) | instid1(SALU_CYCLE_1)
	s_sub_i32 s24, s17, s47
	s_cmp_ge_u32 s17, s47
	s_cselect_b32 s17, s24, s17
	s_sub_i32 s24, s17, s47
	s_cmp_ge_u32 s17, s47
	s_cselect_b32 s17, s24, s17
	s_delay_alu instid0(SALU_CYCLE_1)
	s_sub_i32 s24, s7, s17
	s_mov_b32 s17, exec_lo
	v_cmpx_gt_u32_e64 s24, v0
	s_cbranch_execz .LBB105_210
; %bb.200:                              ;   in Loop: Header=BB105_12 Depth=1
	v_mov_b32_e32 v1, v16
	v_mov_b32_e32 v2, v0
                                        ; implicit-def: $sgpr26
	s_set_inst_prefetch_distance 0x1
	s_branch .LBB105_202
	.p2align	6
.LBB105_201:                            ;   in Loop: Header=BB105_202 Depth=2
	s_or_b32 exec_lo, exec_lo, s7
	s_waitcnt lgkmcnt(0)
	s_barrier
	buffer_gl0_inv
	ds_load_b32 v3, v7 offset:3072
	v_add_nc_u32_e32 v2, s47, v2
	v_add_nc_u32_e32 v1, s65, v1
	s_waitcnt lgkmcnt(0)
	s_barrier
	buffer_gl0_inv
	v_cmp_le_u32_e32 vcc_lo, s24, v2
	v_cmp_ne_u16_e64 s7, 0, v3
	s_delay_alu instid0(VALU_DEP_1) | instskip(NEXT) | instid1(SALU_CYCLE_1)
	s_or_b32 s76, vcc_lo, s7
	s_and_b32 s76, exec_lo, s76
	s_delay_alu instid0(SALU_CYCLE_1) | instskip(SKIP_2) | instid1(SALU_CYCLE_1)
	s_or_b32 s25, s76, s25
	s_and_not1_b32 s26, s26, exec_lo
	s_and_b32 s7, s7, exec_lo
	s_or_b32 s26, s26, s7
	s_and_not1_b32 exec_lo, exec_lo, s25
	s_cbranch_execz .LBB105_209
.LBB105_202:                            ;   Parent Loop BB105_12 Depth=1
                                        ; =>  This Inner Loop Header: Depth=2
	s_delay_alu instid0(VALU_DEP_1)
	v_cmp_gt_u32_e32 vcc_lo, s16, v2
	v_mov_b32_e32 v3, 0
	s_and_saveexec_b32 s7, vcc_lo
	s_cbranch_execz .LBB105_204
; %bb.203:                              ;   in Loop: Header=BB105_202 Depth=2
	ds_load_u16 v3, v1
.LBB105_204:                            ;   in Loop: Header=BB105_202 Depth=2
	s_or_b32 exec_lo, exec_lo, s7
	s_and_saveexec_b32 s7, vcc_lo
	s_cbranch_execz .LBB105_201
; %bb.205:                              ;   in Loop: Header=BB105_202 Depth=2
	s_waitcnt lgkmcnt(0)
	v_bfe_i32 v4, v3, 0, 16
	s_delay_alu instid0(VALU_DEP_1) | instskip(NEXT) | instid1(VALU_DEP_1)
	v_add_nc_u32_e32 v4, 0x8000, v4
	v_and_b32_e32 v4, s75, v4
	s_delay_alu instid0(VALU_DEP_1)
	v_cmp_eq_u32_e32 vcc_lo, s74, v4
	s_and_b32 exec_lo, exec_lo, vcc_lo
	s_cbranch_execz .LBB105_201
; %bb.206:                              ;   in Loop: Header=BB105_202 Depth=2
	v_perm_b32 v3, v3, 1, 0x5040100
	ds_store_b32 v7, v3 offset:3072
	s_branch .LBB105_201
.LBB105_207:                            ;   in Loop: Header=BB105_12 Depth=1
                                        ; implicit-def: $sgpr16
                                        ; implicit-def: $sgpr24
                                        ; implicit-def: $sgpr17
	s_branch .LBB105_221
.LBB105_208:                            ;   in Loop: Header=BB105_12 Depth=1
	s_mov_b32 s16, -1
	s_mov_b32 s25, 0
                                        ; implicit-def: $sgpr17
                                        ; implicit-def: $vgpr26
	s_mov_b32 s24, s16
	s_cbranch_execnz .LBB105_211
	s_branch .LBB105_221
.LBB105_209:                            ;   in Loop: Header=BB105_12 Depth=1
	s_set_inst_prefetch_distance 0x2
	s_or_b32 exec_lo, exec_lo, s25
	v_lshrrev_b32_e32 v26, 16, v3
	s_and_b32 s25, s26, exec_lo
.LBB105_210:                            ;   in Loop: Header=BB105_12 Depth=1
	s_or_b32 exec_lo, exec_lo, s17
	s_mov_b32 s17, -1
	s_mov_b32 s16, 0
	s_delay_alu instid0(SALU_CYCLE_1)
	s_mov_b32 s24, s16
	s_branch .LBB105_221
.LBB105_211:                            ;   in Loop: Header=BB105_12 Depth=1
	s_mov_b32 s25, 0
                                        ; implicit-def: $vgpr26
	s_and_saveexec_b32 s16, s6
	s_cbranch_execz .LBB105_220
; %bb.212:                              ;   in Loop: Header=BB105_12 Depth=1
	v_dual_mov_b32 v6, v5 :: v_dual_mov_b32 v1, v0
	s_mov_b32 s17, 0
                                        ; implicit-def: $sgpr24
	s_set_inst_prefetch_distance 0x1
	s_branch .LBB105_214
	.p2align	6
.LBB105_213:                            ;   in Loop: Header=BB105_214 Depth=2
	s_or_b32 exec_lo, exec_lo, s7
	s_waitcnt vmcnt(0) lgkmcnt(0)
	s_barrier
	buffer_gl0_inv
	ds_load_b32 v2, v7 offset:3072
	v_add_nc_u32_e32 v1, s47, v1
	v_add_nc_u32_e32 v6, s50, v6
	s_waitcnt lgkmcnt(0)
	s_barrier
	buffer_gl0_inv
	v_cmp_le_u32_e32 vcc_lo, s62, v1
	v_cmp_ne_u16_e64 s7, 0, v2
	s_delay_alu instid0(VALU_DEP_1) | instskip(NEXT) | instid1(SALU_CYCLE_1)
	s_or_b32 s25, vcc_lo, s7
	s_and_b32 s25, exec_lo, s25
	s_delay_alu instid0(SALU_CYCLE_1) | instskip(SKIP_2) | instid1(SALU_CYCLE_1)
	s_or_b32 s17, s25, s17
	s_and_not1_b32 s24, s24, exec_lo
	s_and_b32 s7, s7, exec_lo
	s_or_b32 s24, s24, s7
	s_and_not1_b32 exec_lo, exec_lo, s17
	s_cbranch_execz .LBB105_219
.LBB105_214:                            ;   Parent Loop BB105_12 Depth=1
                                        ; =>  This Inner Loop Header: Depth=2
	s_delay_alu instid0(VALU_DEP_1)
	v_cmp_gt_u32_e32 vcc_lo, s28, v1
	v_mov_b32_e32 v2, 0
	s_and_saveexec_b32 s25, vcc_lo
	s_cbranch_execz .LBB105_216
; %bb.215:                              ;   in Loop: Header=BB105_214 Depth=2
	v_lshlrev_b64 v[2:3], 1, v[6:7]
	s_delay_alu instid0(VALU_DEP_1) | instskip(NEXT) | instid1(VALU_DEP_1)
	v_add_co_u32 v2, s7, s45, v2
	v_add_co_ci_u32_e64 v3, s7, s46, v3, s7
	global_load_u16 v2, v[2:3], off
.LBB105_216:                            ;   in Loop: Header=BB105_214 Depth=2
	s_or_b32 exec_lo, exec_lo, s25
	s_and_saveexec_b32 s7, vcc_lo
	s_cbranch_execz .LBB105_213
; %bb.217:                              ;   in Loop: Header=BB105_214 Depth=2
	s_waitcnt vmcnt(0)
	v_bfe_i32 v3, v2, 0, 16
	s_delay_alu instid0(VALU_DEP_1) | instskip(NEXT) | instid1(VALU_DEP_1)
	v_add_nc_u32_e32 v3, 0x8000, v3
	v_and_b32_e32 v3, s75, v3
	s_delay_alu instid0(VALU_DEP_1)
	v_cmp_eq_u32_e32 vcc_lo, s74, v3
	s_and_b32 exec_lo, exec_lo, vcc_lo
	s_cbranch_execz .LBB105_213
; %bb.218:                              ;   in Loop: Header=BB105_214 Depth=2
	v_perm_b32 v2, v2, 1, 0x5040100
	ds_store_b32 v7, v2 offset:3072
	s_branch .LBB105_213
.LBB105_219:                            ;   in Loop: Header=BB105_12 Depth=1
	s_set_inst_prefetch_distance 0x2
	s_or_b32 exec_lo, exec_lo, s17
	v_lshrrev_b32_e32 v26, 16, v2
	s_and_b32 s25, s24, exec_lo
.LBB105_220:                            ;   in Loop: Header=BB105_12 Depth=1
	s_or_b32 exec_lo, exec_lo, s16
	s_mov_b32 s24, -1
	s_mov_b32 s16, 0
	s_mov_b32 s17, 0
.LBB105_221:                            ;   in Loop: Header=BB105_12 Depth=1
	s_mov_b32 s76, 0
                                        ; implicit-def: $sgpr7
	s_and_saveexec_b32 s26, s25
	s_cbranch_execz .LBB105_235
; %bb.222:                              ;   in Loop: Header=BB105_12 Depth=1
	s_xor_b32 s7, s14, -1
	s_delay_alu instid0(SALU_CYCLE_1)
	s_and_not1_b32 vcc_lo, exec_lo, s7
	s_mov_b32 s7, 1
	s_cbranch_vccnz .LBB105_229
; %bb.223:                              ;   in Loop: Header=BB105_12 Depth=1
	s_cmp_gt_u32 s23, s8
	s_cbranch_scc1 .LBB105_230
; %bb.224:                              ;   in Loop: Header=BB105_12 Depth=1
	ds_load_b32 v1, v7 offset:4104
	s_waitcnt lgkmcnt(0)
	v_cmp_ne_u32_e32 vcc_lo, 0, v1
	s_cbranch_vccnz .LBB105_228
; %bb.225:                              ;   in Loop: Header=BB105_12 Depth=1
	s_and_saveexec_b32 s7, s2
	s_cbranch_execz .LBB105_227
; %bb.226:                              ;   in Loop: Header=BB105_12 Depth=1
	v_mov_b32_e32 v1, s8
	ds_store_b32 v7, v1 offset:4108
.LBB105_227:                            ;   in Loop: Header=BB105_12 Depth=1
	s_or_b32 exec_lo, exec_lo, s7
	s_waitcnt lgkmcnt(0)
	s_barrier
	buffer_gl0_inv
.LBB105_228:                            ;   in Loop: Header=BB105_12 Depth=1
	s_or_b32 s14, s74, s10
	s_or_b32 s10, s75, s10
	s_mov_b32 s25, 0
	s_mov_b32 s7, 8
	s_branch .LBB105_231
.LBB105_229:                            ;   in Loop: Header=BB105_12 Depth=1
	s_mov_b32 s23, 1
	s_branch .LBB105_234
.LBB105_230:                            ;   in Loop: Header=BB105_12 Depth=1
	s_mov_b32 s25, -1
                                        ; implicit-def: $sgpr7
                                        ; implicit-def: $sgpr14
                                        ; implicit-def: $sgpr10
.LBB105_231:                            ;   in Loop: Header=BB105_12 Depth=1
	s_delay_alu instid0(SALU_CYCLE_1)
	s_and_not1_b32 vcc_lo, exec_lo, s25
	s_cbranch_vccnz .LBB105_233
; %bb.232:                              ;   in Loop: Header=BB105_12 Depth=1
	s_sub_i32 s23, s23, s8
	s_mov_b32 s7, 8
	s_mov_b32 s14, s74
	;; [unrolled: 1-line block ×3, first 2 shown]
.LBB105_233:                            ;   in Loop: Header=BB105_12 Depth=1
	s_mov_b32 s74, s14
	s_mov_b32 s75, s10
.LBB105_234:                            ;   in Loop: Header=BB105_12 Depth=1
	s_mov_b32 s76, exec_lo
.LBB105_235:                            ;   in Loop: Header=BB105_12 Depth=1
	s_or_b32 exec_lo, exec_lo, s26
.LBB105_236:                            ;   in Loop: Header=BB105_12 Depth=1
	s_delay_alu instid0(SALU_CYCLE_1)
	s_and_not1_b32 s8, s19, exec_lo
	s_and_b32 s10, s16, exec_lo
	s_and_not1_b32 s14, s20, exec_lo
	s_or_b32 s19, s8, s10
	s_and_not1_b32 s8, s21, exec_lo
	s_and_b32 s10, s24, exec_lo
	s_and_b32 s16, s17, exec_lo
	s_or_b32 s21, s8, s10
	s_or_b32 s20, s14, s16
	s_and_b32 s26, s76, exec_lo
	s_mov_b32 s24, s23
.LBB105_237:                            ;   in Loop: Header=BB105_12 Depth=1
	s_or_b32 exec_lo, exec_lo, s22
.LBB105_238:                            ;   in Loop: Header=BB105_12 Depth=1
	s_delay_alu instid0(SALU_CYCLE_1)
	s_and_not1_b32 s8, s13, exec_lo
	s_and_b32 s10, s19, exec_lo
	s_and_not1_b32 s12, s12, exec_lo
	s_or_b32 s13, s8, s10
	s_and_not1_b32 s8, s15, exec_lo
	s_and_b32 s10, s21, exec_lo
	s_and_b32 s14, s20, exec_lo
	s_or_b32 s15, s8, s10
	s_or_b32 s12, s12, s14
	s_and_b32 s23, s26, exec_lo
	s_mov_b32 s20, s24
.LBB105_239:                            ;   in Loop: Header=BB105_12 Depth=1
	s_or_b32 exec_lo, exec_lo, s18
                                        ; implicit-def: $sgpr76
	s_and_saveexec_b32 s8, s23
	s_delay_alu instid0(SALU_CYCLE_1)
	s_xor_b32 s8, exec_lo, s8
	s_cbranch_execz .LBB105_10
.LBB105_240:                            ;   in Loop: Header=BB105_12 Depth=1
	s_and_b32 s7, s7, -9
	s_delay_alu instid0(SALU_CYCLE_1)
	s_cmp_eq_u32 s7, 0
	s_cbranch_scc1 .LBB105_8
; %bb.241:                              ;   in Loop: Header=BB105_12 Depth=1
	s_mov_b32 s7, -1
	s_mov_b32 s10, -1
                                        ; implicit-def: $sgpr75
                                        ; implicit-def: $sgpr20
                                        ; implicit-def: $sgpr69
                                        ; implicit-def: $sgpr72
	s_branch .LBB105_9
.LBB105_242:
	s_or_b32 exec_lo, exec_lo, s27
	s_xor_b32 s4, s68, -1
	s_xor_b32 s1, s66, -1
	;; [unrolled: 1-line block ×3, first 2 shown]
	s_mov_b32 s2, 0
	s_and_saveexec_b32 s5, s1
	s_delay_alu instid0(SALU_CYCLE_1)
	s_xor_b32 s1, exec_lo, s5
	s_cbranch_execz .LBB105_256
; %bb.243:
	s_and_saveexec_b32 s2, s4
	s_delay_alu instid0(SALU_CYCLE_1)
	s_xor_b32 s4, exec_lo, s2
	s_cbranch_execz .LBB105_254
; %bb.244:
	s_and_saveexec_b32 s2, s3
	s_delay_alu instid0(SALU_CYCLE_1)
	s_xor_b32 s2, exec_lo, s2
; %bb.245:
	v_xor_b32_e32 v26, 0xffff8000, v1
; %bb.246:
	s_or_b32 exec_lo, exec_lo, s2
	s_mul_i32 s2, s48, s44
	s_add_i32 s3, s48, 1
	s_sub_i32 s2, s33, s2
	v_mov_b32_e32 v6, 0
	s_sub_i32 s5, s2, s44
	s_cmp_ge_u32 s2, s44
	s_cselect_b32 s3, s3, s48
	s_cselect_b32 s2, s5, s2
	s_add_i32 s5, s3, 1
	s_cmp_ge_u32 s2, s44
	s_cselect_b32 s2, s5, s3
	s_delay_alu instid0(SALU_CYCLE_1) | instskip(SKIP_2) | instid1(SALU_CYCLE_1)
	s_mul_i32 s3, s2, s44
	s_mul_i32 s2, s2, s40
	s_sub_i32 s3, s33, s3
	s_mul_i32 s5, s3, s41
	s_mov_b32 s3, 0
	s_add_i32 s2, s2, s5
	s_delay_alu instid0(SALU_CYCLE_1) | instskip(NEXT) | instid1(SALU_CYCLE_1)
	s_lshl_b64 s[6:7], s[2:3], 1
	s_add_u32 s6, s38, s6
	s_addc_u32 s7, s39, s7
	global_store_b16 v6, v26, s[6:7]
	s_and_saveexec_b32 s2, s0
	s_cbranch_execz .LBB105_253
; %bb.247:
                                        ; implicit-def: $sgpr0
                                        ; implicit-def: $sgpr6
                                        ; implicit-def: $sgpr5
	s_set_inst_prefetch_distance 0x1
	s_branch .LBB105_249
	.p2align	6
.LBB105_248:                            ;   in Loop: Header=BB105_249 Depth=1
	s_or_b32 exec_lo, exec_lo, s7
	s_delay_alu instid0(SALU_CYCLE_1) | instskip(NEXT) | instid1(SALU_CYCLE_1)
	s_and_b32 s7, exec_lo, s6
	s_or_b32 s3, s7, s3
	s_and_not1_b32 s0, s0, exec_lo
	s_and_b32 s7, s5, exec_lo
	s_delay_alu instid0(SALU_CYCLE_1)
	s_or_b32 s0, s0, s7
	s_and_not1_b32 exec_lo, exec_lo, s3
	s_cbranch_execz .LBB105_251
.LBB105_249:                            ; =>This Inner Loop Header: Depth=1
	v_lshlrev_b64 v[1:2], 1, v[5:6]
	s_or_b32 s5, s5, exec_lo
	s_or_b32 s6, s6, exec_lo
	s_mov_b32 s7, exec_lo
	s_delay_alu instid0(VALU_DEP_1) | instskip(NEXT) | instid1(VALU_DEP_2)
	v_add_co_u32 v1, vcc_lo, s45, v1
	v_add_co_ci_u32_e32 v2, vcc_lo, s46, v2, vcc_lo
	global_load_u16 v2, v[1:2], off
	v_mov_b32_e32 v1, v0
                                        ; implicit-def: $vgpr0
	s_waitcnt vmcnt(0)
	v_cmpx_ne_u16_e64 v2, v26
	s_cbranch_execz .LBB105_248
; %bb.250:                              ;   in Loop: Header=BB105_249 Depth=1
	s_delay_alu instid0(VALU_DEP_2) | instskip(SKIP_3) | instid1(VALU_DEP_2)
	v_add_nc_u32_e32 v0, s47, v1
	s_and_not1_b32 s6, s6, exec_lo
	v_add_nc_u32_e32 v5, s50, v5
	s_and_not1_b32 s5, s5, exec_lo
	v_cmp_le_u32_e32 vcc_lo, s28, v0
	s_and_b32 s8, vcc_lo, exec_lo
	s_delay_alu instid0(SALU_CYCLE_1)
	s_or_b32 s6, s6, s8
	s_branch .LBB105_248
.LBB105_251:
	s_set_inst_prefetch_distance 0x2
	s_or_b32 exec_lo, exec_lo, s3
	s_and_saveexec_b32 s3, s0
	s_delay_alu instid0(SALU_CYCLE_1)
	s_xor_b32 s3, exec_lo, s3
	s_cbranch_execz .LBB105_253
; %bb.252:
	s_mul_i32 s0, s31, s29
	s_add_i32 s3, s31, 1
	s_sub_i32 s0, s33, s0
	s_mov_b32 s7, 0
	s_sub_i32 s5, s0, s29
	s_cmp_ge_u32 s0, s29
	v_mov_b32_e32 v2, 0
	s_cselect_b32 s3, s3, s31
	s_cselect_b32 s0, s5, s0
	s_add_i32 s5, s3, 1
	s_cmp_ge_u32 s0, s29
	s_cselect_b32 s0, s5, s3
	s_delay_alu instid0(SALU_CYCLE_1) | instskip(SKIP_2) | instid1(SALU_CYCLE_1)
	s_mul_i32 s3, s0, s29
	s_mul_i32 s0, s0, s36
	s_sub_i32 s3, s33, s3
	s_mul_i32 s3, s3, s37
	s_delay_alu instid0(SALU_CYCLE_1) | instskip(NEXT) | instid1(SALU_CYCLE_1)
	s_add_i32 s6, s0, s3
	s_lshl_b64 s[6:7], s[6:7], 3
	s_delay_alu instid0(SALU_CYCLE_1)
	s_add_u32 s6, s34, s6
	s_addc_u32 s7, s35, s7
	global_store_b64 v2, v[1:2], s[6:7]
.LBB105_253:
	s_or_b32 exec_lo, exec_lo, s2
.LBB105_254:
	s_or_saveexec_b32 s0, s4
	s_mov_b32 s2, 0
	s_xor_b32 exec_lo, exec_lo, s0
	s_cbranch_execnz .LBB105_262
.LBB105_255:
	s_or_b32 exec_lo, exec_lo, s0
	s_delay_alu instid0(SALU_CYCLE_1)
	s_and_b32 s2, s2, exec_lo
.LBB105_256:
	s_and_not1_saveexec_b32 s0, s1
	s_cbranch_execnz .LBB105_260
; %bb.257:
	s_or_b32 exec_lo, exec_lo, s0
	s_and_saveexec_b32 s0, s2
.LBB105_258:
	; divergent unreachable
.LBB105_259:
	s_nop 0
	s_sendmsg sendmsg(MSG_DEALLOC_VGPRS)
	s_endpgm
.LBB105_260:
	s_cbranch_execnz .LBB105_264
; %bb.261:
	s_or_b32 s2, s2, exec_lo
	s_or_b32 exec_lo, exec_lo, s0
	s_and_saveexec_b32 s0, s2
	s_cbranch_execnz .LBB105_258
	s_branch .LBB105_259
.LBB105_262:
	s_cbranch_execnz .LBB105_266
; %bb.263:
	s_mov_b32 s2, exec_lo
	s_branch .LBB105_255
.LBB105_264:
	s_trap 2
	s_sendmsg_rtn_b32 s0, sendmsg(MSG_RTN_GET_DOORBELL)
	s_mov_b32 ttmp2, m0
	s_waitcnt lgkmcnt(0)
	s_and_b32 s0, s0, 0x3ff
	s_delay_alu instid0(SALU_CYCLE_1) | instskip(NEXT) | instid1(SALU_CYCLE_1)
	s_bitset1_b32 s0, 10
	s_mov_b32 m0, s0
	s_sendmsg sendmsg(MSG_INTERRUPT)
	s_mov_b32 m0, ttmp2
.LBB105_265:                            ; =>This Inner Loop Header: Depth=1
	s_sethalt 5
	s_branch .LBB105_265
.LBB105_266:
	s_trap 2
	s_sendmsg_rtn_b32 s0, sendmsg(MSG_RTN_GET_DOORBELL)
	s_mov_b32 ttmp2, m0
	s_waitcnt lgkmcnt(0)
	s_and_b32 s0, s0, 0x3ff
	s_delay_alu instid0(SALU_CYCLE_1) | instskip(NEXT) | instid1(SALU_CYCLE_1)
	s_bitset1_b32 s0, 10
	s_mov_b32 m0, s0
	s_sendmsg sendmsg(MSG_INTERRUPT)
	s_mov_b32 m0, ttmp2
.LBB105_267:                            ; =>This Inner Loop Header: Depth=1
	s_sethalt 5
	s_branch .LBB105_267
	.section	.rodata,"a",@progbits
	.p2align	6, 0x0
	.amdhsa_kernel _ZN2at6native12_GLOBAL__N_112gatherMedianIsjLi2EEEvNS_4cuda6detail10TensorInfoIT_T0_EENS5_IlS7_EENS5_IKS6_S7_EES7_S7_S7_b
		.amdhsa_group_segment_fixed_size 4120
		.amdhsa_private_segment_fixed_size 0
		.amdhsa_kernarg_size 920
		.amdhsa_user_sgpr_count 13
		.amdhsa_user_sgpr_dispatch_ptr 0
		.amdhsa_user_sgpr_queue_ptr 0
		.amdhsa_user_sgpr_kernarg_segment_ptr 1
		.amdhsa_user_sgpr_dispatch_id 0
		.amdhsa_user_sgpr_private_segment_size 0
		.amdhsa_wavefront_size32 1
		.amdhsa_uses_dynamic_stack 0
		.amdhsa_enable_private_segment 0
		.amdhsa_system_sgpr_workgroup_id_x 1
		.amdhsa_system_sgpr_workgroup_id_y 1
		.amdhsa_system_sgpr_workgroup_id_z 1
		.amdhsa_system_sgpr_workgroup_info 0
		.amdhsa_system_vgpr_workitem_id 0
		.amdhsa_next_free_vgpr 40
		.amdhsa_next_free_sgpr 86
		.amdhsa_reserve_vcc 1
		.amdhsa_float_round_mode_32 0
		.amdhsa_float_round_mode_16_64 0
		.amdhsa_float_denorm_mode_32 3
		.amdhsa_float_denorm_mode_16_64 3
		.amdhsa_dx10_clamp 1
		.amdhsa_ieee_mode 1
		.amdhsa_fp16_overflow 0
		.amdhsa_workgroup_processor_mode 1
		.amdhsa_memory_ordered 1
		.amdhsa_forward_progress 0
		.amdhsa_shared_vgpr_count 0
		.amdhsa_exception_fp_ieee_invalid_op 0
		.amdhsa_exception_fp_denorm_src 0
		.amdhsa_exception_fp_ieee_div_zero 0
		.amdhsa_exception_fp_ieee_overflow 0
		.amdhsa_exception_fp_ieee_underflow 0
		.amdhsa_exception_fp_ieee_inexact 0
		.amdhsa_exception_int_div_zero 0
	.end_amdhsa_kernel
	.section	.text._ZN2at6native12_GLOBAL__N_112gatherMedianIsjLi2EEEvNS_4cuda6detail10TensorInfoIT_T0_EENS5_IlS7_EENS5_IKS6_S7_EES7_S7_S7_b,"axG",@progbits,_ZN2at6native12_GLOBAL__N_112gatherMedianIsjLi2EEEvNS_4cuda6detail10TensorInfoIT_T0_EENS5_IlS7_EENS5_IKS6_S7_EES7_S7_S7_b,comdat
.Lfunc_end105:
	.size	_ZN2at6native12_GLOBAL__N_112gatherMedianIsjLi2EEEvNS_4cuda6detail10TensorInfoIT_T0_EENS5_IlS7_EENS5_IKS6_S7_EES7_S7_S7_b, .Lfunc_end105-_ZN2at6native12_GLOBAL__N_112gatherMedianIsjLi2EEEvNS_4cuda6detail10TensorInfoIT_T0_EENS5_IlS7_EENS5_IKS6_S7_EES7_S7_S7_b
                                        ; -- End function
	.section	.AMDGPU.csdata,"",@progbits
; Kernel info:
; codeLenInByte = 9976
; NumSgprs: 88
; NumVgprs: 40
; ScratchSize: 0
; MemoryBound: 0
; FloatMode: 240
; IeeeMode: 1
; LDSByteSize: 4120 bytes/workgroup (compile time only)
; SGPRBlocks: 10
; VGPRBlocks: 4
; NumSGPRsForWavesPerEU: 88
; NumVGPRsForWavesPerEU: 40
; Occupancy: 16
; WaveLimiterHint : 1
; COMPUTE_PGM_RSRC2:SCRATCH_EN: 0
; COMPUTE_PGM_RSRC2:USER_SGPR: 13
; COMPUTE_PGM_RSRC2:TRAP_HANDLER: 0
; COMPUTE_PGM_RSRC2:TGID_X_EN: 1
; COMPUTE_PGM_RSRC2:TGID_Y_EN: 1
; COMPUTE_PGM_RSRC2:TGID_Z_EN: 1
; COMPUTE_PGM_RSRC2:TIDIG_COMP_CNT: 0
	.section	.text._ZN2at6native12_GLOBAL__N_112gatherMedianIsjLi3EEEvNS_4cuda6detail10TensorInfoIT_T0_EENS5_IlS7_EENS5_IKS6_S7_EES7_S7_S7_b,"axG",@progbits,_ZN2at6native12_GLOBAL__N_112gatherMedianIsjLi3EEEvNS_4cuda6detail10TensorInfoIT_T0_EENS5_IlS7_EENS5_IKS6_S7_EES7_S7_S7_b,comdat
	.globl	_ZN2at6native12_GLOBAL__N_112gatherMedianIsjLi3EEEvNS_4cuda6detail10TensorInfoIT_T0_EENS5_IlS7_EENS5_IKS6_S7_EES7_S7_S7_b ; -- Begin function _ZN2at6native12_GLOBAL__N_112gatherMedianIsjLi3EEEvNS_4cuda6detail10TensorInfoIT_T0_EENS5_IlS7_EENS5_IKS6_S7_EES7_S7_S7_b
	.p2align	8
	.type	_ZN2at6native12_GLOBAL__N_112gatherMedianIsjLi3EEEvNS_4cuda6detail10TensorInfoIT_T0_EENS5_IlS7_EENS5_IKS6_S7_EES7_S7_S7_b,@function
_ZN2at6native12_GLOBAL__N_112gatherMedianIsjLi3EEEvNS_4cuda6detail10TensorInfoIT_T0_EENS5_IlS7_EENS5_IKS6_S7_EES7_S7_S7_b: ; @_ZN2at6native12_GLOBAL__N_112gatherMedianIsjLi3EEEvNS_4cuda6detail10TensorInfoIT_T0_EENS5_IlS7_EENS5_IKS6_S7_EES7_S7_S7_b
; %bb.0:
	s_clause 0x1
	s_load_b64 s[10:11], s[0:1], 0x298
	s_load_b128 s[28:31], s[0:1], 0x288
	s_add_u32 s8, s0, 0x298
	s_addc_u32 s9, s1, 0
	s_waitcnt lgkmcnt(0)
	s_mul_i32 s2, s11, s15
	s_delay_alu instid0(SALU_CYCLE_1) | instskip(NEXT) | instid1(SALU_CYCLE_1)
	s_add_i32 s2, s2, s14
	s_mul_i32 s33, s2, s10
	s_delay_alu instid0(SALU_CYCLE_1) | instskip(NEXT) | instid1(SALU_CYCLE_1)
	s_add_i32 s33, s33, s13
	s_cmp_ge_u32 s33, s29
	s_cbranch_scc1 .LBB106_259
; %bb.1:
	s_clause 0x2
	s_load_b64 s[44:45], s[0:1], 0xc
	s_load_b64 s[34:35], s[0:1], 0xe4
	;; [unrolled: 1-line block ×3, first 2 shown]
	s_waitcnt lgkmcnt(0)
	v_cvt_f32_u32_e32 v1, s45
	v_cvt_f32_u32_e32 v2, s35
	s_sub_i32 s2, 0, s45
	v_cvt_f32_u32_e32 v3, s44
	s_delay_alu instid0(VALU_DEP_3) | instskip(NEXT) | instid1(VALU_DEP_2)
	v_rcp_iflag_f32_e32 v1, v1
	v_rcp_iflag_f32_e32 v2, v2
	s_delay_alu instid0(VALU_DEP_1) | instskip(SKIP_2) | instid1(VALU_DEP_1)
	v_rcp_iflag_f32_e32 v3, v3
	s_waitcnt_depctr 0xfff
	v_dual_mul_f32 v1, 0x4f7ffffe, v1 :: v_dual_mul_f32 v2, 0x4f7ffffe, v2
	v_cvt_u32_f32_e32 v1, v1
	s_delay_alu instid0(VALU_DEP_2) | instskip(NEXT) | instid1(VALU_DEP_2)
	v_cvt_u32_f32_e32 v2, v2
	v_readfirstlane_b32 s3, v1
	s_delay_alu instid0(VALU_DEP_2) | instskip(SKIP_1) | instid1(VALU_DEP_3)
	v_readfirstlane_b32 s11, v2
	v_cvt_f32_u32_e32 v1, s34
	s_mul_i32 s2, s2, s3
	s_delay_alu instid0(VALU_DEP_1) | instskip(SKIP_1) | instid1(SALU_CYCLE_1)
	v_rcp_iflag_f32_e32 v1, v1
	s_mul_hi_u32 s2, s3, s2
	s_add_i32 s3, s3, s2
	s_delay_alu instid0(SALU_CYCLE_1) | instskip(NEXT) | instid1(SALU_CYCLE_1)
	s_mul_hi_u32 s2, s33, s3
	s_mul_i32 s3, s2, s45
	s_add_i32 s4, s2, 1
	s_sub_i32 s3, s33, s3
	s_waitcnt_depctr 0xfff
	v_mul_f32_e32 v1, 0x4f7ffffe, v1
	s_sub_i32 s5, s3, s45
	s_cmp_ge_u32 s3, s45
	s_cselect_b32 s2, s4, s2
	s_cselect_b32 s3, s5, s3
	s_load_b128 s[4:7], s[0:1], 0x21c
	v_cvt_f32_u32_e32 v4, s15
	s_add_i32 s12, s2, 1
	s_cmp_ge_u32 s3, s45
	v_cvt_f32_u32_e32 v5, s14
	s_cselect_b32 s52, s12, s2
	v_rcp_iflag_f32_e32 v4, v4
	s_sub_i32 s2, 0, s35
	v_mul_f32_e32 v2, 0x4f7ffffe, v3
	s_mul_i32 s2, s2, s11
	s_sub_i32 s12, 0, s44
	s_mul_hi_u32 s2, s11, s2
	v_rcp_iflag_f32_e32 v5, v5
	s_add_i32 s11, s11, s2
	v_cvt_u32_f32_e32 v1, v1
	s_mul_hi_u32 s2, s33, s11
	s_waitcnt_depctr 0xfff
	v_mul_f32_e32 v3, 0x4f7ffffe, v4
	s_mul_i32 s3, s2, s35
	s_waitcnt lgkmcnt(0)
	s_add_i32 s7, s2, 1
	s_sub_i32 s3, s33, s3
	v_cvt_u32_f32_e32 v2, v2
	v_cvt_u32_f32_e32 v3, v3
	s_sub_i32 s11, s3, s35
	s_cmp_ge_u32 s3, s35
	v_mul_f32_e32 v4, 0x4f7ffffe, v5
	s_cselect_b32 s2, s7, s2
	s_cselect_b32 s3, s11, s3
	v_readfirstlane_b32 s16, v3
	s_add_i32 s7, s2, 1
	s_cmp_ge_u32 s3, s35
	v_cvt_u32_f32_e32 v3, v4
	s_cselect_b32 s29, s7, s2
	s_sub_i32 s2, 0, s15
	v_readfirstlane_b32 s11, v2
	s_mul_i32 s2, s2, s16
	v_readfirstlane_b32 s18, v3
	s_mul_hi_u32 s2, s16, s2
	v_readfirstlane_b32 s7, v1
	s_add_i32 s16, s16, s2
	s_mul_i32 s12, s12, s11
	s_mul_hi_u32 s2, s33, s16
	s_sub_i32 s16, 0, s34
	s_mul_i32 s3, s2, s15
	s_add_i32 s17, s2, 1
	s_sub_i32 s3, s33, s3
	s_mul_i32 s16, s16, s7
	s_sub_i32 s19, s3, s15
	s_cmp_ge_u32 s3, s15
	s_mul_hi_u32 s12, s11, s12
	s_cselect_b32 s2, s17, s2
	s_cselect_b32 s3, s19, s3
	s_add_i32 s17, s2, 1
	s_cmp_ge_u32 s3, s15
	s_mul_hi_u32 s19, s7, s16
	s_cselect_b32 s3, s17, s2
	s_sub_i32 s2, 0, s14
	s_delay_alu instid0(SALU_CYCLE_1) | instskip(SKIP_2) | instid1(SALU_CYCLE_1)
	s_mul_i32 s17, s2, s18
	v_cmp_eq_u32_e64 s2, 0, v0
	s_mul_hi_u32 s17, s18, s17
	s_add_i32 s18, s18, s17
	s_delay_alu instid0(VALU_DEP_1)
	s_and_saveexec_b32 s16, s2
	s_cbranch_execz .LBB106_3
; %bb.2:
	v_mov_b32_e32 v1, 0
	s_delay_alu instid0(VALU_DEP_1)
	v_mov_b32_e32 v2, v1
	ds_store_b64 v1, v[1:2] offset:4096
.LBB106_3:
	s_or_b32 exec_lo, exec_lo, s16
	v_mov_b32_e32 v1, 0
	s_waitcnt lgkmcnt(0)
	s_barrier
	buffer_gl0_inv
	s_barrier
	buffer_gl0_inv
	ds_load_b64 v[1:2], v1 offset:4096
	s_clause 0x2
	s_load_b128 s[36:39], s[0:1], 0x144
	s_load_b128 s[40:43], s[0:1], 0x6c
	s_load_b64 s[16:17], s[0:1], 0x1b0
	s_add_i32 s11, s11, s12
	s_add_i32 s12, s7, s19
	s_bitcmp1_b32 s31, 0
	s_mov_b32 s82, s28
	s_cselect_b32 s7, -1, 0
	s_waitcnt lgkmcnt(0)
	v_cmp_gt_i64_e32 vcc_lo, 1, v[1:2]
	s_or_b32 s19, s7, vcc_lo
	s_mul_hi_u32 s7, s3, s18
	s_and_not1_b32 vcc_lo, exec_lo, s19
	s_cbranch_vccnz .LBB106_5
; %bb.4:
	v_not_b32_e32 v1, v1
	v_not_b32_e32 v2, v2
	s_delay_alu instid0(VALU_DEP_2) | instskip(NEXT) | instid1(VALU_DEP_2)
	v_add_co_u32 v1, vcc_lo, v1, s28
	v_add_co_ci_u32_e32 v2, vcc_lo, 0, v2, vcc_lo
	s_delay_alu instid0(VALU_DEP_1) | instskip(NEXT) | instid1(VALU_DEP_1)
	v_lshrrev_b32_e32 v3, 31, v2
	v_add_co_u32 v1, vcc_lo, v1, v3
	v_add_co_ci_u32_e32 v2, vcc_lo, 0, v2, vcc_lo
	s_delay_alu instid0(VALU_DEP_1) | instskip(NEXT) | instid1(VALU_DEP_1)
	v_alignbit_b32 v1, v2, v1, 1
	v_readfirstlane_b32 s18, v1
	s_delay_alu instid0(VALU_DEP_1)
	s_add_i32 s82, s18, 1
.LBB106_5:
	s_clause 0x1
	s_load_b64 s[46:47], s[0:1], 0xd8
	s_load_b64 s[48:49], s[0:1], 0x0
	s_mul_hi_u32 s54, s52, s11
	s_mul_hi_u32 s31, s29, s12
	s_and_saveexec_b32 s0, s2
	s_cbranch_execz .LBB106_7
; %bb.6:
	v_dual_mov_b32 v1, 0 :: v_dual_mov_b32 v2, s28
	ds_store_b32 v1, v1 offset:4112
	ds_store_b64 v1, v[1:2] offset:4104
.LBB106_7:
	s_or_b32 exec_lo, exec_lo, s0
	s_mul_i32 s1, s7, s14
	s_mul_i32 s0, s3, s15
	s_sub_i32 s1, s3, s1
	s_sub_i32 s0, s33, s0
	s_add_i32 s11, s7, 1
	s_sub_i32 s12, s1, s14
	s_cmp_ge_u32 s1, s14
	s_waitcnt lgkmcnt(0)
	s_cselect_b32 s7, s11, s7
	s_cselect_b32 s1, s12, s1
	s_barrier
	buffer_gl0_inv
	s_load_b32 s12, s[8:9], 0xc
	s_add_i32 s11, s7, 1
	s_cmp_ge_u32 s1, s14
	s_mul_i32 s0, s0, s6
	s_cselect_b32 s1, s11, s7
	s_mov_b32 s27, 0
	s_mul_i32 s7, s1, s14
	s_mul_i32 s1, s1, s4
	s_sub_i32 s3, s3, s7
	v_mbcnt_lo_u32_b32 v14, -1, 0
	s_mul_i32 s3, s3, s5
	v_cmp_gt_u32_e32 vcc_lo, 32, v0
	s_add_i32 s0, s3, s0
	v_mul_lo_u32 v5, v0, s30
	s_add_i32 s26, s0, s1
	v_lshrrev_b32_e32 v10, 3, v0
	s_lshl_b64 s[0:1], s[26:27], 1
	v_lshlrev_b64 v[3:4], v14, -1
	s_add_u32 s39, s16, s0
	s_addc_u32 s43, s17, s1
	s_waitcnt lgkmcnt(0)
	s_and_b32 s53, s12, 0xffff
	v_cmp_gt_i32_e64 s0, 4, v14
	s_lshl_b32 s55, s53, 2
	s_add_i32 s57, s53, -1
	v_cvt_f32_u32_e32 v1, s55
	s_bfe_u32 s1, s12, 0xb0005
	s_and_b32 s58, vcc_lo, s0
	s_add_i32 s6, s57, s28
	s_cmpk_gt_u32 s28, 0x600
	v_rcp_iflag_f32_e32 v1, v1
	s_cselect_b32 s59, -1, 0
	s_cmp_gt_u32 s53, 31
	v_cvt_f32_u32_e32 v2, s53
	s_cselect_b32 s60, -1, 0
	s_cmp_lt_u32 s13, s10
	v_lshlrev_b32_e32 v16, 1, v0
	s_cselect_b32 s3, 12, 18
	v_and_b32_e32 v19, 0x7c, v10
	s_add_u32 s50, s8, s3
	s_waitcnt_depctr 0xfff
	v_mul_f32_e32 v1, 0x4f7ffffe, v1
	s_addc_u32 s51, s9, 0
	s_add_i32 s3, s1, -1
	s_bfe_u32 s61, s53, 0x30005
	s_cmp_gt_u32 s3, 6
	v_cvt_u32_f32_e32 v1, v1
	s_cselect_b32 s62, -1, 0
	s_and_b32 s63, s1, 0x7f8
	s_cmp_lg_u32 s61, 0
	v_not_b32_e32 v20, v3
	v_readfirstlane_b32 s4, v1
	s_cselect_b32 s64, -1, 0
	s_sub_i32 s3, 0, s55
	v_rcp_iflag_f32_e32 v1, v2
	v_cmp_gt_u32_e64 s0, s28, v0
	s_mul_i32 s5, s3, s4
	v_lshlrev_b32_e32 v24, 3, v0
	s_mul_hi_u32 s5, s4, s5
	v_cmp_eq_u32_e64 s1, 0, v14
	s_add_i32 s65, s4, s5
	v_cmp_gt_u32_e64 s3, 2, v0
	s_mul_hi_u32 s4, s28, s65
	v_dual_mov_b32 v26, 0 :: v_dual_add_nc_u32 v17, 0xc00, v16
	s_mul_i32 s4, s4, s55
	s_waitcnt_depctr 0xfff
	v_mul_f32_e32 v1, 0x4f7ffffe, v1
	s_sub_i32 s4, s28, s4
	v_lshlrev_b32_e32 v22, 2, v5
	s_sub_i32 s5, s4, s55
	s_cmp_ge_u32 s4, s55
	v_cvt_u32_f32_e32 v1, v1
	s_cselect_b32 s4, s5, s4
	v_lshl_or_b32 v25, v14, 2, 0xc00
	s_sub_i32 s5, s4, s55
	s_cmp_ge_u32 s4, s55
	v_readfirstlane_b32 s7, v1
	s_cselect_b32 s8, s5, s4
	s_sub_i32 s4, 0, s53
	s_sub_i32 s66, s28, s8
	s_delay_alu instid0(SALU_CYCLE_1) | instskip(SKIP_3) | instid1(VALU_DEP_2)
	v_dual_mov_b32 v7, 0 :: v_dual_add_nc_u32 v18, s66, v0
	v_lshlrev_b32_e32 v15, 2, v0
	s_mul_i32 s4, s4, s7
	s_mul_i32 s56, s30, s53
	v_mov_b32_e32 v6, v7
	s_mul_hi_u32 s4, s7, s4
	v_or_b32_e32 v3, 3, v15
	s_add_i32 s67, s7, s4
	v_mad_u64_u32 v[12:13], null, s30, v15, s[30:31]
	v_lshlrev_b64 v[1:2], 1, v[5:6]
	v_mul_lo_u32 v6, v18, s30
	s_mul_hi_u32 s4, s6, s67
	v_mul_lo_u32 v21, s30, v3
	s_mul_i32 s4, s4, s53
	s_mov_b32 s75, 14
	v_add_co_u32 v8, vcc_lo, s39, v1
	v_add_co_ci_u32_e32 v9, vcc_lo, s43, v2, vcc_lo
	s_delay_alu instid0(VALU_DEP_4)
	v_lshlrev_b64 v[1:2], 1, v[6:7]
	s_sub_i32 s4, s6, s4
	s_mov_b32 s78, s27
	s_sub_i32 s5, s4, s53
	s_cmp_ge_u32 s4, s53
	s_mov_b32 s80, s27
	v_add_co_u32 v10, vcc_lo, s39, v1
	v_add3_u32 v1, s53, s28, v0
	s_cselect_b32 s5, s5, s4
	v_add_co_ci_u32_e32 v11, vcc_lo, s43, v2, vcc_lo
	v_or_b32_e32 v2, 2, v15
	s_delay_alu instid0(VALU_DEP_3)
	v_subrev_nc_u32_e32 v1, s8, v1
	s_sub_i32 s7, s5, s53
	s_cmp_ge_u32 s5, s53
	v_cmp_gt_u32_e64 s4, s66, v15
	s_cselect_b32 s7, s7, s5
	v_mul_lo_u32 v13, s30, v2
	v_mul_lo_u32 v23, s30, v1
	s_sub_i32 s68, s6, s7
	v_cmp_gt_u32_e64 s5, s28, v18
	v_cmp_gt_u32_e64 s6, s68, v0
	s_lshl_b32 s69, s56, 2
	s_lshl_b32 s70, s53, 3
	;; [unrolled: 1-line block ×3, first 2 shown]
	s_mov_b32 s81, s27
                                        ; implicit-def: $sgpr72
                                        ; implicit-def: $sgpr74
                                        ; implicit-def: $sgpr73
                                        ; implicit-def: $sgpr77
                                        ; implicit-def: $sgpr79
                                        ; implicit-def: $sgpr76
	s_branch .LBB106_12
.LBB106_8:                              ;   in Loop: Header=BB106_12 Depth=1
	s_xor_b32 s78, s78, 1
	s_add_i32 s11, s75, -2
	s_cmp_eq_u32 s75, 0
	s_mov_b32 s7, 0
	s_cselect_b32 s10, -1, 0
	s_mov_b32 s75, s11
.LBB106_9:                              ;   in Loop: Header=BB106_12 Depth=1
	s_and_not1_b32 s11, s13, exec_lo
	s_and_b32 s7, s7, exec_lo
	s_and_not1_b32 s15, s15, exec_lo
	s_or_b32 s13, s11, s7
	s_and_not1_b32 s12, s12, exec_lo
	s_or_not1_b32 s11, s10, exec_lo
	s_mov_b32 s82, s20
.LBB106_10:                             ;   in Loop: Header=BB106_12 Depth=1
	s_or_b32 exec_lo, exec_lo, s8
	s_delay_alu instid0(SALU_CYCLE_1)
	s_and_not1_b32 s7, s76, exec_lo
	s_and_b32 s8, s13, exec_lo
	s_and_not1_b32 s10, s77, exec_lo
	s_or_b32 s76, s7, s8
	s_and_not1_b32 s7, s79, exec_lo
	s_and_b32 s8, s15, exec_lo
	s_and_b32 s12, s12, exec_lo
	s_or_b32 s79, s7, s8
	s_or_b32 s77, s10, s12
	s_or_not1_b32 s12, s11, exec_lo
.LBB106_11:                             ;   in Loop: Header=BB106_12 Depth=1
	s_or_b32 exec_lo, exec_lo, s9
	s_delay_alu instid0(SALU_CYCLE_1)
	s_and_b32 s7, exec_lo, s12
	v_mov_b32_e32 v1, s80
	s_or_b32 s27, s7, s27
	s_and_not1_b32 s7, s73, exec_lo
	s_and_b32 s8, s76, exec_lo
	s_and_not1_b32 s9, s72, exec_lo
	s_or_b32 s73, s7, s8
	s_and_not1_b32 s7, s74, exec_lo
	s_and_b32 s8, s79, exec_lo
	s_and_b32 s10, s77, exec_lo
	s_or_b32 s74, s7, s8
	s_or_b32 s72, s9, s10
	s_and_not1_b32 exec_lo, exec_lo, s27
	s_cbranch_execz .LBB106_242
.LBB106_12:                             ; =>This Loop Header: Depth=1
                                        ;     Child Loop BB106_17 Depth 2
                                        ;     Child Loop BB106_32 Depth 2
	;; [unrolled: 1-line block ×16, first 2 shown]
	ds_load_b64 v[1:2], v7 offset:4104
	s_waitcnt lgkmcnt(0)
	v_readfirstlane_b32 s83, v1
	s_delay_alu instid0(VALU_DEP_1)
	s_cmp_lg_u32 s83, 0
	s_cbranch_scc1 .LBB106_39
; %bb.13:                               ;   in Loop: Header=BB106_12 Depth=1
	s_and_b32 vcc_lo, exec_lo, s59
	s_cbranch_vccz .LBB106_25
; %bb.14:                               ;   in Loop: Header=BB106_12 Depth=1
	v_cmp_gt_u32_e32 vcc_lo, 0x601, v2
	s_mov_b32 s83, 0
	s_mov_b32 s7, 0
	s_cbranch_vccz .LBB106_26
; %bb.15:                               ;   in Loop: Header=BB106_12 Depth=1
	global_load_u16 v1, v7, s[50:51]
	global_load_u16 v3, v[8:9], off
	v_mov_b32_e32 v4, v0
	s_mov_b32 s9, 0
	s_waitcnt vmcnt(1)
	v_add_nc_u32_e32 v2, v0, v1
	s_delay_alu instid0(VALU_DEP_1)
	v_mul_lo_u32 v6, s30, v2
	v_mul_lo_u32 v2, s30, v1
	s_branch .LBB106_17
.LBB106_16:                             ;   in Loop: Header=BB106_17 Depth=2
	s_or_b32 exec_lo, exec_lo, s8
	v_dual_mov_b32 v3, v27 :: v_dual_add_nc_u32 v6, v6, v2
	s_and_not1_b32 exec_lo, exec_lo, s9
	s_cbranch_execz .LBB106_127
.LBB106_17:                             ;   Parent Loop BB106_12 Depth=1
                                        ; =>  This Inner Loop Header: Depth=2
	v_dual_mov_b32 v27, 0 :: v_dual_add_nc_u32 v4, v4, v1
	s_waitcnt lgkmcnt(0)
	v_mov_b32_e32 v28, 0
	s_mov_b32 s8, exec_lo
	s_delay_alu instid0(VALU_DEP_2)
	v_cmp_le_u32_e32 vcc_lo, s28, v4
	v_cmpx_gt_u32_e64 s28, v4
	s_cbranch_execz .LBB106_19
; %bb.18:                               ;   in Loop: Header=BB106_17 Depth=2
	v_lshlrev_b64 v[29:30], 1, v[6:7]
	s_delay_alu instid0(VALU_DEP_1) | instskip(NEXT) | instid1(VALU_DEP_1)
	v_add_co_u32 v29, s7, s39, v29
	v_add_co_ci_u32_e64 v30, s7, s43, v30, s7
	global_load_u16 v27, v[29:30], off
.LBB106_19:                             ;   in Loop: Header=BB106_17 Depth=2
	s_or_b32 exec_lo, exec_lo, s8
	s_waitcnt vmcnt(0)
	v_bfe_i32 v29, v3, 0, 16
	s_delay_alu instid0(VALU_DEP_1) | instskip(NEXT) | instid1(VALU_DEP_1)
	v_add_nc_u32_e32 v29, 0x8000, v29
	v_and_b32_e32 v29, s81, v29
	s_delay_alu instid0(VALU_DEP_1) | instskip(NEXT) | instid1(VALU_DEP_1)
	v_cmp_eq_u32_e64 s7, s80, v29
	s_cmp_lg_u32 s7, 0
	s_cselect_b32 s8, -1, 0
	s_delay_alu instid0(SALU_CYCLE_1) | instskip(NEXT) | instid1(SALU_CYCLE_1)
	s_and_b32 s8, s1, s8
	s_and_saveexec_b32 s10, s8
	s_cbranch_execz .LBB106_23
; %bb.20:                               ;   in Loop: Header=BB106_17 Depth=2
	s_mov_b32 s13, exec_lo
	s_bcnt1_i32_b32 s11, s7
	v_mbcnt_lo_u32_b32 v28, s13, 0
	s_mov_b32 s12, exec_lo
                                        ; implicit-def: $vgpr29
	s_delay_alu instid0(VALU_DEP_1)
	v_cmpx_eq_u32_e32 0, v28
	s_cbranch_execz .LBB106_22
; %bb.21:                               ;   in Loop: Header=BB106_17 Depth=2
	s_bcnt1_i32_b32 s8, s13
	s_delay_alu instid0(SALU_CYCLE_1) | instskip(NEXT) | instid1(SALU_CYCLE_1)
	s_mul_i32 s8, s11, s8
	v_mov_b32_e32 v29, s8
	ds_add_rtn_u32 v29, v7, v29 offset:4112
.LBB106_22:                             ;   in Loop: Header=BB106_17 Depth=2
	s_or_b32 exec_lo, exec_lo, s12
	s_waitcnt lgkmcnt(0)
	v_readfirstlane_b32 s8, v29
	s_delay_alu instid0(VALU_DEP_1)
	v_mad_u32_u24 v28, s11, v28, s8
.LBB106_23:                             ;   in Loop: Header=BB106_17 Depth=2
	s_or_b32 exec_lo, exec_lo, s10
	ds_bpermute_b32 v28, v7, v28
	s_and_b32 s8, exec_lo, vcc_lo
	s_delay_alu instid0(SALU_CYCLE_1)
	s_or_b32 s9, s8, s9
	s_and_saveexec_b32 s8, s7
	s_cbranch_execz .LBB106_16
; %bb.24:                               ;   in Loop: Header=BB106_17 Depth=2
	v_and_b32_e32 v29, s7, v20
	s_delay_alu instid0(VALU_DEP_1) | instskip(NEXT) | instid1(VALU_DEP_1)
	v_bcnt_u32_b32 v29, v29, 0
	v_lshlrev_b32_e32 v29, 1, v29
	s_waitcnt lgkmcnt(0)
	s_delay_alu instid0(VALU_DEP_1)
	v_lshl_add_u32 v28, v28, 1, v29
	ds_store_b16 v28, v3
	s_branch .LBB106_16
.LBB106_25:                             ;   in Loop: Header=BB106_12 Depth=1
	s_mov_b32 s83, -1
	s_mov_b32 s7, 0
.LBB106_26:                             ;   in Loop: Header=BB106_12 Depth=1
	s_and_b32 vcc_lo, exec_lo, s83
	s_cbranch_vccz .LBB106_37
.LBB106_27:                             ;   in Loop: Header=BB106_12 Depth=1
	v_mov_b32_e32 v1, 0
	s_and_saveexec_b32 s7, s0
	s_cbranch_execz .LBB106_29
; %bb.28:                               ;   in Loop: Header=BB106_12 Depth=1
	global_load_u16 v1, v[8:9], off
.LBB106_29:                             ;   in Loop: Header=BB106_12 Depth=1
	s_or_b32 exec_lo, exec_lo, s7
	s_and_saveexec_b32 s8, s0
	s_cbranch_execz .LBB106_34
; %bb.30:                               ;   in Loop: Header=BB106_12 Depth=1
	global_load_u16 v2, v7, s[50:51]
	v_mov_b32_e32 v28, v0
	s_mov_b32 s9, 0
	v_mov_b32_e32 v27, v16
	s_waitcnt vmcnt(0)
	v_add_nc_u32_e32 v3, v0, v2
	v_lshlrev_b32_e32 v4, 1, v2
	s_delay_alu instid0(VALU_DEP_2)
	v_mul_lo_u32 v6, s30, v3
	v_mul_lo_u32 v3, s30, v2
	s_set_inst_prefetch_distance 0x1
	s_branch .LBB106_32
	.p2align	6
.LBB106_31:                             ;   in Loop: Header=BB106_32 Depth=2
	s_or_b32 exec_lo, exec_lo, s10
	ds_store_b16 v27, v1
	v_add_nc_u32_e32 v27, v27, v4
	s_waitcnt vmcnt(0)
	v_dual_mov_b32 v1, v29 :: v_dual_add_nc_u32 v6, v6, v3
	s_and_b32 s7, exec_lo, vcc_lo
	s_delay_alu instid0(SALU_CYCLE_1) | instskip(NEXT) | instid1(SALU_CYCLE_1)
	s_or_b32 s9, s7, s9
	s_and_not1_b32 exec_lo, exec_lo, s9
	s_cbranch_execz .LBB106_34
.LBB106_32:                             ;   Parent Loop BB106_12 Depth=1
                                        ; =>  This Inner Loop Header: Depth=2
	v_dual_mov_b32 v29, 0 :: v_dual_add_nc_u32 v28, v28, v2
	s_mov_b32 s10, exec_lo
	s_delay_alu instid0(VALU_DEP_1)
	v_cmp_le_u32_e32 vcc_lo, s28, v28
	v_cmpx_gt_u32_e64 s28, v28
	s_cbranch_execz .LBB106_31
; %bb.33:                               ;   in Loop: Header=BB106_32 Depth=2
	v_lshlrev_b64 v[29:30], 1, v[6:7]
	s_delay_alu instid0(VALU_DEP_1) | instskip(NEXT) | instid1(VALU_DEP_1)
	v_add_co_u32 v29, s7, s39, v29
	v_add_co_ci_u32_e64 v30, s7, s43, v30, s7
	global_load_u16 v29, v[29:30], off
	s_branch .LBB106_31
.LBB106_34:                             ;   in Loop: Header=BB106_12 Depth=1
	s_set_inst_prefetch_distance 0x2
	s_or_b32 exec_lo, exec_lo, s8
	s_waitcnt vmcnt(0) lgkmcnt(0)
	s_barrier
	buffer_gl0_inv
	s_and_saveexec_b32 s7, s2
	s_cbranch_execz .LBB106_36
; %bb.35:                               ;   in Loop: Header=BB106_12 Depth=1
	v_mov_b32_e32 v1, s28
	ds_store_b32 v7, v1 offset:4104
.LBB106_36:                             ;   in Loop: Header=BB106_12 Depth=1
	s_or_b32 exec_lo, exec_lo, s7
	s_mov_b32 s7, -1
	s_waitcnt lgkmcnt(0)
	s_barrier
                                        ; implicit-def: $sgpr83
.LBB106_37:                             ;   in Loop: Header=BB106_12 Depth=1
	s_and_b32 vcc_lo, exec_lo, s7
	s_cbranch_vccz .LBB106_39
; %bb.38:                               ;   in Loop: Header=BB106_12 Depth=1
	buffer_gl0_inv
	ds_load_b32 v1, v7 offset:4104
	s_waitcnt lgkmcnt(0)
	v_readfirstlane_b32 s83, v1
.LBB106_39:                             ;   in Loop: Header=BB106_12 Depth=1
	s_delay_alu instid0(VALU_DEP_1)
	s_cmp_lt_i32 s83, 1
	s_cbranch_scc0 .LBB106_43
; %bb.40:                               ;   in Loop: Header=BB106_12 Depth=1
	v_dual_mov_b32 v1, 0 :: v_dual_mov_b32 v2, 0
	v_dual_mov_b32 v3, 0 :: v_dual_mov_b32 v4, 0
	s_mov_b32 s19, 0
	s_and_saveexec_b32 s18, s4
	s_cbranch_execnz .LBB106_44
; %bb.41:                               ;   in Loop: Header=BB106_12 Depth=1
	s_or_b32 exec_lo, exec_lo, s18
	v_mov_b32_e32 v28, 0
	s_and_saveexec_b32 s7, s5
	s_cbranch_execnz .LBB106_47
.LBB106_42:                             ;   in Loop: Header=BB106_12 Depth=1
	s_or_b32 exec_lo, exec_lo, s7
	s_and_saveexec_b32 s11, s5
	s_cbranch_execnz .LBB106_48
	s_branch .LBB106_53
.LBB106_43:                             ;   in Loop: Header=BB106_12 Depth=1
                                        ; implicit-def: $vgpr4
	s_cbranch_execnz .LBB106_54
	s_branch .LBB106_63
.LBB106_44:                             ;   in Loop: Header=BB106_12 Depth=1
	v_mov_b32_e32 v27, v15
	s_and_b32 s20, s75, 0xfe
	s_mov_b32 s21, 0
	s_mov_b32 s22, 0
	;; [unrolled: 1-line block ×5, first 2 shown]
.LBB106_45:                             ;   Parent Loop BB106_12 Depth=1
                                        ; =>  This Inner Loop Header: Depth=2
	v_add_nc_u32_e32 v6, s21, v22
	s_delay_alu instid0(VALU_DEP_1) | instskip(SKIP_1) | instid1(VALU_DEP_1)
	v_lshlrev_b64 v[1:2], 1, v[6:7]
	v_add_nc_u32_e32 v6, s21, v12
	v_lshlrev_b64 v[3:4], 1, v[6:7]
	v_add_nc_u32_e32 v6, s21, v13
	s_delay_alu instid0(VALU_DEP_4) | instskip(SKIP_1) | instid1(VALU_DEP_3)
	v_add_co_u32 v1, vcc_lo, s39, v1
	v_add_co_ci_u32_e32 v2, vcc_lo, s43, v2, vcc_lo
	v_lshlrev_b64 v[28:29], 1, v[6:7]
	v_add_nc_u32_e32 v6, s21, v21
	s_add_i32 s21, s21, s69
	global_load_i16 v30, v[1:2], off
	v_add_co_u32 v1, vcc_lo, s39, v3
	v_add_co_ci_u32_e32 v2, vcc_lo, s43, v4, vcc_lo
	v_add_co_u32 v28, vcc_lo, s39, v28
	v_add_co_ci_u32_e32 v29, vcc_lo, s43, v29, vcc_lo
	v_lshlrev_b64 v[3:4], 1, v[6:7]
	s_clause 0x1
	global_load_i16 v6, v[1:2], off
	global_load_i16 v28, v[28:29], off
	v_add_co_u32 v1, vcc_lo, s39, v3
	v_add_co_ci_u32_e32 v2, vcc_lo, s43, v4, vcc_lo
	global_load_i16 v1, v[1:2], off
	s_waitcnt vmcnt(3)
	v_add_nc_u32_e32 v2, 0x8000, v30
	s_delay_alu instid0(VALU_DEP_1)
	v_and_b32_e32 v3, s81, v2
	v_bfe_u32 v2, v2, s20, 2
	s_waitcnt vmcnt(2)
	v_add_nc_u32_e32 v4, 0x8000, v6
	s_waitcnt vmcnt(1)
	v_add_nc_u32_e32 v6, 0x8000, v28
	v_cmp_eq_u32_e64 s7, s80, v3
	v_cmp_eq_u32_e64 s8, 0, v2
	;; [unrolled: 1-line block ×3, first 2 shown]
	v_and_b32_e32 v3, s81, v4
	v_bfe_u32 v4, v4, s20, 2
	v_cmp_eq_u32_e64 s10, 2, v2
	v_cmp_eq_u32_e64 s11, 3, v2
	v_and_b32_e32 v2, s81, v6
	v_cmp_eq_u32_e64 s12, s80, v3
	v_bfe_u32 v3, v6, s20, 2
	s_and_b32 s8, s7, s8
	s_waitcnt vmcnt(0)
	v_add_nc_u32_e32 v1, 0x8000, v1
	v_cmp_eq_u32_e64 s13, 0, v4
	v_cndmask_b32_e64 v6, 0, 1, s8
	v_cmp_eq_u32_e64 s8, 1, v4
	s_and_b32 s9, s7, s9
	s_and_b32 s10, s7, s10
	;; [unrolled: 1-line block ×3, first 2 shown]
	v_cndmask_b32_e64 v28, 0, 1, s9
	v_cmp_eq_u32_e64 s9, 2, v4
	v_cndmask_b32_e64 v29, 0, 1, s10
	v_cmp_eq_u32_e64 s10, 3, v4
	;; [unrolled: 2-line block ×3, first 2 shown]
	v_cmp_eq_u32_e64 s11, 0, v3
	v_and_b32_e32 v2, s81, v1
	v_bfe_u32 v1, v1, s20, 2
	s_and_b32 s13, s12, s13
	s_and_b32 s8, s12, s8
	v_cmp_ne_u32_e64 s14, 0, v6
	v_cndmask_b32_e64 v6, 0, 1, s13
	v_cmp_eq_u32_e64 s13, 1, v3
	v_cmp_ne_u32_e64 s15, 0, v28
	v_cndmask_b32_e64 v28, 0, 1, s8
	v_cmp_eq_u32_e64 s8, 2, v3
	s_and_b32 s9, s12, s9
	s_and_b32 s10, s12, s10
	;; [unrolled: 1-line block ×3, first 2 shown]
	v_cmp_ne_u32_e64 s16, 0, v29
	v_cndmask_b32_e64 v29, 0, 1, s9
	v_cmp_eq_u32_e64 s9, 3, v3
	v_cndmask_b32_e64 v3, 0, 1, s10
	v_cmp_eq_u32_e64 s10, s80, v2
	;; [unrolled: 2-line block ×3, first 2 shown]
	v_cmp_ne_u32_e64 s17, 0, v4
	v_cmp_eq_u32_e64 s12, 0, v1
	s_and_b32 s13, s7, s13
	s_and_b32 s8, s7, s8
	s_bcnt1_i32_b32 s26, s14
	v_cmp_ne_u32_e64 s14, 0, v6
	v_cndmask_b32_e64 v4, 0, 1, s13
	v_cmp_eq_u32_e64 s13, 2, v1
	v_cndmask_b32_e64 v6, 0, 1, s8
	v_cmp_eq_u32_e64 s8, 3, v1
	s_and_b32 s7, s7, s9
	s_and_b32 s11, s10, s11
	s_bcnt1_i32_b32 s86, s17
	v_cmp_ne_u32_e64 s17, 0, v3
	v_cndmask_b32_e64 v1, 0, 1, s7
	v_cndmask_b32_e64 v3, 0, 1, s11
	s_bcnt1_i32_b32 s84, s15
	v_cmp_ne_u32_e64 s15, 0, v28
	s_and_b32 s9, s10, s12
	v_cmp_ne_u32_e64 s7, 0, v2
	v_cndmask_b32_e64 v2, 0, 1, s9
	v_cmp_ne_u32_e64 s9, 0, v4
	s_and_b32 s12, s10, s13
	s_and_b32 s8, s10, s8
	v_cndmask_b32_e64 v4, 0, 1, s12
	v_cmp_ne_u32_e64 s12, 0, v1
	v_cndmask_b32_e64 v1, 0, 1, s8
	v_cmp_ne_u32_e64 s8, 0, v3
	s_bcnt1_i32_b32 s85, s16
	v_cmp_ne_u32_e64 s16, 0, v29
	s_add_i32 s24, s84, s24
	s_add_i32 s22, s86, s22
	s_bcnt1_i32_b32 s15, s15
	s_bcnt1_i32_b32 s13, s17
	v_cmp_ne_u32_e64 s11, 0, v6
	s_add_i32 s15, s24, s15
	s_add_i32 s13, s22, s13
	s_bcnt1_i32_b32 s22, s9
	s_bcnt1_i32_b32 s17, s7
	v_cmp_ne_u32_e64 s7, 0, v2
	v_cmp_ne_u32_e64 s9, 0, v4
	;; [unrolled: 1-line block ×3, first 2 shown]
	s_add_i32 s15, s15, s22
	s_bcnt1_i32_b32 s8, s8
	s_add_i32 s25, s26, s25
	s_add_i32 s23, s85, s23
	s_bcnt1_i32_b32 s14, s14
	s_bcnt1_i32_b32 s16, s16
	s_add_i32 s24, s15, s8
	s_delay_alu instid0(SALU_CYCLE_1)
	v_dual_mov_b32 v2, s24 :: v_dual_add_nc_u32 v27, s55, v27
	s_add_i32 s14, s25, s14
	s_add_i32 s16, s23, s16
	s_bcnt1_i32_b32 s11, s11
	s_bcnt1_i32_b32 s12, s12
	s_add_i32 s14, s14, s17
	s_add_i32 s11, s16, s11
	;; [unrolled: 1-line block ×3, first 2 shown]
	s_bcnt1_i32_b32 s7, s7
	s_bcnt1_i32_b32 s9, s9
	;; [unrolled: 1-line block ×3, first 2 shown]
	v_cmp_le_u32_e32 vcc_lo, s66, v27
	s_add_i32 s25, s14, s7
	s_add_i32 s23, s11, s9
	s_add_i32 s22, s12, s10
	v_mov_b32_e32 v1, s25
	v_dual_mov_b32 v3, s23 :: v_dual_mov_b32 v4, s22
	s_or_b32 s19, vcc_lo, s19
	s_delay_alu instid0(SALU_CYCLE_1)
	s_and_not1_b32 exec_lo, exec_lo, s19
	s_cbranch_execnz .LBB106_45
; %bb.46:                               ;   in Loop: Header=BB106_12 Depth=1
	s_or_b32 exec_lo, exec_lo, s19
	s_delay_alu instid0(SALU_CYCLE_1)
	s_or_b32 exec_lo, exec_lo, s18
	v_mov_b32_e32 v28, 0
	s_and_saveexec_b32 s7, s5
	s_cbranch_execz .LBB106_42
.LBB106_47:                             ;   in Loop: Header=BB106_12 Depth=1
	global_load_u16 v28, v[10:11], off
	s_or_b32 exec_lo, exec_lo, s7
	s_and_saveexec_b32 s11, s5
	s_cbranch_execz .LBB106_53
.LBB106_48:                             ;   in Loop: Header=BB106_12 Depth=1
	v_dual_mov_b32 v6, v23 :: v_dual_mov_b32 v27, v18
	s_and_b32 s13, s75, 0xfe
	s_mov_b32 s12, 0
	s_branch .LBB106_50
.LBB106_49:                             ;   in Loop: Header=BB106_50 Depth=2
	s_or_b32 exec_lo, exec_lo, s8
	s_waitcnt vmcnt(0)
	v_bfe_i32 v28, v28, 0, 16
	s_and_b32 s8, exec_lo, vcc_lo
	v_add_nc_u32_e32 v6, s56, v6
	s_or_b32 s12, s8, s12
	s_delay_alu instid0(VALU_DEP_2) | instskip(NEXT) | instid1(VALU_DEP_1)
	v_add_nc_u32_e32 v28, 0x8000, v28
	v_and_b32_e32 v30, s81, v28
	v_bfe_u32 v28, v28, s13, 2
	s_delay_alu instid0(VALU_DEP_2) | instskip(NEXT) | instid1(VALU_DEP_2)
	v_cmp_eq_u32_e32 vcc_lo, s80, v30
	v_cmp_eq_u32_e64 s7, 0, v28
	v_cmp_eq_u32_e64 s8, 1, v28
	;; [unrolled: 1-line block ×4, first 2 shown]
	s_delay_alu instid0(VALU_DEP_4) | instskip(NEXT) | instid1(SALU_CYCLE_1)
	s_and_b32 s7, vcc_lo, s7
	v_cndmask_b32_e64 v28, 0, 1, s7
	s_and_b32 s7, vcc_lo, s8
	s_delay_alu instid0(SALU_CYCLE_1) | instskip(SKIP_1) | instid1(SALU_CYCLE_1)
	v_cndmask_b32_e64 v30, 0, 1, s7
	s_and_b32 s7, vcc_lo, s9
	v_cndmask_b32_e64 v31, 0, 1, s7
	s_and_b32 s7, vcc_lo, s10
	v_cmp_ne_u32_e32 vcc_lo, 0, v28
	v_cndmask_b32_e64 v32, 0, 1, s7
	v_cmp_ne_u32_e64 s7, 0, v30
	v_cmp_ne_u32_e64 s8, 0, v31
	v_mov_b32_e32 v28, v29
	s_bcnt1_i32_b32 s10, vcc_lo
	v_cmp_ne_u32_e64 s9, 0, v32
	s_bcnt1_i32_b32 s7, s7
	s_bcnt1_i32_b32 s8, s8
	v_add_nc_u32_e32 v1, s10, v1
	v_add_nc_u32_e32 v2, s7, v2
	s_bcnt1_i32_b32 s9, s9
	v_add_nc_u32_e32 v3, s8, v3
	v_add_nc_u32_e32 v4, s9, v4
	s_and_not1_b32 exec_lo, exec_lo, s12
	s_cbranch_execz .LBB106_52
.LBB106_50:                             ;   Parent Loop BB106_12 Depth=1
                                        ; =>  This Inner Loop Header: Depth=2
	s_delay_alu instid0(VALU_DEP_1) | instskip(SKIP_2) | instid1(VALU_DEP_2)
	v_add_nc_u32_e32 v27, s53, v27
	v_mov_b32_e32 v29, 0
	s_mov_b32 s8, exec_lo
	v_cmp_le_u32_e32 vcc_lo, s28, v27
	v_cmpx_gt_u32_e64 s28, v27
	s_cbranch_execz .LBB106_49
; %bb.51:                               ;   in Loop: Header=BB106_50 Depth=2
	v_lshlrev_b64 v[29:30], 1, v[6:7]
	s_delay_alu instid0(VALU_DEP_1) | instskip(NEXT) | instid1(VALU_DEP_1)
	v_add_co_u32 v29, s7, s39, v29
	v_add_co_ci_u32_e64 v30, s7, s43, v30, s7
	global_load_u16 v29, v[29:30], off
	s_branch .LBB106_49
.LBB106_52:                             ;   in Loop: Header=BB106_12 Depth=1
	s_or_b32 exec_lo, exec_lo, s12
.LBB106_53:                             ;   in Loop: Header=BB106_12 Depth=1
	s_delay_alu instid0(SALU_CYCLE_1)
	s_or_b32 exec_lo, exec_lo, s11
	s_branch .LBB106_63
.LBB106_54:                             ;   in Loop: Header=BB106_12 Depth=1
	s_mul_hi_u32 s7, s83, s65
	v_dual_mov_b32 v1, 0 :: v_dual_mov_b32 v2, 0
	s_mul_i32 s7, s7, s55
	v_dual_mov_b32 v3, 0 :: v_dual_mov_b32 v4, 0
	s_sub_i32 s7, s83, s7
	s_mov_b32 s86, 0
	s_sub_i32 s8, s7, s55
	s_cmp_ge_u32 s7, s55
	s_mov_b32 s85, exec_lo
	s_cselect_b32 s7, s8, s7
	s_delay_alu instid0(SALU_CYCLE_1) | instskip(SKIP_2) | instid1(SALU_CYCLE_1)
	s_sub_i32 s8, s7, s55
	s_cmp_ge_u32 s7, s55
	s_cselect_b32 s7, s8, s7
	s_sub_i32 s84, s83, s7
	s_delay_alu instid0(SALU_CYCLE_1)
	v_cmpx_gt_u32_e64 s84, v15
	s_cbranch_execz .LBB106_58
; %bb.55:                               ;   in Loop: Header=BB106_12 Depth=1
	v_dual_mov_b32 v6, v24 :: v_dual_mov_b32 v27, v15
	s_and_b32 s87, s75, 0xfe
	s_mov_b32 s88, 0
	s_mov_b32 s89, 0
	;; [unrolled: 1-line block ×4, first 2 shown]
.LBB106_56:                             ;   Parent Loop BB106_12 Depth=1
                                        ; =>  This Inner Loop Header: Depth=2
	ds_load_b64 v[1:2], v6
	s_waitcnt lgkmcnt(0)
	v_bfe_i32 v3, v1, 0, 16
	v_ashrrev_i32_e32 v1, 16, v1
	v_bfe_i32 v4, v2, 0, 16
	v_ashrrev_i32_e32 v2, 16, v2
	s_delay_alu instid0(VALU_DEP_4) | instskip(NEXT) | instid1(VALU_DEP_4)
	v_add_nc_u32_e32 v3, 0x8000, v3
	v_add_nc_u32_e32 v1, 0x8000, v1
	s_delay_alu instid0(VALU_DEP_4) | instskip(NEXT) | instid1(VALU_DEP_4)
	v_add_nc_u32_e32 v4, 0x8000, v4
	v_add_nc_u32_e32 v2, 0x8000, v2
	s_waitcnt vmcnt(0)
	v_and_b32_e32 v28, s81, v3
	v_bfe_u32 v3, v3, s87, 2
	v_and_b32_e32 v29, s81, v1
	v_bfe_u32 v1, v1, s87, 2
	;; [unrolled: 2-line block ×3, first 2 shown]
	v_cmp_eq_u32_e64 s7, s80, v28
	v_cmp_eq_u32_e64 s11, 0, v3
	v_and_b32_e32 v31, s81, v2
	v_bfe_u32 v2, v2, s87, 2
	v_cmp_eq_u32_e64 s8, s80, v29
	v_cmp_eq_u32_e64 s12, 0, v1
	v_cmp_eq_u32_e64 s9, s80, v30
	v_cmp_eq_u32_e64 s13, 0, v4
	s_and_b32 s11, s7, s11
	v_cmp_eq_u32_e64 s10, s80, v31
	v_cmp_eq_u32_e64 s14, 0, v2
	;; [unrolled: 1-line block ×5, first 2 shown]
	v_cndmask_b32_e64 v1, 0, 1, s11
	s_and_b32 s11, s8, s12
	v_cmp_eq_u32_e64 s15, 1, v3
	v_cmp_eq_u32_e64 s18, 1, v2
	v_cmp_eq_u32_e64 s22, 2, v2
	v_cmp_eq_u32_e64 s26, 3, v2
	v_cndmask_b32_e64 v2, 0, 1, s11
	s_and_b32 s11, s9, s13
	v_cmp_eq_u32_e64 s19, 2, v3
	v_cmp_eq_u32_e64 s23, 3, v3
	v_cndmask_b32_e64 v3, 0, 1, s11
	s_and_b32 s11, s10, s14
	v_cmp_eq_u32_e64 s17, 1, v4
	v_cmp_eq_u32_e64 s21, 2, v4
	v_cmp_eq_u32_e64 s25, 3, v4
	v_cndmask_b32_e64 v4, 0, 1, s11
	s_and_b32 s11, s7, s15
	s_delay_alu instid0(SALU_CYCLE_1) | instskip(SKIP_1) | instid1(SALU_CYCLE_1)
	v_cndmask_b32_e64 v28, 0, 1, s11
	s_and_b32 s11, s8, s16
	v_cndmask_b32_e64 v29, 0, 1, s11
	s_and_b32 s11, s9, s17
	s_delay_alu instid0(SALU_CYCLE_1) | instskip(SKIP_1) | instid1(VALU_DEP_2)
	v_cndmask_b32_e64 v30, 0, 1, s11
	s_and_b32 s11, s10, s18
	v_cmp_ne_u32_e64 s12, 0, v29
	v_cndmask_b32_e64 v31, 0, 1, s11
	s_and_b32 s11, s7, s19
	s_and_b32 s7, s7, s23
	v_cndmask_b32_e64 v32, 0, 1, s11
	s_and_b32 s11, s8, s20
	v_cndmask_b32_e64 v36, 0, 1, s7
	;; [unrolled: 2-line block ×7, first 2 shown]
	v_cndmask_b32_e64 v39, 0, 1, s7
	v_cmp_ne_u32_e64 s7, 0, v1
	v_cmp_ne_u32_e64 s11, 0, v28
	v_cmp_ne_u32_e64 s8, 0, v2
	v_cmp_ne_u32_e64 s13, 0, v30
	v_cmp_ne_u32_e64 s15, 0, v32
	v_cmp_ne_u32_e64 s19, 0, v36
	s_bcnt1_i32_b32 s7, s7
	s_bcnt1_i32_b32 s11, s11
	v_cmp_ne_u32_e64 s14, 0, v31
	v_cmp_ne_u32_e64 s16, 0, v33
	v_cmp_ne_u32_e64 s20, 0, v37
	s_bcnt1_i32_b32 s8, s8
	s_bcnt1_i32_b32 s12, s12
	s_add_i32 s7, s7, s91
	s_add_i32 s11, s11, s90
	v_cmp_ne_u32_e64 s9, 0, v3
	v_cmp_ne_u32_e64 s17, 0, v34
	;; [unrolled: 1-line block ×3, first 2 shown]
	s_bcnt1_i32_b32 s13, s13
	s_add_i32 s7, s7, s8
	s_add_i32 s8, s11, s12
	s_bcnt1_i32_b32 s15, s15
	s_bcnt1_i32_b32 s19, s19
	v_cmp_ne_u32_e64 s10, 0, v4
	v_cmp_ne_u32_e64 s18, 0, v35
	;; [unrolled: 1-line block ×3, first 2 shown]
	s_bcnt1_i32_b32 s14, s14
	s_add_i32 s8, s8, s13
	s_bcnt1_i32_b32 s16, s16
	s_bcnt1_i32_b32 s20, s20
	s_add_i32 s15, s15, s89
	s_add_i32 s19, s19, s88
	;; [unrolled: 1-line block ×3, first 2 shown]
	s_delay_alu instid0(SALU_CYCLE_1)
	v_dual_mov_b32 v2, s90 :: v_dual_add_nc_u32 v27, s55, v27
	s_bcnt1_i32_b32 s9, s9
	s_bcnt1_i32_b32 s17, s17
	;; [unrolled: 1-line block ×3, first 2 shown]
	s_add_i32 s11, s15, s16
	s_add_i32 s12, s19, s20
	s_bcnt1_i32_b32 s10, s10
	s_bcnt1_i32_b32 s18, s18
	;; [unrolled: 1-line block ×3, first 2 shown]
	s_add_i32 s7, s7, s9
	s_add_i32 s9, s11, s17
	;; [unrolled: 1-line block ×3, first 2 shown]
	v_cmp_le_u32_e32 vcc_lo, s84, v27
	s_add_i32 s91, s7, s10
	s_add_i32 s89, s9, s18
	;; [unrolled: 1-line block ×3, first 2 shown]
	v_dual_mov_b32 v1, s91 :: v_dual_add_nc_u32 v6, s70, v6
	v_dual_mov_b32 v3, s89 :: v_dual_mov_b32 v4, s88
	s_or_b32 s86, vcc_lo, s86
	s_delay_alu instid0(SALU_CYCLE_1)
	s_and_not1_b32 exec_lo, exec_lo, s86
	s_cbranch_execnz .LBB106_56
; %bb.57:                               ;   in Loop: Header=BB106_12 Depth=1
	s_or_b32 exec_lo, exec_lo, s86
.LBB106_58:                             ;   in Loop: Header=BB106_12 Depth=1
	s_delay_alu instid0(SALU_CYCLE_1) | instskip(SKIP_2) | instid1(VALU_DEP_1)
	s_or_b32 exec_lo, exec_lo, s85
	v_add_nc_u32_e32 v6, s84, v0
	s_mov_b32 s12, exec_lo
	v_cmpx_gt_u32_e64 s83, v6
	s_cbranch_execz .LBB106_62
; %bb.59:                               ;   in Loop: Header=BB106_12 Depth=1
	v_lshlrev_b32_e32 v27, 1, v6
	s_and_b32 s14, s75, 0xfe
	s_mov_b32 s13, 0
.LBB106_60:                             ;   Parent Loop BB106_12 Depth=1
                                        ; =>  This Inner Loop Header: Depth=2
	s_waitcnt vmcnt(0)
	ds_load_i16 v28, v27
	v_add_nc_u32_e32 v6, s53, v6
	v_add_nc_u32_e32 v27, s71, v27
	s_delay_alu instid0(VALU_DEP_2) | instskip(SKIP_2) | instid1(VALU_DEP_1)
	v_cmp_le_u32_e32 vcc_lo, s83, v6
	s_waitcnt lgkmcnt(0)
	v_add_nc_u32_e32 v28, 0x8000, v28
	v_and_b32_e32 v29, s81, v28
	v_bfe_u32 v28, v28, s14, 2
	s_delay_alu instid0(VALU_DEP_2) | instskip(NEXT) | instid1(VALU_DEP_2)
	v_cmp_eq_u32_e64 s7, s80, v29
	v_cmp_eq_u32_e64 s8, 0, v28
	v_cmp_eq_u32_e64 s9, 1, v28
	v_cmp_eq_u32_e64 s10, 2, v28
	v_cmp_eq_u32_e64 s11, 3, v28
	s_delay_alu instid0(VALU_DEP_4) | instskip(NEXT) | instid1(SALU_CYCLE_1)
	s_and_b32 s8, s7, s8
	v_cndmask_b32_e64 v28, 0, 1, s8
	s_and_b32 s8, s7, s9
	s_delay_alu instid0(SALU_CYCLE_1)
	v_cndmask_b32_e64 v29, 0, 1, s8
	s_and_b32 s8, s7, s10
	s_and_b32 s7, s7, s11
	v_cndmask_b32_e64 v30, 0, 1, s8
	v_cndmask_b32_e64 v31, 0, 1, s7
	v_cmp_ne_u32_e64 s7, 0, v28
	v_cmp_ne_u32_e64 s8, 0, v29
	s_delay_alu instid0(VALU_DEP_4) | instskip(NEXT) | instid1(VALU_DEP_4)
	v_cmp_ne_u32_e64 s9, 0, v30
	v_cmp_ne_u32_e64 s10, 0, v31
	s_delay_alu instid0(VALU_DEP_4) | instskip(NEXT) | instid1(VALU_DEP_3)
	s_bcnt1_i32_b32 s7, s7
	s_bcnt1_i32_b32 s8, s8
	v_add_nc_u32_e32 v1, s7, v1
	s_bcnt1_i32_b32 s9, s9
	s_bcnt1_i32_b32 s10, s10
	v_add_nc_u32_e32 v2, s8, v2
	v_add_nc_u32_e32 v3, s9, v3
	;; [unrolled: 1-line block ×3, first 2 shown]
	s_or_b32 s13, vcc_lo, s13
	s_delay_alu instid0(SALU_CYCLE_1)
	s_and_not1_b32 exec_lo, exec_lo, s13
	s_cbranch_execnz .LBB106_60
; %bb.61:                               ;   in Loop: Header=BB106_12 Depth=1
	s_or_b32 exec_lo, exec_lo, s13
.LBB106_62:                             ;   in Loop: Header=BB106_12 Depth=1
	s_delay_alu instid0(SALU_CYCLE_1)
	s_or_b32 exec_lo, exec_lo, s12
.LBB106_63:                             ;   in Loop: Header=BB106_12 Depth=1
	s_lshl_b32 s7, s78, 7
	s_and_saveexec_b32 s8, s1
	s_cbranch_execz .LBB106_65
; %bb.64:                               ;   in Loop: Header=BB106_12 Depth=1
	v_or_b32_e32 v6, s7, v19
	s_delay_alu instid0(VALU_DEP_1)
	v_lshlrev_b32_e32 v6, 2, v6
	ds_store_b128 v6, v[1:4] offset:3072
.LBB106_65:                             ;   in Loop: Header=BB106_12 Depth=1
	s_or_b32 exec_lo, exec_lo, s8
	s_waitcnt vmcnt(0) lgkmcnt(0)
	s_barrier
	buffer_gl0_inv
	s_and_saveexec_b32 s8, s58
	s_cbranch_execz .LBB106_75
; %bb.66:                               ;   in Loop: Header=BB106_12 Depth=1
	v_mov_b32_e32 v1, 0
	s_and_not1_b32 vcc_lo, exec_lo, s60
	s_cbranch_vccnz .LBB106_74
; %bb.67:                               ;   in Loop: Header=BB106_12 Depth=1
	v_mov_b32_e32 v1, 0
	s_and_not1_b32 vcc_lo, exec_lo, s62
	s_mov_b32 s9, 0
	s_cbranch_vccnz .LBB106_71
; %bb.68:                               ;   in Loop: Header=BB106_12 Depth=1
	v_lshl_add_u32 v2, s78, 9, v25
	v_mov_b32_e32 v1, 0
	.p2align	6
.LBB106_69:                             ;   Parent Loop BB106_12 Depth=1
                                        ; =>  This Inner Loop Header: Depth=2
	ds_load_2addr_b32 v[3:4], v2 offset1:4
	ds_load_2addr_b32 v[27:28], v2 offset0:8 offset1:12
	ds_load_2addr_b32 v[29:30], v2 offset0:16 offset1:20
	;; [unrolled: 1-line block ×3, first 2 shown]
	v_add_nc_u32_e32 v2, 0x80, v2
	s_add_i32 s9, s9, 8
	s_delay_alu instid0(SALU_CYCLE_1) | instskip(SKIP_3) | instid1(VALU_DEP_1)
	s_cmp_eq_u32 s63, s9
	s_waitcnt lgkmcnt(3)
	v_add3_u32 v1, v3, v1, v4
	s_waitcnt lgkmcnt(2)
	v_add3_u32 v1, v27, v1, v28
	s_waitcnt lgkmcnt(1)
	s_delay_alu instid0(VALU_DEP_1) | instskip(SKIP_1) | instid1(VALU_DEP_1)
	v_add3_u32 v1, v29, v1, v30
	s_waitcnt lgkmcnt(0)
	v_add3_u32 v1, v31, v1, v32
	s_cbranch_scc0 .LBB106_69
; %bb.70:                               ;   in Loop: Header=BB106_12 Depth=1
	s_mov_b32 s9, s63
.LBB106_71:                             ;   in Loop: Header=BB106_12 Depth=1
	s_and_not1_b32 vcc_lo, exec_lo, s64
	s_cbranch_vccnz .LBB106_74
; %bb.72:                               ;   in Loop: Header=BB106_12 Depth=1
	s_lshl_b32 s10, s78, 9
	s_lshl_b32 s9, s9, 4
	s_delay_alu instid0(SALU_CYCLE_1)
	v_add3_u32 v2, s10, s9, v25
	s_mov_b32 s9, s61
.LBB106_73:                             ;   Parent Loop BB106_12 Depth=1
                                        ; =>  This Inner Loop Header: Depth=2
	ds_load_b32 v3, v2
	v_add_nc_u32_e32 v2, 16, v2
	s_add_i32 s9, s9, -1
	s_delay_alu instid0(SALU_CYCLE_1)
	s_cmp_lg_u32 s9, 0
	s_waitcnt lgkmcnt(0)
	v_add_nc_u32_e32 v1, v3, v1
	s_cbranch_scc1 .LBB106_73
.LBB106_74:                             ;   in Loop: Header=BB106_12 Depth=1
	v_add_lshl_u32 v2, s7, v14, 2
	ds_store_b32 v2, v1 offset:3072
.LBB106_75:                             ;   in Loop: Header=BB106_12 Depth=1
	s_or_b32 exec_lo, exec_lo, s8
	s_lshl_b32 s7, s7, 2
	s_waitcnt lgkmcnt(0)
	v_mov_b32_e32 v1, s7
	s_barrier
	buffer_gl0_inv
	s_and_b32 s16, s75, 0xfe
	s_mov_b32 s12, -1
	ds_load_b128 v[1:4], v1 offset:3072
	s_lshl_b32 s10, 3, s16
	s_delay_alu instid0(SALU_CYCLE_1) | instskip(SKIP_4) | instid1(VALU_DEP_3)
	s_not_b32 s17, s10
	s_waitcnt lgkmcnt(0)
	v_readfirstlane_b32 s11, v1
	v_readfirstlane_b32 s19, v2
	v_readfirstlane_b32 s14, v3
	s_cmp_eq_u32 s11, 1
	s_cselect_b32 s7, -1, 0
	s_cmp_eq_u32 s82, 1
	s_cselect_b32 s8, -1, 0
	s_delay_alu instid0(SALU_CYCLE_1)
	s_and_b32 s13, s7, s8
	v_readfirstlane_b32 s8, v4
	s_and_b32 vcc_lo, exec_lo, s13
	s_cbranch_vccz .LBB106_87
; %bb.76:                               ;   in Loop: Header=BB106_12 Depth=1
	ds_load_b32 v1, v7 offset:4104
	s_waitcnt lgkmcnt(0)
	s_barrier
	buffer_gl0_inv
	v_readfirstlane_b32 s9, v1
	s_and_saveexec_b32 s7, s3
	s_cbranch_execz .LBB106_78
; %bb.77:                               ;   in Loop: Header=BB106_12 Depth=1
	ds_store_b16 v17, v7
.LBB106_78:                             ;   in Loop: Header=BB106_12 Depth=1
	s_or_b32 exec_lo, exec_lo, s7
	s_and_b32 s80, s80, s17
	s_or_b32 s81, s81, s10
	s_cmp_eq_u32 s9, 0
	s_waitcnt lgkmcnt(0)
	s_barrier
	buffer_gl0_inv
	s_cbranch_scc1 .LBB106_88
; %bb.79:                               ;   in Loop: Header=BB106_12 Depth=1
	s_add_i32 s7, s9, s57
                                        ; implicit-def: $vgpr26
	s_delay_alu instid0(SALU_CYCLE_1) | instskip(NEXT) | instid1(SALU_CYCLE_1)
	s_mul_hi_u32 s15, s7, s67
	s_mul_i32 s15, s15, s53
	s_delay_alu instid0(SALU_CYCLE_1) | instskip(NEXT) | instid1(SALU_CYCLE_1)
	s_sub_i32 s15, s7, s15
	s_sub_i32 s18, s15, s53
	s_cmp_ge_u32 s15, s53
	s_cselect_b32 s15, s18, s15
	s_delay_alu instid0(SALU_CYCLE_1) | instskip(SKIP_2) | instid1(SALU_CYCLE_1)
	s_sub_i32 s18, s15, s53
	s_cmp_ge_u32 s15, s53
	s_cselect_b32 s15, s18, s15
	s_sub_i32 s18, s7, s15
	s_mov_b32 s7, 0
	s_mov_b32 s15, exec_lo
	v_cmpx_gt_u32_e64 s18, v0
	s_cbranch_execz .LBB106_90
; %bb.80:                               ;   in Loop: Header=BB106_12 Depth=1
	v_mov_b32_e32 v1, v16
	v_mov_b32_e32 v2, v0
	s_mov_b32 s20, 0
                                        ; implicit-def: $sgpr21
	s_set_inst_prefetch_distance 0x1
	s_branch .LBB106_82
	.p2align	6
.LBB106_81:                             ;   in Loop: Header=BB106_82 Depth=2
	s_or_b32 exec_lo, exec_lo, s7
	s_waitcnt lgkmcnt(0)
	s_barrier
	buffer_gl0_inv
	ds_load_b32 v3, v7 offset:3072
	v_add_nc_u32_e32 v2, s53, v2
	v_add_nc_u32_e32 v1, s71, v1
	s_waitcnt lgkmcnt(0)
	s_barrier
	buffer_gl0_inv
	v_cmp_le_u32_e32 vcc_lo, s18, v2
	v_cmp_ne_u16_e64 s7, 0, v3
	s_delay_alu instid0(VALU_DEP_1) | instskip(NEXT) | instid1(SALU_CYCLE_1)
	s_or_b32 s22, vcc_lo, s7
	s_and_b32 s22, exec_lo, s22
	s_delay_alu instid0(SALU_CYCLE_1) | instskip(SKIP_2) | instid1(SALU_CYCLE_1)
	s_or_b32 s20, s22, s20
	s_and_not1_b32 s21, s21, exec_lo
	s_and_b32 s7, s7, exec_lo
	s_or_b32 s21, s21, s7
	s_and_not1_b32 exec_lo, exec_lo, s20
	s_cbranch_execz .LBB106_89
.LBB106_82:                             ;   Parent Loop BB106_12 Depth=1
                                        ; =>  This Inner Loop Header: Depth=2
	s_delay_alu instid0(VALU_DEP_1)
	v_cmp_gt_u32_e32 vcc_lo, s9, v2
	v_mov_b32_e32 v3, 0
	s_and_saveexec_b32 s7, vcc_lo
	s_cbranch_execz .LBB106_84
; %bb.83:                               ;   in Loop: Header=BB106_82 Depth=2
	ds_load_u16 v3, v1
.LBB106_84:                             ;   in Loop: Header=BB106_82 Depth=2
	s_or_b32 exec_lo, exec_lo, s7
	s_and_saveexec_b32 s7, vcc_lo
	s_cbranch_execz .LBB106_81
; %bb.85:                               ;   in Loop: Header=BB106_82 Depth=2
	s_waitcnt lgkmcnt(0)
	v_bfe_i32 v4, v3, 0, 16
	s_delay_alu instid0(VALU_DEP_1) | instskip(NEXT) | instid1(VALU_DEP_1)
	v_add_nc_u32_e32 v4, 0x8000, v4
	v_and_b32_e32 v4, s81, v4
	s_delay_alu instid0(VALU_DEP_1)
	v_cmp_eq_u32_e32 vcc_lo, s80, v4
	s_and_b32 exec_lo, exec_lo, vcc_lo
	s_cbranch_execz .LBB106_81
; %bb.86:                               ;   in Loop: Header=BB106_82 Depth=2
	v_perm_b32 v3, v3, 1, 0x5040100
	ds_store_b32 v7, v3 offset:3072
	s_branch .LBB106_81
.LBB106_87:                             ;   in Loop: Header=BB106_12 Depth=1
	s_mov_b32 s7, -1
                                        ; implicit-def: $sgpr9
                                        ; implicit-def: $sgpr18
                                        ; implicit-def: $sgpr15
	s_branch .LBB106_101
.LBB106_88:                             ;   in Loop: Header=BB106_12 Depth=1
	s_mov_b32 s9, -1
	s_mov_b32 s7, 0
                                        ; implicit-def: $sgpr15
                                        ; implicit-def: $vgpr26
	s_mov_b32 s18, s9
	s_cbranch_execnz .LBB106_91
	s_branch .LBB106_101
.LBB106_89:                             ;   in Loop: Header=BB106_12 Depth=1
	s_set_inst_prefetch_distance 0x2
	s_or_b32 exec_lo, exec_lo, s20
	v_lshrrev_b32_e32 v26, 16, v3
	s_and_b32 s7, s21, exec_lo
.LBB106_90:                             ;   in Loop: Header=BB106_12 Depth=1
	s_or_b32 exec_lo, exec_lo, s15
	s_mov_b32 s15, -1
	s_mov_b32 s9, 0
	s_delay_alu instid0(SALU_CYCLE_1)
	s_mov_b32 s18, s9
	s_branch .LBB106_101
.LBB106_91:                             ;   in Loop: Header=BB106_12 Depth=1
	s_mov_b32 s7, 0
                                        ; implicit-def: $vgpr26
	s_and_saveexec_b32 s9, s6
	s_cbranch_execz .LBB106_100
; %bb.92:                               ;   in Loop: Header=BB106_12 Depth=1
	v_dual_mov_b32 v6, v5 :: v_dual_mov_b32 v1, v0
	s_mov_b32 s15, 0
                                        ; implicit-def: $sgpr18
	s_set_inst_prefetch_distance 0x1
	s_branch .LBB106_94
	.p2align	6
.LBB106_93:                             ;   in Loop: Header=BB106_94 Depth=2
	s_or_b32 exec_lo, exec_lo, s7
	s_waitcnt vmcnt(0) lgkmcnt(0)
	s_barrier
	buffer_gl0_inv
	ds_load_b32 v2, v7 offset:3072
	v_add_nc_u32_e32 v1, s53, v1
	v_add_nc_u32_e32 v6, s56, v6
	s_waitcnt lgkmcnt(0)
	s_barrier
	buffer_gl0_inv
	v_cmp_le_u32_e32 vcc_lo, s68, v1
	v_cmp_ne_u16_e64 s7, 0, v2
	s_delay_alu instid0(VALU_DEP_1) | instskip(NEXT) | instid1(SALU_CYCLE_1)
	s_or_b32 s20, vcc_lo, s7
	s_and_b32 s20, exec_lo, s20
	s_delay_alu instid0(SALU_CYCLE_1) | instskip(SKIP_2) | instid1(SALU_CYCLE_1)
	s_or_b32 s15, s20, s15
	s_and_not1_b32 s18, s18, exec_lo
	s_and_b32 s7, s7, exec_lo
	s_or_b32 s18, s18, s7
	s_and_not1_b32 exec_lo, exec_lo, s15
	s_cbranch_execz .LBB106_99
.LBB106_94:                             ;   Parent Loop BB106_12 Depth=1
                                        ; =>  This Inner Loop Header: Depth=2
	s_delay_alu instid0(VALU_DEP_1)
	v_cmp_gt_u32_e32 vcc_lo, s28, v1
	v_mov_b32_e32 v2, 0
	s_and_saveexec_b32 s20, vcc_lo
	s_cbranch_execz .LBB106_96
; %bb.95:                               ;   in Loop: Header=BB106_94 Depth=2
	v_lshlrev_b64 v[2:3], 1, v[6:7]
	s_delay_alu instid0(VALU_DEP_1) | instskip(NEXT) | instid1(VALU_DEP_1)
	v_add_co_u32 v2, s7, s39, v2
	v_add_co_ci_u32_e64 v3, s7, s43, v3, s7
	global_load_u16 v2, v[2:3], off
.LBB106_96:                             ;   in Loop: Header=BB106_94 Depth=2
	s_or_b32 exec_lo, exec_lo, s20
	s_and_saveexec_b32 s7, vcc_lo
	s_cbranch_execz .LBB106_93
; %bb.97:                               ;   in Loop: Header=BB106_94 Depth=2
	s_waitcnt vmcnt(0)
	v_bfe_i32 v3, v2, 0, 16
	s_delay_alu instid0(VALU_DEP_1) | instskip(NEXT) | instid1(VALU_DEP_1)
	v_add_nc_u32_e32 v3, 0x8000, v3
	v_and_b32_e32 v3, s81, v3
	s_delay_alu instid0(VALU_DEP_1)
	v_cmp_eq_u32_e32 vcc_lo, s80, v3
	s_and_b32 exec_lo, exec_lo, vcc_lo
	s_cbranch_execz .LBB106_93
; %bb.98:                               ;   in Loop: Header=BB106_94 Depth=2
	v_perm_b32 v2, v2, 1, 0x5040100
	ds_store_b32 v7, v2 offset:3072
	s_branch .LBB106_93
.LBB106_99:                             ;   in Loop: Header=BB106_12 Depth=1
	s_set_inst_prefetch_distance 0x2
	s_or_b32 exec_lo, exec_lo, s15
	v_lshrrev_b32_e32 v26, 16, v2
	s_and_b32 s7, s18, exec_lo
.LBB106_100:                            ;   in Loop: Header=BB106_12 Depth=1
	s_or_b32 exec_lo, exec_lo, s9
	s_mov_b32 s18, -1
	s_mov_b32 s9, 0
	s_mov_b32 s15, 0
.LBB106_101:                            ;   in Loop: Header=BB106_12 Depth=1
	s_and_not1_b32 s20, s76, exec_lo
	s_and_b32 s9, s9, exec_lo
	s_and_b32 s18, s18, exec_lo
	s_or_b32 s76, s20, s9
	s_and_not1_b32 s9, s79, exec_lo
	s_and_not1_b32 s20, s77, exec_lo
	s_and_b32 s15, s15, exec_lo
	s_or_b32 s79, s9, s18
	s_or_b32 s77, s20, s15
	s_and_saveexec_b32 s9, s7
	s_cbranch_execz .LBB106_11
; %bb.102:                              ;   in Loop: Header=BB106_12 Depth=1
	s_xor_b32 s7, s13, -1
	s_mov_b32 s12, 0
	s_and_not1_b32 vcc_lo, exec_lo, s7
	s_mov_b32 s20, 1
	s_cbranch_vccnz .LBB106_113
; %bb.103:                              ;   in Loop: Header=BB106_12 Depth=1
	s_cmp_gt_u32 s82, s11
	s_mov_b32 s12, -1
                                        ; implicit-def: $sgpr7
                                        ; implicit-def: $sgpr13
                                        ; implicit-def: $sgpr15
	s_cbranch_scc1 .LBB106_109
; %bb.104:                              ;   in Loop: Header=BB106_12 Depth=1
	ds_load_b32 v1, v7 offset:4104
	s_waitcnt lgkmcnt(0)
	v_cmp_ne_u32_e32 vcc_lo, 0, v1
	s_cbranch_vccnz .LBB106_108
; %bb.105:                              ;   in Loop: Header=BB106_12 Depth=1
	s_and_saveexec_b32 s7, s2
	s_cbranch_execz .LBB106_107
; %bb.106:                              ;   in Loop: Header=BB106_12 Depth=1
	v_mov_b32_e32 v1, s11
	ds_store_b32 v7, v1 offset:4108
.LBB106_107:                            ;   in Loop: Header=BB106_12 Depth=1
	s_or_b32 exec_lo, exec_lo, s7
	s_waitcnt lgkmcnt(0)
	s_barrier
	buffer_gl0_inv
.LBB106_108:                            ;   in Loop: Header=BB106_12 Depth=1
	s_and_b32 s13, s80, s17
	s_or_b32 s15, s81, s10
	s_mov_b32 s12, 0
	s_mov_b32 s7, 8
.LBB106_109:                            ;   in Loop: Header=BB106_12 Depth=1
	s_and_not1_b32 vcc_lo, exec_lo, s12
	s_cbranch_vccnz .LBB106_111
; %bb.110:                              ;   in Loop: Header=BB106_12 Depth=1
	s_sub_i32 s82, s82, s11
	s_mov_b32 s12, -1
	s_mov_b32 s7, 0
	s_mov_b32 s13, s80
	;; [unrolled: 1-line block ×3, first 2 shown]
.LBB106_111:                            ;   in Loop: Header=BB106_12 Depth=1
	s_delay_alu instid0(SALU_CYCLE_1)
	s_mov_b32 s81, s15
	s_mov_b32 s80, s13
	;; [unrolled: 1-line block ×3, first 2 shown]
	s_and_b32 vcc_lo, exec_lo, s12
	s_mov_b32 s11, -1
	s_cbranch_vccnz .LBB106_114
.LBB106_112:                            ;   in Loop: Header=BB106_12 Depth=1
	s_mov_b32 s23, -1
                                        ; implicit-def: $sgpr12
                                        ; implicit-def: $sgpr15
                                        ; implicit-def: $sgpr13
                                        ; implicit-def: $sgpr82
	s_delay_alu instid0(SALU_CYCLE_1) | instskip(NEXT) | instid1(SALU_CYCLE_1)
	s_and_saveexec_b32 s8, s23
	s_xor_b32 s8, exec_lo, s8
	s_cbranch_execz .LBB106_10
	s_branch .LBB106_240
.LBB106_113:                            ;   in Loop: Header=BB106_12 Depth=1
	s_mov_b32 s7, 1
	s_and_b32 vcc_lo, exec_lo, s12
	s_mov_b32 s11, -1
	s_cbranch_vccz .LBB106_112
.LBB106_114:                            ;   in Loop: Header=BB106_12 Depth=1
	s_cmp_eq_u32 s19, 1
	s_mov_b32 s22, -1
	s_cselect_b32 s7, -1, 0
	s_cmp_eq_u32 s20, 1
	s_cselect_b32 s12, -1, 0
	s_delay_alu instid0(SALU_CYCLE_1) | instskip(NEXT) | instid1(SALU_CYCLE_1)
	s_and_b32 s21, s7, s12
	s_and_b32 vcc_lo, exec_lo, s21
	s_cbranch_vccz .LBB106_126
; %bb.115:                              ;   in Loop: Header=BB106_12 Depth=1
	ds_load_b32 v1, v7 offset:4104
	s_waitcnt lgkmcnt(0)
	s_barrier
	buffer_gl0_inv
	v_readfirstlane_b32 s12, v1
	s_and_saveexec_b32 s7, s3
	s_cbranch_execz .LBB106_117
; %bb.116:                              ;   in Loop: Header=BB106_12 Depth=1
	ds_store_b16 v17, v7
.LBB106_117:                            ;   in Loop: Header=BB106_12 Depth=1
	s_or_b32 exec_lo, exec_lo, s7
	s_lshl_b32 s7, 1, s16
	s_and_b32 s13, s80, s17
	s_or_b32 s81, s81, s10
	s_or_b32 s80, s13, s7
	s_cmp_eq_u32 s12, 0
	s_waitcnt lgkmcnt(0)
	s_barrier
	buffer_gl0_inv
	s_cbranch_scc1 .LBB106_130
; %bb.118:                              ;   in Loop: Header=BB106_12 Depth=1
	s_add_i32 s7, s12, s57
	s_mov_b32 s22, 0
	s_mul_hi_u32 s13, s7, s67
                                        ; implicit-def: $vgpr26
	s_delay_alu instid0(SALU_CYCLE_1) | instskip(NEXT) | instid1(SALU_CYCLE_1)
	s_mul_i32 s13, s13, s53
	s_sub_i32 s13, s7, s13
	s_delay_alu instid0(SALU_CYCLE_1) | instskip(SKIP_2) | instid1(SALU_CYCLE_1)
	s_sub_i32 s15, s13, s53
	s_cmp_ge_u32 s13, s53
	s_cselect_b32 s13, s15, s13
	s_sub_i32 s15, s13, s53
	s_cmp_ge_u32 s13, s53
	s_cselect_b32 s13, s15, s13
	s_delay_alu instid0(SALU_CYCLE_1)
	s_sub_i32 s15, s7, s13
	s_mov_b32 s13, exec_lo
	v_cmpx_gt_u32_e64 s15, v0
	s_cbranch_execz .LBB106_132
; %bb.119:                              ;   in Loop: Header=BB106_12 Depth=1
	v_mov_b32_e32 v1, v16
	v_mov_b32_e32 v2, v0
	s_mov_b32 s18, 0
                                        ; implicit-def: $sgpr22
	s_set_inst_prefetch_distance 0x1
	s_branch .LBB106_121
	.p2align	6
.LBB106_120:                            ;   in Loop: Header=BB106_121 Depth=2
	s_or_b32 exec_lo, exec_lo, s7
	s_waitcnt lgkmcnt(0)
	s_barrier
	buffer_gl0_inv
	ds_load_b32 v3, v7 offset:3072
	v_add_nc_u32_e32 v2, s53, v2
	v_add_nc_u32_e32 v1, s71, v1
	s_waitcnt lgkmcnt(0)
	s_barrier
	buffer_gl0_inv
	v_cmp_le_u32_e32 vcc_lo, s15, v2
	v_cmp_ne_u16_e64 s7, 0, v3
	s_delay_alu instid0(VALU_DEP_1) | instskip(NEXT) | instid1(SALU_CYCLE_1)
	s_or_b32 s23, vcc_lo, s7
	s_and_b32 s23, exec_lo, s23
	s_delay_alu instid0(SALU_CYCLE_1) | instskip(SKIP_2) | instid1(SALU_CYCLE_1)
	s_or_b32 s18, s23, s18
	s_and_not1_b32 s22, s22, exec_lo
	s_and_b32 s7, s7, exec_lo
	s_or_b32 s22, s22, s7
	s_and_not1_b32 exec_lo, exec_lo, s18
	s_cbranch_execz .LBB106_131
.LBB106_121:                            ;   Parent Loop BB106_12 Depth=1
                                        ; =>  This Inner Loop Header: Depth=2
	s_delay_alu instid0(VALU_DEP_1)
	v_cmp_gt_u32_e32 vcc_lo, s12, v2
	v_mov_b32_e32 v3, 0
	s_and_saveexec_b32 s7, vcc_lo
	s_cbranch_execz .LBB106_123
; %bb.122:                              ;   in Loop: Header=BB106_121 Depth=2
	ds_load_u16 v3, v1
.LBB106_123:                            ;   in Loop: Header=BB106_121 Depth=2
	s_or_b32 exec_lo, exec_lo, s7
	s_and_saveexec_b32 s7, vcc_lo
	s_cbranch_execz .LBB106_120
; %bb.124:                              ;   in Loop: Header=BB106_121 Depth=2
	s_waitcnt lgkmcnt(0)
	v_bfe_i32 v4, v3, 0, 16
	s_delay_alu instid0(VALU_DEP_1) | instskip(NEXT) | instid1(VALU_DEP_1)
	v_add_nc_u32_e32 v4, 0x8000, v4
	v_and_b32_e32 v4, s81, v4
	s_delay_alu instid0(VALU_DEP_1)
	v_cmp_eq_u32_e32 vcc_lo, s80, v4
	s_and_b32 exec_lo, exec_lo, vcc_lo
	s_cbranch_execz .LBB106_120
; %bb.125:                              ;   in Loop: Header=BB106_121 Depth=2
	v_perm_b32 v3, v3, 1, 0x5040100
	ds_store_b32 v7, v3 offset:3072
	s_branch .LBB106_120
.LBB106_126:                            ;   in Loop: Header=BB106_12 Depth=1
                                        ; implicit-def: $sgpr13
                                        ; implicit-def: $sgpr15
                                        ; implicit-def: $sgpr12
	s_branch .LBB106_143
.LBB106_127:                            ;   in Loop: Header=BB106_12 Depth=1
	s_or_b32 exec_lo, exec_lo, s9
	s_waitcnt lgkmcnt(0)
	s_barrier
	buffer_gl0_inv
	s_and_saveexec_b32 s7, s2
	s_cbranch_execz .LBB106_129
; %bb.128:                              ;   in Loop: Header=BB106_12 Depth=1
	ds_load_b32 v1, v7 offset:4112
	s_waitcnt lgkmcnt(0)
	ds_store_b32 v7, v1 offset:4104
.LBB106_129:                            ;   in Loop: Header=BB106_12 Depth=1
	s_or_b32 exec_lo, exec_lo, s7
	s_waitcnt lgkmcnt(0)
	s_mov_b32 s7, -1
	s_barrier
	s_and_b32 vcc_lo, exec_lo, s83
	s_cbranch_vccnz .LBB106_27
	s_branch .LBB106_37
.LBB106_130:                            ;   in Loop: Header=BB106_12 Depth=1
	s_mov_b32 s13, -1
	s_mov_b32 s22, 0
                                        ; implicit-def: $sgpr12
                                        ; implicit-def: $vgpr26
	s_mov_b32 s15, s13
	s_cbranch_execnz .LBB106_133
	s_branch .LBB106_143
.LBB106_131:                            ;   in Loop: Header=BB106_12 Depth=1
	s_set_inst_prefetch_distance 0x2
	s_or_b32 exec_lo, exec_lo, s18
	v_lshrrev_b32_e32 v26, 16, v3
	s_and_b32 s22, s22, exec_lo
.LBB106_132:                            ;   in Loop: Header=BB106_12 Depth=1
	s_or_b32 exec_lo, exec_lo, s13
	s_mov_b32 s12, -1
	s_mov_b32 s13, 0
	s_delay_alu instid0(SALU_CYCLE_1)
	s_mov_b32 s15, s13
	s_branch .LBB106_143
.LBB106_133:                            ;   in Loop: Header=BB106_12 Depth=1
	s_mov_b32 s22, 0
                                        ; implicit-def: $vgpr26
	s_and_saveexec_b32 s12, s6
	s_cbranch_execz .LBB106_142
; %bb.134:                              ;   in Loop: Header=BB106_12 Depth=1
	v_dual_mov_b32 v6, v5 :: v_dual_mov_b32 v1, v0
	s_mov_b32 s13, 0
                                        ; implicit-def: $sgpr15
	s_set_inst_prefetch_distance 0x1
	s_branch .LBB106_136
	.p2align	6
.LBB106_135:                            ;   in Loop: Header=BB106_136 Depth=2
	s_or_b32 exec_lo, exec_lo, s7
	s_waitcnt vmcnt(0) lgkmcnt(0)
	s_barrier
	buffer_gl0_inv
	ds_load_b32 v2, v7 offset:3072
	v_add_nc_u32_e32 v1, s53, v1
	v_add_nc_u32_e32 v6, s56, v6
	s_waitcnt lgkmcnt(0)
	s_barrier
	buffer_gl0_inv
	v_cmp_le_u32_e32 vcc_lo, s68, v1
	v_cmp_ne_u16_e64 s7, 0, v2
	s_delay_alu instid0(VALU_DEP_1) | instskip(NEXT) | instid1(SALU_CYCLE_1)
	s_or_b32 s18, vcc_lo, s7
	s_and_b32 s18, exec_lo, s18
	s_delay_alu instid0(SALU_CYCLE_1) | instskip(SKIP_2) | instid1(SALU_CYCLE_1)
	s_or_b32 s13, s18, s13
	s_and_not1_b32 s15, s15, exec_lo
	s_and_b32 s7, s7, exec_lo
	s_or_b32 s15, s15, s7
	s_and_not1_b32 exec_lo, exec_lo, s13
	s_cbranch_execz .LBB106_141
.LBB106_136:                            ;   Parent Loop BB106_12 Depth=1
                                        ; =>  This Inner Loop Header: Depth=2
	s_delay_alu instid0(VALU_DEP_1)
	v_cmp_gt_u32_e32 vcc_lo, s28, v1
	v_mov_b32_e32 v2, 0
	s_and_saveexec_b32 s18, vcc_lo
	s_cbranch_execz .LBB106_138
; %bb.137:                              ;   in Loop: Header=BB106_136 Depth=2
	v_lshlrev_b64 v[2:3], 1, v[6:7]
	s_delay_alu instid0(VALU_DEP_1) | instskip(NEXT) | instid1(VALU_DEP_1)
	v_add_co_u32 v2, s7, s39, v2
	v_add_co_ci_u32_e64 v3, s7, s43, v3, s7
	global_load_u16 v2, v[2:3], off
.LBB106_138:                            ;   in Loop: Header=BB106_136 Depth=2
	s_or_b32 exec_lo, exec_lo, s18
	s_and_saveexec_b32 s7, vcc_lo
	s_cbranch_execz .LBB106_135
; %bb.139:                              ;   in Loop: Header=BB106_136 Depth=2
	s_waitcnt vmcnt(0)
	v_bfe_i32 v3, v2, 0, 16
	s_delay_alu instid0(VALU_DEP_1) | instskip(NEXT) | instid1(VALU_DEP_1)
	v_add_nc_u32_e32 v3, 0x8000, v3
	v_and_b32_e32 v3, s81, v3
	s_delay_alu instid0(VALU_DEP_1)
	v_cmp_eq_u32_e32 vcc_lo, s80, v3
	s_and_b32 exec_lo, exec_lo, vcc_lo
	s_cbranch_execz .LBB106_135
; %bb.140:                              ;   in Loop: Header=BB106_136 Depth=2
	v_perm_b32 v2, v2, 1, 0x5040100
	ds_store_b32 v7, v2 offset:3072
	s_branch .LBB106_135
.LBB106_141:                            ;   in Loop: Header=BB106_12 Depth=1
	s_set_inst_prefetch_distance 0x2
	s_or_b32 exec_lo, exec_lo, s13
	v_lshrrev_b32_e32 v26, 16, v2
	s_and_b32 s22, s15, exec_lo
.LBB106_142:                            ;   in Loop: Header=BB106_12 Depth=1
	s_or_b32 exec_lo, exec_lo, s12
	s_mov_b32 s15, -1
	s_mov_b32 s13, 0
	s_mov_b32 s12, 0
.LBB106_143:                            ;   in Loop: Header=BB106_12 Depth=1
	s_mov_b32 s23, 0
                                        ; implicit-def: $sgpr7
	s_and_saveexec_b32 s18, s22
	s_cbranch_execz .LBB106_239
; %bb.144:                              ;   in Loop: Header=BB106_12 Depth=1
	s_xor_b32 s7, s21, -1
	s_mov_b32 s21, 0
	s_and_not1_b32 vcc_lo, exec_lo, s7
	s_mov_b32 s24, 1
	s_cbranch_vccnz .LBB106_155
; %bb.145:                              ;   in Loop: Header=BB106_12 Depth=1
	s_cmp_gt_u32 s20, s19
	s_mov_b32 s21, -1
                                        ; implicit-def: $sgpr7
                                        ; implicit-def: $sgpr22
                                        ; implicit-def: $sgpr23
	s_cbranch_scc1 .LBB106_151
; %bb.146:                              ;   in Loop: Header=BB106_12 Depth=1
	ds_load_b32 v1, v7 offset:4104
	s_waitcnt lgkmcnt(0)
	v_cmp_ne_u32_e32 vcc_lo, 0, v1
	s_cbranch_vccnz .LBB106_150
; %bb.147:                              ;   in Loop: Header=BB106_12 Depth=1
	s_and_saveexec_b32 s7, s2
	s_cbranch_execz .LBB106_149
; %bb.148:                              ;   in Loop: Header=BB106_12 Depth=1
	v_mov_b32_e32 v1, s19
	ds_store_b32 v7, v1 offset:4108
.LBB106_149:                            ;   in Loop: Header=BB106_12 Depth=1
	s_or_b32 exec_lo, exec_lo, s7
	s_waitcnt lgkmcnt(0)
	s_barrier
	buffer_gl0_inv
.LBB106_150:                            ;   in Loop: Header=BB106_12 Depth=1
	s_lshl_b32 s7, 1, s16
	s_and_b32 s21, s80, s17
	s_or_b32 s23, s81, s10
	s_or_b32 s22, s21, s7
	s_mov_b32 s21, 0
	s_mov_b32 s7, 8
.LBB106_151:                            ;   in Loop: Header=BB106_12 Depth=1
	s_and_not1_b32 vcc_lo, exec_lo, s21
	s_cbranch_vccnz .LBB106_153
; %bb.152:                              ;   in Loop: Header=BB106_12 Depth=1
	s_sub_i32 s20, s20, s19
	s_mov_b32 s21, -1
	s_mov_b32 s7, 0
	s_mov_b32 s22, s80
	;; [unrolled: 1-line block ×3, first 2 shown]
.LBB106_153:                            ;   in Loop: Header=BB106_12 Depth=1
	s_delay_alu instid0(SALU_CYCLE_1)
	s_mov_b32 s81, s23
	s_mov_b32 s80, s22
	;; [unrolled: 1-line block ×3, first 2 shown]
	s_and_not1_b32 vcc_lo, exec_lo, s21
	s_mov_b32 s26, -1
	s_cbranch_vccz .LBB106_156
.LBB106_154:                            ;   in Loop: Header=BB106_12 Depth=1
                                        ; implicit-def: $sgpr20
                                        ; implicit-def: $sgpr21
                                        ; implicit-def: $sgpr19
	s_branch .LBB106_238
.LBB106_155:                            ;   in Loop: Header=BB106_12 Depth=1
	s_mov_b32 s7, 1
	s_and_not1_b32 vcc_lo, exec_lo, s21
	s_mov_b32 s26, -1
	s_cbranch_vccnz .LBB106_154
.LBB106_156:                            ;   in Loop: Header=BB106_12 Depth=1
	s_cmp_eq_u32 s14, 1
	s_mov_b32 s25, -1
	s_cselect_b32 s7, -1, 0
	s_cmp_eq_u32 s24, 1
	s_cselect_b32 s19, -1, 0
	s_delay_alu instid0(SALU_CYCLE_1) | instskip(NEXT) | instid1(SALU_CYCLE_1)
	s_and_b32 s23, s7, s19
	s_and_b32 vcc_lo, exec_lo, s23
	s_cbranch_vccz .LBB106_168
; %bb.157:                              ;   in Loop: Header=BB106_12 Depth=1
	ds_load_b32 v1, v7 offset:4104
	s_waitcnt lgkmcnt(0)
	s_barrier
	buffer_gl0_inv
	v_readfirstlane_b32 s19, v1
	s_and_saveexec_b32 s7, s3
	s_cbranch_execz .LBB106_159
; %bb.158:                              ;   in Loop: Header=BB106_12 Depth=1
	ds_store_b16 v17, v7
.LBB106_159:                            ;   in Loop: Header=BB106_12 Depth=1
	s_or_b32 exec_lo, exec_lo, s7
	s_lshl_b32 s7, 2, s16
	s_and_b32 s20, s80, s17
	s_or_b32 s81, s81, s10
	s_or_b32 s80, s20, s7
	s_cmp_eq_u32 s19, 0
	s_waitcnt lgkmcnt(0)
	s_barrier
	buffer_gl0_inv
	s_cbranch_scc1 .LBB106_169
; %bb.160:                              ;   in Loop: Header=BB106_12 Depth=1
	s_add_i32 s7, s19, s57
	s_mov_b32 s25, 0
	s_mul_hi_u32 s20, s7, s67
                                        ; implicit-def: $vgpr26
	s_delay_alu instid0(SALU_CYCLE_1) | instskip(NEXT) | instid1(SALU_CYCLE_1)
	s_mul_i32 s20, s20, s53
	s_sub_i32 s20, s7, s20
	s_delay_alu instid0(SALU_CYCLE_1) | instskip(SKIP_2) | instid1(SALU_CYCLE_1)
	s_sub_i32 s21, s20, s53
	s_cmp_ge_u32 s20, s53
	s_cselect_b32 s20, s21, s20
	s_sub_i32 s21, s20, s53
	s_cmp_ge_u32 s20, s53
	s_cselect_b32 s20, s21, s20
	s_delay_alu instid0(SALU_CYCLE_1)
	s_sub_i32 s21, s7, s20
	s_mov_b32 s20, exec_lo
	v_cmpx_gt_u32_e64 s21, v0
	s_cbranch_execz .LBB106_171
; %bb.161:                              ;   in Loop: Header=BB106_12 Depth=1
	v_mov_b32_e32 v1, v16
	v_mov_b32_e32 v2, v0
	s_mov_b32 s22, 0
                                        ; implicit-def: $sgpr25
	s_set_inst_prefetch_distance 0x1
	s_branch .LBB106_163
	.p2align	6
.LBB106_162:                            ;   in Loop: Header=BB106_163 Depth=2
	s_or_b32 exec_lo, exec_lo, s7
	s_waitcnt lgkmcnt(0)
	s_barrier
	buffer_gl0_inv
	ds_load_b32 v3, v7 offset:3072
	v_add_nc_u32_e32 v2, s53, v2
	v_add_nc_u32_e32 v1, s71, v1
	s_waitcnt lgkmcnt(0)
	s_barrier
	buffer_gl0_inv
	v_cmp_le_u32_e32 vcc_lo, s21, v2
	v_cmp_ne_u16_e64 s7, 0, v3
	s_delay_alu instid0(VALU_DEP_1) | instskip(NEXT) | instid1(SALU_CYCLE_1)
	s_or_b32 s26, vcc_lo, s7
	s_and_b32 s26, exec_lo, s26
	s_delay_alu instid0(SALU_CYCLE_1) | instskip(SKIP_2) | instid1(SALU_CYCLE_1)
	s_or_b32 s22, s26, s22
	s_and_not1_b32 s25, s25, exec_lo
	s_and_b32 s7, s7, exec_lo
	s_or_b32 s25, s25, s7
	s_and_not1_b32 exec_lo, exec_lo, s22
	s_cbranch_execz .LBB106_170
.LBB106_163:                            ;   Parent Loop BB106_12 Depth=1
                                        ; =>  This Inner Loop Header: Depth=2
	s_delay_alu instid0(VALU_DEP_1)
	v_cmp_gt_u32_e32 vcc_lo, s19, v2
	v_mov_b32_e32 v3, 0
	s_and_saveexec_b32 s7, vcc_lo
	s_cbranch_execz .LBB106_165
; %bb.164:                              ;   in Loop: Header=BB106_163 Depth=2
	ds_load_u16 v3, v1
.LBB106_165:                            ;   in Loop: Header=BB106_163 Depth=2
	s_or_b32 exec_lo, exec_lo, s7
	s_and_saveexec_b32 s7, vcc_lo
	s_cbranch_execz .LBB106_162
; %bb.166:                              ;   in Loop: Header=BB106_163 Depth=2
	s_waitcnt lgkmcnt(0)
	v_bfe_i32 v4, v3, 0, 16
	s_delay_alu instid0(VALU_DEP_1) | instskip(NEXT) | instid1(VALU_DEP_1)
	v_add_nc_u32_e32 v4, 0x8000, v4
	v_and_b32_e32 v4, s81, v4
	s_delay_alu instid0(VALU_DEP_1)
	v_cmp_eq_u32_e32 vcc_lo, s80, v4
	s_and_b32 exec_lo, exec_lo, vcc_lo
	s_cbranch_execz .LBB106_162
; %bb.167:                              ;   in Loop: Header=BB106_163 Depth=2
	v_perm_b32 v3, v3, 1, 0x5040100
	ds_store_b32 v7, v3 offset:3072
	s_branch .LBB106_162
.LBB106_168:                            ;   in Loop: Header=BB106_12 Depth=1
                                        ; implicit-def: $sgpr19
                                        ; implicit-def: $sgpr21
                                        ; implicit-def: $sgpr20
	s_branch .LBB106_182
.LBB106_169:                            ;   in Loop: Header=BB106_12 Depth=1
	s_mov_b32 s19, -1
	s_mov_b32 s25, 0
                                        ; implicit-def: $sgpr20
                                        ; implicit-def: $vgpr26
	s_mov_b32 s21, s19
	s_cbranch_execnz .LBB106_172
	s_branch .LBB106_182
.LBB106_170:                            ;   in Loop: Header=BB106_12 Depth=1
	s_set_inst_prefetch_distance 0x2
	s_or_b32 exec_lo, exec_lo, s22
	v_lshrrev_b32_e32 v26, 16, v3
	s_and_b32 s25, s25, exec_lo
.LBB106_171:                            ;   in Loop: Header=BB106_12 Depth=1
	s_or_b32 exec_lo, exec_lo, s20
	s_mov_b32 s20, -1
	s_mov_b32 s19, 0
	s_delay_alu instid0(SALU_CYCLE_1)
	s_mov_b32 s21, s19
	s_branch .LBB106_182
.LBB106_172:                            ;   in Loop: Header=BB106_12 Depth=1
	s_mov_b32 s25, 0
                                        ; implicit-def: $vgpr26
	s_and_saveexec_b32 s19, s6
	s_cbranch_execz .LBB106_181
; %bb.173:                              ;   in Loop: Header=BB106_12 Depth=1
	v_dual_mov_b32 v6, v5 :: v_dual_mov_b32 v1, v0
	s_mov_b32 s20, 0
                                        ; implicit-def: $sgpr21
	s_set_inst_prefetch_distance 0x1
	s_branch .LBB106_175
	.p2align	6
.LBB106_174:                            ;   in Loop: Header=BB106_175 Depth=2
	s_or_b32 exec_lo, exec_lo, s7
	s_waitcnt vmcnt(0) lgkmcnt(0)
	s_barrier
	buffer_gl0_inv
	ds_load_b32 v2, v7 offset:3072
	v_add_nc_u32_e32 v1, s53, v1
	v_add_nc_u32_e32 v6, s56, v6
	s_waitcnt lgkmcnt(0)
	s_barrier
	buffer_gl0_inv
	v_cmp_le_u32_e32 vcc_lo, s68, v1
	v_cmp_ne_u16_e64 s7, 0, v2
	s_delay_alu instid0(VALU_DEP_1) | instskip(NEXT) | instid1(SALU_CYCLE_1)
	s_or_b32 s22, vcc_lo, s7
	s_and_b32 s22, exec_lo, s22
	s_delay_alu instid0(SALU_CYCLE_1) | instskip(SKIP_2) | instid1(SALU_CYCLE_1)
	s_or_b32 s20, s22, s20
	s_and_not1_b32 s21, s21, exec_lo
	s_and_b32 s7, s7, exec_lo
	s_or_b32 s21, s21, s7
	s_and_not1_b32 exec_lo, exec_lo, s20
	s_cbranch_execz .LBB106_180
.LBB106_175:                            ;   Parent Loop BB106_12 Depth=1
                                        ; =>  This Inner Loop Header: Depth=2
	s_delay_alu instid0(VALU_DEP_1)
	v_cmp_gt_u32_e32 vcc_lo, s28, v1
	v_mov_b32_e32 v2, 0
	s_and_saveexec_b32 s22, vcc_lo
	s_cbranch_execz .LBB106_177
; %bb.176:                              ;   in Loop: Header=BB106_175 Depth=2
	v_lshlrev_b64 v[2:3], 1, v[6:7]
	s_delay_alu instid0(VALU_DEP_1) | instskip(NEXT) | instid1(VALU_DEP_1)
	v_add_co_u32 v2, s7, s39, v2
	v_add_co_ci_u32_e64 v3, s7, s43, v3, s7
	global_load_u16 v2, v[2:3], off
.LBB106_177:                            ;   in Loop: Header=BB106_175 Depth=2
	s_or_b32 exec_lo, exec_lo, s22
	s_and_saveexec_b32 s7, vcc_lo
	s_cbranch_execz .LBB106_174
; %bb.178:                              ;   in Loop: Header=BB106_175 Depth=2
	s_waitcnt vmcnt(0)
	v_bfe_i32 v3, v2, 0, 16
	s_delay_alu instid0(VALU_DEP_1) | instskip(NEXT) | instid1(VALU_DEP_1)
	v_add_nc_u32_e32 v3, 0x8000, v3
	v_and_b32_e32 v3, s81, v3
	s_delay_alu instid0(VALU_DEP_1)
	v_cmp_eq_u32_e32 vcc_lo, s80, v3
	s_and_b32 exec_lo, exec_lo, vcc_lo
	s_cbranch_execz .LBB106_174
; %bb.179:                              ;   in Loop: Header=BB106_175 Depth=2
	v_perm_b32 v2, v2, 1, 0x5040100
	ds_store_b32 v7, v2 offset:3072
	s_branch .LBB106_174
.LBB106_180:                            ;   in Loop: Header=BB106_12 Depth=1
	s_set_inst_prefetch_distance 0x2
	s_or_b32 exec_lo, exec_lo, s20
	v_lshrrev_b32_e32 v26, 16, v2
	s_and_b32 s25, s21, exec_lo
.LBB106_181:                            ;   in Loop: Header=BB106_12 Depth=1
	s_or_b32 exec_lo, exec_lo, s19
	s_mov_b32 s21, -1
	s_mov_b32 s19, 0
	s_mov_b32 s20, 0
.LBB106_182:                            ;   in Loop: Header=BB106_12 Depth=1
	s_mov_b32 s26, 0
                                        ; implicit-def: $sgpr7
	s_and_saveexec_b32 s22, s25
	s_cbranch_execz .LBB106_237
; %bb.183:                              ;   in Loop: Header=BB106_12 Depth=1
	s_xor_b32 s7, s23, -1
	s_mov_b32 s25, 0
	s_and_not1_b32 vcc_lo, exec_lo, s7
	s_mov_b32 s23, 1
	s_cbranch_vccnz .LBB106_194
; %bb.184:                              ;   in Loop: Header=BB106_12 Depth=1
	s_cmp_gt_u32 s24, s14
	s_mov_b32 s25, -1
                                        ; implicit-def: $sgpr7
                                        ; implicit-def: $sgpr23
                                        ; implicit-def: $sgpr26
	s_cbranch_scc1 .LBB106_190
; %bb.185:                              ;   in Loop: Header=BB106_12 Depth=1
	ds_load_b32 v1, v7 offset:4104
	s_waitcnt lgkmcnt(0)
	v_cmp_ne_u32_e32 vcc_lo, 0, v1
	s_cbranch_vccnz .LBB106_189
; %bb.186:                              ;   in Loop: Header=BB106_12 Depth=1
	s_and_saveexec_b32 s7, s2
	s_cbranch_execz .LBB106_188
; %bb.187:                              ;   in Loop: Header=BB106_12 Depth=1
	v_mov_b32_e32 v1, s14
	ds_store_b32 v7, v1 offset:4108
.LBB106_188:                            ;   in Loop: Header=BB106_12 Depth=1
	s_or_b32 exec_lo, exec_lo, s7
	s_waitcnt lgkmcnt(0)
	s_barrier
	buffer_gl0_inv
.LBB106_189:                            ;   in Loop: Header=BB106_12 Depth=1
	s_lshl_b32 s7, 2, s16
	s_and_b32 s16, s80, s17
	s_or_b32 s26, s81, s10
	s_or_b32 s23, s16, s7
	s_mov_b32 s25, 0
	s_mov_b32 s7, 8
.LBB106_190:                            ;   in Loop: Header=BB106_12 Depth=1
	s_and_not1_b32 vcc_lo, exec_lo, s25
	s_cbranch_vccnz .LBB106_192
; %bb.191:                              ;   in Loop: Header=BB106_12 Depth=1
	s_sub_i32 s24, s24, s14
	s_mov_b32 s25, -1
	s_mov_b32 s7, 0
	s_mov_b32 s23, s80
	;; [unrolled: 1-line block ×3, first 2 shown]
.LBB106_192:                            ;   in Loop: Header=BB106_12 Depth=1
	s_delay_alu instid0(SALU_CYCLE_1)
	s_mov_b32 s81, s26
	s_mov_b32 s80, s23
	s_mov_b32 s23, s24
	s_and_not1_b32 vcc_lo, exec_lo, s25
	s_mov_b32 s82, -1
	s_cbranch_vccz .LBB106_195
.LBB106_193:                            ;   in Loop: Header=BB106_12 Depth=1
                                        ; implicit-def: $sgpr16
                                        ; implicit-def: $sgpr24
                                        ; implicit-def: $sgpr17
	s_branch .LBB106_236
.LBB106_194:                            ;   in Loop: Header=BB106_12 Depth=1
	s_mov_b32 s7, 1
	s_and_not1_b32 vcc_lo, exec_lo, s25
	s_mov_b32 s82, -1
	s_cbranch_vccnz .LBB106_193
.LBB106_195:                            ;   in Loop: Header=BB106_12 Depth=1
	s_cmp_eq_u32 s8, 1
	s_mov_b32 s25, -1
	s_cselect_b32 s7, -1, 0
	s_cmp_eq_u32 s23, 1
	s_cselect_b32 s14, -1, 0
	s_delay_alu instid0(SALU_CYCLE_1) | instskip(NEXT) | instid1(SALU_CYCLE_1)
	s_and_b32 s14, s7, s14
	s_and_b32 vcc_lo, exec_lo, s14
	s_cbranch_vccz .LBB106_207
; %bb.196:                              ;   in Loop: Header=BB106_12 Depth=1
	ds_load_b32 v1, v7 offset:4104
	s_waitcnt lgkmcnt(0)
	s_barrier
	buffer_gl0_inv
	v_readfirstlane_b32 s16, v1
	s_and_saveexec_b32 s7, s3
	s_cbranch_execz .LBB106_198
; %bb.197:                              ;   in Loop: Header=BB106_12 Depth=1
	ds_store_b16 v17, v7
.LBB106_198:                            ;   in Loop: Header=BB106_12 Depth=1
	s_or_b32 exec_lo, exec_lo, s7
	s_or_b32 s80, s80, s10
	s_or_b32 s81, s81, s10
	s_cmp_eq_u32 s16, 0
	s_waitcnt lgkmcnt(0)
	s_barrier
	buffer_gl0_inv
	s_cbranch_scc1 .LBB106_208
; %bb.199:                              ;   in Loop: Header=BB106_12 Depth=1
	s_add_i32 s7, s16, s57
	s_mov_b32 s25, 0
	s_mul_hi_u32 s17, s7, s67
                                        ; implicit-def: $vgpr26
	s_delay_alu instid0(SALU_CYCLE_1) | instskip(NEXT) | instid1(SALU_CYCLE_1)
	s_mul_i32 s17, s17, s53
	s_sub_i32 s17, s7, s17
	s_delay_alu instid0(SALU_CYCLE_1) | instskip(SKIP_2) | instid1(SALU_CYCLE_1)
	s_sub_i32 s24, s17, s53
	s_cmp_ge_u32 s17, s53
	s_cselect_b32 s17, s24, s17
	s_sub_i32 s24, s17, s53
	s_cmp_ge_u32 s17, s53
	s_cselect_b32 s17, s24, s17
	s_delay_alu instid0(SALU_CYCLE_1)
	s_sub_i32 s24, s7, s17
	s_mov_b32 s17, exec_lo
	v_cmpx_gt_u32_e64 s24, v0
	s_cbranch_execz .LBB106_210
; %bb.200:                              ;   in Loop: Header=BB106_12 Depth=1
	v_mov_b32_e32 v1, v16
	v_mov_b32_e32 v2, v0
                                        ; implicit-def: $sgpr26
	s_set_inst_prefetch_distance 0x1
	s_branch .LBB106_202
	.p2align	6
.LBB106_201:                            ;   in Loop: Header=BB106_202 Depth=2
	s_or_b32 exec_lo, exec_lo, s7
	s_waitcnt lgkmcnt(0)
	s_barrier
	buffer_gl0_inv
	ds_load_b32 v3, v7 offset:3072
	v_add_nc_u32_e32 v2, s53, v2
	v_add_nc_u32_e32 v1, s71, v1
	s_waitcnt lgkmcnt(0)
	s_barrier
	buffer_gl0_inv
	v_cmp_le_u32_e32 vcc_lo, s24, v2
	v_cmp_ne_u16_e64 s7, 0, v3
	s_delay_alu instid0(VALU_DEP_1) | instskip(NEXT) | instid1(SALU_CYCLE_1)
	s_or_b32 s82, vcc_lo, s7
	s_and_b32 s82, exec_lo, s82
	s_delay_alu instid0(SALU_CYCLE_1) | instskip(SKIP_2) | instid1(SALU_CYCLE_1)
	s_or_b32 s25, s82, s25
	s_and_not1_b32 s26, s26, exec_lo
	s_and_b32 s7, s7, exec_lo
	s_or_b32 s26, s26, s7
	s_and_not1_b32 exec_lo, exec_lo, s25
	s_cbranch_execz .LBB106_209
.LBB106_202:                            ;   Parent Loop BB106_12 Depth=1
                                        ; =>  This Inner Loop Header: Depth=2
	s_delay_alu instid0(VALU_DEP_1)
	v_cmp_gt_u32_e32 vcc_lo, s16, v2
	v_mov_b32_e32 v3, 0
	s_and_saveexec_b32 s7, vcc_lo
	s_cbranch_execz .LBB106_204
; %bb.203:                              ;   in Loop: Header=BB106_202 Depth=2
	ds_load_u16 v3, v1
.LBB106_204:                            ;   in Loop: Header=BB106_202 Depth=2
	s_or_b32 exec_lo, exec_lo, s7
	s_and_saveexec_b32 s7, vcc_lo
	s_cbranch_execz .LBB106_201
; %bb.205:                              ;   in Loop: Header=BB106_202 Depth=2
	s_waitcnt lgkmcnt(0)
	v_bfe_i32 v4, v3, 0, 16
	s_delay_alu instid0(VALU_DEP_1) | instskip(NEXT) | instid1(VALU_DEP_1)
	v_add_nc_u32_e32 v4, 0x8000, v4
	v_and_b32_e32 v4, s81, v4
	s_delay_alu instid0(VALU_DEP_1)
	v_cmp_eq_u32_e32 vcc_lo, s80, v4
	s_and_b32 exec_lo, exec_lo, vcc_lo
	s_cbranch_execz .LBB106_201
; %bb.206:                              ;   in Loop: Header=BB106_202 Depth=2
	v_perm_b32 v3, v3, 1, 0x5040100
	ds_store_b32 v7, v3 offset:3072
	s_branch .LBB106_201
.LBB106_207:                            ;   in Loop: Header=BB106_12 Depth=1
                                        ; implicit-def: $sgpr16
                                        ; implicit-def: $sgpr24
                                        ; implicit-def: $sgpr17
	s_branch .LBB106_221
.LBB106_208:                            ;   in Loop: Header=BB106_12 Depth=1
	s_mov_b32 s16, -1
	s_mov_b32 s25, 0
                                        ; implicit-def: $sgpr17
                                        ; implicit-def: $vgpr26
	s_mov_b32 s24, s16
	s_cbranch_execnz .LBB106_211
	s_branch .LBB106_221
.LBB106_209:                            ;   in Loop: Header=BB106_12 Depth=1
	s_set_inst_prefetch_distance 0x2
	s_or_b32 exec_lo, exec_lo, s25
	v_lshrrev_b32_e32 v26, 16, v3
	s_and_b32 s25, s26, exec_lo
.LBB106_210:                            ;   in Loop: Header=BB106_12 Depth=1
	s_or_b32 exec_lo, exec_lo, s17
	s_mov_b32 s17, -1
	s_mov_b32 s16, 0
	s_delay_alu instid0(SALU_CYCLE_1)
	s_mov_b32 s24, s16
	s_branch .LBB106_221
.LBB106_211:                            ;   in Loop: Header=BB106_12 Depth=1
	s_mov_b32 s25, 0
                                        ; implicit-def: $vgpr26
	s_and_saveexec_b32 s16, s6
	s_cbranch_execz .LBB106_220
; %bb.212:                              ;   in Loop: Header=BB106_12 Depth=1
	v_dual_mov_b32 v6, v5 :: v_dual_mov_b32 v1, v0
	s_mov_b32 s17, 0
                                        ; implicit-def: $sgpr24
	s_set_inst_prefetch_distance 0x1
	s_branch .LBB106_214
	.p2align	6
.LBB106_213:                            ;   in Loop: Header=BB106_214 Depth=2
	s_or_b32 exec_lo, exec_lo, s7
	s_waitcnt vmcnt(0) lgkmcnt(0)
	s_barrier
	buffer_gl0_inv
	ds_load_b32 v2, v7 offset:3072
	v_add_nc_u32_e32 v1, s53, v1
	v_add_nc_u32_e32 v6, s56, v6
	s_waitcnt lgkmcnt(0)
	s_barrier
	buffer_gl0_inv
	v_cmp_le_u32_e32 vcc_lo, s68, v1
	v_cmp_ne_u16_e64 s7, 0, v2
	s_delay_alu instid0(VALU_DEP_1) | instskip(NEXT) | instid1(SALU_CYCLE_1)
	s_or_b32 s25, vcc_lo, s7
	s_and_b32 s25, exec_lo, s25
	s_delay_alu instid0(SALU_CYCLE_1) | instskip(SKIP_2) | instid1(SALU_CYCLE_1)
	s_or_b32 s17, s25, s17
	s_and_not1_b32 s24, s24, exec_lo
	s_and_b32 s7, s7, exec_lo
	s_or_b32 s24, s24, s7
	s_and_not1_b32 exec_lo, exec_lo, s17
	s_cbranch_execz .LBB106_219
.LBB106_214:                            ;   Parent Loop BB106_12 Depth=1
                                        ; =>  This Inner Loop Header: Depth=2
	s_delay_alu instid0(VALU_DEP_1)
	v_cmp_gt_u32_e32 vcc_lo, s28, v1
	v_mov_b32_e32 v2, 0
	s_and_saveexec_b32 s25, vcc_lo
	s_cbranch_execz .LBB106_216
; %bb.215:                              ;   in Loop: Header=BB106_214 Depth=2
	v_lshlrev_b64 v[2:3], 1, v[6:7]
	s_delay_alu instid0(VALU_DEP_1) | instskip(NEXT) | instid1(VALU_DEP_1)
	v_add_co_u32 v2, s7, s39, v2
	v_add_co_ci_u32_e64 v3, s7, s43, v3, s7
	global_load_u16 v2, v[2:3], off
.LBB106_216:                            ;   in Loop: Header=BB106_214 Depth=2
	s_or_b32 exec_lo, exec_lo, s25
	s_and_saveexec_b32 s7, vcc_lo
	s_cbranch_execz .LBB106_213
; %bb.217:                              ;   in Loop: Header=BB106_214 Depth=2
	s_waitcnt vmcnt(0)
	v_bfe_i32 v3, v2, 0, 16
	s_delay_alu instid0(VALU_DEP_1) | instskip(NEXT) | instid1(VALU_DEP_1)
	v_add_nc_u32_e32 v3, 0x8000, v3
	v_and_b32_e32 v3, s81, v3
	s_delay_alu instid0(VALU_DEP_1)
	v_cmp_eq_u32_e32 vcc_lo, s80, v3
	s_and_b32 exec_lo, exec_lo, vcc_lo
	s_cbranch_execz .LBB106_213
; %bb.218:                              ;   in Loop: Header=BB106_214 Depth=2
	v_perm_b32 v2, v2, 1, 0x5040100
	ds_store_b32 v7, v2 offset:3072
	s_branch .LBB106_213
.LBB106_219:                            ;   in Loop: Header=BB106_12 Depth=1
	s_set_inst_prefetch_distance 0x2
	s_or_b32 exec_lo, exec_lo, s17
	v_lshrrev_b32_e32 v26, 16, v2
	s_and_b32 s25, s24, exec_lo
.LBB106_220:                            ;   in Loop: Header=BB106_12 Depth=1
	s_or_b32 exec_lo, exec_lo, s16
	s_mov_b32 s24, -1
	s_mov_b32 s16, 0
	s_mov_b32 s17, 0
.LBB106_221:                            ;   in Loop: Header=BB106_12 Depth=1
	s_mov_b32 s82, 0
                                        ; implicit-def: $sgpr7
	s_and_saveexec_b32 s26, s25
	s_cbranch_execz .LBB106_235
; %bb.222:                              ;   in Loop: Header=BB106_12 Depth=1
	s_xor_b32 s7, s14, -1
	s_delay_alu instid0(SALU_CYCLE_1)
	s_and_not1_b32 vcc_lo, exec_lo, s7
	s_mov_b32 s7, 1
	s_cbranch_vccnz .LBB106_229
; %bb.223:                              ;   in Loop: Header=BB106_12 Depth=1
	s_cmp_gt_u32 s23, s8
	s_cbranch_scc1 .LBB106_230
; %bb.224:                              ;   in Loop: Header=BB106_12 Depth=1
	ds_load_b32 v1, v7 offset:4104
	s_waitcnt lgkmcnt(0)
	v_cmp_ne_u32_e32 vcc_lo, 0, v1
	s_cbranch_vccnz .LBB106_228
; %bb.225:                              ;   in Loop: Header=BB106_12 Depth=1
	s_and_saveexec_b32 s7, s2
	s_cbranch_execz .LBB106_227
; %bb.226:                              ;   in Loop: Header=BB106_12 Depth=1
	v_mov_b32_e32 v1, s8
	ds_store_b32 v7, v1 offset:4108
.LBB106_227:                            ;   in Loop: Header=BB106_12 Depth=1
	s_or_b32 exec_lo, exec_lo, s7
	s_waitcnt lgkmcnt(0)
	s_barrier
	buffer_gl0_inv
.LBB106_228:                            ;   in Loop: Header=BB106_12 Depth=1
	s_or_b32 s14, s80, s10
	s_or_b32 s10, s81, s10
	s_mov_b32 s25, 0
	s_mov_b32 s7, 8
	s_branch .LBB106_231
.LBB106_229:                            ;   in Loop: Header=BB106_12 Depth=1
	s_mov_b32 s23, 1
	s_branch .LBB106_234
.LBB106_230:                            ;   in Loop: Header=BB106_12 Depth=1
	s_mov_b32 s25, -1
                                        ; implicit-def: $sgpr7
                                        ; implicit-def: $sgpr14
                                        ; implicit-def: $sgpr10
.LBB106_231:                            ;   in Loop: Header=BB106_12 Depth=1
	s_delay_alu instid0(SALU_CYCLE_1)
	s_and_not1_b32 vcc_lo, exec_lo, s25
	s_cbranch_vccnz .LBB106_233
; %bb.232:                              ;   in Loop: Header=BB106_12 Depth=1
	s_sub_i32 s23, s23, s8
	s_mov_b32 s7, 8
	s_mov_b32 s14, s80
	;; [unrolled: 1-line block ×3, first 2 shown]
.LBB106_233:                            ;   in Loop: Header=BB106_12 Depth=1
	s_mov_b32 s80, s14
	s_mov_b32 s81, s10
.LBB106_234:                            ;   in Loop: Header=BB106_12 Depth=1
	s_mov_b32 s82, exec_lo
.LBB106_235:                            ;   in Loop: Header=BB106_12 Depth=1
	s_or_b32 exec_lo, exec_lo, s26
.LBB106_236:                            ;   in Loop: Header=BB106_12 Depth=1
	s_delay_alu instid0(SALU_CYCLE_1)
	s_and_not1_b32 s8, s19, exec_lo
	s_and_b32 s10, s16, exec_lo
	s_and_not1_b32 s14, s20, exec_lo
	s_or_b32 s19, s8, s10
	s_and_not1_b32 s8, s21, exec_lo
	s_and_b32 s10, s24, exec_lo
	s_and_b32 s16, s17, exec_lo
	s_or_b32 s21, s8, s10
	s_or_b32 s20, s14, s16
	s_and_b32 s26, s82, exec_lo
	s_mov_b32 s24, s23
.LBB106_237:                            ;   in Loop: Header=BB106_12 Depth=1
	s_or_b32 exec_lo, exec_lo, s22
.LBB106_238:                            ;   in Loop: Header=BB106_12 Depth=1
	s_delay_alu instid0(SALU_CYCLE_1)
	s_and_not1_b32 s8, s13, exec_lo
	s_and_b32 s10, s19, exec_lo
	s_and_not1_b32 s12, s12, exec_lo
	s_or_b32 s13, s8, s10
	s_and_not1_b32 s8, s15, exec_lo
	s_and_b32 s10, s21, exec_lo
	s_and_b32 s14, s20, exec_lo
	s_or_b32 s15, s8, s10
	s_or_b32 s12, s12, s14
	s_and_b32 s23, s26, exec_lo
	s_mov_b32 s20, s24
.LBB106_239:                            ;   in Loop: Header=BB106_12 Depth=1
	s_or_b32 exec_lo, exec_lo, s18
                                        ; implicit-def: $sgpr82
	s_and_saveexec_b32 s8, s23
	s_delay_alu instid0(SALU_CYCLE_1)
	s_xor_b32 s8, exec_lo, s8
	s_cbranch_execz .LBB106_10
.LBB106_240:                            ;   in Loop: Header=BB106_12 Depth=1
	s_and_b32 s7, s7, -9
	s_delay_alu instid0(SALU_CYCLE_1)
	s_cmp_eq_u32 s7, 0
	s_cbranch_scc1 .LBB106_8
; %bb.241:                              ;   in Loop: Header=BB106_12 Depth=1
	s_mov_b32 s7, -1
	s_mov_b32 s10, -1
                                        ; implicit-def: $sgpr81
                                        ; implicit-def: $sgpr20
                                        ; implicit-def: $sgpr75
                                        ; implicit-def: $sgpr78
	s_branch .LBB106_9
.LBB106_242:
	s_or_b32 exec_lo, exec_lo, s27
	s_xor_b32 s4, s74, -1
	s_xor_b32 s1, s72, -1
	;; [unrolled: 1-line block ×3, first 2 shown]
	s_mov_b32 s2, 0
	s_and_saveexec_b32 s5, s1
	s_delay_alu instid0(SALU_CYCLE_1)
	s_xor_b32 s1, exec_lo, s5
	s_cbranch_execz .LBB106_256
; %bb.243:
	s_and_saveexec_b32 s2, s4
	s_delay_alu instid0(SALU_CYCLE_1)
	s_xor_b32 s4, exec_lo, s2
	s_cbranch_execz .LBB106_254
; %bb.244:
	s_and_saveexec_b32 s2, s3
	s_delay_alu instid0(SALU_CYCLE_1)
	s_xor_b32 s2, exec_lo, s2
; %bb.245:
	v_xor_b32_e32 v26, 0xffff8000, v1
; %bb.246:
	s_or_b32 exec_lo, exec_lo, s2
	s_mul_i32 s3, s54, s44
	s_mul_i32 s2, s52, s45
	s_sub_i32 s3, s52, s3
	s_sub_i32 s2, s33, s2
	s_add_i32 s5, s54, 1
	s_sub_i32 s6, s3, s44
	s_cmp_ge_u32 s3, s44
	s_mul_i32 s2, s2, s42
	s_cselect_b32 s5, s5, s54
	s_cselect_b32 s3, s6, s3
	s_add_i32 s6, s5, 1
	s_cmp_ge_u32 s3, s44
	v_mov_b32_e32 v6, 0
	s_cselect_b32 s3, s6, s5
	s_delay_alu instid0(SALU_CYCLE_1) | instskip(SKIP_4) | instid1(SALU_CYCLE_1)
	s_mul_i32 s5, s3, s44
	s_mul_i32 s6, s3, s40
	s_sub_i32 s5, s52, s5
	s_mov_b32 s3, 0
	s_mul_i32 s5, s5, s41
	s_add_i32 s2, s5, s2
	s_delay_alu instid0(SALU_CYCLE_1) | instskip(NEXT) | instid1(SALU_CYCLE_1)
	s_add_i32 s2, s2, s6
	s_lshl_b64 s[6:7], s[2:3], 1
	s_delay_alu instid0(SALU_CYCLE_1)
	s_add_u32 s6, s48, s6
	s_addc_u32 s7, s49, s7
	global_store_b16 v6, v26, s[6:7]
	s_and_saveexec_b32 s2, s0
	s_cbranch_execz .LBB106_253
; %bb.247:
                                        ; implicit-def: $sgpr0
                                        ; implicit-def: $sgpr6
                                        ; implicit-def: $sgpr5
	s_set_inst_prefetch_distance 0x1
	s_branch .LBB106_249
	.p2align	6
.LBB106_248:                            ;   in Loop: Header=BB106_249 Depth=1
	s_or_b32 exec_lo, exec_lo, s7
	s_delay_alu instid0(SALU_CYCLE_1) | instskip(NEXT) | instid1(SALU_CYCLE_1)
	s_and_b32 s7, exec_lo, s6
	s_or_b32 s3, s7, s3
	s_and_not1_b32 s0, s0, exec_lo
	s_and_b32 s7, s5, exec_lo
	s_delay_alu instid0(SALU_CYCLE_1)
	s_or_b32 s0, s0, s7
	s_and_not1_b32 exec_lo, exec_lo, s3
	s_cbranch_execz .LBB106_251
.LBB106_249:                            ; =>This Inner Loop Header: Depth=1
	v_lshlrev_b64 v[1:2], 1, v[5:6]
	s_or_b32 s5, s5, exec_lo
	s_or_b32 s6, s6, exec_lo
	s_mov_b32 s7, exec_lo
	s_delay_alu instid0(VALU_DEP_1) | instskip(NEXT) | instid1(VALU_DEP_2)
	v_add_co_u32 v1, vcc_lo, s39, v1
	v_add_co_ci_u32_e32 v2, vcc_lo, s43, v2, vcc_lo
	global_load_u16 v2, v[1:2], off
	v_mov_b32_e32 v1, v0
                                        ; implicit-def: $vgpr0
	s_waitcnt vmcnt(0)
	v_cmpx_ne_u16_e64 v2, v26
	s_cbranch_execz .LBB106_248
; %bb.250:                              ;   in Loop: Header=BB106_249 Depth=1
	s_delay_alu instid0(VALU_DEP_2) | instskip(SKIP_3) | instid1(VALU_DEP_2)
	v_add_nc_u32_e32 v0, s53, v1
	s_and_not1_b32 s6, s6, exec_lo
	v_add_nc_u32_e32 v5, s56, v5
	s_and_not1_b32 s5, s5, exec_lo
	v_cmp_le_u32_e32 vcc_lo, s28, v0
	s_and_b32 s8, vcc_lo, exec_lo
	s_delay_alu instid0(SALU_CYCLE_1)
	s_or_b32 s6, s6, s8
	s_branch .LBB106_248
.LBB106_251:
	s_set_inst_prefetch_distance 0x2
	s_or_b32 exec_lo, exec_lo, s3
	s_and_saveexec_b32 s3, s0
	s_delay_alu instid0(SALU_CYCLE_1)
	s_xor_b32 s3, exec_lo, s3
	s_cbranch_execz .LBB106_253
; %bb.252:
	s_mul_i32 s3, s31, s34
	s_mul_i32 s0, s29, s35
	s_sub_i32 s3, s29, s3
	s_sub_i32 s0, s33, s0
	s_add_i32 s5, s31, 1
	s_sub_i32 s6, s3, s34
	s_cmp_ge_u32 s3, s34
	s_mul_i32 s0, s0, s38
	s_cselect_b32 s5, s5, s31
	s_cselect_b32 s3, s6, s3
	s_add_i32 s6, s5, 1
	s_cmp_ge_u32 s3, s34
	s_mov_b32 s7, 0
	s_cselect_b32 s3, s6, s5
	v_mov_b32_e32 v2, 0
	s_mul_i32 s5, s3, s34
	s_mul_i32 s3, s3, s36
	s_sub_i32 s5, s29, s5
	s_delay_alu instid0(SALU_CYCLE_1) | instskip(NEXT) | instid1(SALU_CYCLE_1)
	s_mul_i32 s5, s5, s37
	s_add_i32 s0, s5, s0
	s_delay_alu instid0(SALU_CYCLE_1) | instskip(NEXT) | instid1(SALU_CYCLE_1)
	s_add_i32 s6, s0, s3
	s_lshl_b64 s[6:7], s[6:7], 3
	s_delay_alu instid0(SALU_CYCLE_1)
	s_add_u32 s6, s46, s6
	s_addc_u32 s7, s47, s7
	global_store_b64 v2, v[1:2], s[6:7]
.LBB106_253:
	s_or_b32 exec_lo, exec_lo, s2
.LBB106_254:
	s_or_saveexec_b32 s0, s4
	s_mov_b32 s2, 0
	s_xor_b32 exec_lo, exec_lo, s0
	s_cbranch_execnz .LBB106_262
.LBB106_255:
	s_or_b32 exec_lo, exec_lo, s0
	s_delay_alu instid0(SALU_CYCLE_1)
	s_and_b32 s2, s2, exec_lo
.LBB106_256:
	s_and_not1_saveexec_b32 s0, s1
	s_cbranch_execnz .LBB106_260
; %bb.257:
	s_or_b32 exec_lo, exec_lo, s0
	s_and_saveexec_b32 s0, s2
.LBB106_258:
	; divergent unreachable
.LBB106_259:
	s_nop 0
	s_sendmsg sendmsg(MSG_DEALLOC_VGPRS)
	s_endpgm
.LBB106_260:
	s_cbranch_execnz .LBB106_264
; %bb.261:
	s_or_b32 s2, s2, exec_lo
	s_or_b32 exec_lo, exec_lo, s0
	s_and_saveexec_b32 s0, s2
	s_cbranch_execnz .LBB106_258
	s_branch .LBB106_259
.LBB106_262:
	s_cbranch_execnz .LBB106_266
; %bb.263:
	s_mov_b32 s2, exec_lo
	s_branch .LBB106_255
.LBB106_264:
	s_trap 2
	s_sendmsg_rtn_b32 s0, sendmsg(MSG_RTN_GET_DOORBELL)
	s_mov_b32 ttmp2, m0
	s_waitcnt lgkmcnt(0)
	s_and_b32 s0, s0, 0x3ff
	s_delay_alu instid0(SALU_CYCLE_1) | instskip(NEXT) | instid1(SALU_CYCLE_1)
	s_bitset1_b32 s0, 10
	s_mov_b32 m0, s0
	s_sendmsg sendmsg(MSG_INTERRUPT)
	s_mov_b32 m0, ttmp2
.LBB106_265:                            ; =>This Inner Loop Header: Depth=1
	s_sethalt 5
	s_branch .LBB106_265
.LBB106_266:
	s_trap 2
	s_sendmsg_rtn_b32 s0, sendmsg(MSG_RTN_GET_DOORBELL)
	s_mov_b32 ttmp2, m0
	s_waitcnt lgkmcnt(0)
	s_and_b32 s0, s0, 0x3ff
	s_delay_alu instid0(SALU_CYCLE_1) | instskip(NEXT) | instid1(SALU_CYCLE_1)
	s_bitset1_b32 s0, 10
	s_mov_b32 m0, s0
	s_sendmsg sendmsg(MSG_INTERRUPT)
	s_mov_b32 m0, ttmp2
.LBB106_267:                            ; =>This Inner Loop Header: Depth=1
	s_sethalt 5
	s_branch .LBB106_267
	.section	.rodata,"a",@progbits
	.p2align	6, 0x0
	.amdhsa_kernel _ZN2at6native12_GLOBAL__N_112gatherMedianIsjLi3EEEvNS_4cuda6detail10TensorInfoIT_T0_EENS5_IlS7_EENS5_IKS6_S7_EES7_S7_S7_b
		.amdhsa_group_segment_fixed_size 4120
		.amdhsa_private_segment_fixed_size 0
		.amdhsa_kernarg_size 920
		.amdhsa_user_sgpr_count 13
		.amdhsa_user_sgpr_dispatch_ptr 0
		.amdhsa_user_sgpr_queue_ptr 0
		.amdhsa_user_sgpr_kernarg_segment_ptr 1
		.amdhsa_user_sgpr_dispatch_id 0
		.amdhsa_user_sgpr_private_segment_size 0
		.amdhsa_wavefront_size32 1
		.amdhsa_uses_dynamic_stack 0
		.amdhsa_enable_private_segment 0
		.amdhsa_system_sgpr_workgroup_id_x 1
		.amdhsa_system_sgpr_workgroup_id_y 1
		.amdhsa_system_sgpr_workgroup_id_z 1
		.amdhsa_system_sgpr_workgroup_info 0
		.amdhsa_system_vgpr_workitem_id 0
		.amdhsa_next_free_vgpr 40
		.amdhsa_next_free_sgpr 92
		.amdhsa_reserve_vcc 1
		.amdhsa_float_round_mode_32 0
		.amdhsa_float_round_mode_16_64 0
		.amdhsa_float_denorm_mode_32 3
		.amdhsa_float_denorm_mode_16_64 3
		.amdhsa_dx10_clamp 1
		.amdhsa_ieee_mode 1
		.amdhsa_fp16_overflow 0
		.amdhsa_workgroup_processor_mode 1
		.amdhsa_memory_ordered 1
		.amdhsa_forward_progress 0
		.amdhsa_shared_vgpr_count 0
		.amdhsa_exception_fp_ieee_invalid_op 0
		.amdhsa_exception_fp_denorm_src 0
		.amdhsa_exception_fp_ieee_div_zero 0
		.amdhsa_exception_fp_ieee_overflow 0
		.amdhsa_exception_fp_ieee_underflow 0
		.amdhsa_exception_fp_ieee_inexact 0
		.amdhsa_exception_int_div_zero 0
	.end_amdhsa_kernel
	.section	.text._ZN2at6native12_GLOBAL__N_112gatherMedianIsjLi3EEEvNS_4cuda6detail10TensorInfoIT_T0_EENS5_IlS7_EENS5_IKS6_S7_EES7_S7_S7_b,"axG",@progbits,_ZN2at6native12_GLOBAL__N_112gatherMedianIsjLi3EEEvNS_4cuda6detail10TensorInfoIT_T0_EENS5_IlS7_EENS5_IKS6_S7_EES7_S7_S7_b,comdat
.Lfunc_end106:
	.size	_ZN2at6native12_GLOBAL__N_112gatherMedianIsjLi3EEEvNS_4cuda6detail10TensorInfoIT_T0_EENS5_IlS7_EENS5_IKS6_S7_EES7_S7_S7_b, .Lfunc_end106-_ZN2at6native12_GLOBAL__N_112gatherMedianIsjLi3EEEvNS_4cuda6detail10TensorInfoIT_T0_EENS5_IlS7_EENS5_IKS6_S7_EES7_S7_S7_b
                                        ; -- End function
	.section	.AMDGPU.csdata,"",@progbits
; Kernel info:
; codeLenInByte = 10304
; NumSgprs: 94
; NumVgprs: 40
; ScratchSize: 0
; MemoryBound: 0
; FloatMode: 240
; IeeeMode: 1
; LDSByteSize: 4120 bytes/workgroup (compile time only)
; SGPRBlocks: 11
; VGPRBlocks: 4
; NumSGPRsForWavesPerEU: 94
; NumVGPRsForWavesPerEU: 40
; Occupancy: 16
; WaveLimiterHint : 1
; COMPUTE_PGM_RSRC2:SCRATCH_EN: 0
; COMPUTE_PGM_RSRC2:USER_SGPR: 13
; COMPUTE_PGM_RSRC2:TRAP_HANDLER: 0
; COMPUTE_PGM_RSRC2:TGID_X_EN: 1
; COMPUTE_PGM_RSRC2:TGID_Y_EN: 1
; COMPUTE_PGM_RSRC2:TGID_Z_EN: 1
; COMPUTE_PGM_RSRC2:TIDIG_COMP_CNT: 0
	.section	.text._ZN2at6native12_GLOBAL__N_112gatherMedianIsjLin1EEEvNS_4cuda6detail10TensorInfoIT_T0_EENS5_IlS7_EENS5_IKS6_S7_EES7_S7_S7_b,"axG",@progbits,_ZN2at6native12_GLOBAL__N_112gatherMedianIsjLin1EEEvNS_4cuda6detail10TensorInfoIT_T0_EENS5_IlS7_EENS5_IKS6_S7_EES7_S7_S7_b,comdat
	.globl	_ZN2at6native12_GLOBAL__N_112gatherMedianIsjLin1EEEvNS_4cuda6detail10TensorInfoIT_T0_EENS5_IlS7_EENS5_IKS6_S7_EES7_S7_S7_b ; -- Begin function _ZN2at6native12_GLOBAL__N_112gatherMedianIsjLin1EEEvNS_4cuda6detail10TensorInfoIT_T0_EENS5_IlS7_EENS5_IKS6_S7_EES7_S7_S7_b
	.p2align	8
	.type	_ZN2at6native12_GLOBAL__N_112gatherMedianIsjLin1EEEvNS_4cuda6detail10TensorInfoIT_T0_EENS5_IlS7_EENS5_IKS6_S7_EES7_S7_S7_b,@function
_ZN2at6native12_GLOBAL__N_112gatherMedianIsjLin1EEEvNS_4cuda6detail10TensorInfoIT_T0_EENS5_IlS7_EENS5_IKS6_S7_EES7_S7_S7_b: ; @_ZN2at6native12_GLOBAL__N_112gatherMedianIsjLin1EEEvNS_4cuda6detail10TensorInfoIT_T0_EENS5_IlS7_EENS5_IKS6_S7_EES7_S7_S7_b
; %bb.0:
	s_clause 0x1
	s_load_b64 s[6:7], s[0:1], 0x298
	s_load_b128 s[28:31], s[0:1], 0x288
	s_add_u32 s4, s0, 0x298
	s_addc_u32 s5, s1, 0
	s_waitcnt lgkmcnt(0)
	s_mul_i32 s2, s7, s15
	s_delay_alu instid0(SALU_CYCLE_1) | instskip(NEXT) | instid1(SALU_CYCLE_1)
	s_add_i32 s2, s2, s14
	s_mul_i32 s2, s2, s6
	s_delay_alu instid0(SALU_CYCLE_1) | instskip(NEXT) | instid1(SALU_CYCLE_1)
	s_add_i32 s7, s2, s13
	s_cmp_ge_u32 s7, s29
	s_cbranch_scc1 .LBB107_268
; %bb.1:
	s_load_b32 s2, s[0:1], 0xd0
	s_mov_b32 s27, 0
	s_mov_b32 s29, s7
	s_waitcnt lgkmcnt(0)
	s_cmp_lt_i32 s2, 2
	s_cbranch_scc1 .LBB107_4
; %bb.2:
	s_add_i32 s26, s2, -1
	s_add_i32 s8, s2, 1
	s_lshl_b64 s[10:11], s[26:27], 2
	s_mov_b32 s29, s7
	s_add_u32 s2, s10, s0
	s_addc_u32 s3, s11, s1
	s_add_u32 s2, s2, 8
	s_addc_u32 s3, s3, 0
	s_set_inst_prefetch_distance 0x1
	.p2align	6
.LBB107_3:                              ; =>This Inner Loop Header: Depth=1
	s_clause 0x1
	s_load_b32 s9, s[2:3], 0x0
	s_load_b32 s10, s[2:3], 0x64
	s_mov_b32 s14, s29
	s_waitcnt lgkmcnt(0)
	v_cvt_f32_u32_e32 v1, s9
	s_sub_i32 s12, 0, s9
	s_waitcnt_depctr 0xfff
	v_rcp_iflag_f32_e32 v1, v1
	s_waitcnt_depctr 0xfff
	v_mul_f32_e32 v1, 0x4f7ffffe, v1
	s_delay_alu instid0(VALU_DEP_1) | instskip(NEXT) | instid1(VALU_DEP_1)
	v_cvt_u32_f32_e32 v1, v1
	v_readfirstlane_b32 s11, v1
	s_delay_alu instid0(VALU_DEP_1) | instskip(NEXT) | instid1(SALU_CYCLE_1)
	s_mul_i32 s12, s12, s11
	s_mul_hi_u32 s12, s11, s12
	s_delay_alu instid0(SALU_CYCLE_1) | instskip(NEXT) | instid1(SALU_CYCLE_1)
	s_add_i32 s11, s11, s12
	s_mul_hi_u32 s11, s29, s11
	s_delay_alu instid0(SALU_CYCLE_1) | instskip(SKIP_2) | instid1(SALU_CYCLE_1)
	s_mul_i32 s12, s11, s9
	s_add_i32 s15, s11, 1
	s_sub_i32 s12, s29, s12
	s_sub_i32 s16, s12, s9
	s_cmp_ge_u32 s12, s9
	s_cselect_b32 s11, s15, s11
	s_cselect_b32 s12, s16, s12
	s_add_i32 s15, s11, 1
	s_cmp_ge_u32 s12, s9
	s_cselect_b32 s29, s15, s11
	s_add_i32 s8, s8, -1
	s_mul_i32 s9, s29, s9
	s_delay_alu instid0(SALU_CYCLE_1) | instskip(NEXT) | instid1(SALU_CYCLE_1)
	s_sub_i32 s9, s14, s9
	s_mul_i32 s9, s10, s9
	s_delay_alu instid0(SALU_CYCLE_1)
	s_add_i32 s27, s9, s27
	s_add_u32 s2, s2, -4
	s_addc_u32 s3, s3, -1
	s_cmp_gt_u32 s8, 2
	s_cbranch_scc1 .LBB107_3
.LBB107_4:
	s_set_inst_prefetch_distance 0x2
	s_load_b32 s8, s[0:1], 0x1a8
	s_add_u32 s2, s0, 0xd8
	s_addc_u32 s3, s1, 0
	s_mov_b32 s35, 0
	s_mov_b32 s33, s7
	s_waitcnt lgkmcnt(0)
	s_cmp_lt_i32 s8, 2
	s_cbranch_scc1 .LBB107_7
; %bb.5:
	s_add_i32 s34, s8, -1
	s_add_i32 s10, s8, 1
	s_lshl_b64 s[14:15], s[34:35], 2
	s_mov_b32 s33, s7
	s_add_u32 s8, s14, s2
	s_addc_u32 s9, s15, s3
	s_add_u32 s8, s8, 8
	s_addc_u32 s9, s9, 0
	s_set_inst_prefetch_distance 0x1
	.p2align	6
.LBB107_6:                              ; =>This Inner Loop Header: Depth=1
	s_clause 0x1
	s_load_b32 s11, s[8:9], 0x0
	s_load_b32 s12, s[8:9], 0x64
	s_mov_b32 s16, s33
	s_waitcnt lgkmcnt(0)
	v_cvt_f32_u32_e32 v1, s11
	s_sub_i32 s15, 0, s11
	s_waitcnt_depctr 0xfff
	v_rcp_iflag_f32_e32 v1, v1
	s_waitcnt_depctr 0xfff
	v_mul_f32_e32 v1, 0x4f7ffffe, v1
	s_delay_alu instid0(VALU_DEP_1) | instskip(NEXT) | instid1(VALU_DEP_1)
	v_cvt_u32_f32_e32 v1, v1
	v_readfirstlane_b32 s14, v1
	s_delay_alu instid0(VALU_DEP_1) | instskip(NEXT) | instid1(SALU_CYCLE_1)
	s_mul_i32 s15, s15, s14
	s_mul_hi_u32 s15, s14, s15
	s_delay_alu instid0(SALU_CYCLE_1) | instskip(NEXT) | instid1(SALU_CYCLE_1)
	s_add_i32 s14, s14, s15
	s_mul_hi_u32 s14, s33, s14
	s_delay_alu instid0(SALU_CYCLE_1) | instskip(SKIP_2) | instid1(SALU_CYCLE_1)
	s_mul_i32 s15, s14, s11
	s_add_i32 s17, s14, 1
	s_sub_i32 s15, s33, s15
	s_sub_i32 s18, s15, s11
	s_cmp_ge_u32 s15, s11
	s_cselect_b32 s14, s17, s14
	s_cselect_b32 s15, s18, s15
	s_add_i32 s17, s14, 1
	s_cmp_ge_u32 s15, s11
	s_cselect_b32 s33, s17, s14
	s_add_i32 s10, s10, -1
	s_mul_i32 s11, s33, s11
	s_delay_alu instid0(SALU_CYCLE_1) | instskip(NEXT) | instid1(SALU_CYCLE_1)
	s_sub_i32 s11, s16, s11
	s_mul_i32 s11, s12, s11
	s_delay_alu instid0(SALU_CYCLE_1)
	s_add_i32 s35, s11, s35
	s_add_u32 s8, s8, -4
	s_addc_u32 s9, s9, -1
	s_cmp_gt_u32 s10, 2
	s_cbranch_scc1 .LBB107_6
.LBB107_7:
	s_set_inst_prefetch_distance 0x2
	s_clause 0x1
	s_load_b32 s34, s[0:1], 0x6c
	s_load_b32 s10, s[0:1], 0x280
	s_add_u32 s11, s0, 0x1b0
	s_addc_u32 s12, s1, 0
	s_mov_b32 s9, 0
	s_waitcnt lgkmcnt(0)
	s_cmp_lt_i32 s10, 2
	s_cbranch_scc1 .LBB107_10
; %bb.8:
	s_add_i32 s8, s10, -1
	s_delay_alu instid0(SALU_CYCLE_1)
	s_lshl_b64 s[14:15], s[8:9], 2
	s_add_i32 s8, s10, 1
	s_add_u32 s10, s14, s11
	s_addc_u32 s11, s15, s12
	s_add_u32 s10, s10, 8
	s_addc_u32 s11, s11, 0
	s_set_inst_prefetch_distance 0x1
	.p2align	6
.LBB107_9:                              ; =>This Inner Loop Header: Depth=1
	s_clause 0x1
	s_load_b32 s12, s[10:11], 0x0
	s_load_b32 s14, s[10:11], 0x64
	s_mov_b32 s17, s7
	s_waitcnt lgkmcnt(0)
	v_cvt_f32_u32_e32 v1, s12
	s_sub_i32 s16, 0, s12
	s_waitcnt_depctr 0xfff
	v_rcp_iflag_f32_e32 v1, v1
	s_waitcnt_depctr 0xfff
	v_mul_f32_e32 v1, 0x4f7ffffe, v1
	s_delay_alu instid0(VALU_DEP_1) | instskip(NEXT) | instid1(VALU_DEP_1)
	v_cvt_u32_f32_e32 v1, v1
	v_readfirstlane_b32 s15, v1
	s_delay_alu instid0(VALU_DEP_1) | instskip(NEXT) | instid1(SALU_CYCLE_1)
	s_mul_i32 s16, s16, s15
	s_mul_hi_u32 s16, s15, s16
	s_delay_alu instid0(SALU_CYCLE_1) | instskip(NEXT) | instid1(SALU_CYCLE_1)
	s_add_i32 s15, s15, s16
	s_mul_hi_u32 s7, s7, s15
	s_delay_alu instid0(SALU_CYCLE_1) | instskip(SKIP_2) | instid1(SALU_CYCLE_1)
	s_mul_i32 s15, s7, s12
	s_add_i32 s16, s7, 1
	s_sub_i32 s15, s17, s15
	s_sub_i32 s18, s15, s12
	s_cmp_ge_u32 s15, s12
	s_cselect_b32 s7, s16, s7
	s_cselect_b32 s15, s18, s15
	s_add_i32 s16, s7, 1
	s_cmp_ge_u32 s15, s12
	s_cselect_b32 s7, s16, s7
	s_add_i32 s8, s8, -1
	s_mul_i32 s12, s7, s12
	s_delay_alu instid0(SALU_CYCLE_1) | instskip(NEXT) | instid1(SALU_CYCLE_1)
	s_sub_i32 s12, s17, s12
	s_mul_i32 s12, s14, s12
	s_delay_alu instid0(SALU_CYCLE_1)
	s_add_i32 s9, s12, s9
	s_add_u32 s10, s10, -4
	s_addc_u32 s11, s11, -1
	s_cmp_gt_u32 s8, 2
	s_cbranch_scc1 .LBB107_9
.LBB107_10:
	s_set_inst_prefetch_distance 0x2
	s_load_b32 s44, s[2:3], 0x6c
	v_cmp_eq_u32_e64 s2, 0, v0
	s_delay_alu instid0(VALU_DEP_1)
	s_and_saveexec_b32 s3, s2
	s_cbranch_execz .LBB107_12
; %bb.11:
	v_mov_b32_e32 v1, 0
	s_delay_alu instid0(VALU_DEP_1)
	v_mov_b32_e32 v2, v1
	ds_store_b64 v1, v[1:2] offset:4096
.LBB107_12:
	s_or_b32 exec_lo, exec_lo, s3
	v_mov_b32_e32 v1, 0
	s_waitcnt lgkmcnt(0)
	s_barrier
	buffer_gl0_inv
	s_barrier
	buffer_gl0_inv
	ds_load_b64 v[1:2], v1 offset:4096
	s_load_b64 s[10:11], s[0:1], 0x1b0
	s_bitcmp1_b32 s31, 0
	s_mov_b32 s73, s28
	s_cselect_b32 s3, -1, 0
	s_waitcnt lgkmcnt(0)
	v_cmp_gt_i64_e32 vcc_lo, 1, v[1:2]
	s_or_b32 s3, s3, vcc_lo
	s_delay_alu instid0(SALU_CYCLE_1)
	s_and_not1_b32 vcc_lo, exec_lo, s3
	s_cbranch_vccnz .LBB107_14
; %bb.13:
	v_not_b32_e32 v1, v1
	v_not_b32_e32 v2, v2
	s_delay_alu instid0(VALU_DEP_2) | instskip(NEXT) | instid1(VALU_DEP_2)
	v_add_co_u32 v1, vcc_lo, v1, s28
	v_add_co_ci_u32_e32 v2, vcc_lo, 0, v2, vcc_lo
	s_delay_alu instid0(VALU_DEP_1) | instskip(NEXT) | instid1(VALU_DEP_1)
	v_lshrrev_b32_e32 v3, 31, v2
	v_add_co_u32 v1, vcc_lo, v1, v3
	v_add_co_ci_u32_e32 v2, vcc_lo, 0, v2, vcc_lo
	s_delay_alu instid0(VALU_DEP_1) | instskip(NEXT) | instid1(VALU_DEP_1)
	v_alignbit_b32 v1, v2, v1, 1
	v_readfirstlane_b32 s3, v1
	s_delay_alu instid0(VALU_DEP_1)
	s_add_i32 s73, s3, 1
.LBB107_14:
	s_clause 0x2
	s_load_b64 s[38:39], s[0:1], 0x0
	s_load_b64 s[36:37], s[0:1], 0xd8
	s_load_b32 s0, s[0:1], 0x21c
	s_and_saveexec_b32 s1, s2
	s_cbranch_execz .LBB107_16
; %bb.15:
	v_dual_mov_b32 v1, 0 :: v_dual_mov_b32 v2, s28
	ds_store_b32 v1, v1 offset:4112
	ds_store_b64 v1, v[1:2] offset:4104
.LBB107_16:
	s_or_b32 exec_lo, exec_lo, s1
	s_waitcnt lgkmcnt(0)
	s_barrier
	buffer_gl0_inv
	s_load_b32 s3, s[4:5], 0xc
	s_mul_i32 s0, s0, s7
	s_mov_b32 s41, 0
	s_add_i32 s40, s0, s9
	v_mbcnt_lo_u32_b32 v14, -1, 0
	s_lshl_b64 s[8:9], s[40:41], 1
	v_cmp_gt_u32_e32 vcc_lo, 32, v0
	s_add_u32 s31, s10, s8
	s_addc_u32 s40, s11, s9
	v_cmp_gt_i32_e64 s1, 4, v14
	v_mul_lo_u32 v5, v0, s30
	v_cmp_gt_u32_e64 s0, s28, v0
	v_lshlrev_b32_e32 v24, 3, v0
	v_lshl_or_b32 v25, v14, 2, 0xc00
	s_and_b32 s47, vcc_lo, s1
	v_cmp_gt_u32_e64 s1, 2, v0
	s_mov_b32 s66, 14
	s_mov_b32 s69, s41
	v_lshlrev_b32_e32 v22, 2, v5
	s_mov_b32 s71, s41
	s_waitcnt lgkmcnt(0)
	s_and_b32 s45, s3, 0xffff
	s_bfe_u32 s3, s3, 0xb0005
	s_lshl_b32 s46, s45, 2
	s_add_i32 s48, s45, -1
	v_cvt_f32_u32_e32 v1, s46
	s_add_i32 s7, s48, s28
	s_cmpk_gt_u32 s28, 0x600
	v_cvt_f32_u32_e32 v2, s45
	s_cselect_b32 s50, -1, 0
	v_rcp_iflag_f32_e32 v1, v1
	s_cmp_gt_u32 s45, 31
	s_mul_i32 s49, s30, s45
	s_cselect_b32 s51, -1, 0
	s_cmp_lt_u32 s13, s6
	v_rcp_iflag_f32_e32 v2, v2
	s_cselect_b32 s6, 12, 18
	v_lshlrev_b32_e32 v16, 1, v0
	s_add_u32 s42, s4, s6
	s_addc_u32 s43, s5, 0
	s_waitcnt_depctr 0xfff
	v_mul_f32_e32 v1, 0x4f7ffffe, v1
	s_add_i32 s4, s3, -1
	s_bfe_u32 s52, s45, 0x30005
	s_cmp_gt_u32 s4, 6
	v_dual_mul_f32 v2, 0x4f7ffffe, v2 :: v_dual_lshlrev_b32 v15, 2, v0
	v_cvt_u32_f32_e32 v1, v1
	s_cselect_b32 s53, -1, 0
	s_and_b32 s54, s3, 0x7f8
	s_cmp_lg_u32 s52, 0
	v_cvt_u32_f32_e32 v2, v2
	v_readfirstlane_b32 s3, v1
	s_cselect_b32 s55, -1, 0
	s_sub_i32 s4, 0, s46
	v_lshrrev_b32_e32 v1, 3, v0
	v_mov_b32_e32 v7, 0
	s_mul_i32 s4, s4, s3
	v_mad_u64_u32 v[12:13], null, s30, v15, s[30:31]
	s_delay_alu instid0(VALU_DEP_3)
	v_and_b32_e32 v18, 0x7c, v1
	s_mul_hi_u32 s4, s3, s4
	v_dual_mov_b32 v6, v7 :: v_dual_add_nc_u32 v17, 0xc00, v16
	s_add_i32 s56, s3, s4
	v_cmp_eq_u32_e64 s3, 0, v14
	s_mul_hi_u32 s4, s28, s56
	s_mov_b32 s72, s41
	s_mul_i32 s4, s4, s46
                                        ; implicit-def: $sgpr63
                                        ; implicit-def: $sgpr65
                                        ; implicit-def: $sgpr64
                                        ; implicit-def: $sgpr68
                                        ; implicit-def: $sgpr70
                                        ; implicit-def: $sgpr67
	v_mov_b32_e32 v26, 0
	s_sub_i32 s4, s28, s4
	s_delay_alu instid0(SALU_CYCLE_1)
	s_sub_i32 s5, s4, s46
	s_cmp_ge_u32 s4, s46
	s_cselect_b32 s4, s5, s4
	v_readfirstlane_b32 s5, v2
	s_sub_i32 s6, s4, s46
	s_cmp_ge_u32 s4, s46
	v_lshlrev_b64 v[1:2], v14, -1
	s_cselect_b32 s8, s6, s4
	s_sub_i32 s4, 0, s45
	s_sub_i32 s57, s28, s8
	s_mul_i32 s4, s4, s5
	v_add_nc_u32_e32 v19, s57, v0
	v_lshlrev_b64 v[2:3], 1, v[5:6]
	s_mul_hi_u32 s4, s5, s4
	v_not_b32_e32 v20, v1
	s_add_i32 s58, s5, s4
	v_mul_lo_u32 v6, v19, s30
	s_mul_hi_u32 s4, s7, s58
	v_add_co_u32 v8, vcc_lo, s31, v2
	s_mul_i32 s4, s4, s45
	v_add_co_ci_u32_e32 v9, vcc_lo, s40, v3, vcc_lo
	s_sub_i32 s4, s7, s4
	s_delay_alu instid0(VALU_DEP_3) | instskip(SKIP_4) | instid1(VALU_DEP_2)
	v_lshlrev_b64 v[1:2], 1, v[6:7]
	v_add3_u32 v3, s45, s28, v0
	s_sub_i32 s5, s4, s45
	s_cmp_ge_u32 s4, s45
	s_cselect_b32 s5, s5, s4
	v_add_co_u32 v10, vcc_lo, s31, v1
	v_add_co_ci_u32_e32 v11, vcc_lo, s40, v2, vcc_lo
	v_or_b32_e32 v1, 2, v15
	v_or_b32_e32 v2, 3, v15
	v_subrev_nc_u32_e32 v3, s8, v3
	s_sub_i32 s6, s5, s45
	s_cmp_ge_u32 s5, s45
	v_mul_lo_u32 v13, s30, v1
	s_cselect_b32 s6, s6, s5
	v_mul_lo_u32 v21, s30, v2
	v_mul_lo_u32 v23, s30, v3
	s_sub_i32 s59, s7, s6
	v_cmp_gt_u32_e64 s4, s57, v15
	v_cmp_gt_u32_e64 s5, s28, v19
	;; [unrolled: 1-line block ×3, first 2 shown]
	s_lshl_b32 s60, s49, 2
	s_lshl_b32 s61, s45, 3
	;; [unrolled: 1-line block ×3, first 2 shown]
	s_branch .LBB107_21
.LBB107_17:                             ;   in Loop: Header=BB107_21 Depth=1
	s_xor_b32 s69, s69, 1
	s_add_i32 s11, s66, -2
	s_cmp_eq_u32 s66, 0
	s_mov_b32 s7, 0
	s_cselect_b32 s10, -1, 0
	s_mov_b32 s66, s11
.LBB107_18:                             ;   in Loop: Header=BB107_21 Depth=1
	s_and_not1_b32 s11, s13, exec_lo
	s_and_b32 s7, s7, exec_lo
	s_and_not1_b32 s15, s15, exec_lo
	s_or_b32 s13, s11, s7
	s_and_not1_b32 s12, s12, exec_lo
	s_or_not1_b32 s11, s10, exec_lo
	s_mov_b32 s73, s20
.LBB107_19:                             ;   in Loop: Header=BB107_21 Depth=1
	s_or_b32 exec_lo, exec_lo, s8
	s_delay_alu instid0(SALU_CYCLE_1)
	s_and_not1_b32 s7, s67, exec_lo
	s_and_b32 s8, s13, exec_lo
	s_and_not1_b32 s10, s68, exec_lo
	s_or_b32 s67, s7, s8
	s_and_not1_b32 s7, s70, exec_lo
	s_and_b32 s8, s15, exec_lo
	s_and_b32 s12, s12, exec_lo
	s_or_b32 s70, s7, s8
	s_or_b32 s68, s10, s12
	s_or_not1_b32 s12, s11, exec_lo
.LBB107_20:                             ;   in Loop: Header=BB107_21 Depth=1
	s_or_b32 exec_lo, exec_lo, s9
	s_delay_alu instid0(SALU_CYCLE_1)
	s_and_b32 s7, exec_lo, s12
	v_mov_b32_e32 v1, s71
	s_or_b32 s41, s7, s41
	s_and_not1_b32 s7, s64, exec_lo
	s_and_b32 s8, s67, exec_lo
	s_and_not1_b32 s9, s63, exec_lo
	s_or_b32 s64, s7, s8
	s_and_not1_b32 s7, s65, exec_lo
	s_and_b32 s8, s70, exec_lo
	s_and_b32 s10, s68, exec_lo
	s_or_b32 s65, s7, s8
	s_or_b32 s63, s9, s10
	s_and_not1_b32 exec_lo, exec_lo, s41
	s_cbranch_execz .LBB107_251
.LBB107_21:                             ; =>This Loop Header: Depth=1
                                        ;     Child Loop BB107_26 Depth 2
                                        ;     Child Loop BB107_41 Depth 2
	;; [unrolled: 1-line block ×16, first 2 shown]
	ds_load_b64 v[1:2], v7 offset:4104
	s_waitcnt lgkmcnt(0)
	v_readfirstlane_b32 s74, v1
	s_delay_alu instid0(VALU_DEP_1)
	s_cmp_lg_u32 s74, 0
	s_cbranch_scc1 .LBB107_48
; %bb.22:                               ;   in Loop: Header=BB107_21 Depth=1
	s_and_b32 vcc_lo, exec_lo, s50
	s_cbranch_vccz .LBB107_34
; %bb.23:                               ;   in Loop: Header=BB107_21 Depth=1
	v_cmp_gt_u32_e32 vcc_lo, 0x601, v2
	s_mov_b32 s74, 0
	s_mov_b32 s7, 0
	s_cbranch_vccz .LBB107_35
; %bb.24:                               ;   in Loop: Header=BB107_21 Depth=1
	global_load_u16 v1, v7, s[42:43]
	global_load_u16 v3, v[8:9], off
	v_mov_b32_e32 v4, v0
	s_mov_b32 s9, 0
	s_waitcnt vmcnt(1)
	v_add_nc_u32_e32 v2, v0, v1
	s_delay_alu instid0(VALU_DEP_1)
	v_mul_lo_u32 v6, s30, v2
	v_mul_lo_u32 v2, s30, v1
	s_branch .LBB107_26
.LBB107_25:                             ;   in Loop: Header=BB107_26 Depth=2
	s_or_b32 exec_lo, exec_lo, s8
	v_dual_mov_b32 v3, v27 :: v_dual_add_nc_u32 v6, v6, v2
	s_and_not1_b32 exec_lo, exec_lo, s9
	s_cbranch_execz .LBB107_136
.LBB107_26:                             ;   Parent Loop BB107_21 Depth=1
                                        ; =>  This Inner Loop Header: Depth=2
	v_dual_mov_b32 v27, 0 :: v_dual_add_nc_u32 v4, v4, v1
	s_waitcnt lgkmcnt(0)
	v_mov_b32_e32 v28, 0
	s_mov_b32 s8, exec_lo
	s_delay_alu instid0(VALU_DEP_2)
	v_cmp_le_u32_e32 vcc_lo, s28, v4
	v_cmpx_gt_u32_e64 s28, v4
	s_cbranch_execz .LBB107_28
; %bb.27:                               ;   in Loop: Header=BB107_26 Depth=2
	v_lshlrev_b64 v[29:30], 1, v[6:7]
	s_delay_alu instid0(VALU_DEP_1) | instskip(NEXT) | instid1(VALU_DEP_1)
	v_add_co_u32 v29, s7, s31, v29
	v_add_co_ci_u32_e64 v30, s7, s40, v30, s7
	global_load_u16 v27, v[29:30], off
.LBB107_28:                             ;   in Loop: Header=BB107_26 Depth=2
	s_or_b32 exec_lo, exec_lo, s8
	s_waitcnt vmcnt(0)
	v_bfe_i32 v29, v3, 0, 16
	s_delay_alu instid0(VALU_DEP_1) | instskip(NEXT) | instid1(VALU_DEP_1)
	v_add_nc_u32_e32 v29, 0x8000, v29
	v_and_b32_e32 v29, s72, v29
	s_delay_alu instid0(VALU_DEP_1) | instskip(NEXT) | instid1(VALU_DEP_1)
	v_cmp_eq_u32_e64 s7, s71, v29
	s_cmp_lg_u32 s7, 0
	s_cselect_b32 s8, -1, 0
	s_delay_alu instid0(SALU_CYCLE_1) | instskip(NEXT) | instid1(SALU_CYCLE_1)
	s_and_b32 s8, s3, s8
	s_and_saveexec_b32 s10, s8
	s_cbranch_execz .LBB107_32
; %bb.29:                               ;   in Loop: Header=BB107_26 Depth=2
	s_mov_b32 s13, exec_lo
	s_bcnt1_i32_b32 s11, s7
	v_mbcnt_lo_u32_b32 v28, s13, 0
	s_mov_b32 s12, exec_lo
                                        ; implicit-def: $vgpr29
	s_delay_alu instid0(VALU_DEP_1)
	v_cmpx_eq_u32_e32 0, v28
	s_cbranch_execz .LBB107_31
; %bb.30:                               ;   in Loop: Header=BB107_26 Depth=2
	s_bcnt1_i32_b32 s8, s13
	s_delay_alu instid0(SALU_CYCLE_1) | instskip(NEXT) | instid1(SALU_CYCLE_1)
	s_mul_i32 s8, s11, s8
	v_mov_b32_e32 v29, s8
	ds_add_rtn_u32 v29, v7, v29 offset:4112
.LBB107_31:                             ;   in Loop: Header=BB107_26 Depth=2
	s_or_b32 exec_lo, exec_lo, s12
	s_waitcnt lgkmcnt(0)
	v_readfirstlane_b32 s8, v29
	s_delay_alu instid0(VALU_DEP_1)
	v_mad_u32_u24 v28, s11, v28, s8
.LBB107_32:                             ;   in Loop: Header=BB107_26 Depth=2
	s_or_b32 exec_lo, exec_lo, s10
	ds_bpermute_b32 v28, v7, v28
	s_and_b32 s8, exec_lo, vcc_lo
	s_delay_alu instid0(SALU_CYCLE_1)
	s_or_b32 s9, s8, s9
	s_and_saveexec_b32 s8, s7
	s_cbranch_execz .LBB107_25
; %bb.33:                               ;   in Loop: Header=BB107_26 Depth=2
	v_and_b32_e32 v29, s7, v20
	s_delay_alu instid0(VALU_DEP_1) | instskip(NEXT) | instid1(VALU_DEP_1)
	v_bcnt_u32_b32 v29, v29, 0
	v_lshlrev_b32_e32 v29, 1, v29
	s_waitcnt lgkmcnt(0)
	s_delay_alu instid0(VALU_DEP_1)
	v_lshl_add_u32 v28, v28, 1, v29
	ds_store_b16 v28, v3
	s_branch .LBB107_25
.LBB107_34:                             ;   in Loop: Header=BB107_21 Depth=1
	s_mov_b32 s74, -1
	s_mov_b32 s7, 0
.LBB107_35:                             ;   in Loop: Header=BB107_21 Depth=1
	s_and_b32 vcc_lo, exec_lo, s74
	s_cbranch_vccz .LBB107_46
.LBB107_36:                             ;   in Loop: Header=BB107_21 Depth=1
	v_mov_b32_e32 v1, 0
	s_and_saveexec_b32 s7, s0
	s_cbranch_execz .LBB107_38
; %bb.37:                               ;   in Loop: Header=BB107_21 Depth=1
	global_load_u16 v1, v[8:9], off
.LBB107_38:                             ;   in Loop: Header=BB107_21 Depth=1
	s_or_b32 exec_lo, exec_lo, s7
	s_and_saveexec_b32 s8, s0
	s_cbranch_execz .LBB107_43
; %bb.39:                               ;   in Loop: Header=BB107_21 Depth=1
	global_load_u16 v2, v7, s[42:43]
	v_mov_b32_e32 v28, v0
	s_mov_b32 s9, 0
	v_mov_b32_e32 v27, v16
	s_waitcnt vmcnt(0)
	v_add_nc_u32_e32 v3, v0, v2
	v_lshlrev_b32_e32 v4, 1, v2
	s_delay_alu instid0(VALU_DEP_2)
	v_mul_lo_u32 v6, s30, v3
	v_mul_lo_u32 v3, s30, v2
	s_set_inst_prefetch_distance 0x1
	s_branch .LBB107_41
	.p2align	6
.LBB107_40:                             ;   in Loop: Header=BB107_41 Depth=2
	s_or_b32 exec_lo, exec_lo, s10
	ds_store_b16 v27, v1
	v_add_nc_u32_e32 v27, v27, v4
	s_waitcnt vmcnt(0)
	v_dual_mov_b32 v1, v29 :: v_dual_add_nc_u32 v6, v6, v3
	s_and_b32 s7, exec_lo, vcc_lo
	s_delay_alu instid0(SALU_CYCLE_1) | instskip(NEXT) | instid1(SALU_CYCLE_1)
	s_or_b32 s9, s7, s9
	s_and_not1_b32 exec_lo, exec_lo, s9
	s_cbranch_execz .LBB107_43
.LBB107_41:                             ;   Parent Loop BB107_21 Depth=1
                                        ; =>  This Inner Loop Header: Depth=2
	v_dual_mov_b32 v29, 0 :: v_dual_add_nc_u32 v28, v28, v2
	s_mov_b32 s10, exec_lo
	s_delay_alu instid0(VALU_DEP_1)
	v_cmp_le_u32_e32 vcc_lo, s28, v28
	v_cmpx_gt_u32_e64 s28, v28
	s_cbranch_execz .LBB107_40
; %bb.42:                               ;   in Loop: Header=BB107_41 Depth=2
	v_lshlrev_b64 v[29:30], 1, v[6:7]
	s_delay_alu instid0(VALU_DEP_1) | instskip(NEXT) | instid1(VALU_DEP_1)
	v_add_co_u32 v29, s7, s31, v29
	v_add_co_ci_u32_e64 v30, s7, s40, v30, s7
	global_load_u16 v29, v[29:30], off
	s_branch .LBB107_40
.LBB107_43:                             ;   in Loop: Header=BB107_21 Depth=1
	s_set_inst_prefetch_distance 0x2
	s_or_b32 exec_lo, exec_lo, s8
	s_waitcnt vmcnt(0) lgkmcnt(0)
	s_barrier
	buffer_gl0_inv
	s_and_saveexec_b32 s7, s2
	s_cbranch_execz .LBB107_45
; %bb.44:                               ;   in Loop: Header=BB107_21 Depth=1
	v_mov_b32_e32 v1, s28
	ds_store_b32 v7, v1 offset:4104
.LBB107_45:                             ;   in Loop: Header=BB107_21 Depth=1
	s_or_b32 exec_lo, exec_lo, s7
	s_mov_b32 s7, -1
	s_waitcnt lgkmcnt(0)
	s_barrier
                                        ; implicit-def: $sgpr74
.LBB107_46:                             ;   in Loop: Header=BB107_21 Depth=1
	s_and_b32 vcc_lo, exec_lo, s7
	s_cbranch_vccz .LBB107_48
; %bb.47:                               ;   in Loop: Header=BB107_21 Depth=1
	buffer_gl0_inv
	ds_load_b32 v1, v7 offset:4104
	s_waitcnt lgkmcnt(0)
	v_readfirstlane_b32 s74, v1
.LBB107_48:                             ;   in Loop: Header=BB107_21 Depth=1
	s_delay_alu instid0(VALU_DEP_1)
	s_cmp_lt_i32 s74, 1
	s_cbranch_scc0 .LBB107_52
; %bb.49:                               ;   in Loop: Header=BB107_21 Depth=1
	v_dual_mov_b32 v1, 0 :: v_dual_mov_b32 v2, 0
	v_dual_mov_b32 v3, 0 :: v_dual_mov_b32 v4, 0
	s_mov_b32 s19, 0
	s_and_saveexec_b32 s18, s4
	s_cbranch_execnz .LBB107_53
; %bb.50:                               ;   in Loop: Header=BB107_21 Depth=1
	s_or_b32 exec_lo, exec_lo, s18
	v_mov_b32_e32 v28, 0
	s_and_saveexec_b32 s7, s5
	s_cbranch_execnz .LBB107_56
.LBB107_51:                             ;   in Loop: Header=BB107_21 Depth=1
	s_or_b32 exec_lo, exec_lo, s7
	s_and_saveexec_b32 s11, s5
	s_cbranch_execnz .LBB107_57
	s_branch .LBB107_62
.LBB107_52:                             ;   in Loop: Header=BB107_21 Depth=1
                                        ; implicit-def: $vgpr4
	s_cbranch_execnz .LBB107_63
	s_branch .LBB107_72
.LBB107_53:                             ;   in Loop: Header=BB107_21 Depth=1
	v_mov_b32_e32 v27, v15
	s_and_b32 s20, s66, 0xfe
	s_mov_b32 s21, 0
	s_mov_b32 s22, 0
	;; [unrolled: 1-line block ×5, first 2 shown]
.LBB107_54:                             ;   Parent Loop BB107_21 Depth=1
                                        ; =>  This Inner Loop Header: Depth=2
	v_add_nc_u32_e32 v6, s21, v22
	s_delay_alu instid0(VALU_DEP_1) | instskip(SKIP_1) | instid1(VALU_DEP_1)
	v_lshlrev_b64 v[1:2], 1, v[6:7]
	v_add_nc_u32_e32 v6, s21, v12
	v_lshlrev_b64 v[3:4], 1, v[6:7]
	v_add_nc_u32_e32 v6, s21, v13
	s_delay_alu instid0(VALU_DEP_4) | instskip(SKIP_1) | instid1(VALU_DEP_3)
	v_add_co_u32 v1, vcc_lo, s31, v1
	v_add_co_ci_u32_e32 v2, vcc_lo, s40, v2, vcc_lo
	v_lshlrev_b64 v[28:29], 1, v[6:7]
	v_add_nc_u32_e32 v6, s21, v21
	s_add_i32 s21, s21, s60
	global_load_i16 v30, v[1:2], off
	v_add_co_u32 v1, vcc_lo, s31, v3
	v_add_co_ci_u32_e32 v2, vcc_lo, s40, v4, vcc_lo
	v_add_co_u32 v28, vcc_lo, s31, v28
	v_add_co_ci_u32_e32 v29, vcc_lo, s40, v29, vcc_lo
	v_lshlrev_b64 v[3:4], 1, v[6:7]
	s_clause 0x1
	global_load_i16 v6, v[1:2], off
	global_load_i16 v28, v[28:29], off
	v_add_co_u32 v1, vcc_lo, s31, v3
	v_add_co_ci_u32_e32 v2, vcc_lo, s40, v4, vcc_lo
	global_load_i16 v1, v[1:2], off
	s_waitcnt vmcnt(3)
	v_add_nc_u32_e32 v2, 0x8000, v30
	s_delay_alu instid0(VALU_DEP_1)
	v_and_b32_e32 v3, s72, v2
	v_bfe_u32 v2, v2, s20, 2
	s_waitcnt vmcnt(2)
	v_add_nc_u32_e32 v4, 0x8000, v6
	s_waitcnt vmcnt(1)
	v_add_nc_u32_e32 v6, 0x8000, v28
	v_cmp_eq_u32_e64 s7, s71, v3
	v_cmp_eq_u32_e64 s8, 0, v2
	;; [unrolled: 1-line block ×3, first 2 shown]
	v_and_b32_e32 v3, s72, v4
	v_bfe_u32 v4, v4, s20, 2
	v_cmp_eq_u32_e64 s10, 2, v2
	v_cmp_eq_u32_e64 s11, 3, v2
	v_and_b32_e32 v2, s72, v6
	v_cmp_eq_u32_e64 s12, s71, v3
	v_bfe_u32 v3, v6, s20, 2
	s_and_b32 s8, s7, s8
	s_waitcnt vmcnt(0)
	v_add_nc_u32_e32 v1, 0x8000, v1
	v_cmp_eq_u32_e64 s13, 0, v4
	v_cndmask_b32_e64 v6, 0, 1, s8
	v_cmp_eq_u32_e64 s8, 1, v4
	s_and_b32 s9, s7, s9
	s_and_b32 s10, s7, s10
	;; [unrolled: 1-line block ×3, first 2 shown]
	v_cndmask_b32_e64 v28, 0, 1, s9
	v_cmp_eq_u32_e64 s9, 2, v4
	v_cndmask_b32_e64 v29, 0, 1, s10
	v_cmp_eq_u32_e64 s10, 3, v4
	;; [unrolled: 2-line block ×3, first 2 shown]
	v_cmp_eq_u32_e64 s11, 0, v3
	v_and_b32_e32 v2, s72, v1
	v_bfe_u32 v1, v1, s20, 2
	s_and_b32 s13, s12, s13
	s_and_b32 s8, s12, s8
	v_cmp_ne_u32_e64 s14, 0, v6
	v_cndmask_b32_e64 v6, 0, 1, s13
	v_cmp_eq_u32_e64 s13, 1, v3
	v_cmp_ne_u32_e64 s15, 0, v28
	v_cndmask_b32_e64 v28, 0, 1, s8
	v_cmp_eq_u32_e64 s8, 2, v3
	s_and_b32 s9, s12, s9
	s_and_b32 s10, s12, s10
	;; [unrolled: 1-line block ×3, first 2 shown]
	v_cmp_ne_u32_e64 s16, 0, v29
	v_cndmask_b32_e64 v29, 0, 1, s9
	v_cmp_eq_u32_e64 s9, 3, v3
	v_cndmask_b32_e64 v3, 0, 1, s10
	v_cmp_eq_u32_e64 s10, s71, v2
	;; [unrolled: 2-line block ×3, first 2 shown]
	v_cmp_ne_u32_e64 s17, 0, v4
	v_cmp_eq_u32_e64 s12, 0, v1
	s_and_b32 s13, s7, s13
	s_and_b32 s8, s7, s8
	s_bcnt1_i32_b32 s26, s14
	v_cmp_ne_u32_e64 s14, 0, v6
	v_cndmask_b32_e64 v4, 0, 1, s13
	v_cmp_eq_u32_e64 s13, 2, v1
	v_cndmask_b32_e64 v6, 0, 1, s8
	v_cmp_eq_u32_e64 s8, 3, v1
	s_and_b32 s7, s7, s9
	s_and_b32 s11, s10, s11
	s_bcnt1_i32_b32 s77, s17
	v_cmp_ne_u32_e64 s17, 0, v3
	v_cndmask_b32_e64 v1, 0, 1, s7
	v_cndmask_b32_e64 v3, 0, 1, s11
	s_bcnt1_i32_b32 s75, s15
	v_cmp_ne_u32_e64 s15, 0, v28
	s_and_b32 s9, s10, s12
	v_cmp_ne_u32_e64 s7, 0, v2
	v_cndmask_b32_e64 v2, 0, 1, s9
	v_cmp_ne_u32_e64 s9, 0, v4
	s_and_b32 s12, s10, s13
	s_and_b32 s8, s10, s8
	v_cndmask_b32_e64 v4, 0, 1, s12
	v_cmp_ne_u32_e64 s12, 0, v1
	v_cndmask_b32_e64 v1, 0, 1, s8
	v_cmp_ne_u32_e64 s8, 0, v3
	s_bcnt1_i32_b32 s76, s16
	v_cmp_ne_u32_e64 s16, 0, v29
	s_add_i32 s24, s75, s24
	s_add_i32 s22, s77, s22
	s_bcnt1_i32_b32 s15, s15
	s_bcnt1_i32_b32 s13, s17
	v_cmp_ne_u32_e64 s11, 0, v6
	s_add_i32 s15, s24, s15
	s_add_i32 s13, s22, s13
	s_bcnt1_i32_b32 s22, s9
	s_bcnt1_i32_b32 s17, s7
	v_cmp_ne_u32_e64 s7, 0, v2
	v_cmp_ne_u32_e64 s9, 0, v4
	;; [unrolled: 1-line block ×3, first 2 shown]
	s_add_i32 s15, s15, s22
	s_bcnt1_i32_b32 s8, s8
	s_add_i32 s25, s26, s25
	s_add_i32 s23, s76, s23
	s_bcnt1_i32_b32 s14, s14
	s_bcnt1_i32_b32 s16, s16
	s_add_i32 s24, s15, s8
	s_delay_alu instid0(SALU_CYCLE_1)
	v_dual_mov_b32 v2, s24 :: v_dual_add_nc_u32 v27, s46, v27
	s_add_i32 s14, s25, s14
	s_add_i32 s16, s23, s16
	s_bcnt1_i32_b32 s11, s11
	s_bcnt1_i32_b32 s12, s12
	s_add_i32 s14, s14, s17
	s_add_i32 s11, s16, s11
	;; [unrolled: 1-line block ×3, first 2 shown]
	s_bcnt1_i32_b32 s7, s7
	s_bcnt1_i32_b32 s9, s9
	s_bcnt1_i32_b32 s10, s10
	v_cmp_le_u32_e32 vcc_lo, s57, v27
	s_add_i32 s25, s14, s7
	s_add_i32 s23, s11, s9
	;; [unrolled: 1-line block ×3, first 2 shown]
	v_mov_b32_e32 v1, s25
	v_dual_mov_b32 v3, s23 :: v_dual_mov_b32 v4, s22
	s_or_b32 s19, vcc_lo, s19
	s_delay_alu instid0(SALU_CYCLE_1)
	s_and_not1_b32 exec_lo, exec_lo, s19
	s_cbranch_execnz .LBB107_54
; %bb.55:                               ;   in Loop: Header=BB107_21 Depth=1
	s_or_b32 exec_lo, exec_lo, s19
	s_delay_alu instid0(SALU_CYCLE_1)
	s_or_b32 exec_lo, exec_lo, s18
	v_mov_b32_e32 v28, 0
	s_and_saveexec_b32 s7, s5
	s_cbranch_execz .LBB107_51
.LBB107_56:                             ;   in Loop: Header=BB107_21 Depth=1
	global_load_u16 v28, v[10:11], off
	s_or_b32 exec_lo, exec_lo, s7
	s_and_saveexec_b32 s11, s5
	s_cbranch_execz .LBB107_62
.LBB107_57:                             ;   in Loop: Header=BB107_21 Depth=1
	v_mov_b32_e32 v6, v23
	v_mov_b32_e32 v27, v19
	s_and_b32 s13, s66, 0xfe
	s_mov_b32 s12, 0
	s_branch .LBB107_59
.LBB107_58:                             ;   in Loop: Header=BB107_59 Depth=2
	s_or_b32 exec_lo, exec_lo, s8
	s_waitcnt vmcnt(0)
	v_bfe_i32 v28, v28, 0, 16
	s_and_b32 s8, exec_lo, vcc_lo
	v_add_nc_u32_e32 v6, s49, v6
	s_or_b32 s12, s8, s12
	s_delay_alu instid0(VALU_DEP_2) | instskip(NEXT) | instid1(VALU_DEP_1)
	v_add_nc_u32_e32 v28, 0x8000, v28
	v_and_b32_e32 v30, s72, v28
	v_bfe_u32 v28, v28, s13, 2
	s_delay_alu instid0(VALU_DEP_2) | instskip(NEXT) | instid1(VALU_DEP_2)
	v_cmp_eq_u32_e32 vcc_lo, s71, v30
	v_cmp_eq_u32_e64 s7, 0, v28
	v_cmp_eq_u32_e64 s8, 1, v28
	;; [unrolled: 1-line block ×4, first 2 shown]
	s_delay_alu instid0(VALU_DEP_4) | instskip(NEXT) | instid1(SALU_CYCLE_1)
	s_and_b32 s7, vcc_lo, s7
	v_cndmask_b32_e64 v28, 0, 1, s7
	s_and_b32 s7, vcc_lo, s8
	s_delay_alu instid0(SALU_CYCLE_1) | instskip(SKIP_1) | instid1(SALU_CYCLE_1)
	v_cndmask_b32_e64 v30, 0, 1, s7
	s_and_b32 s7, vcc_lo, s9
	v_cndmask_b32_e64 v31, 0, 1, s7
	s_and_b32 s7, vcc_lo, s10
	v_cmp_ne_u32_e32 vcc_lo, 0, v28
	v_cndmask_b32_e64 v32, 0, 1, s7
	v_cmp_ne_u32_e64 s7, 0, v30
	v_cmp_ne_u32_e64 s8, 0, v31
	v_mov_b32_e32 v28, v29
	s_bcnt1_i32_b32 s10, vcc_lo
	v_cmp_ne_u32_e64 s9, 0, v32
	s_bcnt1_i32_b32 s7, s7
	s_bcnt1_i32_b32 s8, s8
	v_add_nc_u32_e32 v1, s10, v1
	v_add_nc_u32_e32 v2, s7, v2
	s_bcnt1_i32_b32 s9, s9
	v_add_nc_u32_e32 v3, s8, v3
	v_add_nc_u32_e32 v4, s9, v4
	s_and_not1_b32 exec_lo, exec_lo, s12
	s_cbranch_execz .LBB107_61
.LBB107_59:                             ;   Parent Loop BB107_21 Depth=1
                                        ; =>  This Inner Loop Header: Depth=2
	s_delay_alu instid0(VALU_DEP_1) | instskip(SKIP_2) | instid1(VALU_DEP_2)
	v_add_nc_u32_e32 v27, s45, v27
	v_mov_b32_e32 v29, 0
	s_mov_b32 s8, exec_lo
	v_cmp_le_u32_e32 vcc_lo, s28, v27
	v_cmpx_gt_u32_e64 s28, v27
	s_cbranch_execz .LBB107_58
; %bb.60:                               ;   in Loop: Header=BB107_59 Depth=2
	v_lshlrev_b64 v[29:30], 1, v[6:7]
	s_delay_alu instid0(VALU_DEP_1) | instskip(NEXT) | instid1(VALU_DEP_1)
	v_add_co_u32 v29, s7, s31, v29
	v_add_co_ci_u32_e64 v30, s7, s40, v30, s7
	global_load_u16 v29, v[29:30], off
	s_branch .LBB107_58
.LBB107_61:                             ;   in Loop: Header=BB107_21 Depth=1
	s_or_b32 exec_lo, exec_lo, s12
.LBB107_62:                             ;   in Loop: Header=BB107_21 Depth=1
	s_delay_alu instid0(SALU_CYCLE_1)
	s_or_b32 exec_lo, exec_lo, s11
	s_branch .LBB107_72
.LBB107_63:                             ;   in Loop: Header=BB107_21 Depth=1
	s_mul_hi_u32 s7, s74, s56
	v_dual_mov_b32 v1, 0 :: v_dual_mov_b32 v2, 0
	s_mul_i32 s7, s7, s46
	v_dual_mov_b32 v3, 0 :: v_dual_mov_b32 v4, 0
	s_sub_i32 s7, s74, s7
	s_mov_b32 s77, 0
	s_sub_i32 s8, s7, s46
	s_cmp_ge_u32 s7, s46
	s_mov_b32 s76, exec_lo
	s_cselect_b32 s7, s8, s7
	s_delay_alu instid0(SALU_CYCLE_1) | instskip(SKIP_2) | instid1(SALU_CYCLE_1)
	s_sub_i32 s8, s7, s46
	s_cmp_ge_u32 s7, s46
	s_cselect_b32 s7, s8, s7
	s_sub_i32 s75, s74, s7
	s_delay_alu instid0(SALU_CYCLE_1)
	v_cmpx_gt_u32_e64 s75, v15
	s_cbranch_execz .LBB107_67
; %bb.64:                               ;   in Loop: Header=BB107_21 Depth=1
	v_dual_mov_b32 v6, v24 :: v_dual_mov_b32 v27, v15
	s_and_b32 s78, s66, 0xfe
	s_mov_b32 s79, 0
	s_mov_b32 s80, 0
	;; [unrolled: 1-line block ×4, first 2 shown]
.LBB107_65:                             ;   Parent Loop BB107_21 Depth=1
                                        ; =>  This Inner Loop Header: Depth=2
	ds_load_b64 v[1:2], v6
	s_waitcnt lgkmcnt(0)
	v_bfe_i32 v3, v1, 0, 16
	v_ashrrev_i32_e32 v1, 16, v1
	v_bfe_i32 v4, v2, 0, 16
	v_ashrrev_i32_e32 v2, 16, v2
	s_delay_alu instid0(VALU_DEP_4) | instskip(NEXT) | instid1(VALU_DEP_4)
	v_add_nc_u32_e32 v3, 0x8000, v3
	v_add_nc_u32_e32 v1, 0x8000, v1
	s_delay_alu instid0(VALU_DEP_4) | instskip(NEXT) | instid1(VALU_DEP_4)
	v_add_nc_u32_e32 v4, 0x8000, v4
	v_add_nc_u32_e32 v2, 0x8000, v2
	s_waitcnt vmcnt(0)
	v_and_b32_e32 v28, s72, v3
	v_bfe_u32 v3, v3, s78, 2
	v_and_b32_e32 v29, s72, v1
	v_bfe_u32 v1, v1, s78, 2
	;; [unrolled: 2-line block ×3, first 2 shown]
	v_cmp_eq_u32_e64 s7, s71, v28
	v_cmp_eq_u32_e64 s11, 0, v3
	v_and_b32_e32 v31, s72, v2
	v_bfe_u32 v2, v2, s78, 2
	v_cmp_eq_u32_e64 s8, s71, v29
	v_cmp_eq_u32_e64 s12, 0, v1
	v_cmp_eq_u32_e64 s9, s71, v30
	v_cmp_eq_u32_e64 s13, 0, v4
	s_and_b32 s11, s7, s11
	v_cmp_eq_u32_e64 s10, s71, v31
	v_cmp_eq_u32_e64 s14, 0, v2
	;; [unrolled: 1-line block ×5, first 2 shown]
	v_cndmask_b32_e64 v1, 0, 1, s11
	s_and_b32 s11, s8, s12
	v_cmp_eq_u32_e64 s15, 1, v3
	v_cmp_eq_u32_e64 s18, 1, v2
	v_cmp_eq_u32_e64 s22, 2, v2
	v_cmp_eq_u32_e64 s26, 3, v2
	v_cndmask_b32_e64 v2, 0, 1, s11
	s_and_b32 s11, s9, s13
	v_cmp_eq_u32_e64 s19, 2, v3
	v_cmp_eq_u32_e64 s23, 3, v3
	v_cndmask_b32_e64 v3, 0, 1, s11
	s_and_b32 s11, s10, s14
	v_cmp_eq_u32_e64 s17, 1, v4
	v_cmp_eq_u32_e64 s21, 2, v4
	;; [unrolled: 1-line block ×3, first 2 shown]
	v_cndmask_b32_e64 v4, 0, 1, s11
	s_and_b32 s11, s7, s15
	s_delay_alu instid0(SALU_CYCLE_1) | instskip(SKIP_1) | instid1(SALU_CYCLE_1)
	v_cndmask_b32_e64 v28, 0, 1, s11
	s_and_b32 s11, s8, s16
	v_cndmask_b32_e64 v29, 0, 1, s11
	s_and_b32 s11, s9, s17
	s_delay_alu instid0(SALU_CYCLE_1) | instskip(SKIP_1) | instid1(VALU_DEP_2)
	v_cndmask_b32_e64 v30, 0, 1, s11
	s_and_b32 s11, s10, s18
	v_cmp_ne_u32_e64 s12, 0, v29
	v_cndmask_b32_e64 v31, 0, 1, s11
	s_and_b32 s11, s7, s19
	s_and_b32 s7, s7, s23
	v_cndmask_b32_e64 v32, 0, 1, s11
	s_and_b32 s11, s8, s20
	v_cndmask_b32_e64 v36, 0, 1, s7
	;; [unrolled: 2-line block ×7, first 2 shown]
	v_cndmask_b32_e64 v39, 0, 1, s7
	v_cmp_ne_u32_e64 s7, 0, v1
	v_cmp_ne_u32_e64 s11, 0, v28
	;; [unrolled: 1-line block ×6, first 2 shown]
	s_bcnt1_i32_b32 s7, s7
	s_bcnt1_i32_b32 s11, s11
	v_cmp_ne_u32_e64 s14, 0, v31
	v_cmp_ne_u32_e64 s16, 0, v33
	;; [unrolled: 1-line block ×3, first 2 shown]
	s_bcnt1_i32_b32 s8, s8
	s_bcnt1_i32_b32 s12, s12
	s_add_i32 s7, s7, s82
	s_add_i32 s11, s11, s81
	v_cmp_ne_u32_e64 s9, 0, v3
	v_cmp_ne_u32_e64 s17, 0, v34
	;; [unrolled: 1-line block ×3, first 2 shown]
	s_bcnt1_i32_b32 s13, s13
	s_add_i32 s7, s7, s8
	s_add_i32 s8, s11, s12
	s_bcnt1_i32_b32 s15, s15
	s_bcnt1_i32_b32 s19, s19
	v_cmp_ne_u32_e64 s10, 0, v4
	v_cmp_ne_u32_e64 s18, 0, v35
	;; [unrolled: 1-line block ×3, first 2 shown]
	s_bcnt1_i32_b32 s14, s14
	s_add_i32 s8, s8, s13
	s_bcnt1_i32_b32 s16, s16
	s_bcnt1_i32_b32 s20, s20
	s_add_i32 s15, s15, s80
	s_add_i32 s19, s19, s79
	;; [unrolled: 1-line block ×3, first 2 shown]
	s_delay_alu instid0(SALU_CYCLE_1)
	v_dual_mov_b32 v2, s81 :: v_dual_add_nc_u32 v27, s46, v27
	s_bcnt1_i32_b32 s9, s9
	s_bcnt1_i32_b32 s17, s17
	;; [unrolled: 1-line block ×3, first 2 shown]
	s_add_i32 s11, s15, s16
	s_add_i32 s12, s19, s20
	s_bcnt1_i32_b32 s10, s10
	s_bcnt1_i32_b32 s18, s18
	;; [unrolled: 1-line block ×3, first 2 shown]
	s_add_i32 s7, s7, s9
	s_add_i32 s9, s11, s17
	;; [unrolled: 1-line block ×3, first 2 shown]
	v_cmp_le_u32_e32 vcc_lo, s75, v27
	s_add_i32 s82, s7, s10
	s_add_i32 s80, s9, s18
	;; [unrolled: 1-line block ×3, first 2 shown]
	v_dual_mov_b32 v1, s82 :: v_dual_add_nc_u32 v6, s61, v6
	v_dual_mov_b32 v3, s80 :: v_dual_mov_b32 v4, s79
	s_or_b32 s77, vcc_lo, s77
	s_delay_alu instid0(SALU_CYCLE_1)
	s_and_not1_b32 exec_lo, exec_lo, s77
	s_cbranch_execnz .LBB107_65
; %bb.66:                               ;   in Loop: Header=BB107_21 Depth=1
	s_or_b32 exec_lo, exec_lo, s77
.LBB107_67:                             ;   in Loop: Header=BB107_21 Depth=1
	s_delay_alu instid0(SALU_CYCLE_1) | instskip(SKIP_2) | instid1(VALU_DEP_1)
	s_or_b32 exec_lo, exec_lo, s76
	v_add_nc_u32_e32 v6, s75, v0
	s_mov_b32 s12, exec_lo
	v_cmpx_gt_u32_e64 s74, v6
	s_cbranch_execz .LBB107_71
; %bb.68:                               ;   in Loop: Header=BB107_21 Depth=1
	v_lshlrev_b32_e32 v27, 1, v6
	s_and_b32 s14, s66, 0xfe
	s_mov_b32 s13, 0
.LBB107_69:                             ;   Parent Loop BB107_21 Depth=1
                                        ; =>  This Inner Loop Header: Depth=2
	s_waitcnt vmcnt(0)
	ds_load_i16 v28, v27
	v_add_nc_u32_e32 v6, s45, v6
	v_add_nc_u32_e32 v27, s62, v27
	s_delay_alu instid0(VALU_DEP_2) | instskip(SKIP_2) | instid1(VALU_DEP_1)
	v_cmp_le_u32_e32 vcc_lo, s74, v6
	s_waitcnt lgkmcnt(0)
	v_add_nc_u32_e32 v28, 0x8000, v28
	v_and_b32_e32 v29, s72, v28
	v_bfe_u32 v28, v28, s14, 2
	s_delay_alu instid0(VALU_DEP_2) | instskip(NEXT) | instid1(VALU_DEP_2)
	v_cmp_eq_u32_e64 s7, s71, v29
	v_cmp_eq_u32_e64 s8, 0, v28
	;; [unrolled: 1-line block ×5, first 2 shown]
	s_delay_alu instid0(VALU_DEP_4) | instskip(NEXT) | instid1(SALU_CYCLE_1)
	s_and_b32 s8, s7, s8
	v_cndmask_b32_e64 v28, 0, 1, s8
	s_and_b32 s8, s7, s9
	s_delay_alu instid0(SALU_CYCLE_1)
	v_cndmask_b32_e64 v29, 0, 1, s8
	s_and_b32 s8, s7, s10
	s_and_b32 s7, s7, s11
	v_cndmask_b32_e64 v30, 0, 1, s8
	v_cndmask_b32_e64 v31, 0, 1, s7
	v_cmp_ne_u32_e64 s7, 0, v28
	v_cmp_ne_u32_e64 s8, 0, v29
	s_delay_alu instid0(VALU_DEP_4) | instskip(NEXT) | instid1(VALU_DEP_4)
	v_cmp_ne_u32_e64 s9, 0, v30
	v_cmp_ne_u32_e64 s10, 0, v31
	s_delay_alu instid0(VALU_DEP_4) | instskip(NEXT) | instid1(VALU_DEP_3)
	s_bcnt1_i32_b32 s7, s7
	s_bcnt1_i32_b32 s8, s8
	v_add_nc_u32_e32 v1, s7, v1
	s_bcnt1_i32_b32 s9, s9
	s_bcnt1_i32_b32 s10, s10
	v_add_nc_u32_e32 v2, s8, v2
	v_add_nc_u32_e32 v3, s9, v3
	;; [unrolled: 1-line block ×3, first 2 shown]
	s_or_b32 s13, vcc_lo, s13
	s_delay_alu instid0(SALU_CYCLE_1)
	s_and_not1_b32 exec_lo, exec_lo, s13
	s_cbranch_execnz .LBB107_69
; %bb.70:                               ;   in Loop: Header=BB107_21 Depth=1
	s_or_b32 exec_lo, exec_lo, s13
.LBB107_71:                             ;   in Loop: Header=BB107_21 Depth=1
	s_delay_alu instid0(SALU_CYCLE_1)
	s_or_b32 exec_lo, exec_lo, s12
.LBB107_72:                             ;   in Loop: Header=BB107_21 Depth=1
	s_lshl_b32 s7, s69, 7
	s_and_saveexec_b32 s8, s3
	s_cbranch_execz .LBB107_74
; %bb.73:                               ;   in Loop: Header=BB107_21 Depth=1
	v_or_b32_e32 v6, s7, v18
	s_delay_alu instid0(VALU_DEP_1)
	v_lshlrev_b32_e32 v6, 2, v6
	ds_store_b128 v6, v[1:4] offset:3072
.LBB107_74:                             ;   in Loop: Header=BB107_21 Depth=1
	s_or_b32 exec_lo, exec_lo, s8
	s_waitcnt vmcnt(0) lgkmcnt(0)
	s_barrier
	buffer_gl0_inv
	s_and_saveexec_b32 s8, s47
	s_cbranch_execz .LBB107_84
; %bb.75:                               ;   in Loop: Header=BB107_21 Depth=1
	v_mov_b32_e32 v1, 0
	s_and_not1_b32 vcc_lo, exec_lo, s51
	s_cbranch_vccnz .LBB107_83
; %bb.76:                               ;   in Loop: Header=BB107_21 Depth=1
	v_mov_b32_e32 v1, 0
	s_and_not1_b32 vcc_lo, exec_lo, s53
	s_mov_b32 s9, 0
	s_cbranch_vccnz .LBB107_80
; %bb.77:                               ;   in Loop: Header=BB107_21 Depth=1
	v_lshl_add_u32 v2, s69, 9, v25
	v_mov_b32_e32 v1, 0
	.p2align	6
.LBB107_78:                             ;   Parent Loop BB107_21 Depth=1
                                        ; =>  This Inner Loop Header: Depth=2
	ds_load_2addr_b32 v[3:4], v2 offset1:4
	ds_load_2addr_b32 v[27:28], v2 offset0:8 offset1:12
	ds_load_2addr_b32 v[29:30], v2 offset0:16 offset1:20
	;; [unrolled: 1-line block ×3, first 2 shown]
	v_add_nc_u32_e32 v2, 0x80, v2
	s_add_i32 s9, s9, 8
	s_delay_alu instid0(SALU_CYCLE_1) | instskip(SKIP_3) | instid1(VALU_DEP_1)
	s_cmp_eq_u32 s54, s9
	s_waitcnt lgkmcnt(3)
	v_add3_u32 v1, v3, v1, v4
	s_waitcnt lgkmcnt(2)
	v_add3_u32 v1, v27, v1, v28
	s_waitcnt lgkmcnt(1)
	s_delay_alu instid0(VALU_DEP_1) | instskip(SKIP_1) | instid1(VALU_DEP_1)
	v_add3_u32 v1, v29, v1, v30
	s_waitcnt lgkmcnt(0)
	v_add3_u32 v1, v31, v1, v32
	s_cbranch_scc0 .LBB107_78
; %bb.79:                               ;   in Loop: Header=BB107_21 Depth=1
	s_mov_b32 s9, s54
.LBB107_80:                             ;   in Loop: Header=BB107_21 Depth=1
	s_and_not1_b32 vcc_lo, exec_lo, s55
	s_cbranch_vccnz .LBB107_83
; %bb.81:                               ;   in Loop: Header=BB107_21 Depth=1
	s_lshl_b32 s10, s69, 9
	s_lshl_b32 s9, s9, 4
	s_delay_alu instid0(SALU_CYCLE_1)
	v_add3_u32 v2, s10, s9, v25
	s_mov_b32 s9, s52
.LBB107_82:                             ;   Parent Loop BB107_21 Depth=1
                                        ; =>  This Inner Loop Header: Depth=2
	ds_load_b32 v3, v2
	v_add_nc_u32_e32 v2, 16, v2
	s_add_i32 s9, s9, -1
	s_delay_alu instid0(SALU_CYCLE_1)
	s_cmp_lg_u32 s9, 0
	s_waitcnt lgkmcnt(0)
	v_add_nc_u32_e32 v1, v3, v1
	s_cbranch_scc1 .LBB107_82
.LBB107_83:                             ;   in Loop: Header=BB107_21 Depth=1
	v_add_lshl_u32 v2, s7, v14, 2
	ds_store_b32 v2, v1 offset:3072
.LBB107_84:                             ;   in Loop: Header=BB107_21 Depth=1
	s_or_b32 exec_lo, exec_lo, s8
	s_lshl_b32 s7, s7, 2
	s_waitcnt lgkmcnt(0)
	v_mov_b32_e32 v1, s7
	s_barrier
	buffer_gl0_inv
	s_and_b32 s16, s66, 0xfe
	s_mov_b32 s12, -1
	ds_load_b128 v[1:4], v1 offset:3072
	s_lshl_b32 s10, 3, s16
	s_delay_alu instid0(SALU_CYCLE_1) | instskip(SKIP_4) | instid1(VALU_DEP_3)
	s_not_b32 s17, s10
	s_waitcnt lgkmcnt(0)
	v_readfirstlane_b32 s11, v1
	v_readfirstlane_b32 s19, v2
	;; [unrolled: 1-line block ×3, first 2 shown]
	s_cmp_eq_u32 s11, 1
	s_cselect_b32 s7, -1, 0
	s_cmp_eq_u32 s73, 1
	s_cselect_b32 s8, -1, 0
	s_delay_alu instid0(SALU_CYCLE_1)
	s_and_b32 s13, s7, s8
	v_readfirstlane_b32 s8, v4
	s_and_b32 vcc_lo, exec_lo, s13
	s_cbranch_vccz .LBB107_96
; %bb.85:                               ;   in Loop: Header=BB107_21 Depth=1
	ds_load_b32 v1, v7 offset:4104
	s_waitcnt lgkmcnt(0)
	s_barrier
	buffer_gl0_inv
	v_readfirstlane_b32 s9, v1
	s_and_saveexec_b32 s7, s1
	s_cbranch_execz .LBB107_87
; %bb.86:                               ;   in Loop: Header=BB107_21 Depth=1
	ds_store_b16 v17, v7
.LBB107_87:                             ;   in Loop: Header=BB107_21 Depth=1
	s_or_b32 exec_lo, exec_lo, s7
	s_and_b32 s71, s71, s17
	s_or_b32 s72, s72, s10
	s_cmp_eq_u32 s9, 0
	s_waitcnt lgkmcnt(0)
	s_barrier
	buffer_gl0_inv
	s_cbranch_scc1 .LBB107_97
; %bb.88:                               ;   in Loop: Header=BB107_21 Depth=1
	s_add_i32 s7, s9, s48
                                        ; implicit-def: $vgpr26
	s_delay_alu instid0(SALU_CYCLE_1) | instskip(NEXT) | instid1(SALU_CYCLE_1)
	s_mul_hi_u32 s15, s7, s58
	s_mul_i32 s15, s15, s45
	s_delay_alu instid0(SALU_CYCLE_1) | instskip(NEXT) | instid1(SALU_CYCLE_1)
	s_sub_i32 s15, s7, s15
	s_sub_i32 s18, s15, s45
	s_cmp_ge_u32 s15, s45
	s_cselect_b32 s15, s18, s15
	s_delay_alu instid0(SALU_CYCLE_1) | instskip(SKIP_2) | instid1(SALU_CYCLE_1)
	s_sub_i32 s18, s15, s45
	s_cmp_ge_u32 s15, s45
	s_cselect_b32 s15, s18, s15
	s_sub_i32 s18, s7, s15
	s_mov_b32 s7, 0
	s_mov_b32 s15, exec_lo
	v_cmpx_gt_u32_e64 s18, v0
	s_cbranch_execz .LBB107_99
; %bb.89:                               ;   in Loop: Header=BB107_21 Depth=1
	v_mov_b32_e32 v1, v16
	v_mov_b32_e32 v2, v0
	s_mov_b32 s20, 0
                                        ; implicit-def: $sgpr21
	s_set_inst_prefetch_distance 0x1
	s_branch .LBB107_91
	.p2align	6
.LBB107_90:                             ;   in Loop: Header=BB107_91 Depth=2
	s_or_b32 exec_lo, exec_lo, s7
	s_waitcnt lgkmcnt(0)
	s_barrier
	buffer_gl0_inv
	ds_load_b32 v3, v7 offset:3072
	v_add_nc_u32_e32 v2, s45, v2
	v_add_nc_u32_e32 v1, s62, v1
	s_waitcnt lgkmcnt(0)
	s_barrier
	buffer_gl0_inv
	v_cmp_le_u32_e32 vcc_lo, s18, v2
	v_cmp_ne_u16_e64 s7, 0, v3
	s_delay_alu instid0(VALU_DEP_1) | instskip(NEXT) | instid1(SALU_CYCLE_1)
	s_or_b32 s22, vcc_lo, s7
	s_and_b32 s22, exec_lo, s22
	s_delay_alu instid0(SALU_CYCLE_1) | instskip(SKIP_2) | instid1(SALU_CYCLE_1)
	s_or_b32 s20, s22, s20
	s_and_not1_b32 s21, s21, exec_lo
	s_and_b32 s7, s7, exec_lo
	s_or_b32 s21, s21, s7
	s_and_not1_b32 exec_lo, exec_lo, s20
	s_cbranch_execz .LBB107_98
.LBB107_91:                             ;   Parent Loop BB107_21 Depth=1
                                        ; =>  This Inner Loop Header: Depth=2
	s_delay_alu instid0(VALU_DEP_1)
	v_cmp_gt_u32_e32 vcc_lo, s9, v2
	v_mov_b32_e32 v3, 0
	s_and_saveexec_b32 s7, vcc_lo
	s_cbranch_execz .LBB107_93
; %bb.92:                               ;   in Loop: Header=BB107_91 Depth=2
	ds_load_u16 v3, v1
.LBB107_93:                             ;   in Loop: Header=BB107_91 Depth=2
	s_or_b32 exec_lo, exec_lo, s7
	s_and_saveexec_b32 s7, vcc_lo
	s_cbranch_execz .LBB107_90
; %bb.94:                               ;   in Loop: Header=BB107_91 Depth=2
	s_waitcnt lgkmcnt(0)
	v_bfe_i32 v4, v3, 0, 16
	s_delay_alu instid0(VALU_DEP_1) | instskip(NEXT) | instid1(VALU_DEP_1)
	v_add_nc_u32_e32 v4, 0x8000, v4
	v_and_b32_e32 v4, s72, v4
	s_delay_alu instid0(VALU_DEP_1)
	v_cmp_eq_u32_e32 vcc_lo, s71, v4
	s_and_b32 exec_lo, exec_lo, vcc_lo
	s_cbranch_execz .LBB107_90
; %bb.95:                               ;   in Loop: Header=BB107_91 Depth=2
	v_perm_b32 v3, v3, 1, 0x5040100
	ds_store_b32 v7, v3 offset:3072
	s_branch .LBB107_90
.LBB107_96:                             ;   in Loop: Header=BB107_21 Depth=1
	s_mov_b32 s7, -1
                                        ; implicit-def: $sgpr9
                                        ; implicit-def: $sgpr18
                                        ; implicit-def: $sgpr15
	s_branch .LBB107_110
.LBB107_97:                             ;   in Loop: Header=BB107_21 Depth=1
	s_mov_b32 s9, -1
	s_mov_b32 s7, 0
                                        ; implicit-def: $sgpr15
                                        ; implicit-def: $vgpr26
	s_mov_b32 s18, s9
	s_cbranch_execnz .LBB107_100
	s_branch .LBB107_110
.LBB107_98:                             ;   in Loop: Header=BB107_21 Depth=1
	s_set_inst_prefetch_distance 0x2
	s_or_b32 exec_lo, exec_lo, s20
	v_lshrrev_b32_e32 v26, 16, v3
	s_and_b32 s7, s21, exec_lo
.LBB107_99:                             ;   in Loop: Header=BB107_21 Depth=1
	s_or_b32 exec_lo, exec_lo, s15
	s_mov_b32 s15, -1
	s_mov_b32 s9, 0
	s_delay_alu instid0(SALU_CYCLE_1)
	s_mov_b32 s18, s9
	s_branch .LBB107_110
.LBB107_100:                            ;   in Loop: Header=BB107_21 Depth=1
	s_mov_b32 s7, 0
                                        ; implicit-def: $vgpr26
	s_and_saveexec_b32 s9, s6
	s_cbranch_execz .LBB107_109
; %bb.101:                              ;   in Loop: Header=BB107_21 Depth=1
	v_dual_mov_b32 v6, v5 :: v_dual_mov_b32 v1, v0
	s_mov_b32 s15, 0
                                        ; implicit-def: $sgpr18
	s_set_inst_prefetch_distance 0x1
	s_branch .LBB107_103
	.p2align	6
.LBB107_102:                            ;   in Loop: Header=BB107_103 Depth=2
	s_or_b32 exec_lo, exec_lo, s7
	s_waitcnt vmcnt(0) lgkmcnt(0)
	s_barrier
	buffer_gl0_inv
	ds_load_b32 v2, v7 offset:3072
	v_add_nc_u32_e32 v1, s45, v1
	v_add_nc_u32_e32 v6, s49, v6
	s_waitcnt lgkmcnt(0)
	s_barrier
	buffer_gl0_inv
	v_cmp_le_u32_e32 vcc_lo, s59, v1
	v_cmp_ne_u16_e64 s7, 0, v2
	s_delay_alu instid0(VALU_DEP_1) | instskip(NEXT) | instid1(SALU_CYCLE_1)
	s_or_b32 s20, vcc_lo, s7
	s_and_b32 s20, exec_lo, s20
	s_delay_alu instid0(SALU_CYCLE_1) | instskip(SKIP_2) | instid1(SALU_CYCLE_1)
	s_or_b32 s15, s20, s15
	s_and_not1_b32 s18, s18, exec_lo
	s_and_b32 s7, s7, exec_lo
	s_or_b32 s18, s18, s7
	s_and_not1_b32 exec_lo, exec_lo, s15
	s_cbranch_execz .LBB107_108
.LBB107_103:                            ;   Parent Loop BB107_21 Depth=1
                                        ; =>  This Inner Loop Header: Depth=2
	s_delay_alu instid0(VALU_DEP_1)
	v_cmp_gt_u32_e32 vcc_lo, s28, v1
	v_mov_b32_e32 v2, 0
	s_and_saveexec_b32 s20, vcc_lo
	s_cbranch_execz .LBB107_105
; %bb.104:                              ;   in Loop: Header=BB107_103 Depth=2
	v_lshlrev_b64 v[2:3], 1, v[6:7]
	s_delay_alu instid0(VALU_DEP_1) | instskip(NEXT) | instid1(VALU_DEP_1)
	v_add_co_u32 v2, s7, s31, v2
	v_add_co_ci_u32_e64 v3, s7, s40, v3, s7
	global_load_u16 v2, v[2:3], off
.LBB107_105:                            ;   in Loop: Header=BB107_103 Depth=2
	s_or_b32 exec_lo, exec_lo, s20
	s_and_saveexec_b32 s7, vcc_lo
	s_cbranch_execz .LBB107_102
; %bb.106:                              ;   in Loop: Header=BB107_103 Depth=2
	s_waitcnt vmcnt(0)
	v_bfe_i32 v3, v2, 0, 16
	s_delay_alu instid0(VALU_DEP_1) | instskip(NEXT) | instid1(VALU_DEP_1)
	v_add_nc_u32_e32 v3, 0x8000, v3
	v_and_b32_e32 v3, s72, v3
	s_delay_alu instid0(VALU_DEP_1)
	v_cmp_eq_u32_e32 vcc_lo, s71, v3
	s_and_b32 exec_lo, exec_lo, vcc_lo
	s_cbranch_execz .LBB107_102
; %bb.107:                              ;   in Loop: Header=BB107_103 Depth=2
	v_perm_b32 v2, v2, 1, 0x5040100
	ds_store_b32 v7, v2 offset:3072
	s_branch .LBB107_102
.LBB107_108:                            ;   in Loop: Header=BB107_21 Depth=1
	s_set_inst_prefetch_distance 0x2
	s_or_b32 exec_lo, exec_lo, s15
	v_lshrrev_b32_e32 v26, 16, v2
	s_and_b32 s7, s18, exec_lo
.LBB107_109:                            ;   in Loop: Header=BB107_21 Depth=1
	s_or_b32 exec_lo, exec_lo, s9
	s_mov_b32 s18, -1
	s_mov_b32 s9, 0
	s_mov_b32 s15, 0
.LBB107_110:                            ;   in Loop: Header=BB107_21 Depth=1
	s_and_not1_b32 s20, s67, exec_lo
	s_and_b32 s9, s9, exec_lo
	s_and_b32 s18, s18, exec_lo
	s_or_b32 s67, s20, s9
	s_and_not1_b32 s9, s70, exec_lo
	s_and_not1_b32 s20, s68, exec_lo
	s_and_b32 s15, s15, exec_lo
	s_or_b32 s70, s9, s18
	s_or_b32 s68, s20, s15
	s_and_saveexec_b32 s9, s7
	s_cbranch_execz .LBB107_20
; %bb.111:                              ;   in Loop: Header=BB107_21 Depth=1
	s_xor_b32 s7, s13, -1
	s_mov_b32 s12, 0
	s_and_not1_b32 vcc_lo, exec_lo, s7
	s_mov_b32 s20, 1
	s_cbranch_vccnz .LBB107_122
; %bb.112:                              ;   in Loop: Header=BB107_21 Depth=1
	s_cmp_gt_u32 s73, s11
	s_mov_b32 s12, -1
                                        ; implicit-def: $sgpr7
                                        ; implicit-def: $sgpr13
                                        ; implicit-def: $sgpr15
	s_cbranch_scc1 .LBB107_118
; %bb.113:                              ;   in Loop: Header=BB107_21 Depth=1
	ds_load_b32 v1, v7 offset:4104
	s_waitcnt lgkmcnt(0)
	v_cmp_ne_u32_e32 vcc_lo, 0, v1
	s_cbranch_vccnz .LBB107_117
; %bb.114:                              ;   in Loop: Header=BB107_21 Depth=1
	s_and_saveexec_b32 s7, s2
	s_cbranch_execz .LBB107_116
; %bb.115:                              ;   in Loop: Header=BB107_21 Depth=1
	v_mov_b32_e32 v1, s11
	ds_store_b32 v7, v1 offset:4108
.LBB107_116:                            ;   in Loop: Header=BB107_21 Depth=1
	s_or_b32 exec_lo, exec_lo, s7
	s_waitcnt lgkmcnt(0)
	s_barrier
	buffer_gl0_inv
.LBB107_117:                            ;   in Loop: Header=BB107_21 Depth=1
	s_and_b32 s13, s71, s17
	s_or_b32 s15, s72, s10
	s_mov_b32 s12, 0
	s_mov_b32 s7, 8
.LBB107_118:                            ;   in Loop: Header=BB107_21 Depth=1
	s_and_not1_b32 vcc_lo, exec_lo, s12
	s_cbranch_vccnz .LBB107_120
; %bb.119:                              ;   in Loop: Header=BB107_21 Depth=1
	s_sub_i32 s73, s73, s11
	s_mov_b32 s12, -1
	s_mov_b32 s7, 0
	s_mov_b32 s13, s71
	;; [unrolled: 1-line block ×3, first 2 shown]
.LBB107_120:                            ;   in Loop: Header=BB107_21 Depth=1
	s_delay_alu instid0(SALU_CYCLE_1)
	s_mov_b32 s72, s15
	s_mov_b32 s71, s13
	;; [unrolled: 1-line block ×3, first 2 shown]
	s_and_b32 vcc_lo, exec_lo, s12
	s_mov_b32 s11, -1
	s_cbranch_vccnz .LBB107_123
.LBB107_121:                            ;   in Loop: Header=BB107_21 Depth=1
	s_mov_b32 s23, -1
                                        ; implicit-def: $sgpr12
                                        ; implicit-def: $sgpr15
                                        ; implicit-def: $sgpr13
                                        ; implicit-def: $sgpr73
	s_delay_alu instid0(SALU_CYCLE_1) | instskip(NEXT) | instid1(SALU_CYCLE_1)
	s_and_saveexec_b32 s8, s23
	s_xor_b32 s8, exec_lo, s8
	s_cbranch_execz .LBB107_19
	s_branch .LBB107_249
.LBB107_122:                            ;   in Loop: Header=BB107_21 Depth=1
	s_mov_b32 s7, 1
	s_and_b32 vcc_lo, exec_lo, s12
	s_mov_b32 s11, -1
	s_cbranch_vccz .LBB107_121
.LBB107_123:                            ;   in Loop: Header=BB107_21 Depth=1
	s_cmp_eq_u32 s19, 1
	s_mov_b32 s22, -1
	s_cselect_b32 s7, -1, 0
	s_cmp_eq_u32 s20, 1
	s_cselect_b32 s12, -1, 0
	s_delay_alu instid0(SALU_CYCLE_1) | instskip(NEXT) | instid1(SALU_CYCLE_1)
	s_and_b32 s21, s7, s12
	s_and_b32 vcc_lo, exec_lo, s21
	s_cbranch_vccz .LBB107_135
; %bb.124:                              ;   in Loop: Header=BB107_21 Depth=1
	ds_load_b32 v1, v7 offset:4104
	s_waitcnt lgkmcnt(0)
	s_barrier
	buffer_gl0_inv
	v_readfirstlane_b32 s12, v1
	s_and_saveexec_b32 s7, s1
	s_cbranch_execz .LBB107_126
; %bb.125:                              ;   in Loop: Header=BB107_21 Depth=1
	ds_store_b16 v17, v7
.LBB107_126:                            ;   in Loop: Header=BB107_21 Depth=1
	s_or_b32 exec_lo, exec_lo, s7
	s_lshl_b32 s7, 1, s16
	s_and_b32 s13, s71, s17
	s_or_b32 s72, s72, s10
	s_or_b32 s71, s13, s7
	s_cmp_eq_u32 s12, 0
	s_waitcnt lgkmcnt(0)
	s_barrier
	buffer_gl0_inv
	s_cbranch_scc1 .LBB107_139
; %bb.127:                              ;   in Loop: Header=BB107_21 Depth=1
	s_add_i32 s7, s12, s48
	s_mov_b32 s22, 0
	s_mul_hi_u32 s13, s7, s58
                                        ; implicit-def: $vgpr26
	s_delay_alu instid0(SALU_CYCLE_1) | instskip(NEXT) | instid1(SALU_CYCLE_1)
	s_mul_i32 s13, s13, s45
	s_sub_i32 s13, s7, s13
	s_delay_alu instid0(SALU_CYCLE_1) | instskip(SKIP_2) | instid1(SALU_CYCLE_1)
	s_sub_i32 s15, s13, s45
	s_cmp_ge_u32 s13, s45
	s_cselect_b32 s13, s15, s13
	s_sub_i32 s15, s13, s45
	s_cmp_ge_u32 s13, s45
	s_cselect_b32 s13, s15, s13
	s_delay_alu instid0(SALU_CYCLE_1)
	s_sub_i32 s15, s7, s13
	s_mov_b32 s13, exec_lo
	v_cmpx_gt_u32_e64 s15, v0
	s_cbranch_execz .LBB107_141
; %bb.128:                              ;   in Loop: Header=BB107_21 Depth=1
	v_mov_b32_e32 v1, v16
	v_mov_b32_e32 v2, v0
	s_mov_b32 s18, 0
                                        ; implicit-def: $sgpr22
	s_set_inst_prefetch_distance 0x1
	s_branch .LBB107_130
	.p2align	6
.LBB107_129:                            ;   in Loop: Header=BB107_130 Depth=2
	s_or_b32 exec_lo, exec_lo, s7
	s_waitcnt lgkmcnt(0)
	s_barrier
	buffer_gl0_inv
	ds_load_b32 v3, v7 offset:3072
	v_add_nc_u32_e32 v2, s45, v2
	v_add_nc_u32_e32 v1, s62, v1
	s_waitcnt lgkmcnt(0)
	s_barrier
	buffer_gl0_inv
	v_cmp_le_u32_e32 vcc_lo, s15, v2
	v_cmp_ne_u16_e64 s7, 0, v3
	s_delay_alu instid0(VALU_DEP_1) | instskip(NEXT) | instid1(SALU_CYCLE_1)
	s_or_b32 s23, vcc_lo, s7
	s_and_b32 s23, exec_lo, s23
	s_delay_alu instid0(SALU_CYCLE_1) | instskip(SKIP_2) | instid1(SALU_CYCLE_1)
	s_or_b32 s18, s23, s18
	s_and_not1_b32 s22, s22, exec_lo
	s_and_b32 s7, s7, exec_lo
	s_or_b32 s22, s22, s7
	s_and_not1_b32 exec_lo, exec_lo, s18
	s_cbranch_execz .LBB107_140
.LBB107_130:                            ;   Parent Loop BB107_21 Depth=1
                                        ; =>  This Inner Loop Header: Depth=2
	s_delay_alu instid0(VALU_DEP_1)
	v_cmp_gt_u32_e32 vcc_lo, s12, v2
	v_mov_b32_e32 v3, 0
	s_and_saveexec_b32 s7, vcc_lo
	s_cbranch_execz .LBB107_132
; %bb.131:                              ;   in Loop: Header=BB107_130 Depth=2
	ds_load_u16 v3, v1
.LBB107_132:                            ;   in Loop: Header=BB107_130 Depth=2
	s_or_b32 exec_lo, exec_lo, s7
	s_and_saveexec_b32 s7, vcc_lo
	s_cbranch_execz .LBB107_129
; %bb.133:                              ;   in Loop: Header=BB107_130 Depth=2
	s_waitcnt lgkmcnt(0)
	v_bfe_i32 v4, v3, 0, 16
	s_delay_alu instid0(VALU_DEP_1) | instskip(NEXT) | instid1(VALU_DEP_1)
	v_add_nc_u32_e32 v4, 0x8000, v4
	v_and_b32_e32 v4, s72, v4
	s_delay_alu instid0(VALU_DEP_1)
	v_cmp_eq_u32_e32 vcc_lo, s71, v4
	s_and_b32 exec_lo, exec_lo, vcc_lo
	s_cbranch_execz .LBB107_129
; %bb.134:                              ;   in Loop: Header=BB107_130 Depth=2
	v_perm_b32 v3, v3, 1, 0x5040100
	ds_store_b32 v7, v3 offset:3072
	s_branch .LBB107_129
.LBB107_135:                            ;   in Loop: Header=BB107_21 Depth=1
                                        ; implicit-def: $sgpr13
                                        ; implicit-def: $sgpr15
                                        ; implicit-def: $sgpr12
	s_branch .LBB107_152
.LBB107_136:                            ;   in Loop: Header=BB107_21 Depth=1
	s_or_b32 exec_lo, exec_lo, s9
	s_waitcnt lgkmcnt(0)
	s_barrier
	buffer_gl0_inv
	s_and_saveexec_b32 s7, s2
	s_cbranch_execz .LBB107_138
; %bb.137:                              ;   in Loop: Header=BB107_21 Depth=1
	ds_load_b32 v1, v7 offset:4112
	s_waitcnt lgkmcnt(0)
	ds_store_b32 v7, v1 offset:4104
.LBB107_138:                            ;   in Loop: Header=BB107_21 Depth=1
	s_or_b32 exec_lo, exec_lo, s7
	s_waitcnt lgkmcnt(0)
	s_mov_b32 s7, -1
	s_barrier
	s_and_b32 vcc_lo, exec_lo, s74
	s_cbranch_vccnz .LBB107_36
	s_branch .LBB107_46
.LBB107_139:                            ;   in Loop: Header=BB107_21 Depth=1
	s_mov_b32 s13, -1
	s_mov_b32 s22, 0
                                        ; implicit-def: $sgpr12
                                        ; implicit-def: $vgpr26
	s_mov_b32 s15, s13
	s_cbranch_execnz .LBB107_142
	s_branch .LBB107_152
.LBB107_140:                            ;   in Loop: Header=BB107_21 Depth=1
	s_set_inst_prefetch_distance 0x2
	s_or_b32 exec_lo, exec_lo, s18
	v_lshrrev_b32_e32 v26, 16, v3
	s_and_b32 s22, s22, exec_lo
.LBB107_141:                            ;   in Loop: Header=BB107_21 Depth=1
	s_or_b32 exec_lo, exec_lo, s13
	s_mov_b32 s12, -1
	s_mov_b32 s13, 0
	s_delay_alu instid0(SALU_CYCLE_1)
	s_mov_b32 s15, s13
	s_branch .LBB107_152
.LBB107_142:                            ;   in Loop: Header=BB107_21 Depth=1
	s_mov_b32 s22, 0
                                        ; implicit-def: $vgpr26
	s_and_saveexec_b32 s12, s6
	s_cbranch_execz .LBB107_151
; %bb.143:                              ;   in Loop: Header=BB107_21 Depth=1
	v_dual_mov_b32 v6, v5 :: v_dual_mov_b32 v1, v0
	s_mov_b32 s13, 0
                                        ; implicit-def: $sgpr15
	s_set_inst_prefetch_distance 0x1
	s_branch .LBB107_145
	.p2align	6
.LBB107_144:                            ;   in Loop: Header=BB107_145 Depth=2
	s_or_b32 exec_lo, exec_lo, s7
	s_waitcnt vmcnt(0) lgkmcnt(0)
	s_barrier
	buffer_gl0_inv
	ds_load_b32 v2, v7 offset:3072
	v_add_nc_u32_e32 v1, s45, v1
	v_add_nc_u32_e32 v6, s49, v6
	s_waitcnt lgkmcnt(0)
	s_barrier
	buffer_gl0_inv
	v_cmp_le_u32_e32 vcc_lo, s59, v1
	v_cmp_ne_u16_e64 s7, 0, v2
	s_delay_alu instid0(VALU_DEP_1) | instskip(NEXT) | instid1(SALU_CYCLE_1)
	s_or_b32 s18, vcc_lo, s7
	s_and_b32 s18, exec_lo, s18
	s_delay_alu instid0(SALU_CYCLE_1) | instskip(SKIP_2) | instid1(SALU_CYCLE_1)
	s_or_b32 s13, s18, s13
	s_and_not1_b32 s15, s15, exec_lo
	s_and_b32 s7, s7, exec_lo
	s_or_b32 s15, s15, s7
	s_and_not1_b32 exec_lo, exec_lo, s13
	s_cbranch_execz .LBB107_150
.LBB107_145:                            ;   Parent Loop BB107_21 Depth=1
                                        ; =>  This Inner Loop Header: Depth=2
	s_delay_alu instid0(VALU_DEP_1)
	v_cmp_gt_u32_e32 vcc_lo, s28, v1
	v_mov_b32_e32 v2, 0
	s_and_saveexec_b32 s18, vcc_lo
	s_cbranch_execz .LBB107_147
; %bb.146:                              ;   in Loop: Header=BB107_145 Depth=2
	v_lshlrev_b64 v[2:3], 1, v[6:7]
	s_delay_alu instid0(VALU_DEP_1) | instskip(NEXT) | instid1(VALU_DEP_1)
	v_add_co_u32 v2, s7, s31, v2
	v_add_co_ci_u32_e64 v3, s7, s40, v3, s7
	global_load_u16 v2, v[2:3], off
.LBB107_147:                            ;   in Loop: Header=BB107_145 Depth=2
	s_or_b32 exec_lo, exec_lo, s18
	s_and_saveexec_b32 s7, vcc_lo
	s_cbranch_execz .LBB107_144
; %bb.148:                              ;   in Loop: Header=BB107_145 Depth=2
	s_waitcnt vmcnt(0)
	v_bfe_i32 v3, v2, 0, 16
	s_delay_alu instid0(VALU_DEP_1) | instskip(NEXT) | instid1(VALU_DEP_1)
	v_add_nc_u32_e32 v3, 0x8000, v3
	v_and_b32_e32 v3, s72, v3
	s_delay_alu instid0(VALU_DEP_1)
	v_cmp_eq_u32_e32 vcc_lo, s71, v3
	s_and_b32 exec_lo, exec_lo, vcc_lo
	s_cbranch_execz .LBB107_144
; %bb.149:                              ;   in Loop: Header=BB107_145 Depth=2
	v_perm_b32 v2, v2, 1, 0x5040100
	ds_store_b32 v7, v2 offset:3072
	s_branch .LBB107_144
.LBB107_150:                            ;   in Loop: Header=BB107_21 Depth=1
	s_set_inst_prefetch_distance 0x2
	s_or_b32 exec_lo, exec_lo, s13
	v_lshrrev_b32_e32 v26, 16, v2
	s_and_b32 s22, s15, exec_lo
.LBB107_151:                            ;   in Loop: Header=BB107_21 Depth=1
	s_or_b32 exec_lo, exec_lo, s12
	s_mov_b32 s15, -1
	s_mov_b32 s13, 0
	s_mov_b32 s12, 0
.LBB107_152:                            ;   in Loop: Header=BB107_21 Depth=1
	s_mov_b32 s23, 0
                                        ; implicit-def: $sgpr7
	s_and_saveexec_b32 s18, s22
	s_cbranch_execz .LBB107_248
; %bb.153:                              ;   in Loop: Header=BB107_21 Depth=1
	s_xor_b32 s7, s21, -1
	s_mov_b32 s21, 0
	s_and_not1_b32 vcc_lo, exec_lo, s7
	s_mov_b32 s24, 1
	s_cbranch_vccnz .LBB107_164
; %bb.154:                              ;   in Loop: Header=BB107_21 Depth=1
	s_cmp_gt_u32 s20, s19
	s_mov_b32 s21, -1
                                        ; implicit-def: $sgpr7
                                        ; implicit-def: $sgpr22
                                        ; implicit-def: $sgpr23
	s_cbranch_scc1 .LBB107_160
; %bb.155:                              ;   in Loop: Header=BB107_21 Depth=1
	ds_load_b32 v1, v7 offset:4104
	s_waitcnt lgkmcnt(0)
	v_cmp_ne_u32_e32 vcc_lo, 0, v1
	s_cbranch_vccnz .LBB107_159
; %bb.156:                              ;   in Loop: Header=BB107_21 Depth=1
	s_and_saveexec_b32 s7, s2
	s_cbranch_execz .LBB107_158
; %bb.157:                              ;   in Loop: Header=BB107_21 Depth=1
	v_mov_b32_e32 v1, s19
	ds_store_b32 v7, v1 offset:4108
.LBB107_158:                            ;   in Loop: Header=BB107_21 Depth=1
	s_or_b32 exec_lo, exec_lo, s7
	s_waitcnt lgkmcnt(0)
	s_barrier
	buffer_gl0_inv
.LBB107_159:                            ;   in Loop: Header=BB107_21 Depth=1
	s_lshl_b32 s7, 1, s16
	s_and_b32 s21, s71, s17
	s_or_b32 s23, s72, s10
	s_or_b32 s22, s21, s7
	s_mov_b32 s21, 0
	s_mov_b32 s7, 8
.LBB107_160:                            ;   in Loop: Header=BB107_21 Depth=1
	s_and_not1_b32 vcc_lo, exec_lo, s21
	s_cbranch_vccnz .LBB107_162
; %bb.161:                              ;   in Loop: Header=BB107_21 Depth=1
	s_sub_i32 s20, s20, s19
	s_mov_b32 s21, -1
	s_mov_b32 s7, 0
	s_mov_b32 s22, s71
	;; [unrolled: 1-line block ×3, first 2 shown]
.LBB107_162:                            ;   in Loop: Header=BB107_21 Depth=1
	s_delay_alu instid0(SALU_CYCLE_1)
	s_mov_b32 s72, s23
	s_mov_b32 s71, s22
	;; [unrolled: 1-line block ×3, first 2 shown]
	s_and_not1_b32 vcc_lo, exec_lo, s21
	s_mov_b32 s26, -1
	s_cbranch_vccz .LBB107_165
.LBB107_163:                            ;   in Loop: Header=BB107_21 Depth=1
                                        ; implicit-def: $sgpr20
                                        ; implicit-def: $sgpr21
                                        ; implicit-def: $sgpr19
	s_branch .LBB107_247
.LBB107_164:                            ;   in Loop: Header=BB107_21 Depth=1
	s_mov_b32 s7, 1
	s_and_not1_b32 vcc_lo, exec_lo, s21
	s_mov_b32 s26, -1
	s_cbranch_vccnz .LBB107_163
.LBB107_165:                            ;   in Loop: Header=BB107_21 Depth=1
	s_cmp_eq_u32 s14, 1
	s_mov_b32 s25, -1
	s_cselect_b32 s7, -1, 0
	s_cmp_eq_u32 s24, 1
	s_cselect_b32 s19, -1, 0
	s_delay_alu instid0(SALU_CYCLE_1) | instskip(NEXT) | instid1(SALU_CYCLE_1)
	s_and_b32 s23, s7, s19
	s_and_b32 vcc_lo, exec_lo, s23
	s_cbranch_vccz .LBB107_177
; %bb.166:                              ;   in Loop: Header=BB107_21 Depth=1
	ds_load_b32 v1, v7 offset:4104
	s_waitcnt lgkmcnt(0)
	s_barrier
	buffer_gl0_inv
	v_readfirstlane_b32 s19, v1
	s_and_saveexec_b32 s7, s1
	s_cbranch_execz .LBB107_168
; %bb.167:                              ;   in Loop: Header=BB107_21 Depth=1
	ds_store_b16 v17, v7
.LBB107_168:                            ;   in Loop: Header=BB107_21 Depth=1
	s_or_b32 exec_lo, exec_lo, s7
	s_lshl_b32 s7, 2, s16
	s_and_b32 s20, s71, s17
	s_or_b32 s72, s72, s10
	s_or_b32 s71, s20, s7
	s_cmp_eq_u32 s19, 0
	s_waitcnt lgkmcnt(0)
	s_barrier
	buffer_gl0_inv
	s_cbranch_scc1 .LBB107_178
; %bb.169:                              ;   in Loop: Header=BB107_21 Depth=1
	s_add_i32 s7, s19, s48
	s_mov_b32 s25, 0
	s_mul_hi_u32 s20, s7, s58
                                        ; implicit-def: $vgpr26
	s_delay_alu instid0(SALU_CYCLE_1) | instskip(NEXT) | instid1(SALU_CYCLE_1)
	s_mul_i32 s20, s20, s45
	s_sub_i32 s20, s7, s20
	s_delay_alu instid0(SALU_CYCLE_1) | instskip(SKIP_2) | instid1(SALU_CYCLE_1)
	s_sub_i32 s21, s20, s45
	s_cmp_ge_u32 s20, s45
	s_cselect_b32 s20, s21, s20
	s_sub_i32 s21, s20, s45
	s_cmp_ge_u32 s20, s45
	s_cselect_b32 s20, s21, s20
	s_delay_alu instid0(SALU_CYCLE_1)
	s_sub_i32 s21, s7, s20
	s_mov_b32 s20, exec_lo
	v_cmpx_gt_u32_e64 s21, v0
	s_cbranch_execz .LBB107_180
; %bb.170:                              ;   in Loop: Header=BB107_21 Depth=1
	v_mov_b32_e32 v1, v16
	v_mov_b32_e32 v2, v0
	s_mov_b32 s22, 0
                                        ; implicit-def: $sgpr25
	s_set_inst_prefetch_distance 0x1
	s_branch .LBB107_172
	.p2align	6
.LBB107_171:                            ;   in Loop: Header=BB107_172 Depth=2
	s_or_b32 exec_lo, exec_lo, s7
	s_waitcnt lgkmcnt(0)
	s_barrier
	buffer_gl0_inv
	ds_load_b32 v3, v7 offset:3072
	v_add_nc_u32_e32 v2, s45, v2
	v_add_nc_u32_e32 v1, s62, v1
	s_waitcnt lgkmcnt(0)
	s_barrier
	buffer_gl0_inv
	v_cmp_le_u32_e32 vcc_lo, s21, v2
	v_cmp_ne_u16_e64 s7, 0, v3
	s_delay_alu instid0(VALU_DEP_1) | instskip(NEXT) | instid1(SALU_CYCLE_1)
	s_or_b32 s26, vcc_lo, s7
	s_and_b32 s26, exec_lo, s26
	s_delay_alu instid0(SALU_CYCLE_1) | instskip(SKIP_2) | instid1(SALU_CYCLE_1)
	s_or_b32 s22, s26, s22
	s_and_not1_b32 s25, s25, exec_lo
	s_and_b32 s7, s7, exec_lo
	s_or_b32 s25, s25, s7
	s_and_not1_b32 exec_lo, exec_lo, s22
	s_cbranch_execz .LBB107_179
.LBB107_172:                            ;   Parent Loop BB107_21 Depth=1
                                        ; =>  This Inner Loop Header: Depth=2
	s_delay_alu instid0(VALU_DEP_1)
	v_cmp_gt_u32_e32 vcc_lo, s19, v2
	v_mov_b32_e32 v3, 0
	s_and_saveexec_b32 s7, vcc_lo
	s_cbranch_execz .LBB107_174
; %bb.173:                              ;   in Loop: Header=BB107_172 Depth=2
	ds_load_u16 v3, v1
.LBB107_174:                            ;   in Loop: Header=BB107_172 Depth=2
	s_or_b32 exec_lo, exec_lo, s7
	s_and_saveexec_b32 s7, vcc_lo
	s_cbranch_execz .LBB107_171
; %bb.175:                              ;   in Loop: Header=BB107_172 Depth=2
	s_waitcnt lgkmcnt(0)
	v_bfe_i32 v4, v3, 0, 16
	s_delay_alu instid0(VALU_DEP_1) | instskip(NEXT) | instid1(VALU_DEP_1)
	v_add_nc_u32_e32 v4, 0x8000, v4
	v_and_b32_e32 v4, s72, v4
	s_delay_alu instid0(VALU_DEP_1)
	v_cmp_eq_u32_e32 vcc_lo, s71, v4
	s_and_b32 exec_lo, exec_lo, vcc_lo
	s_cbranch_execz .LBB107_171
; %bb.176:                              ;   in Loop: Header=BB107_172 Depth=2
	v_perm_b32 v3, v3, 1, 0x5040100
	ds_store_b32 v7, v3 offset:3072
	s_branch .LBB107_171
.LBB107_177:                            ;   in Loop: Header=BB107_21 Depth=1
                                        ; implicit-def: $sgpr19
                                        ; implicit-def: $sgpr21
                                        ; implicit-def: $sgpr20
	s_branch .LBB107_191
.LBB107_178:                            ;   in Loop: Header=BB107_21 Depth=1
	s_mov_b32 s19, -1
	s_mov_b32 s25, 0
                                        ; implicit-def: $sgpr20
                                        ; implicit-def: $vgpr26
	s_mov_b32 s21, s19
	s_cbranch_execnz .LBB107_181
	s_branch .LBB107_191
.LBB107_179:                            ;   in Loop: Header=BB107_21 Depth=1
	s_set_inst_prefetch_distance 0x2
	s_or_b32 exec_lo, exec_lo, s22
	v_lshrrev_b32_e32 v26, 16, v3
	s_and_b32 s25, s25, exec_lo
.LBB107_180:                            ;   in Loop: Header=BB107_21 Depth=1
	s_or_b32 exec_lo, exec_lo, s20
	s_mov_b32 s20, -1
	s_mov_b32 s19, 0
	s_delay_alu instid0(SALU_CYCLE_1)
	s_mov_b32 s21, s19
	s_branch .LBB107_191
.LBB107_181:                            ;   in Loop: Header=BB107_21 Depth=1
	s_mov_b32 s25, 0
                                        ; implicit-def: $vgpr26
	s_and_saveexec_b32 s19, s6
	s_cbranch_execz .LBB107_190
; %bb.182:                              ;   in Loop: Header=BB107_21 Depth=1
	v_dual_mov_b32 v6, v5 :: v_dual_mov_b32 v1, v0
	s_mov_b32 s20, 0
                                        ; implicit-def: $sgpr21
	s_set_inst_prefetch_distance 0x1
	s_branch .LBB107_184
	.p2align	6
.LBB107_183:                            ;   in Loop: Header=BB107_184 Depth=2
	s_or_b32 exec_lo, exec_lo, s7
	s_waitcnt vmcnt(0) lgkmcnt(0)
	s_barrier
	buffer_gl0_inv
	ds_load_b32 v2, v7 offset:3072
	v_add_nc_u32_e32 v1, s45, v1
	v_add_nc_u32_e32 v6, s49, v6
	s_waitcnt lgkmcnt(0)
	s_barrier
	buffer_gl0_inv
	v_cmp_le_u32_e32 vcc_lo, s59, v1
	v_cmp_ne_u16_e64 s7, 0, v2
	s_delay_alu instid0(VALU_DEP_1) | instskip(NEXT) | instid1(SALU_CYCLE_1)
	s_or_b32 s22, vcc_lo, s7
	s_and_b32 s22, exec_lo, s22
	s_delay_alu instid0(SALU_CYCLE_1) | instskip(SKIP_2) | instid1(SALU_CYCLE_1)
	s_or_b32 s20, s22, s20
	s_and_not1_b32 s21, s21, exec_lo
	s_and_b32 s7, s7, exec_lo
	s_or_b32 s21, s21, s7
	s_and_not1_b32 exec_lo, exec_lo, s20
	s_cbranch_execz .LBB107_189
.LBB107_184:                            ;   Parent Loop BB107_21 Depth=1
                                        ; =>  This Inner Loop Header: Depth=2
	s_delay_alu instid0(VALU_DEP_1)
	v_cmp_gt_u32_e32 vcc_lo, s28, v1
	v_mov_b32_e32 v2, 0
	s_and_saveexec_b32 s22, vcc_lo
	s_cbranch_execz .LBB107_186
; %bb.185:                              ;   in Loop: Header=BB107_184 Depth=2
	v_lshlrev_b64 v[2:3], 1, v[6:7]
	s_delay_alu instid0(VALU_DEP_1) | instskip(NEXT) | instid1(VALU_DEP_1)
	v_add_co_u32 v2, s7, s31, v2
	v_add_co_ci_u32_e64 v3, s7, s40, v3, s7
	global_load_u16 v2, v[2:3], off
.LBB107_186:                            ;   in Loop: Header=BB107_184 Depth=2
	s_or_b32 exec_lo, exec_lo, s22
	s_and_saveexec_b32 s7, vcc_lo
	s_cbranch_execz .LBB107_183
; %bb.187:                              ;   in Loop: Header=BB107_184 Depth=2
	s_waitcnt vmcnt(0)
	v_bfe_i32 v3, v2, 0, 16
	s_delay_alu instid0(VALU_DEP_1) | instskip(NEXT) | instid1(VALU_DEP_1)
	v_add_nc_u32_e32 v3, 0x8000, v3
	v_and_b32_e32 v3, s72, v3
	s_delay_alu instid0(VALU_DEP_1)
	v_cmp_eq_u32_e32 vcc_lo, s71, v3
	s_and_b32 exec_lo, exec_lo, vcc_lo
	s_cbranch_execz .LBB107_183
; %bb.188:                              ;   in Loop: Header=BB107_184 Depth=2
	v_perm_b32 v2, v2, 1, 0x5040100
	ds_store_b32 v7, v2 offset:3072
	s_branch .LBB107_183
.LBB107_189:                            ;   in Loop: Header=BB107_21 Depth=1
	s_set_inst_prefetch_distance 0x2
	s_or_b32 exec_lo, exec_lo, s20
	v_lshrrev_b32_e32 v26, 16, v2
	s_and_b32 s25, s21, exec_lo
.LBB107_190:                            ;   in Loop: Header=BB107_21 Depth=1
	s_or_b32 exec_lo, exec_lo, s19
	s_mov_b32 s21, -1
	s_mov_b32 s19, 0
	s_mov_b32 s20, 0
.LBB107_191:                            ;   in Loop: Header=BB107_21 Depth=1
	s_mov_b32 s26, 0
                                        ; implicit-def: $sgpr7
	s_and_saveexec_b32 s22, s25
	s_cbranch_execz .LBB107_246
; %bb.192:                              ;   in Loop: Header=BB107_21 Depth=1
	s_xor_b32 s7, s23, -1
	s_mov_b32 s25, 0
	s_and_not1_b32 vcc_lo, exec_lo, s7
	s_mov_b32 s23, 1
	s_cbranch_vccnz .LBB107_203
; %bb.193:                              ;   in Loop: Header=BB107_21 Depth=1
	s_cmp_gt_u32 s24, s14
	s_mov_b32 s25, -1
                                        ; implicit-def: $sgpr7
                                        ; implicit-def: $sgpr23
                                        ; implicit-def: $sgpr26
	s_cbranch_scc1 .LBB107_199
; %bb.194:                              ;   in Loop: Header=BB107_21 Depth=1
	ds_load_b32 v1, v7 offset:4104
	s_waitcnt lgkmcnt(0)
	v_cmp_ne_u32_e32 vcc_lo, 0, v1
	s_cbranch_vccnz .LBB107_198
; %bb.195:                              ;   in Loop: Header=BB107_21 Depth=1
	s_and_saveexec_b32 s7, s2
	s_cbranch_execz .LBB107_197
; %bb.196:                              ;   in Loop: Header=BB107_21 Depth=1
	v_mov_b32_e32 v1, s14
	ds_store_b32 v7, v1 offset:4108
.LBB107_197:                            ;   in Loop: Header=BB107_21 Depth=1
	s_or_b32 exec_lo, exec_lo, s7
	s_waitcnt lgkmcnt(0)
	s_barrier
	buffer_gl0_inv
.LBB107_198:                            ;   in Loop: Header=BB107_21 Depth=1
	s_lshl_b32 s7, 2, s16
	s_and_b32 s16, s71, s17
	s_or_b32 s26, s72, s10
	s_or_b32 s23, s16, s7
	s_mov_b32 s25, 0
	s_mov_b32 s7, 8
.LBB107_199:                            ;   in Loop: Header=BB107_21 Depth=1
	s_and_not1_b32 vcc_lo, exec_lo, s25
	s_cbranch_vccnz .LBB107_201
; %bb.200:                              ;   in Loop: Header=BB107_21 Depth=1
	s_sub_i32 s24, s24, s14
	s_mov_b32 s25, -1
	s_mov_b32 s7, 0
	s_mov_b32 s23, s71
	;; [unrolled: 1-line block ×3, first 2 shown]
.LBB107_201:                            ;   in Loop: Header=BB107_21 Depth=1
	s_delay_alu instid0(SALU_CYCLE_1)
	s_mov_b32 s72, s26
	s_mov_b32 s71, s23
	;; [unrolled: 1-line block ×3, first 2 shown]
	s_and_not1_b32 vcc_lo, exec_lo, s25
	s_mov_b32 s73, -1
	s_cbranch_vccz .LBB107_204
.LBB107_202:                            ;   in Loop: Header=BB107_21 Depth=1
                                        ; implicit-def: $sgpr16
                                        ; implicit-def: $sgpr24
                                        ; implicit-def: $sgpr17
	s_branch .LBB107_245
.LBB107_203:                            ;   in Loop: Header=BB107_21 Depth=1
	s_mov_b32 s7, 1
	s_and_not1_b32 vcc_lo, exec_lo, s25
	s_mov_b32 s73, -1
	s_cbranch_vccnz .LBB107_202
.LBB107_204:                            ;   in Loop: Header=BB107_21 Depth=1
	s_cmp_eq_u32 s8, 1
	s_mov_b32 s25, -1
	s_cselect_b32 s7, -1, 0
	s_cmp_eq_u32 s23, 1
	s_cselect_b32 s14, -1, 0
	s_delay_alu instid0(SALU_CYCLE_1) | instskip(NEXT) | instid1(SALU_CYCLE_1)
	s_and_b32 s14, s7, s14
	s_and_b32 vcc_lo, exec_lo, s14
	s_cbranch_vccz .LBB107_216
; %bb.205:                              ;   in Loop: Header=BB107_21 Depth=1
	ds_load_b32 v1, v7 offset:4104
	s_waitcnt lgkmcnt(0)
	s_barrier
	buffer_gl0_inv
	v_readfirstlane_b32 s16, v1
	s_and_saveexec_b32 s7, s1
	s_cbranch_execz .LBB107_207
; %bb.206:                              ;   in Loop: Header=BB107_21 Depth=1
	ds_store_b16 v17, v7
.LBB107_207:                            ;   in Loop: Header=BB107_21 Depth=1
	s_or_b32 exec_lo, exec_lo, s7
	s_or_b32 s71, s71, s10
	s_or_b32 s72, s72, s10
	s_cmp_eq_u32 s16, 0
	s_waitcnt lgkmcnt(0)
	s_barrier
	buffer_gl0_inv
	s_cbranch_scc1 .LBB107_217
; %bb.208:                              ;   in Loop: Header=BB107_21 Depth=1
	s_add_i32 s7, s16, s48
	s_mov_b32 s25, 0
	s_mul_hi_u32 s17, s7, s58
                                        ; implicit-def: $vgpr26
	s_delay_alu instid0(SALU_CYCLE_1) | instskip(NEXT) | instid1(SALU_CYCLE_1)
	s_mul_i32 s17, s17, s45
	s_sub_i32 s17, s7, s17
	s_delay_alu instid0(SALU_CYCLE_1) | instskip(SKIP_2) | instid1(SALU_CYCLE_1)
	s_sub_i32 s24, s17, s45
	s_cmp_ge_u32 s17, s45
	s_cselect_b32 s17, s24, s17
	s_sub_i32 s24, s17, s45
	s_cmp_ge_u32 s17, s45
	s_cselect_b32 s17, s24, s17
	s_delay_alu instid0(SALU_CYCLE_1)
	s_sub_i32 s24, s7, s17
	s_mov_b32 s17, exec_lo
	v_cmpx_gt_u32_e64 s24, v0
	s_cbranch_execz .LBB107_219
; %bb.209:                              ;   in Loop: Header=BB107_21 Depth=1
	v_mov_b32_e32 v1, v16
	v_mov_b32_e32 v2, v0
                                        ; implicit-def: $sgpr26
	s_set_inst_prefetch_distance 0x1
	s_branch .LBB107_211
	.p2align	6
.LBB107_210:                            ;   in Loop: Header=BB107_211 Depth=2
	s_or_b32 exec_lo, exec_lo, s7
	s_waitcnt lgkmcnt(0)
	s_barrier
	buffer_gl0_inv
	ds_load_b32 v3, v7 offset:3072
	v_add_nc_u32_e32 v2, s45, v2
	v_add_nc_u32_e32 v1, s62, v1
	s_waitcnt lgkmcnt(0)
	s_barrier
	buffer_gl0_inv
	v_cmp_le_u32_e32 vcc_lo, s24, v2
	v_cmp_ne_u16_e64 s7, 0, v3
	s_delay_alu instid0(VALU_DEP_1) | instskip(NEXT) | instid1(SALU_CYCLE_1)
	s_or_b32 s73, vcc_lo, s7
	s_and_b32 s73, exec_lo, s73
	s_delay_alu instid0(SALU_CYCLE_1) | instskip(SKIP_2) | instid1(SALU_CYCLE_1)
	s_or_b32 s25, s73, s25
	s_and_not1_b32 s26, s26, exec_lo
	s_and_b32 s7, s7, exec_lo
	s_or_b32 s26, s26, s7
	s_and_not1_b32 exec_lo, exec_lo, s25
	s_cbranch_execz .LBB107_218
.LBB107_211:                            ;   Parent Loop BB107_21 Depth=1
                                        ; =>  This Inner Loop Header: Depth=2
	s_delay_alu instid0(VALU_DEP_1)
	v_cmp_gt_u32_e32 vcc_lo, s16, v2
	v_mov_b32_e32 v3, 0
	s_and_saveexec_b32 s7, vcc_lo
	s_cbranch_execz .LBB107_213
; %bb.212:                              ;   in Loop: Header=BB107_211 Depth=2
	ds_load_u16 v3, v1
.LBB107_213:                            ;   in Loop: Header=BB107_211 Depth=2
	s_or_b32 exec_lo, exec_lo, s7
	s_and_saveexec_b32 s7, vcc_lo
	s_cbranch_execz .LBB107_210
; %bb.214:                              ;   in Loop: Header=BB107_211 Depth=2
	s_waitcnt lgkmcnt(0)
	v_bfe_i32 v4, v3, 0, 16
	s_delay_alu instid0(VALU_DEP_1) | instskip(NEXT) | instid1(VALU_DEP_1)
	v_add_nc_u32_e32 v4, 0x8000, v4
	v_and_b32_e32 v4, s72, v4
	s_delay_alu instid0(VALU_DEP_1)
	v_cmp_eq_u32_e32 vcc_lo, s71, v4
	s_and_b32 exec_lo, exec_lo, vcc_lo
	s_cbranch_execz .LBB107_210
; %bb.215:                              ;   in Loop: Header=BB107_211 Depth=2
	v_perm_b32 v3, v3, 1, 0x5040100
	ds_store_b32 v7, v3 offset:3072
	s_branch .LBB107_210
.LBB107_216:                            ;   in Loop: Header=BB107_21 Depth=1
                                        ; implicit-def: $sgpr16
                                        ; implicit-def: $sgpr24
                                        ; implicit-def: $sgpr17
	s_branch .LBB107_230
.LBB107_217:                            ;   in Loop: Header=BB107_21 Depth=1
	s_mov_b32 s16, -1
	s_mov_b32 s25, 0
                                        ; implicit-def: $sgpr17
                                        ; implicit-def: $vgpr26
	s_mov_b32 s24, s16
	s_cbranch_execnz .LBB107_220
	s_branch .LBB107_230
.LBB107_218:                            ;   in Loop: Header=BB107_21 Depth=1
	s_set_inst_prefetch_distance 0x2
	s_or_b32 exec_lo, exec_lo, s25
	v_lshrrev_b32_e32 v26, 16, v3
	s_and_b32 s25, s26, exec_lo
.LBB107_219:                            ;   in Loop: Header=BB107_21 Depth=1
	s_or_b32 exec_lo, exec_lo, s17
	s_mov_b32 s17, -1
	s_mov_b32 s16, 0
	s_delay_alu instid0(SALU_CYCLE_1)
	s_mov_b32 s24, s16
	s_branch .LBB107_230
.LBB107_220:                            ;   in Loop: Header=BB107_21 Depth=1
	s_mov_b32 s25, 0
                                        ; implicit-def: $vgpr26
	s_and_saveexec_b32 s16, s6
	s_cbranch_execz .LBB107_229
; %bb.221:                              ;   in Loop: Header=BB107_21 Depth=1
	v_dual_mov_b32 v6, v5 :: v_dual_mov_b32 v1, v0
	s_mov_b32 s17, 0
                                        ; implicit-def: $sgpr24
	s_set_inst_prefetch_distance 0x1
	s_branch .LBB107_223
	.p2align	6
.LBB107_222:                            ;   in Loop: Header=BB107_223 Depth=2
	s_or_b32 exec_lo, exec_lo, s7
	s_waitcnt vmcnt(0) lgkmcnt(0)
	s_barrier
	buffer_gl0_inv
	ds_load_b32 v2, v7 offset:3072
	v_add_nc_u32_e32 v1, s45, v1
	v_add_nc_u32_e32 v6, s49, v6
	s_waitcnt lgkmcnt(0)
	s_barrier
	buffer_gl0_inv
	v_cmp_le_u32_e32 vcc_lo, s59, v1
	v_cmp_ne_u16_e64 s7, 0, v2
	s_delay_alu instid0(VALU_DEP_1) | instskip(NEXT) | instid1(SALU_CYCLE_1)
	s_or_b32 s25, vcc_lo, s7
	s_and_b32 s25, exec_lo, s25
	s_delay_alu instid0(SALU_CYCLE_1) | instskip(SKIP_2) | instid1(SALU_CYCLE_1)
	s_or_b32 s17, s25, s17
	s_and_not1_b32 s24, s24, exec_lo
	s_and_b32 s7, s7, exec_lo
	s_or_b32 s24, s24, s7
	s_and_not1_b32 exec_lo, exec_lo, s17
	s_cbranch_execz .LBB107_228
.LBB107_223:                            ;   Parent Loop BB107_21 Depth=1
                                        ; =>  This Inner Loop Header: Depth=2
	s_delay_alu instid0(VALU_DEP_1)
	v_cmp_gt_u32_e32 vcc_lo, s28, v1
	v_mov_b32_e32 v2, 0
	s_and_saveexec_b32 s25, vcc_lo
	s_cbranch_execz .LBB107_225
; %bb.224:                              ;   in Loop: Header=BB107_223 Depth=2
	v_lshlrev_b64 v[2:3], 1, v[6:7]
	s_delay_alu instid0(VALU_DEP_1) | instskip(NEXT) | instid1(VALU_DEP_1)
	v_add_co_u32 v2, s7, s31, v2
	v_add_co_ci_u32_e64 v3, s7, s40, v3, s7
	global_load_u16 v2, v[2:3], off
.LBB107_225:                            ;   in Loop: Header=BB107_223 Depth=2
	s_or_b32 exec_lo, exec_lo, s25
	s_and_saveexec_b32 s7, vcc_lo
	s_cbranch_execz .LBB107_222
; %bb.226:                              ;   in Loop: Header=BB107_223 Depth=2
	s_waitcnt vmcnt(0)
	v_bfe_i32 v3, v2, 0, 16
	s_delay_alu instid0(VALU_DEP_1) | instskip(NEXT) | instid1(VALU_DEP_1)
	v_add_nc_u32_e32 v3, 0x8000, v3
	v_and_b32_e32 v3, s72, v3
	s_delay_alu instid0(VALU_DEP_1)
	v_cmp_eq_u32_e32 vcc_lo, s71, v3
	s_and_b32 exec_lo, exec_lo, vcc_lo
	s_cbranch_execz .LBB107_222
; %bb.227:                              ;   in Loop: Header=BB107_223 Depth=2
	v_perm_b32 v2, v2, 1, 0x5040100
	ds_store_b32 v7, v2 offset:3072
	s_branch .LBB107_222
.LBB107_228:                            ;   in Loop: Header=BB107_21 Depth=1
	s_set_inst_prefetch_distance 0x2
	s_or_b32 exec_lo, exec_lo, s17
	v_lshrrev_b32_e32 v26, 16, v2
	s_and_b32 s25, s24, exec_lo
.LBB107_229:                            ;   in Loop: Header=BB107_21 Depth=1
	s_or_b32 exec_lo, exec_lo, s16
	s_mov_b32 s24, -1
	s_mov_b32 s16, 0
	s_mov_b32 s17, 0
.LBB107_230:                            ;   in Loop: Header=BB107_21 Depth=1
	s_mov_b32 s73, 0
                                        ; implicit-def: $sgpr7
	s_and_saveexec_b32 s26, s25
	s_cbranch_execz .LBB107_244
; %bb.231:                              ;   in Loop: Header=BB107_21 Depth=1
	s_xor_b32 s7, s14, -1
	s_delay_alu instid0(SALU_CYCLE_1)
	s_and_not1_b32 vcc_lo, exec_lo, s7
	s_mov_b32 s7, 1
	s_cbranch_vccnz .LBB107_238
; %bb.232:                              ;   in Loop: Header=BB107_21 Depth=1
	s_cmp_gt_u32 s23, s8
	s_cbranch_scc1 .LBB107_239
; %bb.233:                              ;   in Loop: Header=BB107_21 Depth=1
	ds_load_b32 v1, v7 offset:4104
	s_waitcnt lgkmcnt(0)
	v_cmp_ne_u32_e32 vcc_lo, 0, v1
	s_cbranch_vccnz .LBB107_237
; %bb.234:                              ;   in Loop: Header=BB107_21 Depth=1
	s_and_saveexec_b32 s7, s2
	s_cbranch_execz .LBB107_236
; %bb.235:                              ;   in Loop: Header=BB107_21 Depth=1
	v_mov_b32_e32 v1, s8
	ds_store_b32 v7, v1 offset:4108
.LBB107_236:                            ;   in Loop: Header=BB107_21 Depth=1
	s_or_b32 exec_lo, exec_lo, s7
	s_waitcnt lgkmcnt(0)
	s_barrier
	buffer_gl0_inv
.LBB107_237:                            ;   in Loop: Header=BB107_21 Depth=1
	s_or_b32 s14, s71, s10
	s_or_b32 s10, s72, s10
	s_mov_b32 s25, 0
	s_mov_b32 s7, 8
	s_branch .LBB107_240
.LBB107_238:                            ;   in Loop: Header=BB107_21 Depth=1
	s_mov_b32 s23, 1
	s_branch .LBB107_243
.LBB107_239:                            ;   in Loop: Header=BB107_21 Depth=1
	s_mov_b32 s25, -1
                                        ; implicit-def: $sgpr7
                                        ; implicit-def: $sgpr14
                                        ; implicit-def: $sgpr10
.LBB107_240:                            ;   in Loop: Header=BB107_21 Depth=1
	s_delay_alu instid0(SALU_CYCLE_1)
	s_and_not1_b32 vcc_lo, exec_lo, s25
	s_cbranch_vccnz .LBB107_242
; %bb.241:                              ;   in Loop: Header=BB107_21 Depth=1
	s_sub_i32 s23, s23, s8
	s_mov_b32 s7, 8
	s_mov_b32 s14, s71
	;; [unrolled: 1-line block ×3, first 2 shown]
.LBB107_242:                            ;   in Loop: Header=BB107_21 Depth=1
	s_mov_b32 s71, s14
	s_mov_b32 s72, s10
.LBB107_243:                            ;   in Loop: Header=BB107_21 Depth=1
	s_mov_b32 s73, exec_lo
.LBB107_244:                            ;   in Loop: Header=BB107_21 Depth=1
	s_or_b32 exec_lo, exec_lo, s26
.LBB107_245:                            ;   in Loop: Header=BB107_21 Depth=1
	s_delay_alu instid0(SALU_CYCLE_1)
	s_and_not1_b32 s8, s19, exec_lo
	s_and_b32 s10, s16, exec_lo
	s_and_not1_b32 s14, s20, exec_lo
	s_or_b32 s19, s8, s10
	s_and_not1_b32 s8, s21, exec_lo
	s_and_b32 s10, s24, exec_lo
	s_and_b32 s16, s17, exec_lo
	s_or_b32 s21, s8, s10
	s_or_b32 s20, s14, s16
	s_and_b32 s26, s73, exec_lo
	s_mov_b32 s24, s23
.LBB107_246:                            ;   in Loop: Header=BB107_21 Depth=1
	s_or_b32 exec_lo, exec_lo, s22
.LBB107_247:                            ;   in Loop: Header=BB107_21 Depth=1
	s_delay_alu instid0(SALU_CYCLE_1)
	s_and_not1_b32 s8, s13, exec_lo
	s_and_b32 s10, s19, exec_lo
	s_and_not1_b32 s12, s12, exec_lo
	s_or_b32 s13, s8, s10
	s_and_not1_b32 s8, s15, exec_lo
	s_and_b32 s10, s21, exec_lo
	s_and_b32 s14, s20, exec_lo
	s_or_b32 s15, s8, s10
	s_or_b32 s12, s12, s14
	s_and_b32 s23, s26, exec_lo
	s_mov_b32 s20, s24
.LBB107_248:                            ;   in Loop: Header=BB107_21 Depth=1
	s_or_b32 exec_lo, exec_lo, s18
                                        ; implicit-def: $sgpr73
	s_and_saveexec_b32 s8, s23
	s_delay_alu instid0(SALU_CYCLE_1)
	s_xor_b32 s8, exec_lo, s8
	s_cbranch_execz .LBB107_19
.LBB107_249:                            ;   in Loop: Header=BB107_21 Depth=1
	s_and_b32 s7, s7, -9
	s_delay_alu instid0(SALU_CYCLE_1)
	s_cmp_eq_u32 s7, 0
	s_cbranch_scc1 .LBB107_17
; %bb.250:                              ;   in Loop: Header=BB107_21 Depth=1
	s_mov_b32 s7, -1
	s_mov_b32 s10, -1
                                        ; implicit-def: $sgpr72
                                        ; implicit-def: $sgpr20
                                        ; implicit-def: $sgpr66
                                        ; implicit-def: $sgpr69
	s_branch .LBB107_18
.LBB107_251:
	s_or_b32 exec_lo, exec_lo, s41
	s_xor_b32 s4, s65, -1
	s_xor_b32 s1, s63, -1
	;; [unrolled: 1-line block ×3, first 2 shown]
	s_mov_b32 s2, 0
	s_and_saveexec_b32 s5, s1
	s_delay_alu instid0(SALU_CYCLE_1)
	s_xor_b32 s1, exec_lo, s5
	s_cbranch_execz .LBB107_265
; %bb.252:
	s_and_saveexec_b32 s2, s4
	s_delay_alu instid0(SALU_CYCLE_1)
	s_xor_b32 s4, exec_lo, s2
	s_cbranch_execz .LBB107_263
; %bb.253:
	s_and_saveexec_b32 s2, s3
	s_delay_alu instid0(SALU_CYCLE_1)
	s_xor_b32 s2, exec_lo, s2
; %bb.254:
	v_xor_b32_e32 v26, 0xffff8000, v1
; %bb.255:
	s_or_b32 exec_lo, exec_lo, s2
	s_mul_i32 s2, s34, s29
	s_mov_b32 s3, 0
	s_add_i32 s2, s2, s27
	v_mov_b32_e32 v6, 0
	s_lshl_b64 s[6:7], s[2:3], 1
	s_delay_alu instid0(SALU_CYCLE_1)
	s_add_u32 s6, s38, s6
	s_addc_u32 s7, s39, s7
	global_store_b16 v6, v26, s[6:7]
	s_and_saveexec_b32 s2, s0
	s_cbranch_execz .LBB107_262
; %bb.256:
                                        ; implicit-def: $sgpr0
                                        ; implicit-def: $sgpr6
                                        ; implicit-def: $sgpr5
	s_set_inst_prefetch_distance 0x1
	s_branch .LBB107_258
	.p2align	6
.LBB107_257:                            ;   in Loop: Header=BB107_258 Depth=1
	s_or_b32 exec_lo, exec_lo, s7
	s_delay_alu instid0(SALU_CYCLE_1) | instskip(NEXT) | instid1(SALU_CYCLE_1)
	s_and_b32 s7, exec_lo, s6
	s_or_b32 s3, s7, s3
	s_and_not1_b32 s0, s0, exec_lo
	s_and_b32 s7, s5, exec_lo
	s_delay_alu instid0(SALU_CYCLE_1)
	s_or_b32 s0, s0, s7
	s_and_not1_b32 exec_lo, exec_lo, s3
	s_cbranch_execz .LBB107_260
.LBB107_258:                            ; =>This Inner Loop Header: Depth=1
	v_lshlrev_b64 v[1:2], 1, v[5:6]
	s_or_b32 s5, s5, exec_lo
	s_or_b32 s6, s6, exec_lo
	s_mov_b32 s7, exec_lo
	s_delay_alu instid0(VALU_DEP_1) | instskip(NEXT) | instid1(VALU_DEP_2)
	v_add_co_u32 v1, vcc_lo, s31, v1
	v_add_co_ci_u32_e32 v2, vcc_lo, s40, v2, vcc_lo
	global_load_u16 v2, v[1:2], off
	v_mov_b32_e32 v1, v0
                                        ; implicit-def: $vgpr0
	s_waitcnt vmcnt(0)
	v_cmpx_ne_u16_e64 v2, v26
	s_cbranch_execz .LBB107_257
; %bb.259:                              ;   in Loop: Header=BB107_258 Depth=1
	s_delay_alu instid0(VALU_DEP_2) | instskip(SKIP_3) | instid1(VALU_DEP_2)
	v_add_nc_u32_e32 v0, s45, v1
	s_and_not1_b32 s6, s6, exec_lo
	v_add_nc_u32_e32 v5, s49, v5
	s_and_not1_b32 s5, s5, exec_lo
	v_cmp_le_u32_e32 vcc_lo, s28, v0
	s_and_b32 s8, vcc_lo, exec_lo
	s_delay_alu instid0(SALU_CYCLE_1)
	s_or_b32 s6, s6, s8
	s_branch .LBB107_257
.LBB107_260:
	s_set_inst_prefetch_distance 0x2
	s_or_b32 exec_lo, exec_lo, s3
	s_and_saveexec_b32 s3, s0
	s_delay_alu instid0(SALU_CYCLE_1)
	s_xor_b32 s3, exec_lo, s3
	s_cbranch_execz .LBB107_262
; %bb.261:
	s_mul_i32 s0, s44, s33
	s_mov_b32 s7, 0
	s_add_i32 s6, s0, s35
	v_mov_b32_e32 v2, 0
	s_lshl_b64 s[6:7], s[6:7], 3
	s_delay_alu instid0(SALU_CYCLE_1)
	s_add_u32 s6, s36, s6
	s_addc_u32 s7, s37, s7
	global_store_b64 v2, v[1:2], s[6:7]
.LBB107_262:
	s_or_b32 exec_lo, exec_lo, s2
.LBB107_263:
	s_or_saveexec_b32 s0, s4
	s_mov_b32 s2, 0
	s_xor_b32 exec_lo, exec_lo, s0
	s_cbranch_execnz .LBB107_271
.LBB107_264:
	s_or_b32 exec_lo, exec_lo, s0
	s_delay_alu instid0(SALU_CYCLE_1)
	s_and_b32 s2, s2, exec_lo
.LBB107_265:
	s_and_not1_saveexec_b32 s0, s1
	s_cbranch_execnz .LBB107_269
; %bb.266:
	s_or_b32 exec_lo, exec_lo, s0
	s_and_saveexec_b32 s0, s2
.LBB107_267:
	; divergent unreachable
.LBB107_268:
	s_nop 0
	s_sendmsg sendmsg(MSG_DEALLOC_VGPRS)
	s_endpgm
.LBB107_269:
	s_cbranch_execnz .LBB107_273
; %bb.270:
	s_or_b32 s2, s2, exec_lo
	s_or_b32 exec_lo, exec_lo, s0
	s_and_saveexec_b32 s0, s2
	s_cbranch_execnz .LBB107_267
	s_branch .LBB107_268
.LBB107_271:
	s_cbranch_execnz .LBB107_275
; %bb.272:
	s_mov_b32 s2, exec_lo
	s_branch .LBB107_264
.LBB107_273:
	s_trap 2
	s_sendmsg_rtn_b32 s0, sendmsg(MSG_RTN_GET_DOORBELL)
	s_mov_b32 ttmp2, m0
	s_waitcnt lgkmcnt(0)
	s_and_b32 s0, s0, 0x3ff
	s_delay_alu instid0(SALU_CYCLE_1) | instskip(NEXT) | instid1(SALU_CYCLE_1)
	s_bitset1_b32 s0, 10
	s_mov_b32 m0, s0
	s_sendmsg sendmsg(MSG_INTERRUPT)
	s_mov_b32 m0, ttmp2
.LBB107_274:                            ; =>This Inner Loop Header: Depth=1
	s_sethalt 5
	s_branch .LBB107_274
.LBB107_275:
	s_trap 2
	s_sendmsg_rtn_b32 s0, sendmsg(MSG_RTN_GET_DOORBELL)
	s_mov_b32 ttmp2, m0
	s_waitcnt lgkmcnt(0)
	s_and_b32 s0, s0, 0x3ff
	s_delay_alu instid0(SALU_CYCLE_1) | instskip(NEXT) | instid1(SALU_CYCLE_1)
	s_bitset1_b32 s0, 10
	s_mov_b32 m0, s0
	s_sendmsg sendmsg(MSG_INTERRUPT)
	s_mov_b32 m0, ttmp2
.LBB107_276:                            ; =>This Inner Loop Header: Depth=1
	s_sethalt 5
	s_branch .LBB107_276
	.section	.rodata,"a",@progbits
	.p2align	6, 0x0
	.amdhsa_kernel _ZN2at6native12_GLOBAL__N_112gatherMedianIsjLin1EEEvNS_4cuda6detail10TensorInfoIT_T0_EENS5_IlS7_EENS5_IKS6_S7_EES7_S7_S7_b
		.amdhsa_group_segment_fixed_size 4120
		.amdhsa_private_segment_fixed_size 0
		.amdhsa_kernarg_size 920
		.amdhsa_user_sgpr_count 13
		.amdhsa_user_sgpr_dispatch_ptr 0
		.amdhsa_user_sgpr_queue_ptr 0
		.amdhsa_user_sgpr_kernarg_segment_ptr 1
		.amdhsa_user_sgpr_dispatch_id 0
		.amdhsa_user_sgpr_private_segment_size 0
		.amdhsa_wavefront_size32 1
		.amdhsa_uses_dynamic_stack 0
		.amdhsa_enable_private_segment 0
		.amdhsa_system_sgpr_workgroup_id_x 1
		.amdhsa_system_sgpr_workgroup_id_y 1
		.amdhsa_system_sgpr_workgroup_id_z 1
		.amdhsa_system_sgpr_workgroup_info 0
		.amdhsa_system_vgpr_workitem_id 0
		.amdhsa_next_free_vgpr 40
		.amdhsa_next_free_sgpr 83
		.amdhsa_reserve_vcc 1
		.amdhsa_float_round_mode_32 0
		.amdhsa_float_round_mode_16_64 0
		.amdhsa_float_denorm_mode_32 3
		.amdhsa_float_denorm_mode_16_64 3
		.amdhsa_dx10_clamp 1
		.amdhsa_ieee_mode 1
		.amdhsa_fp16_overflow 0
		.amdhsa_workgroup_processor_mode 1
		.amdhsa_memory_ordered 1
		.amdhsa_forward_progress 0
		.amdhsa_shared_vgpr_count 0
		.amdhsa_exception_fp_ieee_invalid_op 0
		.amdhsa_exception_fp_denorm_src 0
		.amdhsa_exception_fp_ieee_div_zero 0
		.amdhsa_exception_fp_ieee_overflow 0
		.amdhsa_exception_fp_ieee_underflow 0
		.amdhsa_exception_fp_ieee_inexact 0
		.amdhsa_exception_int_div_zero 0
	.end_amdhsa_kernel
	.section	.text._ZN2at6native12_GLOBAL__N_112gatherMedianIsjLin1EEEvNS_4cuda6detail10TensorInfoIT_T0_EENS5_IlS7_EENS5_IKS6_S7_EES7_S7_S7_b,"axG",@progbits,_ZN2at6native12_GLOBAL__N_112gatherMedianIsjLin1EEEvNS_4cuda6detail10TensorInfoIT_T0_EENS5_IlS7_EENS5_IKS6_S7_EES7_S7_S7_b,comdat
.Lfunc_end107:
	.size	_ZN2at6native12_GLOBAL__N_112gatherMedianIsjLin1EEEvNS_4cuda6detail10TensorInfoIT_T0_EENS5_IlS7_EENS5_IKS6_S7_EES7_S7_S7_b, .Lfunc_end107-_ZN2at6native12_GLOBAL__N_112gatherMedianIsjLin1EEEvNS_4cuda6detail10TensorInfoIT_T0_EENS5_IlS7_EENS5_IKS6_S7_EES7_S7_S7_b
                                        ; -- End function
	.section	.AMDGPU.csdata,"",@progbits
; Kernel info:
; codeLenInByte = 10392
; NumSgprs: 85
; NumVgprs: 40
; ScratchSize: 0
; MemoryBound: 0
; FloatMode: 240
; IeeeMode: 1
; LDSByteSize: 4120 bytes/workgroup (compile time only)
; SGPRBlocks: 10
; VGPRBlocks: 4
; NumSGPRsForWavesPerEU: 85
; NumVGPRsForWavesPerEU: 40
; Occupancy: 16
; WaveLimiterHint : 1
; COMPUTE_PGM_RSRC2:SCRATCH_EN: 0
; COMPUTE_PGM_RSRC2:USER_SGPR: 13
; COMPUTE_PGM_RSRC2:TRAP_HANDLER: 0
; COMPUTE_PGM_RSRC2:TGID_X_EN: 1
; COMPUTE_PGM_RSRC2:TGID_Y_EN: 1
; COMPUTE_PGM_RSRC2:TGID_Z_EN: 1
; COMPUTE_PGM_RSRC2:TIDIG_COMP_CNT: 0
	.section	.text._ZN2at6native12_GLOBAL__N_112gatherMedianIsmLi1EEEvNS_4cuda6detail10TensorInfoIT_T0_EENS5_IlS7_EENS5_IKS6_S7_EES7_S7_S7_b,"axG",@progbits,_ZN2at6native12_GLOBAL__N_112gatherMedianIsmLi1EEEvNS_4cuda6detail10TensorInfoIT_T0_EENS5_IlS7_EENS5_IKS6_S7_EES7_S7_S7_b,comdat
	.globl	_ZN2at6native12_GLOBAL__N_112gatherMedianIsmLi1EEEvNS_4cuda6detail10TensorInfoIT_T0_EENS5_IlS7_EENS5_IKS6_S7_EES7_S7_S7_b ; -- Begin function _ZN2at6native12_GLOBAL__N_112gatherMedianIsmLi1EEEvNS_4cuda6detail10TensorInfoIT_T0_EENS5_IlS7_EENS5_IKS6_S7_EES7_S7_S7_b
	.p2align	8
	.type	_ZN2at6native12_GLOBAL__N_112gatherMedianIsmLi1EEEvNS_4cuda6detail10TensorInfoIT_T0_EENS5_IlS7_EENS5_IKS6_S7_EES7_S7_S7_b,@function
_ZN2at6native12_GLOBAL__N_112gatherMedianIsmLi1EEEvNS_4cuda6detail10TensorInfoIT_T0_EENS5_IlS7_EENS5_IKS6_S7_EES7_S7_S7_b: ; @_ZN2at6native12_GLOBAL__N_112gatherMedianIsmLi1EEEvNS_4cuda6detail10TensorInfoIT_T0_EENS5_IlS7_EENS5_IKS6_S7_EES7_S7_S7_b
; %bb.0:
	s_clause 0x1
	s_load_b64 s[6:7], s[0:1], 0x500
	s_load_b128 s[24:27], s[0:1], 0x4e0
	s_add_u32 s4, s0, 0x500
	s_addc_u32 s5, s1, 0
	s_mov_b32 s29, 0
	s_waitcnt lgkmcnt(0)
	s_mul_i32 s2, s7, s15
	s_delay_alu instid0(SALU_CYCLE_1) | instskip(NEXT) | instid1(SALU_CYCLE_1)
	s_add_i32 s2, s2, s14
	s_mul_i32 s2, s2, s6
	s_delay_alu instid0(SALU_CYCLE_1) | instskip(NEXT) | instid1(SALU_CYCLE_1)
	s_add_i32 s28, s2, s13
	v_cmp_ge_u64_e64 s2, s[28:29], s[26:27]
	s_delay_alu instid0(VALU_DEP_1)
	s_and_b32 vcc_lo, exec_lo, s2
	s_cbranch_vccnz .LBB108_294
; %bb.1:
	s_load_b64 s[34:35], s[0:1], 0x4f0
	v_cmp_eq_u32_e64 s2, 0, v0
	s_delay_alu instid0(VALU_DEP_1)
	s_and_saveexec_b32 s3, s2
	s_cbranch_execz .LBB108_3
; %bb.2:
	v_mov_b32_e32 v1, 0
	s_delay_alu instid0(VALU_DEP_1)
	v_mov_b32_e32 v2, v1
	ds_store_b64 v1, v[1:2] offset:5136
.LBB108_3:
	s_or_b32 exec_lo, exec_lo, s3
	v_mov_b32_e32 v1, 0
	s_waitcnt lgkmcnt(0)
	s_barrier
	buffer_gl0_inv
	s_barrier
	buffer_gl0_inv
	ds_load_b64 v[1:2], v1 offset:5136
	s_clause 0x2
	s_load_b32 s3, s[0:1], 0x4f8
	s_load_b64 s[10:11], s[0:1], 0x410
	s_load_b64 s[8:9], s[0:1], 0x340
	s_mov_b64 s[40:41], s[24:25]
	s_waitcnt lgkmcnt(0)
	v_readfirstlane_b32 s14, v1
	v_readfirstlane_b32 s15, v2
	s_bitcmp1_b32 s3, 0
	s_cselect_b32 s3, -1, 0
	s_delay_alu instid0(VALU_DEP_1) | instskip(NEXT) | instid1(VALU_DEP_1)
	v_cmp_lt_i64_e64 s7, s[14:15], 1
	s_or_b32 s3, s3, s7
	s_delay_alu instid0(SALU_CYCLE_1)
	s_and_not1_b32 vcc_lo, exec_lo, s3
	s_cbranch_vccnz .LBB108_5
; %bb.4:
	s_not_b64 s[14:15], s[14:15]
	s_delay_alu instid0(SALU_CYCLE_1) | instskip(SKIP_1) | instid1(SALU_CYCLE_1)
	s_add_u32 s14, s14, s24
	s_addc_u32 s15, s15, s25
	s_lshr_b64 s[14:15], s[14:15], 1
	s_delay_alu instid0(SALU_CYCLE_1)
	s_add_u32 s40, s14, 1
	s_addc_u32 s41, s15, 0
.LBB108_5:
	s_clause 0x3
	s_load_b64 s[30:31], s[0:1], 0x270
	s_load_b64 s[26:27], s[0:1], 0x1a0
	;; [unrolled: 1-line block ×4, first 2 shown]
	s_and_saveexec_b32 s0, s2
	s_cbranch_execz .LBB108_7
; %bb.6:
	v_dual_mov_b32 v1, 0 :: v_dual_mov_b32 v4, s25
	s_delay_alu instid0(VALU_DEP_1)
	v_dual_mov_b32 v3, s24 :: v_dual_mov_b32 v2, v1
	ds_store_b32 v1, v1 offset:5144
	ds_store_b128 v1, v[1:4] offset:5120
.LBB108_7:
	s_or_b32 exec_lo, exec_lo, s0
	v_mad_u64_u32 v[2:3], null, v0, s34, 0
	v_lshlrev_b32_e32 v31, 3, v0
	v_lshrrev_b32_e32 v6, 3, v0
	v_mbcnt_lo_u32_b32 v27, -1, 0
	s_mul_i32 s0, s11, s28
	s_mul_hi_u32 s1, s10, s28
	v_or_b32_e32 v22, 2, v31
	v_mad_u64_u32 v[4:5], null, v0, s35, v[3:4]
	s_waitcnt lgkmcnt(0)
	s_barrier
	s_delay_alu instid0(VALU_DEP_2)
	v_mad_u64_u32 v[20:21], null, s34, v22, 0
	buffer_gl0_inv
	s_load_b32 s7, s[4:5], 0xc
	v_dual_mov_b32 v3, v4 :: v_dual_and_b32 v30, 0x7c, v6
	s_add_i32 s1, s1, s0
	s_mul_i32 s0, s10, s28
	v_cmp_gt_u32_e32 vcc_lo, 32, v0
	s_delay_alu instid0(VALU_DEP_2)
	v_lshlrev_b64 v[4:5], 1, v[2:3]
	v_cmp_gt_i32_e64 s3, 4, v27
	v_mov_b32_e32 v6, v21
	v_or_b32_e32 v9, 6, v31
	v_or_b32_e32 v12, 4, v31
	s_lshl_b64 s[0:1], s[0:1], 1
	v_dual_mov_b32 v13, 0 :: v_dual_lshlrev_b32 v28, 1, v0
	s_add_u32 s44, s8, s0
	s_addc_u32 s45, s9, s1
	s_and_b32 s33, vcc_lo, s3
	v_add_co_u32 v10, vcc_lo, s44, v4
	v_mad_u64_u32 v[16:17], null, s34, v9, 0
	v_mad_u64_u32 v[18:19], null, s34, v12, 0
	v_add_co_ci_u32_e32 v11, vcc_lo, s45, v5, vcc_lo
	v_lshlrev_b64 v[4:5], v27, -1
	v_add_nc_u32_e32 v29, 0xc00, v28
	s_waitcnt lgkmcnt(0)
	s_and_b32 s29, s7, 0xffff
	s_bfe_u32 s8, s7, 0xb0005
	s_delay_alu instid0(VALU_DEP_4)
	v_mov_b32_e32 v5, v19
	s_add_u32 s69, s29, -1
	v_not_b32_e32 v32, v4
	v_mov_b32_e32 v4, v17
	s_addc_u32 s70, 0, -1
	s_add_u32 s71, s69, s24
	s_addc_u32 s49, s70, s25
	s_cmp_lt_u32 s13, s6
	v_mad_u64_u32 v[7:8], null, s35, v9, v[4:5]
	s_cselect_b32 s6, 12, 18
	v_mad_u64_u32 v[8:9], null, s35, v12, v[5:6]
	s_add_u32 s50, s4, s6
	v_dual_mov_b32 v1, v13 :: v_dual_lshlrev_b32 v14, 2, v0
	s_delay_alu instid0(VALU_DEP_3)
	v_mad_u64_u32 v[4:5], null, s35, v22, v[6:7]
	s_addc_u32 s51, s5, 0
	s_add_i32 s4, s8, -1
	s_bfe_u32 s72, s29, 0x30005
	s_cmp_gt_u32 s4, 6
	v_cmp_gt_u64_e64 s0, s[24:25], v[0:1]
	s_cselect_b32 s73, -1, 0
	s_and_b32 s74, s8, 0x7f8
	v_cmp_lt_u64_e64 s68, 0x600, s[24:25]
	s_cmp_lg_u32 s72, 0
	v_lshlrev_b64 v[21:22], 3, v[2:3]
	s_mul_i32 s4, s35, s29
	s_mul_hi_u32 s5, s34, s29
	v_cmp_eq_u32_e64 s1, 0, v27
	v_cmp_gt_u32_e64 s3, 2, v0
	v_mov_b32_e32 v15, v13
	v_cmp_gt_u16_e64 s75, s7, 31
	v_mov_b32_e32 v17, v7
	v_mov_b32_e32 v19, v8
	;; [unrolled: 1-line block ×3, first 2 shown]
	v_lshl_or_b32 v34, v27, 3, 0xc00
	v_mov_b32_e32 v35, 0
	s_cselect_b32 s76, -1, 0
	s_add_i32 s5, s5, s4
	s_mul_i32 s4, s34, s29
	s_mov_b32 s47, 0
	s_lshl_b64 s[52:53], s[34:35], 1
	s_lshl_b64 s[54:55], s[34:35], 3
	s_lshl_b32 s77, s29, 1
	s_lshl_b64 s[42:43], s[4:5], 1
	s_mov_b32 s82, 14
	s_mov_b32 s78, 0
	s_mov_b32 s85, 0
	s_mov_b32 s87, 0
	s_mov_b32 s88, 0
                                        ; implicit-def: $sgpr79
                                        ; implicit-def: $sgpr81
                                        ; implicit-def: $sgpr80
                                        ; implicit-def: $sgpr84
                                        ; implicit-def: $sgpr86
                                        ; implicit-def: $sgpr83
	s_branch .LBB108_12
.LBB108_8:                              ;   in Loop: Header=BB108_12 Depth=1
	s_xor_b32 s85, s85, 1
	s_add_i32 s7, s82, -2
	s_cmp_eq_u32 s82, 0
	s_mov_b32 s5, 0
	s_cselect_b32 s6, -1, 0
	s_mov_b32 s82, s7
.LBB108_9:                              ;   in Loop: Header=BB108_12 Depth=1
	s_and_not1_b32 s7, s13, exec_lo
	s_and_b32 s5, s5, exec_lo
	s_and_not1_b32 s19, s19, exec_lo
	s_or_b32 s13, s7, s5
	s_and_not1_b32 s12, s12, exec_lo
	s_or_not1_b32 s15, s6, exec_lo
.LBB108_10:                             ;   in Loop: Header=BB108_12 Depth=1
	s_or_b32 exec_lo, exec_lo, s4
	s_delay_alu instid0(SALU_CYCLE_1)
	s_and_not1_b32 s4, s83, exec_lo
	s_and_b32 s5, s13, exec_lo
	s_and_not1_b32 s6, s84, exec_lo
	s_or_b32 s83, s4, s5
	s_and_not1_b32 s4, s86, exec_lo
	s_and_b32 s5, s19, exec_lo
	s_and_b32 s7, s12, exec_lo
	s_or_b32 s86, s4, s5
	s_or_b32 s84, s6, s7
	s_or_not1_b32 s19, s15, exec_lo
.LBB108_11:                             ;   in Loop: Header=BB108_12 Depth=1
	s_or_b32 exec_lo, exec_lo, s14
	s_delay_alu instid0(SALU_CYCLE_1)
	s_and_b32 s4, exec_lo, s19
	v_mov_b32_e32 v2, s87
	s_or_b32 s78, s4, s78
	s_and_not1_b32 s4, s80, exec_lo
	s_and_b32 s5, s83, exec_lo
	s_and_not1_b32 s6, s79, exec_lo
	s_or_b32 s80, s4, s5
	s_and_not1_b32 s4, s81, exec_lo
	s_and_b32 s5, s86, exec_lo
	s_and_b32 s7, s84, exec_lo
	s_or_b32 s81, s4, s5
	s_or_b32 s79, s6, s7
	s_and_not1_b32 exec_lo, exec_lo, s78
	s_cbranch_execz .LBB108_277
.LBB108_12:                             ; =>This Loop Header: Depth=1
                                        ;     Child Loop BB108_17 Depth 2
                                        ;     Child Loop BB108_35 Depth 2
	;; [unrolled: 1-line block ×16, first 2 shown]
	ds_load_b128 v[2:5], v13 offset:5120
	s_waitcnt lgkmcnt(0)
	v_readfirstlane_b32 s57, v3
	v_readfirstlane_b32 s56, v2
	s_delay_alu instid0(VALU_DEP_1)
	s_cmp_lg_u64 s[56:57], 0
	s_cbranch_scc1 .LBB108_42
; %bb.13:                               ;   in Loop: Header=BB108_12 Depth=1
	s_and_b32 vcc_lo, exec_lo, s68
	s_cbranch_vccz .LBB108_25
; %bb.14:                               ;   in Loop: Header=BB108_12 Depth=1
	v_cmp_gt_u64_e32 vcc_lo, 0x601, v[4:5]
	s_mov_b32 s6, 0
	s_mov_b32 s4, 0
	s_cbranch_vccz .LBB108_26
; %bb.15:                               ;   in Loop: Header=BB108_12 Depth=1
	global_load_u16 v6, v13, s[50:51]
	global_load_u16 v7, v[10:11], off
	s_mov_b32 s8, 0
	s_waitcnt vmcnt(1)
	v_readfirstlane_b32 s4, v6
	v_and_b32_e32 v6, 0xffff, v6
	s_delay_alu instid0(VALU_DEP_2) | instskip(NEXT) | instid1(SALU_CYCLE_1)
	s_and_b32 s4, 0xffff, s4
	v_add_nc_u32_e32 v8, s4, v0
	s_mul_i32 s5, s53, s4
	s_mul_hi_u32 s7, s52, s4
	s_mul_i32 s9, s52, s4
	s_add_i32 s7, s7, s5
	v_mad_u64_u32 v[2:3], null, s52, v8, s[44:45]
	s_delay_alu instid0(VALU_DEP_1) | instskip(NEXT) | instid1(VALU_DEP_1)
	v_mad_u64_u32 v[4:5], null, s53, v8, v[3:4]
	v_mov_b32_e32 v3, v4
	v_dual_mov_b32 v5, v1 :: v_dual_mov_b32 v4, v0
	s_branch .LBB108_17
.LBB108_16:                             ;   in Loop: Header=BB108_17 Depth=2
	s_or_b32 exec_lo, exec_lo, s5
	v_add_co_u32 v2, vcc_lo, v2, s9
	v_add_co_ci_u32_e32 v3, vcc_lo, s7, v3, vcc_lo
	v_mov_b32_e32 v7, v8
	s_and_not1_b32 exec_lo, exec_lo, s8
	s_cbranch_execz .LBB108_27
.LBB108_17:                             ;   Parent Loop BB108_12 Depth=1
                                        ; =>  This Inner Loop Header: Depth=2
	s_delay_alu instid0(VALU_DEP_1) | instskip(NEXT) | instid1(VALU_DEP_2)
	v_add_co_u32 v4, vcc_lo, v4, v6
	v_add_co_ci_u32_e32 v5, vcc_lo, 0, v5, vcc_lo
	s_waitcnt lgkmcnt(0)
	v_dual_mov_b32 v9, 0 :: v_dual_mov_b32 v8, 0
	s_mov_b32 s5, exec_lo
	s_delay_alu instid0(VALU_DEP_2)
	v_cmp_le_u64_e32 vcc_lo, s[24:25], v[4:5]
	v_cmpx_gt_u64_e64 s[24:25], v[4:5]
	s_cbranch_execz .LBB108_19
; %bb.18:                               ;   in Loop: Header=BB108_17 Depth=2
	global_load_u16 v8, v[2:3], off
.LBB108_19:                             ;   in Loop: Header=BB108_17 Depth=2
	s_or_b32 exec_lo, exec_lo, s5
	s_waitcnt vmcnt(0)
	v_bfe_i32 v12, v7, 0, 16
	s_delay_alu instid0(VALU_DEP_1) | instskip(NEXT) | instid1(VALU_DEP_1)
	v_add_nc_u32_e32 v12, 0x8000, v12
	v_and_b32_e32 v12, s88, v12
	s_delay_alu instid0(VALU_DEP_1) | instskip(NEXT) | instid1(VALU_DEP_1)
	v_cmp_eq_u32_e64 s4, s87, v12
	s_cmp_lg_u32 s4, 0
	s_cselect_b32 s5, -1, 0
	s_delay_alu instid0(SALU_CYCLE_1) | instskip(NEXT) | instid1(SALU_CYCLE_1)
	s_and_b32 s5, s1, s5
	s_and_saveexec_b32 s10, s5
	s_cbranch_execz .LBB108_23
; %bb.20:                               ;   in Loop: Header=BB108_17 Depth=2
	s_mov_b32 s13, exec_lo
	s_bcnt1_i32_b32 s11, s4
	v_mbcnt_lo_u32_b32 v9, s13, 0
	s_mov_b32 s12, exec_lo
                                        ; implicit-def: $vgpr12
	s_delay_alu instid0(VALU_DEP_1)
	v_cmpx_eq_u32_e32 0, v9
	s_cbranch_execz .LBB108_22
; %bb.21:                               ;   in Loop: Header=BB108_17 Depth=2
	s_bcnt1_i32_b32 s5, s13
	s_delay_alu instid0(SALU_CYCLE_1) | instskip(NEXT) | instid1(SALU_CYCLE_1)
	s_mul_i32 s5, s11, s5
	v_mov_b32_e32 v12, s5
	ds_add_rtn_u32 v12, v13, v12 offset:5144
.LBB108_22:                             ;   in Loop: Header=BB108_17 Depth=2
	s_or_b32 exec_lo, exec_lo, s12
	s_waitcnt lgkmcnt(0)
	v_readfirstlane_b32 s5, v12
	s_delay_alu instid0(VALU_DEP_1)
	v_mad_u32_u24 v9, s11, v9, s5
.LBB108_23:                             ;   in Loop: Header=BB108_17 Depth=2
	s_or_b32 exec_lo, exec_lo, s10
	ds_bpermute_b32 v9, v13, v9
	s_and_b32 s5, exec_lo, vcc_lo
	s_delay_alu instid0(SALU_CYCLE_1)
	s_or_b32 s8, s5, s8
	s_and_saveexec_b32 s5, s4
	s_cbranch_execz .LBB108_16
; %bb.24:                               ;   in Loop: Header=BB108_17 Depth=2
	v_and_b32_e32 v12, s4, v32
	s_delay_alu instid0(VALU_DEP_1) | instskip(NEXT) | instid1(VALU_DEP_1)
	v_bcnt_u32_b32 v12, v12, 0
	v_lshlrev_b32_e32 v12, 1, v12
	s_waitcnt lgkmcnt(0)
	s_delay_alu instid0(VALU_DEP_1)
	v_lshl_add_u32 v9, v9, 1, v12
	ds_store_b16 v9, v7
	s_branch .LBB108_16
.LBB108_25:                             ;   in Loop: Header=BB108_12 Depth=1
	s_mov_b32 s4, 0
                                        ; implicit-def: $sgpr56_sgpr57
	s_cbranch_execnz .LBB108_30
	s_branch .LBB108_40
.LBB108_26:                             ;   in Loop: Header=BB108_12 Depth=1
	s_mov_b64 s[56:57], 0
	s_and_b32 vcc_lo, exec_lo, s6
	s_cbranch_vccnz .LBB108_30
	s_branch .LBB108_40
.LBB108_27:                             ;   in Loop: Header=BB108_12 Depth=1
	s_or_b32 exec_lo, exec_lo, s8
	s_waitcnt lgkmcnt(0)
	s_barrier
	buffer_gl0_inv
	s_and_saveexec_b32 s4, s2
	s_cbranch_execz .LBB108_29
; %bb.28:                               ;   in Loop: Header=BB108_12 Depth=1
	ds_load_b32 v2, v13 offset:5144
	s_waitcnt lgkmcnt(0)
	v_ashrrev_i32_e32 v3, 31, v2
	ds_store_b64 v13, v[2:3] offset:5120
.LBB108_29:                             ;   in Loop: Header=BB108_12 Depth=1
	s_or_b32 exec_lo, exec_lo, s4
	s_waitcnt lgkmcnt(0)
	s_mov_b32 s4, -1
	s_barrier
	s_mov_b64 s[56:57], 0
	s_and_b32 vcc_lo, exec_lo, s6
	s_cbranch_vccz .LBB108_40
.LBB108_30:                             ;   in Loop: Header=BB108_12 Depth=1
	v_mov_b32_e32 v6, 0
	s_and_saveexec_b32 s4, s0
	s_cbranch_execz .LBB108_32
; %bb.31:                               ;   in Loop: Header=BB108_12 Depth=1
	global_load_u16 v6, v[10:11], off
.LBB108_32:                             ;   in Loop: Header=BB108_12 Depth=1
	s_or_b32 exec_lo, exec_lo, s4
	s_and_saveexec_b32 s5, s0
	s_cbranch_execz .LBB108_37
; %bb.33:                               ;   in Loop: Header=BB108_12 Depth=1
	global_load_u16 v8, v13, s[50:51]
	s_mov_b32 s9, 0
	s_waitcnt vmcnt(0)
	v_readfirstlane_b32 s4, v8
	v_and_b32_e32 v8, 0xffff, v8
	s_delay_alu instid0(VALU_DEP_2) | instskip(NEXT) | instid1(SALU_CYCLE_1)
	s_and_b32 s4, 0xffff, s4
	v_add_nc_u32_e32 v7, s4, v0
	s_mul_i32 s7, s53, s4
	s_mul_hi_u32 s8, s52, s4
	s_lshl_b32 s6, s4, 1
	s_add_i32 s7, s8, s7
	v_mad_u64_u32 v[2:3], null, s52, v7, s[44:45]
	s_mul_i32 s8, s52, s4
	s_delay_alu instid0(VALU_DEP_1) | instskip(SKIP_1) | instid1(VALU_DEP_2)
	v_mad_u64_u32 v[4:5], null, s53, v7, v[3:4]
	v_mov_b32_e32 v7, v28
	v_mov_b32_e32 v3, v4
	v_dual_mov_b32 v5, v1 :: v_dual_mov_b32 v4, v0
	s_branch .LBB108_35
	.p2align	6
.LBB108_34:                             ;   in Loop: Header=BB108_35 Depth=2
	s_or_b32 exec_lo, exec_lo, s10
	s_delay_alu instid0(SALU_CYCLE_1)
	s_and_b32 s4, exec_lo, vcc_lo
	v_add_co_u32 v2, vcc_lo, v2, s8
	ds_store_b16 v7, v6
	s_waitcnt vmcnt(0)
	v_dual_mov_b32 v6, v9 :: v_dual_add_nc_u32 v7, s6, v7
	v_add_co_ci_u32_e32 v3, vcc_lo, s7, v3, vcc_lo
	s_or_b32 s9, s4, s9
	s_delay_alu instid0(SALU_CYCLE_1)
	s_and_not1_b32 exec_lo, exec_lo, s9
	s_cbranch_execz .LBB108_37
.LBB108_35:                             ;   Parent Loop BB108_12 Depth=1
                                        ; =>  This Inner Loop Header: Depth=2
	s_delay_alu instid0(VALU_DEP_1) | instskip(NEXT) | instid1(VALU_DEP_2)
	v_add_co_u32 v4, vcc_lo, v4, v8
	v_add_co_ci_u32_e32 v5, vcc_lo, 0, v5, vcc_lo
	v_mov_b32_e32 v9, 0
	s_mov_b32 s10, exec_lo
	s_delay_alu instid0(VALU_DEP_2)
	v_cmp_le_u64_e32 vcc_lo, s[24:25], v[4:5]
	v_cmpx_gt_u64_e64 s[24:25], v[4:5]
	s_cbranch_execz .LBB108_34
; %bb.36:                               ;   in Loop: Header=BB108_35 Depth=2
	global_load_u16 v9, v[2:3], off
	s_branch .LBB108_34
.LBB108_37:                             ;   in Loop: Header=BB108_12 Depth=1
	s_or_b32 exec_lo, exec_lo, s5
	s_waitcnt vmcnt(0) lgkmcnt(0)
	s_barrier
	buffer_gl0_inv
	s_and_saveexec_b32 s4, s2
	s_cbranch_execz .LBB108_39
; %bb.38:                               ;   in Loop: Header=BB108_12 Depth=1
	v_dual_mov_b32 v2, s24 :: v_dual_mov_b32 v3, s25
	ds_store_b64 v13, v[2:3] offset:5120
.LBB108_39:                             ;   in Loop: Header=BB108_12 Depth=1
	s_or_b32 exec_lo, exec_lo, s4
	s_mov_b32 s4, -1
	s_waitcnt lgkmcnt(0)
	s_barrier
                                        ; implicit-def: $sgpr56_sgpr57
.LBB108_40:                             ;   in Loop: Header=BB108_12 Depth=1
	s_and_b32 vcc_lo, exec_lo, s4
	s_cbranch_vccz .LBB108_42
; %bb.41:                               ;   in Loop: Header=BB108_12 Depth=1
	buffer_gl0_inv
	ds_load_b64 v[2:3], v13 offset:5120
	s_waitcnt lgkmcnt(0)
	v_readfirstlane_b32 s56, v2
.LBB108_42:                             ;   in Loop: Header=BB108_12 Depth=1
	s_delay_alu instid0(VALU_DEP_1)
	s_cmp_lt_i32 s56, 1
	s_cbranch_scc0 .LBB108_57
; %bb.43:                               ;   in Loop: Header=BB108_12 Depth=1
	global_load_u16 v2, v13, s[50:51]
	s_mov_b32 s5, s25
	s_waitcnt vmcnt(0)
	v_readfirstlane_b32 s4, v2
	s_delay_alu instid0(VALU_DEP_1)
	s_and_b32 s46, s4, 0xffff
	s_mov_b32 s4, s47
	s_lshl_b32 s48, s46, 2
	s_cmp_lg_u64 s[4:5], 0
	s_cbranch_scc0 .LBB108_77
; %bb.44:                               ;   in Loop: Header=BB108_12 Depth=1
	v_cvt_f32_u32_e32 v2, s48
	s_sub_u32 s6, 0, s48
	s_subb_u32 s7, 0, 0
	s_delay_alu instid0(VALU_DEP_1) | instskip(NEXT) | instid1(VALU_DEP_1)
	v_fmac_f32_e64 v2, 0, 0x4f800000
	v_rcp_f32_e32 v2, v2
	s_waitcnt_depctr 0xfff
	v_mul_f32_e32 v2, 0x5f7ffffc, v2
	s_delay_alu instid0(VALU_DEP_1) | instskip(NEXT) | instid1(VALU_DEP_1)
	v_mul_f32_e32 v3, 0x2f800000, v2
	v_trunc_f32_e32 v3, v3
	s_delay_alu instid0(VALU_DEP_1) | instskip(SKIP_1) | instid1(VALU_DEP_2)
	v_fmac_f32_e32 v2, 0xcf800000, v3
	v_cvt_u32_f32_e32 v3, v3
	v_cvt_u32_f32_e32 v2, v2
	s_delay_alu instid0(VALU_DEP_2) | instskip(NEXT) | instid1(VALU_DEP_2)
	v_readfirstlane_b32 s4, v3
	v_readfirstlane_b32 s5, v2
	s_delay_alu instid0(VALU_DEP_2) | instskip(NEXT) | instid1(VALU_DEP_1)
	s_mul_i32 s8, s6, s4
	s_mul_hi_u32 s10, s6, s5
	s_mul_i32 s9, s7, s5
	s_add_i32 s8, s10, s8
	s_mul_i32 s11, s6, s5
	s_add_i32 s8, s8, s9
	s_mul_hi_u32 s10, s5, s11
	s_mul_hi_u32 s12, s4, s11
	s_mul_i32 s9, s4, s11
	s_mul_hi_u32 s11, s5, s8
	s_mul_i32 s5, s5, s8
	s_mul_hi_u32 s13, s4, s8
	s_add_u32 s5, s10, s5
	s_addc_u32 s10, 0, s11
	s_add_u32 s5, s5, s9
	s_mul_i32 s8, s4, s8
	s_addc_u32 s5, s10, s12
	s_addc_u32 s9, s13, 0
	s_add_u32 s5, s5, s8
	s_addc_u32 s8, 0, s9
	v_add_co_u32 v2, s5, v2, s5
	s_delay_alu instid0(VALU_DEP_1) | instskip(SKIP_1) | instid1(VALU_DEP_1)
	s_cmp_lg_u32 s5, 0
	s_addc_u32 s4, s4, s8
	v_readfirstlane_b32 s5, v2
	s_mul_i32 s8, s6, s4
	s_delay_alu instid0(VALU_DEP_1)
	s_mul_hi_u32 s9, s6, s5
	s_mul_i32 s7, s7, s5
	s_add_i32 s8, s9, s8
	s_mul_i32 s6, s6, s5
	s_add_i32 s8, s8, s7
	s_mul_hi_u32 s9, s4, s6
	s_mul_i32 s10, s4, s6
	s_mul_hi_u32 s6, s5, s6
	s_mul_hi_u32 s11, s5, s8
	s_mul_i32 s5, s5, s8
	s_mul_hi_u32 s7, s4, s8
	s_add_u32 s5, s6, s5
	s_addc_u32 s6, 0, s11
	s_add_u32 s5, s5, s10
	s_mul_i32 s8, s4, s8
	s_addc_u32 s5, s6, s9
	s_addc_u32 s6, s7, 0
	s_add_u32 s5, s5, s8
	s_addc_u32 s6, 0, s6
	v_add_co_u32 v2, s5, v2, s5
	s_delay_alu instid0(VALU_DEP_1) | instskip(SKIP_1) | instid1(VALU_DEP_1)
	s_cmp_lg_u32 s5, 0
	s_addc_u32 s4, s4, s6
	v_readfirstlane_b32 s5, v2
	s_mul_i32 s7, s24, s4
	s_mul_hi_u32 s6, s24, s4
	s_mul_hi_u32 s8, s25, s4
	s_mul_i32 s4, s25, s4
	s_mul_hi_u32 s9, s24, s5
	s_mul_hi_u32 s10, s25, s5
	s_mul_i32 s5, s25, s5
	s_add_u32 s7, s9, s7
	s_addc_u32 s6, 0, s6
	s_add_u32 s5, s7, s5
	s_addc_u32 s5, s6, s10
	s_addc_u32 s6, s8, 0
	s_add_u32 s4, s5, s4
	s_addc_u32 s5, 0, s6
	s_mul_hi_u32 s6, s48, s4
	s_mul_i32 s4, s48, s4
	s_mul_i32 s5, s48, s5
	v_sub_co_u32 v2, s4, s24, s4
	s_add_i32 s6, s6, s5
	s_cmp_lg_u32 s4, 0
	s_delay_alu instid0(VALU_DEP_1) | instskip(SKIP_2) | instid1(VALU_DEP_1)
	v_sub_co_u32 v3, s4, v2, s48
	s_subb_u32 s5, s25, s6
	s_cmp_lg_u32 s4, 0
	v_cmp_le_u32_e32 vcc_lo, s48, v3
	v_sub_co_u32 v4, s4, v3, s48
	s_subb_u32 s6, s5, 0
	s_cmp_lg_u32 s4, 0
	v_cndmask_b32_e64 v5, 0, -1, vcc_lo
	s_subb_u32 s4, s6, 0
	s_cmp_eq_u32 s6, 0
	v_mov_b32_e32 v7, s4
	s_cselect_b32 vcc_lo, -1, 0
	s_cmp_eq_u32 s5, 0
	v_cndmask_b32_e32 v5, -1, v5, vcc_lo
	v_cmp_le_u32_e32 vcc_lo, s48, v2
	s_cselect_b32 s4, -1, 0
	v_cndmask_b32_e64 v6, 0, -1, vcc_lo
	s_delay_alu instid0(VALU_DEP_3) | instskip(NEXT) | instid1(VALU_DEP_2)
	v_cmp_ne_u32_e32 vcc_lo, 0, v5
	v_cndmask_b32_e64 v5, -1, v6, s4
	v_cndmask_b32_e32 v6, s6, v7, vcc_lo
	v_cndmask_b32_e32 v4, v3, v4, vcc_lo
	s_delay_alu instid0(VALU_DEP_3) | instskip(NEXT) | instid1(VALU_DEP_3)
	v_cmp_ne_u32_e32 vcc_lo, 0, v5
	v_cndmask_b32_e32 v3, s5, v6, vcc_lo
	s_delay_alu instid0(VALU_DEP_3)
	v_cndmask_b32_e32 v2, v2, v4, vcc_lo
	s_cbranch_execnz .LBB108_46
.LBB108_45:                             ;   in Loop: Header=BB108_12 Depth=1
	v_cvt_f32_u32_e32 v2, s48
	s_sub_i32 s4, 0, s48
	s_delay_alu instid0(VALU_DEP_1) | instskip(SKIP_2) | instid1(VALU_DEP_1)
	v_rcp_iflag_f32_e32 v2, v2
	s_waitcnt_depctr 0xfff
	v_mul_f32_e32 v2, 0x4f7ffffe, v2
	v_cvt_u32_f32_e32 v2, v2
	s_delay_alu instid0(VALU_DEP_1) | instskip(NEXT) | instid1(VALU_DEP_1)
	v_mul_lo_u32 v3, s4, v2
	v_mul_hi_u32 v3, v2, v3
	s_delay_alu instid0(VALU_DEP_1) | instskip(NEXT) | instid1(VALU_DEP_1)
	v_add_nc_u32_e32 v2, v2, v3
	v_mul_hi_u32 v2, s24, v2
	s_delay_alu instid0(VALU_DEP_1) | instskip(NEXT) | instid1(VALU_DEP_1)
	v_mul_lo_u32 v2, v2, s48
	v_sub_nc_u32_e32 v2, s24, v2
	s_delay_alu instid0(VALU_DEP_1) | instskip(SKIP_1) | instid1(VALU_DEP_2)
	v_subrev_nc_u32_e32 v3, s48, v2
	v_cmp_le_u32_e32 vcc_lo, s48, v2
	v_cndmask_b32_e32 v2, v2, v3, vcc_lo
	s_delay_alu instid0(VALU_DEP_1) | instskip(SKIP_1) | instid1(VALU_DEP_2)
	v_subrev_nc_u32_e32 v3, s48, v2
	v_cmp_le_u32_e32 vcc_lo, s48, v2
	v_cndmask_b32_e32 v12, v2, v3, vcc_lo
	s_delay_alu instid0(VALU_DEP_1)
	v_dual_mov_b32 v2, v12 :: v_dual_mov_b32 v3, v13
.LBB108_46:                             ;   in Loop: Header=BB108_12 Depth=1
	s_delay_alu instid0(VALU_DEP_1) | instskip(NEXT) | instid1(VALU_DEP_2)
	v_sub_co_u32 v23, vcc_lo, s24, v2
	v_sub_co_ci_u32_e32 v24, vcc_lo, s25, v3, vcc_lo
	v_mov_b32_e32 v2, 0
	v_mov_b32_e32 v3, 0
	s_mov_b64 s[58:59], 0
	s_mov_b32 s57, exec_lo
	s_delay_alu instid0(VALU_DEP_1)
	v_dual_mov_b32 v5, v3 :: v_dual_mov_b32 v4, v2
	v_dual_mov_b32 v7, v3 :: v_dual_mov_b32 v6, v2
	;; [unrolled: 1-line block ×3, first 2 shown]
	v_cmpx_gt_u64_e64 v[23:24], v[14:15]
	s_cbranch_execz .LBB108_50
; %bb.47:                               ;   in Loop: Header=BB108_12 Depth=1
	v_dual_mov_b32 v26, v15 :: v_dual_mov_b32 v25, v14
	s_mul_i32 s4, s55, s46
	s_mul_hi_u32 s5, s54, s46
	s_and_b32 s89, s82, 0xfe
	s_add_i32 s90, s5, s4
	s_mul_i32 s91, s54, s46
	s_mov_b32 s92, 0
	s_mov_b64 s[60:61], s[44:45]
	s_mov_b64 s[62:63], 0
	;; [unrolled: 1-line block ×4, first 2 shown]
.LBB108_48:                             ;   Parent Loop BB108_12 Depth=1
                                        ; =>  This Inner Loop Header: Depth=2
	v_add_co_u32 v2, vcc_lo, s60, v21
	v_add_co_ci_u32_e32 v3, vcc_lo, s61, v22, vcc_lo
	v_add_co_u32 v4, vcc_lo, s60, v20
	v_add_co_ci_u32_e32 v5, vcc_lo, s61, v33, vcc_lo
	;; [unrolled: 2-line block ×4, first 2 shown]
	s_clause 0x3
	global_load_i16 v2, v[2:3], off
	global_load_i16 v3, v[4:5], off
	;; [unrolled: 1-line block ×4, first 2 shown]
	v_add_co_u32 v25, vcc_lo, v25, s48
	v_add_co_ci_u32_e32 v26, vcc_lo, 0, v26, vcc_lo
	s_delay_alu instid0(VALU_DEP_1)
	v_cmp_ge_u64_e32 vcc_lo, v[25:26], v[23:24]
	s_waitcnt vmcnt(3)
	v_add_nc_u32_e32 v2, 0x8000, v2
	s_waitcnt vmcnt(2)
	v_add_nc_u32_e32 v3, 0x8000, v3
	;; [unrolled: 2-line block ×4, first 2 shown]
	v_and_b32_e32 v6, s88, v2
	v_bfe_u32 v2, v2, s89, 2
	v_and_b32_e32 v7, s88, v3
	v_bfe_u32 v3, v3, s89, 2
	;; [unrolled: 2-line block ×3, first 2 shown]
	v_cmp_eq_u32_e64 s4, s87, v6
	v_cmp_eq_u32_e64 s8, 0, v2
	v_and_b32_e32 v9, s88, v5
	v_bfe_u32 v5, v5, s89, 2
	v_cmp_eq_u32_e64 s5, s87, v7
	v_cmp_eq_u32_e64 s9, 0, v3
	;; [unrolled: 1-line block ×4, first 2 shown]
	s_and_b32 s8, s4, s8
	v_cmp_eq_u32_e64 s7, s87, v9
	v_cmp_eq_u32_e64 s11, 0, v5
	;; [unrolled: 1-line block ×5, first 2 shown]
	v_cndmask_b32_e64 v2, 0, 1, s8
	s_and_b32 s8, s5, s9
	v_cmp_eq_u32_e64 s13, 1, v3
	v_cmp_eq_u32_e64 s17, 2, v3
	v_cmp_eq_u32_e64 s21, 3, v3
	v_cndmask_b32_e64 v3, 0, 1, s8
	s_and_b32 s8, s6, s10
	v_cmp_eq_u32_e64 s14, 1, v4
	v_cmp_eq_u32_e64 s18, 2, v4
	v_cmp_eq_u32_e64 s22, 3, v4
	;; [unrolled: 5-line block ×3, first 2 shown]
	v_cndmask_b32_e64 v5, 0, 1, s8
	v_cmp_ne_u32_e64 s8, 0, v2
	v_cmp_ne_u32_e64 s9, 0, v3
	;; [unrolled: 1-line block ×3, first 2 shown]
	s_delay_alu instid0(VALU_DEP_4) | instskip(NEXT) | instid1(VALU_DEP_4)
	v_cmp_ne_u32_e64 s11, 0, v5
	s_bcnt1_i32_b32 s8, s8
	s_delay_alu instid0(VALU_DEP_3) | instskip(NEXT) | instid1(VALU_DEP_2)
	s_bcnt1_i32_b32 s9, s9
	s_bcnt1_i32_b32 s10, s10
	s_add_i32 s8, s9, s8
	s_bcnt1_i32_b32 s11, s11
	s_add_i32 s8, s8, s10
	s_delay_alu instid0(SALU_CYCLE_1) | instskip(NEXT) | instid1(SALU_CYCLE_1)
	s_add_i32 s8, s8, s11
	s_add_u32 s66, s66, s8
	s_addc_u32 s67, s67, 0
	s_and_b32 s8, s4, s12
	v_mov_b32_e32 v2, s66
	v_cndmask_b32_e64 v4, 0, 1, s8
	s_and_b32 s8, s5, s13
	v_mov_b32_e32 v3, s67
	v_cndmask_b32_e64 v5, 0, 1, s8
	s_and_b32 s8, s6, s14
	s_delay_alu instid0(SALU_CYCLE_1) | instskip(SKIP_1) | instid1(VALU_DEP_2)
	v_cndmask_b32_e64 v6, 0, 1, s8
	s_and_b32 s8, s7, s15
	v_cmp_ne_u32_e64 s9, 0, v5
	v_cndmask_b32_e64 v7, 0, 1, s8
	v_cmp_ne_u32_e64 s8, 0, v4
	v_cmp_ne_u32_e64 s10, 0, v6
	s_delay_alu instid0(VALU_DEP_4) | instskip(NEXT) | instid1(VALU_DEP_3)
	s_bcnt1_i32_b32 s9, s9
	v_cmp_ne_u32_e64 s11, 0, v7
	s_delay_alu instid0(VALU_DEP_3) | instskip(NEXT) | instid1(VALU_DEP_2)
	s_bcnt1_i32_b32 s8, s8
	s_bcnt1_i32_b32 s10, s10
	s_add_i32 s8, s9, s8
	s_delay_alu instid0(VALU_DEP_1) | instskip(SKIP_1) | instid1(SALU_CYCLE_1)
	s_bcnt1_i32_b32 s11, s11
	s_add_i32 s8, s8, s10
	s_add_i32 s8, s8, s11
	s_delay_alu instid0(SALU_CYCLE_1) | instskip(SKIP_2) | instid1(SALU_CYCLE_1)
	s_add_u32 s64, s64, s8
	s_addc_u32 s65, s65, 0
	s_and_b32 s8, s4, s16
	v_cndmask_b32_e64 v4, 0, 1, s8
	s_and_b32 s8, s5, s17
	s_delay_alu instid0(SALU_CYCLE_1) | instskip(SKIP_1) | instid1(SALU_CYCLE_1)
	v_cndmask_b32_e64 v5, 0, 1, s8
	s_and_b32 s8, s6, s18
	v_cndmask_b32_e64 v6, 0, 1, s8
	s_and_b32 s8, s7, s19
	s_delay_alu instid0(VALU_DEP_2) | instskip(SKIP_3) | instid1(VALU_DEP_4)
	v_cmp_ne_u32_e64 s9, 0, v5
	v_cndmask_b32_e64 v7, 0, 1, s8
	v_cmp_ne_u32_e64 s8, 0, v4
	v_cmp_ne_u32_e64 s10, 0, v6
	s_bcnt1_i32_b32 s9, s9
	s_delay_alu instid0(VALU_DEP_3) | instskip(NEXT) | instid1(VALU_DEP_3)
	v_cmp_ne_u32_e64 s11, 0, v7
	s_bcnt1_i32_b32 s8, s8
	s_delay_alu instid0(VALU_DEP_2) | instskip(SKIP_1) | instid1(VALU_DEP_1)
	s_bcnt1_i32_b32 s10, s10
	s_add_i32 s8, s9, s8
	s_bcnt1_i32_b32 s11, s11
	s_add_i32 s8, s8, s10
	s_delay_alu instid0(SALU_CYCLE_1) | instskip(NEXT) | instid1(SALU_CYCLE_1)
	s_add_i32 s8, s8, s11
	s_add_u32 s62, s62, s8
	s_addc_u32 s63, s63, 0
	s_and_b32 s4, s4, s20
	s_delay_alu instid0(SALU_CYCLE_1) | instskip(SKIP_1) | instid1(SALU_CYCLE_1)
	v_cndmask_b32_e64 v4, 0, 1, s4
	s_and_b32 s4, s5, s21
	v_cndmask_b32_e64 v5, 0, 1, s4
	s_and_b32 s4, s6, s22
	s_delay_alu instid0(SALU_CYCLE_1) | instskip(SKIP_1) | instid1(VALU_DEP_2)
	v_cndmask_b32_e64 v6, 0, 1, s4
	s_and_b32 s4, s7, s23
	v_cmp_ne_u32_e64 s5, 0, v5
	v_cndmask_b32_e64 v7, 0, 1, s4
	v_cmp_ne_u32_e64 s4, 0, v4
	v_cmp_ne_u32_e64 s6, 0, v6
	v_mov_b32_e32 v4, s64
	s_bcnt1_i32_b32 s5, s5
	v_cmp_ne_u32_e64 s7, 0, v7
	v_mov_b32_e32 v6, s62
	s_bcnt1_i32_b32 s4, s4
	s_bcnt1_i32_b32 s6, s6
	s_add_i32 s4, s5, s4
	s_bcnt1_i32_b32 s5, s7
	s_add_i32 s4, s4, s6
	v_mov_b32_e32 v5, s65
	s_add_i32 s4, s4, s5
	v_mov_b32_e32 v7, s63
	s_add_u32 s58, s58, s4
	s_addc_u32 s59, s59, 0
	s_delay_alu instid0(SALU_CYCLE_1) | instskip(SKIP_3) | instid1(SALU_CYCLE_1)
	v_dual_mov_b32 v8, s58 :: v_dual_mov_b32 v9, s59
	s_add_u32 s60, s60, s91
	s_addc_u32 s61, s61, s90
	s_or_b32 s92, vcc_lo, s92
	s_and_not1_b32 exec_lo, exec_lo, s92
	s_cbranch_execnz .LBB108_48
; %bb.49:                               ;   in Loop: Header=BB108_12 Depth=1
	s_or_b32 exec_lo, exec_lo, s92
.LBB108_50:                             ;   in Loop: Header=BB108_12 Depth=1
	s_delay_alu instid0(SALU_CYCLE_1) | instskip(SKIP_3) | instid1(VALU_DEP_2)
	s_or_b32 exec_lo, exec_lo, s57
	v_add_co_u32 v23, vcc_lo, v23, v0
	v_add_co_ci_u32_e32 v24, vcc_lo, 0, v24, vcc_lo
	v_mov_b32_e32 v25, 0
	v_cmp_gt_u64_e32 vcc_lo, s[24:25], v[23:24]
	s_and_saveexec_b32 s5, vcc_lo
	s_cbranch_execz .LBB108_52
; %bb.51:                               ;   in Loop: Header=BB108_12 Depth=1
	v_mul_lo_u32 v12, v24, s34
	v_mul_lo_u32 v36, v23, s35
	v_mad_u64_u32 v[25:26], null, v23, s34, 0
	s_delay_alu instid0(VALU_DEP_1) | instskip(NEXT) | instid1(VALU_DEP_1)
	v_add3_u32 v26, v26, v36, v12
	v_lshlrev_b64 v[25:26], 1, v[25:26]
	s_delay_alu instid0(VALU_DEP_1) | instskip(NEXT) | instid1(VALU_DEP_1)
	v_add_co_u32 v25, s4, s44, v25
	v_add_co_ci_u32_e64 v26, s4, s45, v26, s4
	global_load_u16 v25, v[25:26], off
.LBB108_52:                             ;   in Loop: Header=BB108_12 Depth=1
	s_or_b32 exec_lo, exec_lo, s5
	s_and_saveexec_b32 s8, vcc_lo
	s_cbranch_execz .LBB108_59
; %bb.53:                               ;   in Loop: Header=BB108_12 Depth=1
	s_and_b32 s10, s82, 0xfe
	s_mov_b32 s9, 0
	s_branch .LBB108_55
.LBB108_54:                             ;   in Loop: Header=BB108_55 Depth=2
	s_or_b32 exec_lo, exec_lo, s5
	s_waitcnt vmcnt(0)
	v_bfe_i32 v25, v25, 0, 16
	s_and_b32 s6, exec_lo, vcc_lo
	s_delay_alu instid0(SALU_CYCLE_1) | instskip(NEXT) | instid1(VALU_DEP_1)
	s_or_b32 s9, s6, s9
	v_add_nc_u32_e32 v25, 0x8000, v25
	s_delay_alu instid0(VALU_DEP_1) | instskip(SKIP_1) | instid1(VALU_DEP_2)
	v_and_b32_e32 v26, s88, v25
	v_bfe_u32 v25, v25, s10, 2
	v_cmp_eq_u32_e64 s4, s87, v26
	s_delay_alu instid0(VALU_DEP_2) | instskip(SKIP_2) | instid1(VALU_DEP_3)
	v_cmp_eq_u32_e64 s5, 0, v25
	v_cmp_eq_u32_e32 vcc_lo, 1, v25
	v_cmp_eq_u32_e64 s6, 2, v25
	s_and_b32 s5, s4, s5
	s_delay_alu instid0(SALU_CYCLE_1) | instskip(SKIP_4) | instid1(SALU_CYCLE_1)
	v_cndmask_b32_e64 v26, 0, 1, s5
	s_and_b32 s5, s4, vcc_lo
	v_cmp_eq_u32_e32 vcc_lo, 3, v25
	v_cndmask_b32_e64 v36, 0, 1, s5
	s_and_b32 s5, s4, s6
	v_cndmask_b32_e64 v37, 0, 1, s5
	v_cmp_ne_u32_e64 s5, 0, v26
	s_delay_alu instid0(VALU_DEP_3) | instskip(SKIP_1) | instid1(SALU_CYCLE_1)
	v_cmp_ne_u32_e64 s6, 0, v36
	s_and_b32 s4, s4, vcc_lo
	v_cndmask_b32_e64 v25, 0, 1, s4
	s_delay_alu instid0(VALU_DEP_3)
	s_bcnt1_i32_b32 s4, s5
	v_cmp_ne_u32_e64 s7, 0, v37
	v_add_co_u32 v2, vcc_lo, v2, s4
	s_bcnt1_i32_b32 s5, s6
	v_add_co_ci_u32_e32 v3, vcc_lo, 0, v3, vcc_lo
	v_add_co_u32 v4, vcc_lo, v4, s5
	v_add_co_ci_u32_e32 v5, vcc_lo, 0, v5, vcc_lo
	s_bcnt1_i32_b32 s6, s7
	v_cmp_ne_u32_e32 vcc_lo, 0, v25
	v_mov_b32_e32 v25, v12
	v_add_co_u32 v6, s4, v6, s6
	s_delay_alu instid0(VALU_DEP_1) | instskip(SKIP_1) | instid1(SALU_CYCLE_1)
	v_add_co_ci_u32_e64 v7, s4, 0, v7, s4
	s_bcnt1_i32_b32 s4, vcc_lo
	v_add_co_u32 v8, vcc_lo, v8, s4
	v_add_co_ci_u32_e32 v9, vcc_lo, 0, v9, vcc_lo
	s_and_not1_b32 exec_lo, exec_lo, s9
	s_cbranch_execz .LBB108_58
.LBB108_55:                             ;   Parent Loop BB108_12 Depth=1
                                        ; =>  This Inner Loop Header: Depth=2
	v_add_co_u32 v23, vcc_lo, v23, s46
	v_add_co_ci_u32_e32 v24, vcc_lo, 0, v24, vcc_lo
	v_mov_b32_e32 v12, 0
	s_mov_b32 s5, exec_lo
	s_delay_alu instid0(VALU_DEP_2)
	v_cmp_le_u64_e32 vcc_lo, s[24:25], v[23:24]
	v_cmpx_gt_u64_e64 s[24:25], v[23:24]
	s_cbranch_execz .LBB108_54
; %bb.56:                               ;   in Loop: Header=BB108_55 Depth=2
	v_mul_lo_u32 v12, v24, s34
	v_mul_lo_u32 v26, v23, s35
	v_mad_u64_u32 v[36:37], null, v23, s34, 0
	s_delay_alu instid0(VALU_DEP_1) | instskip(NEXT) | instid1(VALU_DEP_1)
	v_add3_u32 v37, v37, v26, v12
	v_lshlrev_b64 v[36:37], 1, v[36:37]
	s_delay_alu instid0(VALU_DEP_1) | instskip(NEXT) | instid1(VALU_DEP_1)
	v_add_co_u32 v36, s4, s44, v36
	v_add_co_ci_u32_e64 v37, s4, s45, v37, s4
	global_load_u16 v12, v[36:37], off
	s_branch .LBB108_54
.LBB108_57:                             ;   in Loop: Header=BB108_12 Depth=1
                                        ; implicit-def: $vgpr8_vgpr9
                                        ; implicit-def: $vgpr4_vgpr5
	s_cbranch_execnz .LBB108_60
	s_branch .LBB108_69
.LBB108_58:                             ;   in Loop: Header=BB108_12 Depth=1
	s_or_b32 exec_lo, exec_lo, s9
.LBB108_59:                             ;   in Loop: Header=BB108_12 Depth=1
	s_delay_alu instid0(SALU_CYCLE_1)
	s_or_b32 exec_lo, exec_lo, s8
	s_branch .LBB108_69
.LBB108_60:                             ;   in Loop: Header=BB108_12 Depth=1
	global_load_u16 v8, v13, s[50:51]
	s_mov_b64 s[58:59], 0
	s_mov_b32 s57, exec_lo
	s_waitcnt vmcnt(0)
	v_readfirstlane_b32 s4, v8
	v_and_b32_e32 v25, 0xffff, v8
	s_delay_alu instid0(VALU_DEP_2) | instskip(NEXT) | instid1(SALU_CYCLE_1)
	s_and_b32 s4, 0xffff, s4
	s_lshl_b32 s48, s4, 2
	s_delay_alu instid0(SALU_CYCLE_1) | instskip(SKIP_1) | instid1(VALU_DEP_1)
	v_cvt_f32_u32_e32 v2, s48
	s_sub_i32 s5, 0, s48
	v_rcp_iflag_f32_e32 v2, v2
	s_waitcnt_depctr 0xfff
	v_mul_f32_e32 v2, 0x4f7ffffe, v2
	s_delay_alu instid0(VALU_DEP_1) | instskip(NEXT) | instid1(VALU_DEP_1)
	v_cvt_u32_f32_e32 v2, v2
	v_readfirstlane_b32 s4, v2
	v_mov_b32_e32 v2, 0
	v_mov_b32_e32 v3, 0
	s_delay_alu instid0(VALU_DEP_3) | instskip(NEXT) | instid1(VALU_DEP_1)
	s_mul_i32 s5, s5, s4
	v_dual_mov_b32 v5, v3 :: v_dual_mov_b32 v4, v2
	s_mul_hi_u32 s5, s4, s5
	v_dual_mov_b32 v7, v3 :: v_dual_mov_b32 v6, v2
	s_add_i32 s4, s4, s5
	v_dual_mov_b32 v9, v3 :: v_dual_mov_b32 v8, v2
	s_mul_hi_u32 s4, s56, s4
	s_delay_alu instid0(SALU_CYCLE_1) | instskip(NEXT) | instid1(SALU_CYCLE_1)
	s_mul_i32 s4, s4, s48
	s_sub_i32 s4, s56, s4
	s_delay_alu instid0(SALU_CYCLE_1) | instskip(SKIP_2) | instid1(SALU_CYCLE_1)
	s_sub_i32 s5, s4, s48
	s_cmp_ge_u32 s4, s48
	s_cselect_b32 s4, s5, s4
	s_sub_i32 s5, s4, s48
	s_cmp_ge_u32 s4, s48
	s_cselect_b32 s4, s5, s4
	s_delay_alu instid0(SALU_CYCLE_1) | instskip(NEXT) | instid1(SALU_CYCLE_1)
	s_sub_i32 s46, s56, s4
	v_cmpx_gt_u32_e64 s46, v14
	s_cbranch_execz .LBB108_64
; %bb.61:                               ;   in Loop: Header=BB108_12 Depth=1
	v_mov_b32_e32 v24, v15
	v_dual_mov_b32 v23, v14 :: v_dual_lshlrev_b32 v12, 3, v25
	v_mov_b32_e32 v26, v31
	s_and_b32 s66, s82, 0xfe
	s_mov_b32 s67, 0
	s_mov_b64 s[60:61], 0
	s_mov_b64 s[62:63], 0
	;; [unrolled: 1-line block ×3, first 2 shown]
.LBB108_62:                             ;   Parent Loop BB108_12 Depth=1
                                        ; =>  This Inner Loop Header: Depth=2
	ds_load_b64 v[2:3], v26
	v_add_co_u32 v23, vcc_lo, v23, s48
	v_add_co_ci_u32_e32 v24, vcc_lo, 0, v24, vcc_lo
	s_delay_alu instid0(VALU_DEP_1)
	v_cmp_le_u64_e32 vcc_lo, s[46:47], v[23:24]
	s_waitcnt lgkmcnt(0)
	v_bfe_i32 v4, v2, 0, 16
	v_ashrrev_i32_e32 v2, 16, v2
	v_bfe_i32 v5, v3, 0, 16
	v_ashrrev_i32_e32 v3, 16, v3
	s_delay_alu instid0(VALU_DEP_4) | instskip(NEXT) | instid1(VALU_DEP_4)
	v_add_nc_u32_e32 v4, 0x8000, v4
	v_add_nc_u32_e32 v2, 0x8000, v2
	s_delay_alu instid0(VALU_DEP_4) | instskip(NEXT) | instid1(VALU_DEP_4)
	v_add_nc_u32_e32 v5, 0x8000, v5
	v_add_nc_u32_e32 v3, 0x8000, v3
	s_delay_alu instid0(VALU_DEP_4)
	v_and_b32_e32 v6, s88, v4
	v_bfe_u32 v4, v4, s66, 2
	v_and_b32_e32 v7, s88, v2
	v_bfe_u32 v2, v2, s66, 2
	;; [unrolled: 2-line block ×3, first 2 shown]
	v_cmp_eq_u32_e64 s4, s87, v6
	v_cmp_eq_u32_e64 s8, 0, v4
	v_and_b32_e32 v9, s88, v3
	v_bfe_u32 v3, v3, s66, 2
	v_cmp_eq_u32_e64 s5, s87, v7
	v_cmp_eq_u32_e64 s9, 0, v2
	;; [unrolled: 1-line block ×4, first 2 shown]
	s_and_b32 s8, s4, s8
	v_cmp_eq_u32_e64 s7, s87, v9
	v_cmp_eq_u32_e64 s11, 0, v3
	;; [unrolled: 1-line block ×5, first 2 shown]
	v_cndmask_b32_e64 v2, 0, 1, s8
	s_and_b32 s8, s5, s9
	v_cmp_eq_u32_e64 s15, 1, v3
	v_cmp_eq_u32_e64 s19, 2, v3
	v_cmp_eq_u32_e64 s23, 3, v3
	v_cndmask_b32_e64 v3, 0, 1, s8
	s_and_b32 s8, s6, s10
	v_cmp_eq_u32_e64 s12, 1, v4
	v_cmp_eq_u32_e64 s16, 2, v4
	v_cmp_eq_u32_e64 s20, 3, v4
	;; [unrolled: 5-line block ×3, first 2 shown]
	v_cndmask_b32_e64 v5, 0, 1, s8
	v_cmp_ne_u32_e64 s8, 0, v2
	v_cmp_ne_u32_e64 s9, 0, v3
	;; [unrolled: 1-line block ×3, first 2 shown]
	s_delay_alu instid0(VALU_DEP_4) | instskip(NEXT) | instid1(VALU_DEP_4)
	v_cmp_ne_u32_e64 s11, 0, v5
	s_bcnt1_i32_b32 s8, s8
	s_delay_alu instid0(VALU_DEP_3) | instskip(NEXT) | instid1(VALU_DEP_2)
	s_bcnt1_i32_b32 s9, s9
	s_bcnt1_i32_b32 s10, s10
	s_add_i32 s8, s9, s8
	s_bcnt1_i32_b32 s11, s11
	s_add_i32 s8, s8, s10
	s_delay_alu instid0(SALU_CYCLE_1) | instskip(NEXT) | instid1(SALU_CYCLE_1)
	s_add_i32 s8, s8, s11
	s_add_u32 s64, s64, s8
	s_addc_u32 s65, s65, 0
	s_and_b32 s8, s4, s12
	v_add_nc_u32_e32 v26, v26, v12
	v_cndmask_b32_e64 v2, 0, 1, s8
	s_and_b32 s8, s5, s13
	s_delay_alu instid0(SALU_CYCLE_1) | instskip(SKIP_1) | instid1(SALU_CYCLE_1)
	v_cndmask_b32_e64 v3, 0, 1, s8
	s_and_b32 s8, s6, s14
	v_cndmask_b32_e64 v4, 0, 1, s8
	s_and_b32 s8, s7, s15
	s_delay_alu instid0(VALU_DEP_2) | instskip(SKIP_3) | instid1(VALU_DEP_4)
	v_cmp_ne_u32_e64 s9, 0, v3
	v_cndmask_b32_e64 v5, 0, 1, s8
	v_cmp_ne_u32_e64 s8, 0, v2
	v_cmp_ne_u32_e64 s10, 0, v4
	s_bcnt1_i32_b32 s9, s9
	s_delay_alu instid0(VALU_DEP_3) | instskip(NEXT) | instid1(VALU_DEP_3)
	v_cmp_ne_u32_e64 s11, 0, v5
	s_bcnt1_i32_b32 s8, s8
	s_delay_alu instid0(VALU_DEP_2) | instskip(SKIP_1) | instid1(VALU_DEP_1)
	s_bcnt1_i32_b32 s10, s10
	s_add_i32 s8, s9, s8
	s_bcnt1_i32_b32 s11, s11
	s_add_i32 s8, s8, s10
	s_delay_alu instid0(SALU_CYCLE_1) | instskip(NEXT) | instid1(SALU_CYCLE_1)
	s_add_i32 s8, s8, s11
	s_add_u32 s62, s62, s8
	s_addc_u32 s63, s63, 0
	s_and_b32 s8, s4, s16
	s_delay_alu instid0(SALU_CYCLE_1) | instskip(SKIP_1) | instid1(SALU_CYCLE_1)
	v_cndmask_b32_e64 v2, 0, 1, s8
	s_and_b32 s8, s5, s17
	v_cndmask_b32_e64 v3, 0, 1, s8
	s_and_b32 s8, s6, s18
	s_delay_alu instid0(SALU_CYCLE_1) | instskip(SKIP_1) | instid1(VALU_DEP_2)
	v_cndmask_b32_e64 v4, 0, 1, s8
	s_and_b32 s8, s7, s19
	v_cmp_ne_u32_e64 s9, 0, v3
	v_cndmask_b32_e64 v5, 0, 1, s8
	v_cmp_ne_u32_e64 s8, 0, v2
	v_cmp_ne_u32_e64 s10, 0, v4
	s_delay_alu instid0(VALU_DEP_4) | instskip(NEXT) | instid1(VALU_DEP_3)
	s_bcnt1_i32_b32 s9, s9
	v_cmp_ne_u32_e64 s11, 0, v5
	s_delay_alu instid0(VALU_DEP_3) | instskip(NEXT) | instid1(VALU_DEP_2)
	s_bcnt1_i32_b32 s8, s8
	s_bcnt1_i32_b32 s10, s10
	s_add_i32 s8, s9, s8
	s_delay_alu instid0(VALU_DEP_1) | instskip(SKIP_1) | instid1(SALU_CYCLE_1)
	s_bcnt1_i32_b32 s11, s11
	s_add_i32 s8, s8, s10
	s_add_i32 s8, s8, s11
	s_delay_alu instid0(SALU_CYCLE_1)
	s_add_u32 s60, s60, s8
	s_addc_u32 s61, s61, 0
	s_and_b32 s4, s4, s20
	v_mov_b32_e32 v6, s60
	v_cndmask_b32_e64 v2, 0, 1, s4
	s_and_b32 s4, s5, s21
	v_mov_b32_e32 v7, s61
	v_cndmask_b32_e64 v3, 0, 1, s4
	s_and_b32 s4, s6, s22
	s_delay_alu instid0(SALU_CYCLE_1) | instskip(SKIP_1) | instid1(VALU_DEP_2)
	v_cndmask_b32_e64 v4, 0, 1, s4
	s_and_b32 s4, s7, s23
	v_cmp_ne_u32_e64 s5, 0, v3
	v_cndmask_b32_e64 v5, 0, 1, s4
	v_cmp_ne_u32_e64 s4, 0, v2
	v_cmp_ne_u32_e64 s6, 0, v4
	v_dual_mov_b32 v2, s64 :: v_dual_mov_b32 v3, s65
	s_delay_alu instid0(VALU_DEP_4) | instskip(NEXT) | instid1(VALU_DEP_4)
	v_cmp_ne_u32_e64 s7, 0, v5
	s_bcnt1_i32_b32 s4, s4
	s_bcnt1_i32_b32 s5, s5
	;; [unrolled: 1-line block ×3, first 2 shown]
	s_add_i32 s4, s5, s4
	s_bcnt1_i32_b32 s5, s7
	s_add_i32 s4, s4, s6
	v_mov_b32_e32 v4, s62
	s_add_i32 s4, s4, s5
	v_mov_b32_e32 v5, s63
	s_add_u32 s58, s58, s4
	s_addc_u32 s59, s59, 0
	s_delay_alu instid0(SALU_CYCLE_1) | instskip(SKIP_1) | instid1(SALU_CYCLE_1)
	v_dual_mov_b32 v8, s58 :: v_dual_mov_b32 v9, s59
	s_or_b32 s67, vcc_lo, s67
	s_and_not1_b32 exec_lo, exec_lo, s67
	s_cbranch_execnz .LBB108_62
; %bb.63:                               ;   in Loop: Header=BB108_12 Depth=1
	s_or_b32 exec_lo, exec_lo, s67
.LBB108_64:                             ;   in Loop: Header=BB108_12 Depth=1
	s_delay_alu instid0(SALU_CYCLE_1) | instskip(SKIP_2) | instid1(VALU_DEP_1)
	s_or_b32 exec_lo, exec_lo, s57
	v_add_nc_u32_e32 v12, s46, v0
	s_mov_b32 s9, exec_lo
	v_cmpx_gt_u32_e64 s56, v12
	s_cbranch_execz .LBB108_68
; %bb.65:                               ;   in Loop: Header=BB108_12 Depth=1
	v_mov_b32_e32 v24, v13
	v_dual_mov_b32 v23, v12 :: v_dual_lshlrev_b32 v26, 1, v12
	v_lshlrev_b32_e32 v36, 1, v25
	s_mov_b32 s11, 0
	s_and_b32 s10, s56, 0x7fffffff
	s_and_b32 s13, s82, 0xfe
	s_mov_b32 s12, s11
.LBB108_66:                             ;   Parent Loop BB108_12 Depth=1
                                        ; =>  This Inner Loop Header: Depth=2
	ds_load_i16 v12, v26
	v_add_co_u32 v23, vcc_lo, v23, v25
	v_add_co_ci_u32_e32 v24, vcc_lo, 0, v24, vcc_lo
	v_add_nc_u32_e32 v26, v26, v36
	s_delay_alu instid0(VALU_DEP_2) | instskip(SKIP_2) | instid1(VALU_DEP_1)
	v_cmp_le_u64_e32 vcc_lo, s[10:11], v[23:24]
	s_waitcnt lgkmcnt(0)
	v_add_nc_u32_e32 v12, 0x8000, v12
	v_and_b32_e32 v37, s88, v12
	v_bfe_u32 v12, v12, s13, 2
	s_delay_alu instid0(VALU_DEP_2) | instskip(NEXT) | instid1(VALU_DEP_2)
	v_cmp_eq_u32_e64 s4, s87, v37
	v_cmp_eq_u32_e64 s5, 0, v12
	v_cmp_eq_u32_e64 s6, 1, v12
	v_cmp_eq_u32_e64 s7, 2, v12
	v_cmp_eq_u32_e64 s8, 3, v12
	s_delay_alu instid0(VALU_DEP_4) | instskip(NEXT) | instid1(SALU_CYCLE_1)
	s_and_b32 s5, s4, s5
	v_cndmask_b32_e64 v12, 0, 1, s5
	s_and_b32 s5, s4, s6
	s_delay_alu instid0(SALU_CYCLE_1)
	v_cndmask_b32_e64 v37, 0, 1, s5
	s_and_b32 s5, s4, s7
	s_and_b32 s4, s4, s8
	v_cndmask_b32_e64 v38, 0, 1, s5
	v_cndmask_b32_e64 v39, 0, 1, s4
	v_cmp_ne_u32_e64 s4, 0, v12
	v_cmp_ne_u32_e64 s5, 0, v37
	s_delay_alu instid0(VALU_DEP_4) | instskip(NEXT) | instid1(VALU_DEP_4)
	v_cmp_ne_u32_e64 s6, 0, v38
	v_cmp_ne_u32_e64 s7, 0, v39
	s_delay_alu instid0(VALU_DEP_4) | instskip(NEXT) | instid1(VALU_DEP_3)
	s_bcnt1_i32_b32 s4, s4
	s_bcnt1_i32_b32 s5, s5
	v_add_co_u32 v2, s4, v2, s4
	s_delay_alu instid0(VALU_DEP_1)
	v_add_co_ci_u32_e64 v3, s4, 0, v3, s4
	v_add_co_u32 v4, s4, v4, s5
	s_bcnt1_i32_b32 s6, s6
	v_add_co_ci_u32_e64 v5, s4, 0, v5, s4
	v_add_co_u32 v6, s4, v6, s6
	s_bcnt1_i32_b32 s7, s7
	v_add_co_ci_u32_e64 v7, s4, 0, v7, s4
	v_add_co_u32 v8, s4, v8, s7
	s_delay_alu instid0(VALU_DEP_1) | instskip(SKIP_1) | instid1(SALU_CYCLE_1)
	v_add_co_ci_u32_e64 v9, s4, 0, v9, s4
	s_or_b32 s12, vcc_lo, s12
	s_and_not1_b32 exec_lo, exec_lo, s12
	s_cbranch_execnz .LBB108_66
; %bb.67:                               ;   in Loop: Header=BB108_12 Depth=1
	s_or_b32 exec_lo, exec_lo, s12
.LBB108_68:                             ;   in Loop: Header=BB108_12 Depth=1
	s_delay_alu instid0(SALU_CYCLE_1)
	s_or_b32 exec_lo, exec_lo, s9
.LBB108_69:                             ;   in Loop: Header=BB108_12 Depth=1
	s_lshl_b32 s4, s85, 7
	s_and_saveexec_b32 s5, s1
	s_cbranch_execz .LBB108_71
; %bb.70:                               ;   in Loop: Header=BB108_12 Depth=1
	v_or_b32_e32 v12, s4, v30
	s_delay_alu instid0(VALU_DEP_1)
	v_lshlrev_b32_e32 v12, 3, v12
	ds_store_b128 v12, v[2:5] offset:3072
	ds_store_b128 v12, v[6:9] offset:3088
.LBB108_71:                             ;   in Loop: Header=BB108_12 Depth=1
	s_or_b32 exec_lo, exec_lo, s5
	s_waitcnt vmcnt(0) lgkmcnt(0)
	s_barrier
	buffer_gl0_inv
	s_and_saveexec_b32 s5, s33
	s_cbranch_execz .LBB108_82
; %bb.72:                               ;   in Loop: Header=BB108_12 Depth=1
	v_mov_b32_e32 v2, 0
	v_mov_b32_e32 v3, 0
	s_and_not1_b32 vcc_lo, exec_lo, s75
	s_cbranch_vccnz .LBB108_81
; %bb.73:                               ;   in Loop: Header=BB108_12 Depth=1
	v_mov_b32_e32 v2, 0
	v_mov_b32_e32 v3, 0
	s_and_not1_b32 vcc_lo, exec_lo, s73
	s_cbranch_vccnz .LBB108_78
; %bb.74:                               ;   in Loop: Header=BB108_12 Depth=1
	v_lshl_add_u32 v4, s85, 10, v34
	s_mov_b32 s6, 0
	s_set_inst_prefetch_distance 0x1
	.p2align	6
.LBB108_75:                             ;   Parent Loop BB108_12 Depth=1
                                        ; =>  This Inner Loop Header: Depth=2
	ds_load_2addr_b64 v[5:8], v4 offset1:4
	ds_load_2addr_b64 v[23:26], v4 offset0:8 offset1:12
	ds_load_2addr_b64 v[36:39], v4 offset0:16 offset1:20
	s_add_i32 s6, s6, 8
	s_delay_alu instid0(SALU_CYCLE_1) | instskip(SKIP_3) | instid1(VALU_DEP_2)
	s_cmp_eq_u32 s74, s6
	s_waitcnt lgkmcnt(2)
	v_add_co_u32 v2, vcc_lo, v5, v2
	v_add_co_ci_u32_e32 v3, vcc_lo, v6, v3, vcc_lo
	v_add_co_u32 v2, vcc_lo, v7, v2
	s_delay_alu instid0(VALU_DEP_2)
	v_add_co_ci_u32_e32 v3, vcc_lo, v8, v3, vcc_lo
	ds_load_2addr_b64 v[5:8], v4 offset0:24 offset1:28
	s_waitcnt lgkmcnt(2)
	v_add_co_u32 v2, vcc_lo, v23, v2
	v_add_co_ci_u32_e32 v3, vcc_lo, v24, v3, vcc_lo
	v_add_nc_u32_e32 v4, 0x100, v4
	s_delay_alu instid0(VALU_DEP_3) | instskip(NEXT) | instid1(VALU_DEP_3)
	v_add_co_u32 v2, vcc_lo, v25, v2
	v_add_co_ci_u32_e32 v3, vcc_lo, v26, v3, vcc_lo
	s_waitcnt lgkmcnt(1)
	s_delay_alu instid0(VALU_DEP_2) | instskip(NEXT) | instid1(VALU_DEP_2)
	v_add_co_u32 v2, vcc_lo, v36, v2
	v_add_co_ci_u32_e32 v3, vcc_lo, v37, v3, vcc_lo
	s_delay_alu instid0(VALU_DEP_2) | instskip(NEXT) | instid1(VALU_DEP_2)
	v_add_co_u32 v2, vcc_lo, v38, v2
	v_add_co_ci_u32_e32 v3, vcc_lo, v39, v3, vcc_lo
	s_waitcnt lgkmcnt(0)
	s_delay_alu instid0(VALU_DEP_2) | instskip(NEXT) | instid1(VALU_DEP_2)
	v_add_co_u32 v2, vcc_lo, v5, v2
	v_add_co_ci_u32_e32 v3, vcc_lo, v6, v3, vcc_lo
	s_delay_alu instid0(VALU_DEP_2) | instskip(NEXT) | instid1(VALU_DEP_2)
	v_add_co_u32 v2, vcc_lo, v7, v2
	v_add_co_ci_u32_e32 v3, vcc_lo, v8, v3, vcc_lo
	s_cbranch_scc0 .LBB108_75
; %bb.76:                               ;   in Loop: Header=BB108_12 Depth=1
	s_set_inst_prefetch_distance 0x2
	s_mov_b32 s6, s74
	s_and_not1_b32 vcc_lo, exec_lo, s76
	s_cbranch_vccz .LBB108_79
	s_branch .LBB108_81
.LBB108_77:                             ;   in Loop: Header=BB108_12 Depth=1
                                        ; implicit-def: $vgpr2_vgpr3
	s_branch .LBB108_45
.LBB108_78:                             ;   in Loop: Header=BB108_12 Depth=1
	s_mov_b32 s6, 0
	s_and_not1_b32 vcc_lo, exec_lo, s76
	s_cbranch_vccnz .LBB108_81
.LBB108_79:                             ;   in Loop: Header=BB108_12 Depth=1
	s_lshl_b32 s7, s85, 10
	s_lshl_b32 s6, s6, 5
	s_delay_alu instid0(SALU_CYCLE_1)
	v_add3_u32 v4, s7, s6, v34
	s_mov_b32 s6, s72
.LBB108_80:                             ;   Parent Loop BB108_12 Depth=1
                                        ; =>  This Inner Loop Header: Depth=2
	ds_load_b64 v[5:6], v4
	v_add_nc_u32_e32 v4, 32, v4
	s_add_i32 s6, s6, -1
	s_delay_alu instid0(SALU_CYCLE_1)
	s_cmp_lg_u32 s6, 0
	s_waitcnt lgkmcnt(0)
	v_add_co_u32 v2, vcc_lo, v5, v2
	v_add_co_ci_u32_e32 v3, vcc_lo, v6, v3, vcc_lo
	s_cbranch_scc1 .LBB108_80
.LBB108_81:                             ;   in Loop: Header=BB108_12 Depth=1
	v_add_lshl_u32 v4, s4, v27, 3
	ds_store_b64 v4, v[2:3] offset:3072
.LBB108_82:                             ;   in Loop: Header=BB108_12 Depth=1
	s_or_b32 exec_lo, exec_lo, s5
	s_lshl_b32 s4, s4, 3
	s_waitcnt lgkmcnt(0)
	v_mov_b32_e32 v6, s4
	s_barrier
	buffer_gl0_inv
	s_and_b32 s17, s82, 0xfe
	s_mov_b32 s19, -1
	ds_load_b128 v[2:5], v6 offset:3072
	ds_load_b128 v[6:9], v6 offset:3088
	s_lshl_b32 s16, 3, s17
	s_delay_alu instid0(SALU_CYCLE_1)
	s_not_b32 s18, s16
	s_waitcnt lgkmcnt(1)
	v_readfirstlane_b32 s13, v3
	v_readfirstlane_b32 s12, v2
	;; [unrolled: 1-line block ×4, first 2 shown]
	s_waitcnt lgkmcnt(0)
	v_readfirstlane_b32 s8, v6
	v_readfirstlane_b32 s9, v7
	s_cmp_eq_u64 s[12:13], 1
	v_readfirstlane_b32 s6, v8
	s_cselect_b32 s4, -1, 0
	s_cmp_eq_u64 s[40:41], 1
	v_readfirstlane_b32 s7, v9
	s_cselect_b32 s5, -1, 0
	s_delay_alu instid0(SALU_CYCLE_1) | instskip(NEXT) | instid1(SALU_CYCLE_1)
	s_and_b32 s20, s4, s5
	s_and_b32 vcc_lo, exec_lo, s20
	s_cbranch_vccz .LBB108_97
; %bb.83:                               ;   in Loop: Header=BB108_12 Depth=1
	ds_load_b64 v[2:3], v13 offset:5120
	s_waitcnt lgkmcnt(0)
	s_barrier
	buffer_gl0_inv
	v_readfirstlane_b32 s14, v2
	v_readfirstlane_b32 s15, v3
	s_and_saveexec_b32 s4, s3
	s_cbranch_execz .LBB108_85
; %bb.84:                               ;   in Loop: Header=BB108_12 Depth=1
	ds_store_b16 v29, v13
.LBB108_85:                             ;   in Loop: Header=BB108_12 Depth=1
	s_or_b32 exec_lo, exec_lo, s4
	s_and_b32 s87, s87, s18
	s_or_b32 s88, s88, s16
	s_cmp_eq_u64 s[14:15], 0
	s_waitcnt lgkmcnt(0)
	s_barrier
	buffer_gl0_inv
	s_cbranch_scc1 .LBB108_98
; %bb.86:                               ;   in Loop: Header=BB108_12 Depth=1
	s_add_u32 s21, s69, s14
	s_addc_u32 s5, s70, s15
	s_mov_b32 s4, s47
	s_delay_alu instid0(SALU_CYCLE_1)
	s_cmp_lg_u64 s[4:5], 0
	s_cbranch_scc0 .LBB108_143
; %bb.87:                               ;   in Loop: Header=BB108_12 Depth=1
	v_cvt_f32_u32_e32 v2, s29
	s_sub_u32 s23, 0, s29
	s_subb_u32 s46, 0, 0
	s_delay_alu instid0(VALU_DEP_1) | instskip(NEXT) | instid1(VALU_DEP_1)
	v_fmac_f32_e64 v2, 0, 0x4f800000
	v_rcp_f32_e32 v2, v2
	s_waitcnt_depctr 0xfff
	v_mul_f32_e32 v2, 0x5f7ffffc, v2
	s_delay_alu instid0(VALU_DEP_1) | instskip(NEXT) | instid1(VALU_DEP_1)
	v_mul_f32_e32 v3, 0x2f800000, v2
	v_trunc_f32_e32 v3, v3
	s_delay_alu instid0(VALU_DEP_1) | instskip(SKIP_1) | instid1(VALU_DEP_2)
	v_fmac_f32_e32 v2, 0xcf800000, v3
	v_cvt_u32_f32_e32 v3, v3
	v_cvt_u32_f32_e32 v2, v2
	s_delay_alu instid0(VALU_DEP_2) | instskip(NEXT) | instid1(VALU_DEP_2)
	v_readfirstlane_b32 s4, v3
	v_readfirstlane_b32 s22, v2
	s_delay_alu instid0(VALU_DEP_2) | instskip(NEXT) | instid1(VALU_DEP_1)
	s_mul_i32 s48, s23, s4
	s_mul_hi_u32 s57, s23, s22
	s_mul_i32 s56, s46, s22
	s_add_i32 s48, s57, s48
	s_mul_i32 s58, s23, s22
	s_add_i32 s48, s48, s56
	s_mul_hi_u32 s57, s22, s58
	s_mul_hi_u32 s59, s4, s58
	s_mul_i32 s56, s4, s58
	s_mul_hi_u32 s58, s22, s48
	s_mul_i32 s22, s22, s48
	s_mul_hi_u32 s60, s4, s48
	s_add_u32 s22, s57, s22
	s_addc_u32 s57, 0, s58
	s_add_u32 s22, s22, s56
	s_mul_i32 s48, s4, s48
	s_addc_u32 s22, s57, s59
	s_addc_u32 s56, s60, 0
	s_add_u32 s22, s22, s48
	s_addc_u32 s48, 0, s56
	v_add_co_u32 v2, s22, v2, s22
	s_delay_alu instid0(VALU_DEP_1) | instskip(SKIP_1) | instid1(VALU_DEP_1)
	s_cmp_lg_u32 s22, 0
	s_addc_u32 s4, s4, s48
	v_readfirstlane_b32 s22, v2
	s_mul_i32 s48, s23, s4
	s_delay_alu instid0(VALU_DEP_1)
	s_mul_hi_u32 s56, s23, s22
	s_mul_i32 s46, s46, s22
	s_add_i32 s48, s56, s48
	s_mul_i32 s23, s23, s22
	s_add_i32 s48, s48, s46
	s_mul_hi_u32 s56, s4, s23
	s_mul_i32 s57, s4, s23
	s_mul_hi_u32 s23, s22, s23
	s_mul_hi_u32 s58, s22, s48
	s_mul_i32 s22, s22, s48
	s_mul_hi_u32 s46, s4, s48
	s_add_u32 s22, s23, s22
	s_addc_u32 s23, 0, s58
	s_add_u32 s22, s22, s57
	s_mul_i32 s48, s4, s48
	s_addc_u32 s22, s23, s56
	s_addc_u32 s23, s46, 0
	s_add_u32 s22, s22, s48
	s_addc_u32 s23, 0, s23
	v_add_co_u32 v2, s22, v2, s22
	s_delay_alu instid0(VALU_DEP_1) | instskip(SKIP_1) | instid1(VALU_DEP_1)
	s_cmp_lg_u32 s22, 0
	s_addc_u32 s4, s4, s23
	v_readfirstlane_b32 s22, v2
	s_mul_i32 s46, s21, s4
	s_mul_hi_u32 s23, s21, s4
	s_mul_hi_u32 s48, s5, s4
	s_mul_i32 s4, s5, s4
	s_mul_hi_u32 s56, s21, s22
	s_mul_hi_u32 s57, s5, s22
	s_mul_i32 s22, s5, s22
	s_add_u32 s46, s56, s46
	s_addc_u32 s23, 0, s23
	s_add_u32 s22, s46, s22
	s_addc_u32 s22, s23, s57
	s_addc_u32 s23, s48, 0
	s_add_u32 s4, s22, s4
	s_addc_u32 s22, 0, s23
	s_mul_hi_u32 s23, s29, s4
	s_mul_i32 s4, s29, s4
	s_mul_i32 s22, s29, s22
	v_sub_co_u32 v2, s4, s21, s4
	s_add_i32 s23, s23, s22
	s_cmp_lg_u32 s4, 0
	s_delay_alu instid0(VALU_DEP_1) | instskip(SKIP_2) | instid1(VALU_DEP_1)
	v_sub_co_u32 v3, s4, v2, s29
	s_subb_u32 s22, s5, s23
	s_cmp_lg_u32 s4, 0
	v_cmp_le_u32_e32 vcc_lo, s29, v3
	v_sub_co_u32 v4, s4, v3, s29
	s_subb_u32 s23, s22, 0
	s_cmp_lg_u32 s4, 0
	v_cndmask_b32_e64 v5, 0, -1, vcc_lo
	s_subb_u32 s4, s23, 0
	s_cmp_eq_u32 s23, 0
	v_mov_b32_e32 v7, s4
	s_cselect_b32 vcc_lo, -1, 0
	s_cmp_eq_u32 s22, 0
	v_cndmask_b32_e32 v5, -1, v5, vcc_lo
	v_cmp_le_u32_e32 vcc_lo, s29, v2
	s_cselect_b32 s4, -1, 0
	v_cndmask_b32_e64 v6, 0, -1, vcc_lo
	s_delay_alu instid0(VALU_DEP_3) | instskip(NEXT) | instid1(VALU_DEP_2)
	v_cmp_ne_u32_e32 vcc_lo, 0, v5
	v_cndmask_b32_e64 v5, -1, v6, s4
	v_cndmask_b32_e32 v6, s23, v7, vcc_lo
	v_cndmask_b32_e32 v4, v3, v4, vcc_lo
	s_delay_alu instid0(VALU_DEP_3) | instskip(NEXT) | instid1(VALU_DEP_3)
	v_cmp_ne_u32_e32 vcc_lo, 0, v5
	v_cndmask_b32_e32 v3, s22, v6, vcc_lo
	s_delay_alu instid0(VALU_DEP_3)
	v_cndmask_b32_e32 v2, v2, v4, vcc_lo
	s_cbranch_execnz .LBB108_89
.LBB108_88:                             ;   in Loop: Header=BB108_12 Depth=1
	v_cvt_f32_u32_e32 v2, s29
	s_sub_i32 s4, 0, s29
	s_delay_alu instid0(VALU_DEP_1) | instskip(SKIP_2) | instid1(VALU_DEP_1)
	v_rcp_iflag_f32_e32 v2, v2
	s_waitcnt_depctr 0xfff
	v_mul_f32_e32 v2, 0x4f7ffffe, v2
	v_cvt_u32_f32_e32 v2, v2
	s_delay_alu instid0(VALU_DEP_1) | instskip(NEXT) | instid1(VALU_DEP_1)
	v_mul_lo_u32 v3, s4, v2
	v_mul_hi_u32 v3, v2, v3
	s_delay_alu instid0(VALU_DEP_1) | instskip(NEXT) | instid1(VALU_DEP_1)
	v_add_nc_u32_e32 v2, v2, v3
	v_mul_hi_u32 v2, s21, v2
	s_delay_alu instid0(VALU_DEP_1) | instskip(NEXT) | instid1(VALU_DEP_1)
	v_mul_lo_u32 v2, v2, s29
	v_sub_nc_u32_e32 v2, s21, v2
	s_delay_alu instid0(VALU_DEP_1) | instskip(SKIP_1) | instid1(VALU_DEP_2)
	v_subrev_nc_u32_e32 v3, s29, v2
	v_cmp_le_u32_e32 vcc_lo, s29, v2
	v_cndmask_b32_e32 v2, v2, v3, vcc_lo
	s_delay_alu instid0(VALU_DEP_1) | instskip(SKIP_1) | instid1(VALU_DEP_2)
	v_subrev_nc_u32_e32 v3, s29, v2
	v_cmp_le_u32_e32 vcc_lo, s29, v2
	v_cndmask_b32_e32 v12, v2, v3, vcc_lo
	s_delay_alu instid0(VALU_DEP_1)
	v_dual_mov_b32 v2, v12 :: v_dual_mov_b32 v3, v13
.LBB108_89:                             ;   in Loop: Header=BB108_12 Depth=1
	s_delay_alu instid0(VALU_DEP_1) | instskip(NEXT) | instid1(VALU_DEP_2)
	v_sub_co_u32 v2, vcc_lo, s21, v2
	v_sub_co_ci_u32_e32 v3, vcc_lo, s5, v3, vcc_lo
	s_mov_b32 s4, 0
	s_mov_b32 s5, exec_lo
                                        ; implicit-def: $vgpr35
	s_delay_alu instid0(VALU_DEP_1)
	v_cmpx_gt_u64_e64 v[2:3], v[0:1]
	s_cbranch_execz .LBB108_100
; %bb.90:                               ;   in Loop: Header=BB108_12 Depth=1
	v_dual_mov_b32 v6, v28 :: v_dual_mov_b32 v5, v1
	v_mov_b32_e32 v4, v0
	s_mov_b32 s21, 0
                                        ; implicit-def: $sgpr22
	s_set_inst_prefetch_distance 0x1
	s_branch .LBB108_92
	.p2align	6
.LBB108_91:                             ;   in Loop: Header=BB108_92 Depth=2
	s_or_b32 exec_lo, exec_lo, s4
	s_waitcnt lgkmcnt(0)
	s_barrier
	buffer_gl0_inv
	ds_load_b32 v7, v13 offset:3072
	v_add_co_u32 v4, vcc_lo, v4, s29
	v_add_co_ci_u32_e32 v5, vcc_lo, 0, v5, vcc_lo
	v_add_nc_u32_e32 v6, s77, v6
	s_waitcnt lgkmcnt(0)
	s_barrier
	s_delay_alu instid0(VALU_DEP_2) | instskip(SKIP_2) | instid1(VALU_DEP_1)
	v_cmp_ge_u64_e32 vcc_lo, v[4:5], v[2:3]
	buffer_gl0_inv
	v_cmp_ne_u16_e64 s4, 0, v7
	s_or_b32 s23, vcc_lo, s4
	s_delay_alu instid0(SALU_CYCLE_1) | instskip(NEXT) | instid1(SALU_CYCLE_1)
	s_and_b32 s23, exec_lo, s23
	s_or_b32 s21, s23, s21
	s_and_not1_b32 s22, s22, exec_lo
	s_and_b32 s4, s4, exec_lo
	s_delay_alu instid0(SALU_CYCLE_1)
	s_or_b32 s22, s22, s4
	s_and_not1_b32 exec_lo, exec_lo, s21
	s_cbranch_execz .LBB108_99
.LBB108_92:                             ;   Parent Loop BB108_12 Depth=1
                                        ; =>  This Inner Loop Header: Depth=2
	s_delay_alu instid0(VALU_DEP_1)
	v_cmp_gt_u64_e32 vcc_lo, s[14:15], v[4:5]
	v_mov_b32_e32 v7, 0
	s_and_saveexec_b32 s4, vcc_lo
	s_cbranch_execz .LBB108_94
; %bb.93:                               ;   in Loop: Header=BB108_92 Depth=2
	ds_load_u16 v7, v6
.LBB108_94:                             ;   in Loop: Header=BB108_92 Depth=2
	s_or_b32 exec_lo, exec_lo, s4
	s_and_saveexec_b32 s4, vcc_lo
	s_cbranch_execz .LBB108_91
; %bb.95:                               ;   in Loop: Header=BB108_92 Depth=2
	s_waitcnt lgkmcnt(0)
	v_bfe_i32 v8, v7, 0, 16
	s_delay_alu instid0(VALU_DEP_1) | instskip(NEXT) | instid1(VALU_DEP_1)
	v_add_nc_u32_e32 v8, 0x8000, v8
	v_and_b32_e32 v8, s88, v8
	s_delay_alu instid0(VALU_DEP_1)
	v_cmp_eq_u32_e32 vcc_lo, s87, v8
	s_and_b32 exec_lo, exec_lo, vcc_lo
	s_cbranch_execz .LBB108_91
; %bb.96:                               ;   in Loop: Header=BB108_92 Depth=2
	v_perm_b32 v7, v7, 1, 0x5040100
	ds_store_b32 v13, v7 offset:3072
	s_branch .LBB108_91
.LBB108_97:                             ;   in Loop: Header=BB108_12 Depth=1
	s_mov_b32 s4, -1
                                        ; implicit-def: $sgpr5
                                        ; implicit-def: $sgpr15
                                        ; implicit-def: $sgpr14
	s_branch .LBB108_114
.LBB108_98:                             ;   in Loop: Header=BB108_12 Depth=1
	s_mov_b32 s5, -1
	s_mov_b32 s4, 0
                                        ; implicit-def: $sgpr14
                                        ; implicit-def: $vgpr35
	s_mov_b32 s15, s5
	s_cbranch_execnz .LBB108_101
	s_branch .LBB108_114
.LBB108_99:                             ;   in Loop: Header=BB108_12 Depth=1
	s_set_inst_prefetch_distance 0x2
	s_or_b32 exec_lo, exec_lo, s21
	v_lshrrev_b32_e32 v35, 16, v7
	s_and_b32 s4, s22, exec_lo
.LBB108_100:                            ;   in Loop: Header=BB108_12 Depth=1
	s_or_b32 exec_lo, exec_lo, s5
	s_mov_b32 s14, -1
	s_mov_b32 s5, 0
	s_delay_alu instid0(SALU_CYCLE_1)
	s_mov_b32 s15, s5
	s_branch .LBB108_114
.LBB108_101:                            ;   in Loop: Header=BB108_12 Depth=1
	s_mov_b32 s48, s47
	s_delay_alu instid0(SALU_CYCLE_1)
	s_cmp_lg_u64 s[48:49], 0
	s_cbranch_scc0 .LBB108_144
; %bb.102:                              ;   in Loop: Header=BB108_12 Depth=1
	v_cvt_f32_u32_e32 v2, s29
	s_sub_u32 s14, 0, s29
	s_subb_u32 s15, 0, 0
	s_delay_alu instid0(VALU_DEP_1) | instskip(NEXT) | instid1(VALU_DEP_1)
	v_fmac_f32_e64 v2, 0, 0x4f800000
	v_rcp_f32_e32 v2, v2
	s_waitcnt_depctr 0xfff
	v_mul_f32_e32 v2, 0x5f7ffffc, v2
	s_delay_alu instid0(VALU_DEP_1) | instskip(NEXT) | instid1(VALU_DEP_1)
	v_mul_f32_e32 v3, 0x2f800000, v2
	v_trunc_f32_e32 v3, v3
	s_delay_alu instid0(VALU_DEP_1) | instskip(SKIP_1) | instid1(VALU_DEP_2)
	v_fmac_f32_e32 v2, 0xcf800000, v3
	v_cvt_u32_f32_e32 v3, v3
	v_cvt_u32_f32_e32 v2, v2
	s_delay_alu instid0(VALU_DEP_2) | instskip(NEXT) | instid1(VALU_DEP_2)
	v_readfirstlane_b32 s4, v3
	v_readfirstlane_b32 s5, v2
	s_delay_alu instid0(VALU_DEP_2) | instskip(NEXT) | instid1(VALU_DEP_1)
	s_mul_i32 s21, s14, s4
	s_mul_hi_u32 s23, s14, s5
	s_mul_i32 s22, s15, s5
	s_add_i32 s21, s23, s21
	s_mul_i32 s46, s14, s5
	s_add_i32 s21, s21, s22
	s_mul_hi_u32 s23, s5, s46
	s_mul_hi_u32 s48, s4, s46
	s_mul_i32 s22, s4, s46
	s_mul_hi_u32 s46, s5, s21
	s_mul_i32 s5, s5, s21
	s_mul_hi_u32 s56, s4, s21
	s_add_u32 s5, s23, s5
	s_addc_u32 s23, 0, s46
	s_add_u32 s5, s5, s22
	s_mul_i32 s21, s4, s21
	s_addc_u32 s5, s23, s48
	s_addc_u32 s22, s56, 0
	s_add_u32 s5, s5, s21
	s_addc_u32 s21, 0, s22
	v_add_co_u32 v2, s5, v2, s5
	s_delay_alu instid0(VALU_DEP_1) | instskip(SKIP_1) | instid1(VALU_DEP_1)
	s_cmp_lg_u32 s5, 0
	s_addc_u32 s4, s4, s21
	v_readfirstlane_b32 s5, v2
	s_mul_i32 s21, s14, s4
	s_delay_alu instid0(VALU_DEP_1)
	s_mul_hi_u32 s22, s14, s5
	s_mul_i32 s15, s15, s5
	s_add_i32 s21, s22, s21
	s_mul_i32 s14, s14, s5
	s_add_i32 s21, s21, s15
	s_mul_hi_u32 s22, s4, s14
	s_mul_i32 s23, s4, s14
	s_mul_hi_u32 s14, s5, s14
	s_mul_hi_u32 s46, s5, s21
	s_mul_i32 s5, s5, s21
	s_mul_hi_u32 s15, s4, s21
	s_add_u32 s5, s14, s5
	s_addc_u32 s14, 0, s46
	s_add_u32 s5, s5, s23
	s_mul_i32 s21, s4, s21
	s_addc_u32 s5, s14, s22
	s_addc_u32 s14, s15, 0
	s_add_u32 s5, s5, s21
	s_addc_u32 s14, 0, s14
	v_add_co_u32 v2, s5, v2, s5
	s_delay_alu instid0(VALU_DEP_1) | instskip(SKIP_1) | instid1(VALU_DEP_1)
	s_cmp_lg_u32 s5, 0
	s_addc_u32 s4, s4, s14
	v_readfirstlane_b32 s5, v2
	s_mul_i32 s15, s71, s4
	s_mul_hi_u32 s14, s71, s4
	s_mul_hi_u32 s21, s49, s4
	s_mul_i32 s4, s49, s4
	s_mul_hi_u32 s22, s71, s5
	s_mul_hi_u32 s23, s49, s5
	s_mul_i32 s5, s49, s5
	s_add_u32 s15, s22, s15
	s_addc_u32 s14, 0, s14
	s_add_u32 s5, s15, s5
	s_addc_u32 s5, s14, s23
	s_addc_u32 s14, s21, 0
	s_add_u32 s4, s5, s4
	s_addc_u32 s5, 0, s14
	s_mul_hi_u32 s14, s29, s4
	s_mul_i32 s4, s29, s4
	s_mul_i32 s5, s29, s5
	v_sub_co_u32 v2, s4, s71, s4
	s_add_i32 s14, s14, s5
	s_cmp_lg_u32 s4, 0
	s_delay_alu instid0(VALU_DEP_1) | instskip(SKIP_2) | instid1(VALU_DEP_1)
	v_sub_co_u32 v3, s4, v2, s29
	s_subb_u32 s5, s49, s14
	s_cmp_lg_u32 s4, 0
	v_cmp_le_u32_e32 vcc_lo, s29, v3
	v_sub_co_u32 v4, s4, v3, s29
	s_subb_u32 s14, s5, 0
	s_cmp_lg_u32 s4, 0
	v_cndmask_b32_e64 v5, 0, -1, vcc_lo
	s_subb_u32 s4, s14, 0
	s_cmp_eq_u32 s14, 0
	v_mov_b32_e32 v7, s4
	s_cselect_b32 vcc_lo, -1, 0
	s_cmp_eq_u32 s5, 0
	v_cndmask_b32_e32 v5, -1, v5, vcc_lo
	v_cmp_le_u32_e32 vcc_lo, s29, v2
	s_cselect_b32 s4, -1, 0
	v_cndmask_b32_e64 v6, 0, -1, vcc_lo
	s_delay_alu instid0(VALU_DEP_3) | instskip(NEXT) | instid1(VALU_DEP_2)
	v_cmp_ne_u32_e32 vcc_lo, 0, v5
	v_cndmask_b32_e64 v5, -1, v6, s4
	v_cndmask_b32_e32 v6, s14, v7, vcc_lo
	v_cndmask_b32_e32 v4, v3, v4, vcc_lo
	s_delay_alu instid0(VALU_DEP_3) | instskip(NEXT) | instid1(VALU_DEP_3)
	v_cmp_ne_u32_e32 vcc_lo, 0, v5
	v_cndmask_b32_e32 v3, s5, v6, vcc_lo
	s_delay_alu instid0(VALU_DEP_3)
	v_cndmask_b32_e32 v2, v2, v4, vcc_lo
	s_cbranch_execnz .LBB108_104
.LBB108_103:                            ;   in Loop: Header=BB108_12 Depth=1
	v_cvt_f32_u32_e32 v2, s29
	s_sub_i32 s4, 0, s29
	s_delay_alu instid0(VALU_DEP_1) | instskip(SKIP_2) | instid1(VALU_DEP_1)
	v_rcp_iflag_f32_e32 v2, v2
	s_waitcnt_depctr 0xfff
	v_mul_f32_e32 v2, 0x4f7ffffe, v2
	v_cvt_u32_f32_e32 v2, v2
	s_delay_alu instid0(VALU_DEP_1) | instskip(NEXT) | instid1(VALU_DEP_1)
	v_mul_lo_u32 v3, s4, v2
	v_mul_hi_u32 v3, v2, v3
	s_delay_alu instid0(VALU_DEP_1) | instskip(NEXT) | instid1(VALU_DEP_1)
	v_add_nc_u32_e32 v2, v2, v3
	v_mul_hi_u32 v2, s71, v2
	s_delay_alu instid0(VALU_DEP_1) | instskip(NEXT) | instid1(VALU_DEP_1)
	v_mul_lo_u32 v2, v2, s29
	v_sub_nc_u32_e32 v2, s71, v2
	s_delay_alu instid0(VALU_DEP_1) | instskip(SKIP_1) | instid1(VALU_DEP_2)
	v_subrev_nc_u32_e32 v3, s29, v2
	v_cmp_le_u32_e32 vcc_lo, s29, v2
	v_cndmask_b32_e32 v2, v2, v3, vcc_lo
	s_delay_alu instid0(VALU_DEP_1) | instskip(SKIP_1) | instid1(VALU_DEP_2)
	v_subrev_nc_u32_e32 v3, s29, v2
	v_cmp_le_u32_e32 vcc_lo, s29, v2
	v_cndmask_b32_e32 v12, v2, v3, vcc_lo
	s_delay_alu instid0(VALU_DEP_1)
	v_dual_mov_b32 v2, v12 :: v_dual_mov_b32 v3, v13
.LBB108_104:                            ;   in Loop: Header=BB108_12 Depth=1
	s_delay_alu instid0(VALU_DEP_1) | instskip(NEXT) | instid1(VALU_DEP_2)
	v_sub_co_u32 v2, vcc_lo, s71, v2
	v_sub_co_ci_u32_e32 v3, vcc_lo, s49, v3, vcc_lo
	s_mov_b32 s4, 0
	s_mov_b32 s5, exec_lo
                                        ; implicit-def: $vgpr35
	s_delay_alu instid0(VALU_DEP_1)
	v_cmpx_gt_u64_e64 v[2:3], v[0:1]
	s_cbranch_execz .LBB108_113
; %bb.105:                              ;   in Loop: Header=BB108_12 Depth=1
	v_dual_mov_b32 v4, v10 :: v_dual_mov_b32 v5, v11
	v_dual_mov_b32 v7, v1 :: v_dual_mov_b32 v6, v0
	s_mov_b32 s14, 0
                                        ; implicit-def: $sgpr15
	s_set_inst_prefetch_distance 0x1
	s_branch .LBB108_107
	.p2align	6
.LBB108_106:                            ;   in Loop: Header=BB108_107 Depth=2
	s_or_b32 exec_lo, exec_lo, s4
	s_waitcnt vmcnt(0) lgkmcnt(0)
	s_barrier
	buffer_gl0_inv
	ds_load_b32 v8, v13 offset:3072
	v_add_co_u32 v6, vcc_lo, v6, s29
	v_add_co_ci_u32_e32 v7, vcc_lo, 0, v7, vcc_lo
	s_waitcnt lgkmcnt(0)
	s_barrier
	buffer_gl0_inv
	v_cmp_ge_u64_e32 vcc_lo, v[6:7], v[2:3]
	v_cmp_ne_u16_e64 s4, 0, v8
	s_delay_alu instid0(VALU_DEP_1)
	s_or_b32 s21, vcc_lo, s4
	v_add_co_u32 v4, vcc_lo, v4, s42
	s_and_b32 s21, exec_lo, s21
	v_add_co_ci_u32_e32 v5, vcc_lo, s43, v5, vcc_lo
	s_or_b32 s14, s21, s14
	s_and_not1_b32 s15, s15, exec_lo
	s_and_b32 s4, s4, exec_lo
	s_delay_alu instid0(SALU_CYCLE_1)
	s_or_b32 s15, s15, s4
	s_and_not1_b32 exec_lo, exec_lo, s14
	s_cbranch_execz .LBB108_112
.LBB108_107:                            ;   Parent Loop BB108_12 Depth=1
                                        ; =>  This Inner Loop Header: Depth=2
	s_delay_alu instid0(VALU_DEP_1)
	v_cmp_gt_u64_e32 vcc_lo, s[24:25], v[6:7]
	v_mov_b32_e32 v8, 0
	s_and_saveexec_b32 s4, vcc_lo
	s_cbranch_execz .LBB108_109
; %bb.108:                              ;   in Loop: Header=BB108_107 Depth=2
	global_load_u16 v8, v[4:5], off
.LBB108_109:                            ;   in Loop: Header=BB108_107 Depth=2
	s_or_b32 exec_lo, exec_lo, s4
	s_and_saveexec_b32 s4, vcc_lo
	s_cbranch_execz .LBB108_106
; %bb.110:                              ;   in Loop: Header=BB108_107 Depth=2
	s_waitcnt vmcnt(0)
	v_bfe_i32 v9, v8, 0, 16
	s_delay_alu instid0(VALU_DEP_1) | instskip(NEXT) | instid1(VALU_DEP_1)
	v_add_nc_u32_e32 v9, 0x8000, v9
	v_and_b32_e32 v9, s88, v9
	s_delay_alu instid0(VALU_DEP_1)
	v_cmp_eq_u32_e32 vcc_lo, s87, v9
	s_and_b32 exec_lo, exec_lo, vcc_lo
	s_cbranch_execz .LBB108_106
; %bb.111:                              ;   in Loop: Header=BB108_107 Depth=2
	v_perm_b32 v8, v8, 1, 0x5040100
	ds_store_b32 v13, v8 offset:3072
	s_branch .LBB108_106
.LBB108_112:                            ;   in Loop: Header=BB108_12 Depth=1
	s_set_inst_prefetch_distance 0x2
	s_or_b32 exec_lo, exec_lo, s14
	v_lshrrev_b32_e32 v35, 16, v8
	s_and_b32 s4, s15, exec_lo
.LBB108_113:                            ;   in Loop: Header=BB108_12 Depth=1
	s_or_b32 exec_lo, exec_lo, s5
	s_mov_b32 s15, -1
	s_mov_b32 s5, 0
	s_mov_b32 s14, 0
.LBB108_114:                            ;   in Loop: Header=BB108_12 Depth=1
	s_and_not1_b32 s21, s83, exec_lo
	s_and_b32 s5, s5, exec_lo
	s_and_b32 s15, s15, exec_lo
	s_or_b32 s83, s21, s5
	s_and_not1_b32 s5, s86, exec_lo
	s_and_not1_b32 s21, s84, exec_lo
	s_and_b32 s14, s14, exec_lo
	s_or_b32 s86, s5, s15
	s_or_b32 s84, s21, s14
	s_and_saveexec_b32 s14, s4
	s_cbranch_execz .LBB108_11
; %bb.115:                              ;   in Loop: Header=BB108_12 Depth=1
	s_xor_b32 s4, s20, -1
	s_mov_b32 s46, 1
	s_and_not1_b32 vcc_lo, exec_lo, s4
	s_cbranch_vccnz .LBB108_126
; %bb.116:                              ;   in Loop: Header=BB108_12 Depth=1
	v_cmp_gt_u64_e64 s4, s[40:41], s[12:13]
                                        ; implicit-def: $sgpr46
                                        ; implicit-def: $sgpr5
                                        ; implicit-def: $sgpr15
	s_delay_alu instid0(VALU_DEP_1)
	s_and_b32 vcc_lo, exec_lo, s4
	s_mov_b32 s4, -1
	s_cbranch_vccnz .LBB108_122
; %bb.117:                              ;   in Loop: Header=BB108_12 Depth=1
	ds_load_b64 v[2:3], v13 offset:5120
	s_waitcnt lgkmcnt(0)
	v_cmp_ne_u64_e32 vcc_lo, 0, v[2:3]
	s_cbranch_vccnz .LBB108_121
; %bb.118:                              ;   in Loop: Header=BB108_12 Depth=1
	s_and_saveexec_b32 s4, s2
	s_cbranch_execz .LBB108_120
; %bb.119:                              ;   in Loop: Header=BB108_12 Depth=1
	v_dual_mov_b32 v2, s12 :: v_dual_mov_b32 v3, s13
	ds_store_b64 v13, v[2:3] offset:5128
.LBB108_120:                            ;   in Loop: Header=BB108_12 Depth=1
	s_or_b32 exec_lo, exec_lo, s4
	s_waitcnt lgkmcnt(0)
	s_barrier
	buffer_gl0_inv
.LBB108_121:                            ;   in Loop: Header=BB108_12 Depth=1
	s_and_b32 s5, s87, s18
	s_or_b32 s15, s88, s16
	s_mov_b32 s4, 0
	s_mov_b32 s46, 8
.LBB108_122:                            ;   in Loop: Header=BB108_12 Depth=1
	s_and_not1_b32 vcc_lo, exec_lo, s4
	s_cbranch_vccnz .LBB108_124
; %bb.123:                              ;   in Loop: Header=BB108_12 Depth=1
	s_sub_u32 s40, s40, s12
	s_subb_u32 s41, s41, s13
	s_mov_b32 s4, -1
	s_mov_b32 s46, 0
	s_mov_b32 s5, s87
	;; [unrolled: 1-line block ×3, first 2 shown]
.LBB108_124:                            ;   in Loop: Header=BB108_12 Depth=1
	s_delay_alu instid0(SALU_CYCLE_1)
	s_mov_b32 s88, s15
	s_mov_b32 s87, s5
	s_and_b32 vcc_lo, exec_lo, s4
	s_mov_b32 s15, -1
	s_cbranch_vccnz .LBB108_127
.LBB108_125:                            ;   in Loop: Header=BB108_12 Depth=1
	s_mov_b32 s5, -1
                                        ; implicit-def: $sgpr12
                                        ; implicit-def: $sgpr19
                                        ; implicit-def: $sgpr13
	s_delay_alu instid0(SALU_CYCLE_1) | instskip(NEXT) | instid1(SALU_CYCLE_1)
	s_and_saveexec_b32 s4, s5
	s_xor_b32 s4, exec_lo, s4
	s_cbranch_execz .LBB108_10
	s_branch .LBB108_273
.LBB108_126:                            ;   in Loop: Header=BB108_12 Depth=1
	s_mov_b64 s[40:41], 1
	s_mov_b32 s15, -1
	s_branch .LBB108_125
.LBB108_127:                            ;   in Loop: Header=BB108_12 Depth=1
	s_cmp_eq_u64 s[10:11], 1
	s_cselect_b32 s4, -1, 0
	s_cmp_eq_u64 s[40:41], 1
	s_cselect_b32 s5, -1, 0
	s_delay_alu instid0(SALU_CYCLE_1)
	s_and_b32 s21, s4, s5
	s_mov_b32 s4, -1
	s_and_b32 vcc_lo, exec_lo, s21
	s_cbranch_vccz .LBB108_142
; %bb.128:                              ;   in Loop: Header=BB108_12 Depth=1
	ds_load_b64 v[2:3], v13 offset:5120
	s_waitcnt lgkmcnt(0)
	s_barrier
	buffer_gl0_inv
	v_readfirstlane_b32 s12, v2
	v_readfirstlane_b32 s13, v3
	s_and_saveexec_b32 s4, s3
	s_cbranch_execz .LBB108_130
; %bb.129:                              ;   in Loop: Header=BB108_12 Depth=1
	ds_store_b16 v29, v13
.LBB108_130:                            ;   in Loop: Header=BB108_12 Depth=1
	s_or_b32 exec_lo, exec_lo, s4
	s_lshl_b32 s4, 1, s17
	s_and_b32 s5, s87, s18
	s_or_b32 s88, s88, s16
	s_or_b32 s87, s5, s4
	s_cmp_eq_u64 s[12:13], 0
	s_waitcnt lgkmcnt(0)
	s_barrier
	buffer_gl0_inv
	s_cbranch_scc1 .LBB108_145
; %bb.131:                              ;   in Loop: Header=BB108_12 Depth=1
	s_add_u32 s19, s69, s12
	s_addc_u32 s5, s70, s13
	s_mov_b32 s4, s47
	s_delay_alu instid0(SALU_CYCLE_1)
	s_cmp_lg_u64 s[4:5], 0
	s_cbranch_scc0 .LBB108_190
; %bb.132:                              ;   in Loop: Header=BB108_12 Depth=1
	v_cvt_f32_u32_e32 v2, s29
	s_sub_u32 s22, 0, s29
	s_subb_u32 s23, 0, 0
	s_delay_alu instid0(VALU_DEP_1) | instskip(NEXT) | instid1(VALU_DEP_1)
	v_fmac_f32_e64 v2, 0, 0x4f800000
	v_rcp_f32_e32 v2, v2
	s_waitcnt_depctr 0xfff
	v_mul_f32_e32 v2, 0x5f7ffffc, v2
	s_delay_alu instid0(VALU_DEP_1) | instskip(NEXT) | instid1(VALU_DEP_1)
	v_mul_f32_e32 v3, 0x2f800000, v2
	v_trunc_f32_e32 v3, v3
	s_delay_alu instid0(VALU_DEP_1) | instskip(SKIP_1) | instid1(VALU_DEP_2)
	v_fmac_f32_e32 v2, 0xcf800000, v3
	v_cvt_u32_f32_e32 v3, v3
	v_cvt_u32_f32_e32 v2, v2
	s_delay_alu instid0(VALU_DEP_2) | instskip(NEXT) | instid1(VALU_DEP_2)
	v_readfirstlane_b32 s4, v3
	v_readfirstlane_b32 s20, v2
	s_delay_alu instid0(VALU_DEP_2) | instskip(NEXT) | instid1(VALU_DEP_1)
	s_mul_i32 s46, s22, s4
	s_mul_hi_u32 s56, s22, s20
	s_mul_i32 s48, s23, s20
	s_add_i32 s46, s56, s46
	s_mul_i32 s57, s22, s20
	s_add_i32 s46, s46, s48
	s_mul_hi_u32 s56, s20, s57
	s_mul_hi_u32 s58, s4, s57
	s_mul_i32 s48, s4, s57
	s_mul_hi_u32 s57, s20, s46
	s_mul_i32 s20, s20, s46
	s_mul_hi_u32 s59, s4, s46
	s_add_u32 s20, s56, s20
	s_addc_u32 s56, 0, s57
	s_add_u32 s20, s20, s48
	s_mul_i32 s46, s4, s46
	s_addc_u32 s20, s56, s58
	s_addc_u32 s48, s59, 0
	s_add_u32 s20, s20, s46
	s_addc_u32 s46, 0, s48
	v_add_co_u32 v2, s20, v2, s20
	s_delay_alu instid0(VALU_DEP_1) | instskip(SKIP_1) | instid1(VALU_DEP_1)
	s_cmp_lg_u32 s20, 0
	s_addc_u32 s4, s4, s46
	v_readfirstlane_b32 s20, v2
	s_mul_i32 s46, s22, s4
	s_delay_alu instid0(VALU_DEP_1)
	s_mul_hi_u32 s48, s22, s20
	s_mul_i32 s23, s23, s20
	s_add_i32 s46, s48, s46
	s_mul_i32 s22, s22, s20
	s_add_i32 s46, s46, s23
	s_mul_hi_u32 s48, s4, s22
	s_mul_i32 s56, s4, s22
	s_mul_hi_u32 s22, s20, s22
	s_mul_hi_u32 s57, s20, s46
	s_mul_i32 s20, s20, s46
	s_mul_hi_u32 s23, s4, s46
	s_add_u32 s20, s22, s20
	s_addc_u32 s22, 0, s57
	s_add_u32 s20, s20, s56
	s_mul_i32 s46, s4, s46
	s_addc_u32 s20, s22, s48
	s_addc_u32 s22, s23, 0
	s_add_u32 s20, s20, s46
	s_addc_u32 s22, 0, s22
	v_add_co_u32 v2, s20, v2, s20
	s_delay_alu instid0(VALU_DEP_1) | instskip(SKIP_1) | instid1(VALU_DEP_1)
	s_cmp_lg_u32 s20, 0
	s_addc_u32 s4, s4, s22
	v_readfirstlane_b32 s20, v2
	s_mul_i32 s23, s19, s4
	s_mul_hi_u32 s22, s19, s4
	s_mul_hi_u32 s46, s5, s4
	s_mul_i32 s4, s5, s4
	s_mul_hi_u32 s48, s19, s20
	s_mul_hi_u32 s56, s5, s20
	s_mul_i32 s20, s5, s20
	s_add_u32 s23, s48, s23
	s_addc_u32 s22, 0, s22
	s_add_u32 s20, s23, s20
	s_addc_u32 s20, s22, s56
	s_addc_u32 s22, s46, 0
	s_add_u32 s4, s20, s4
	s_addc_u32 s20, 0, s22
	s_mul_hi_u32 s22, s29, s4
	s_mul_i32 s4, s29, s4
	s_mul_i32 s20, s29, s20
	v_sub_co_u32 v2, s4, s19, s4
	s_add_i32 s22, s22, s20
	s_cmp_lg_u32 s4, 0
	s_delay_alu instid0(VALU_DEP_1) | instskip(SKIP_2) | instid1(VALU_DEP_1)
	v_sub_co_u32 v3, s4, v2, s29
	s_subb_u32 s20, s5, s22
	s_cmp_lg_u32 s4, 0
	v_cmp_le_u32_e32 vcc_lo, s29, v3
	v_sub_co_u32 v4, s4, v3, s29
	s_subb_u32 s22, s20, 0
	s_cmp_lg_u32 s4, 0
	v_cndmask_b32_e64 v5, 0, -1, vcc_lo
	s_subb_u32 s4, s22, 0
	s_cmp_eq_u32 s22, 0
	v_mov_b32_e32 v7, s4
	s_cselect_b32 vcc_lo, -1, 0
	s_cmp_eq_u32 s20, 0
	v_cndmask_b32_e32 v5, -1, v5, vcc_lo
	v_cmp_le_u32_e32 vcc_lo, s29, v2
	s_cselect_b32 s4, -1, 0
	v_cndmask_b32_e64 v6, 0, -1, vcc_lo
	s_delay_alu instid0(VALU_DEP_3) | instskip(NEXT) | instid1(VALU_DEP_2)
	v_cmp_ne_u32_e32 vcc_lo, 0, v5
	v_cndmask_b32_e64 v5, -1, v6, s4
	v_cndmask_b32_e32 v6, s22, v7, vcc_lo
	v_cndmask_b32_e32 v4, v3, v4, vcc_lo
	s_delay_alu instid0(VALU_DEP_3) | instskip(NEXT) | instid1(VALU_DEP_3)
	v_cmp_ne_u32_e32 vcc_lo, 0, v5
	v_cndmask_b32_e32 v3, s20, v6, vcc_lo
	s_delay_alu instid0(VALU_DEP_3)
	v_cndmask_b32_e32 v2, v2, v4, vcc_lo
	s_cbranch_execnz .LBB108_134
.LBB108_133:                            ;   in Loop: Header=BB108_12 Depth=1
	v_cvt_f32_u32_e32 v2, s29
	s_sub_i32 s4, 0, s29
	s_delay_alu instid0(VALU_DEP_1) | instskip(SKIP_2) | instid1(VALU_DEP_1)
	v_rcp_iflag_f32_e32 v2, v2
	s_waitcnt_depctr 0xfff
	v_mul_f32_e32 v2, 0x4f7ffffe, v2
	v_cvt_u32_f32_e32 v2, v2
	s_delay_alu instid0(VALU_DEP_1) | instskip(NEXT) | instid1(VALU_DEP_1)
	v_mul_lo_u32 v3, s4, v2
	v_mul_hi_u32 v3, v2, v3
	s_delay_alu instid0(VALU_DEP_1) | instskip(NEXT) | instid1(VALU_DEP_1)
	v_add_nc_u32_e32 v2, v2, v3
	v_mul_hi_u32 v2, s19, v2
	s_delay_alu instid0(VALU_DEP_1) | instskip(NEXT) | instid1(VALU_DEP_1)
	v_mul_lo_u32 v2, v2, s29
	v_sub_nc_u32_e32 v2, s19, v2
	s_delay_alu instid0(VALU_DEP_1) | instskip(SKIP_1) | instid1(VALU_DEP_2)
	v_subrev_nc_u32_e32 v3, s29, v2
	v_cmp_le_u32_e32 vcc_lo, s29, v2
	v_cndmask_b32_e32 v2, v2, v3, vcc_lo
	s_delay_alu instid0(VALU_DEP_1) | instskip(SKIP_1) | instid1(VALU_DEP_2)
	v_subrev_nc_u32_e32 v3, s29, v2
	v_cmp_le_u32_e32 vcc_lo, s29, v2
	v_cndmask_b32_e32 v12, v2, v3, vcc_lo
	s_delay_alu instid0(VALU_DEP_1)
	v_dual_mov_b32 v2, v12 :: v_dual_mov_b32 v3, v13
.LBB108_134:                            ;   in Loop: Header=BB108_12 Depth=1
	s_delay_alu instid0(VALU_DEP_1) | instskip(NEXT) | instid1(VALU_DEP_2)
	v_sub_co_u32 v2, vcc_lo, s19, v2
	v_sub_co_ci_u32_e32 v3, vcc_lo, s5, v3, vcc_lo
	s_mov_b32 s4, 0
	s_mov_b32 s5, exec_lo
                                        ; implicit-def: $vgpr35
	s_delay_alu instid0(VALU_DEP_1)
	v_cmpx_gt_u64_e64 v[2:3], v[0:1]
	s_cbranch_execz .LBB108_147
; %bb.135:                              ;   in Loop: Header=BB108_12 Depth=1
	v_dual_mov_b32 v6, v28 :: v_dual_mov_b32 v5, v1
	v_mov_b32_e32 v4, v0
	s_mov_b32 s19, 0
                                        ; implicit-def: $sgpr20
	s_set_inst_prefetch_distance 0x1
	s_branch .LBB108_137
	.p2align	6
.LBB108_136:                            ;   in Loop: Header=BB108_137 Depth=2
	s_or_b32 exec_lo, exec_lo, s4
	s_waitcnt lgkmcnt(0)
	s_barrier
	buffer_gl0_inv
	ds_load_b32 v7, v13 offset:3072
	v_add_co_u32 v4, vcc_lo, v4, s29
	v_add_co_ci_u32_e32 v5, vcc_lo, 0, v5, vcc_lo
	v_add_nc_u32_e32 v6, s77, v6
	s_waitcnt lgkmcnt(0)
	s_barrier
	s_delay_alu instid0(VALU_DEP_2) | instskip(SKIP_2) | instid1(VALU_DEP_1)
	v_cmp_ge_u64_e32 vcc_lo, v[4:5], v[2:3]
	buffer_gl0_inv
	v_cmp_ne_u16_e64 s4, 0, v7
	s_or_b32 s22, vcc_lo, s4
	s_delay_alu instid0(SALU_CYCLE_1) | instskip(NEXT) | instid1(SALU_CYCLE_1)
	s_and_b32 s22, exec_lo, s22
	s_or_b32 s19, s22, s19
	s_and_not1_b32 s20, s20, exec_lo
	s_and_b32 s4, s4, exec_lo
	s_delay_alu instid0(SALU_CYCLE_1)
	s_or_b32 s20, s20, s4
	s_and_not1_b32 exec_lo, exec_lo, s19
	s_cbranch_execz .LBB108_146
.LBB108_137:                            ;   Parent Loop BB108_12 Depth=1
                                        ; =>  This Inner Loop Header: Depth=2
	s_delay_alu instid0(VALU_DEP_1)
	v_cmp_gt_u64_e32 vcc_lo, s[12:13], v[4:5]
	v_mov_b32_e32 v7, 0
	s_and_saveexec_b32 s4, vcc_lo
	s_cbranch_execz .LBB108_139
; %bb.138:                              ;   in Loop: Header=BB108_137 Depth=2
	ds_load_u16 v7, v6
.LBB108_139:                            ;   in Loop: Header=BB108_137 Depth=2
	s_or_b32 exec_lo, exec_lo, s4
	s_and_saveexec_b32 s4, vcc_lo
	s_cbranch_execz .LBB108_136
; %bb.140:                              ;   in Loop: Header=BB108_137 Depth=2
	s_waitcnt lgkmcnt(0)
	v_bfe_i32 v8, v7, 0, 16
	s_delay_alu instid0(VALU_DEP_1) | instskip(NEXT) | instid1(VALU_DEP_1)
	v_add_nc_u32_e32 v8, 0x8000, v8
	v_and_b32_e32 v8, s88, v8
	s_delay_alu instid0(VALU_DEP_1)
	v_cmp_eq_u32_e32 vcc_lo, s87, v8
	s_and_b32 exec_lo, exec_lo, vcc_lo
	s_cbranch_execz .LBB108_136
; %bb.141:                              ;   in Loop: Header=BB108_137 Depth=2
	v_perm_b32 v7, v7, 1, 0x5040100
	ds_store_b32 v13, v7 offset:3072
	s_branch .LBB108_136
.LBB108_142:                            ;   in Loop: Header=BB108_12 Depth=1
                                        ; implicit-def: $sgpr13
                                        ; implicit-def: $sgpr19
                                        ; implicit-def: $sgpr12
	s_branch .LBB108_161
.LBB108_143:                            ;   in Loop: Header=BB108_12 Depth=1
                                        ; implicit-def: $vgpr2_vgpr3
	s_branch .LBB108_88
.LBB108_144:                            ;   in Loop: Header=BB108_12 Depth=1
                                        ; implicit-def: $vgpr2_vgpr3
	s_branch .LBB108_103
.LBB108_145:                            ;   in Loop: Header=BB108_12 Depth=1
	s_mov_b32 s13, -1
	s_mov_b32 s4, 0
                                        ; implicit-def: $sgpr12
                                        ; implicit-def: $vgpr35
	s_mov_b32 s19, s13
	s_cbranch_execnz .LBB108_148
	s_branch .LBB108_161
.LBB108_146:                            ;   in Loop: Header=BB108_12 Depth=1
	s_set_inst_prefetch_distance 0x2
	s_or_b32 exec_lo, exec_lo, s19
	v_lshrrev_b32_e32 v35, 16, v7
	s_and_b32 s4, s20, exec_lo
.LBB108_147:                            ;   in Loop: Header=BB108_12 Depth=1
	s_or_b32 exec_lo, exec_lo, s5
	s_mov_b32 s12, -1
	s_mov_b32 s13, 0
	s_delay_alu instid0(SALU_CYCLE_1)
	s_mov_b32 s19, s13
	s_branch .LBB108_161
.LBB108_148:                            ;   in Loop: Header=BB108_12 Depth=1
	s_mov_b32 s48, s47
	s_delay_alu instid0(SALU_CYCLE_1)
	s_cmp_lg_u64 s[48:49], 0
	s_cbranch_scc0 .LBB108_191
; %bb.149:                              ;   in Loop: Header=BB108_12 Depth=1
	v_cvt_f32_u32_e32 v2, s29
	s_sub_u32 s12, 0, s29
	s_subb_u32 s13, 0, 0
	s_delay_alu instid0(VALU_DEP_1) | instskip(NEXT) | instid1(VALU_DEP_1)
	v_fmac_f32_e64 v2, 0, 0x4f800000
	v_rcp_f32_e32 v2, v2
	s_waitcnt_depctr 0xfff
	v_mul_f32_e32 v2, 0x5f7ffffc, v2
	s_delay_alu instid0(VALU_DEP_1) | instskip(NEXT) | instid1(VALU_DEP_1)
	v_mul_f32_e32 v3, 0x2f800000, v2
	v_trunc_f32_e32 v3, v3
	s_delay_alu instid0(VALU_DEP_1) | instskip(SKIP_1) | instid1(VALU_DEP_2)
	v_fmac_f32_e32 v2, 0xcf800000, v3
	v_cvt_u32_f32_e32 v3, v3
	v_cvt_u32_f32_e32 v2, v2
	s_delay_alu instid0(VALU_DEP_2) | instskip(NEXT) | instid1(VALU_DEP_2)
	v_readfirstlane_b32 s4, v3
	v_readfirstlane_b32 s5, v2
	s_delay_alu instid0(VALU_DEP_2) | instskip(NEXT) | instid1(VALU_DEP_1)
	s_mul_i32 s19, s12, s4
	s_mul_hi_u32 s22, s12, s5
	s_mul_i32 s20, s13, s5
	s_add_i32 s19, s22, s19
	s_mul_i32 s23, s12, s5
	s_add_i32 s19, s19, s20
	s_mul_hi_u32 s22, s5, s23
	s_mul_hi_u32 s46, s4, s23
	s_mul_i32 s20, s4, s23
	s_mul_hi_u32 s23, s5, s19
	s_mul_i32 s5, s5, s19
	s_mul_hi_u32 s48, s4, s19
	s_add_u32 s5, s22, s5
	s_addc_u32 s22, 0, s23
	s_add_u32 s5, s5, s20
	s_mul_i32 s19, s4, s19
	s_addc_u32 s5, s22, s46
	s_addc_u32 s20, s48, 0
	s_add_u32 s5, s5, s19
	s_addc_u32 s19, 0, s20
	v_add_co_u32 v2, s5, v2, s5
	s_delay_alu instid0(VALU_DEP_1) | instskip(SKIP_1) | instid1(VALU_DEP_1)
	s_cmp_lg_u32 s5, 0
	s_addc_u32 s4, s4, s19
	v_readfirstlane_b32 s5, v2
	s_mul_i32 s19, s12, s4
	s_delay_alu instid0(VALU_DEP_1)
	s_mul_hi_u32 s20, s12, s5
	s_mul_i32 s13, s13, s5
	s_add_i32 s19, s20, s19
	s_mul_i32 s12, s12, s5
	s_add_i32 s19, s19, s13
	s_mul_hi_u32 s20, s4, s12
	s_mul_i32 s22, s4, s12
	s_mul_hi_u32 s12, s5, s12
	s_mul_hi_u32 s23, s5, s19
	s_mul_i32 s5, s5, s19
	s_mul_hi_u32 s13, s4, s19
	s_add_u32 s5, s12, s5
	s_addc_u32 s12, 0, s23
	s_add_u32 s5, s5, s22
	s_mul_i32 s19, s4, s19
	s_addc_u32 s5, s12, s20
	s_addc_u32 s12, s13, 0
	s_add_u32 s5, s5, s19
	s_addc_u32 s12, 0, s12
	v_add_co_u32 v2, s5, v2, s5
	s_delay_alu instid0(VALU_DEP_1) | instskip(SKIP_1) | instid1(VALU_DEP_1)
	s_cmp_lg_u32 s5, 0
	s_addc_u32 s4, s4, s12
	v_readfirstlane_b32 s5, v2
	s_mul_i32 s13, s71, s4
	s_mul_hi_u32 s12, s71, s4
	s_mul_hi_u32 s19, s49, s4
	s_mul_i32 s4, s49, s4
	s_mul_hi_u32 s20, s71, s5
	s_mul_hi_u32 s22, s49, s5
	s_mul_i32 s5, s49, s5
	s_add_u32 s13, s20, s13
	s_addc_u32 s12, 0, s12
	s_add_u32 s5, s13, s5
	s_addc_u32 s5, s12, s22
	s_addc_u32 s12, s19, 0
	s_add_u32 s4, s5, s4
	s_addc_u32 s5, 0, s12
	s_mul_hi_u32 s12, s29, s4
	s_mul_i32 s4, s29, s4
	s_mul_i32 s5, s29, s5
	v_sub_co_u32 v2, s4, s71, s4
	s_add_i32 s12, s12, s5
	s_cmp_lg_u32 s4, 0
	s_delay_alu instid0(VALU_DEP_1) | instskip(SKIP_2) | instid1(VALU_DEP_1)
	v_sub_co_u32 v3, s4, v2, s29
	s_subb_u32 s5, s49, s12
	s_cmp_lg_u32 s4, 0
	v_cmp_le_u32_e32 vcc_lo, s29, v3
	v_sub_co_u32 v4, s4, v3, s29
	s_subb_u32 s12, s5, 0
	s_cmp_lg_u32 s4, 0
	v_cndmask_b32_e64 v5, 0, -1, vcc_lo
	s_subb_u32 s4, s12, 0
	s_cmp_eq_u32 s12, 0
	v_mov_b32_e32 v7, s4
	s_cselect_b32 vcc_lo, -1, 0
	s_cmp_eq_u32 s5, 0
	v_cndmask_b32_e32 v5, -1, v5, vcc_lo
	v_cmp_le_u32_e32 vcc_lo, s29, v2
	s_cselect_b32 s4, -1, 0
	v_cndmask_b32_e64 v6, 0, -1, vcc_lo
	s_delay_alu instid0(VALU_DEP_3) | instskip(NEXT) | instid1(VALU_DEP_2)
	v_cmp_ne_u32_e32 vcc_lo, 0, v5
	v_cndmask_b32_e64 v5, -1, v6, s4
	v_cndmask_b32_e32 v6, s12, v7, vcc_lo
	v_cndmask_b32_e32 v4, v3, v4, vcc_lo
	s_delay_alu instid0(VALU_DEP_3) | instskip(NEXT) | instid1(VALU_DEP_3)
	v_cmp_ne_u32_e32 vcc_lo, 0, v5
	v_cndmask_b32_e32 v3, s5, v6, vcc_lo
	s_delay_alu instid0(VALU_DEP_3)
	v_cndmask_b32_e32 v2, v2, v4, vcc_lo
	s_cbranch_execnz .LBB108_151
.LBB108_150:                            ;   in Loop: Header=BB108_12 Depth=1
	v_cvt_f32_u32_e32 v2, s29
	s_sub_i32 s4, 0, s29
	s_delay_alu instid0(VALU_DEP_1) | instskip(SKIP_2) | instid1(VALU_DEP_1)
	v_rcp_iflag_f32_e32 v2, v2
	s_waitcnt_depctr 0xfff
	v_mul_f32_e32 v2, 0x4f7ffffe, v2
	v_cvt_u32_f32_e32 v2, v2
	s_delay_alu instid0(VALU_DEP_1) | instskip(NEXT) | instid1(VALU_DEP_1)
	v_mul_lo_u32 v3, s4, v2
	v_mul_hi_u32 v3, v2, v3
	s_delay_alu instid0(VALU_DEP_1) | instskip(NEXT) | instid1(VALU_DEP_1)
	v_add_nc_u32_e32 v2, v2, v3
	v_mul_hi_u32 v2, s71, v2
	s_delay_alu instid0(VALU_DEP_1) | instskip(NEXT) | instid1(VALU_DEP_1)
	v_mul_lo_u32 v2, v2, s29
	v_sub_nc_u32_e32 v2, s71, v2
	s_delay_alu instid0(VALU_DEP_1) | instskip(SKIP_1) | instid1(VALU_DEP_2)
	v_subrev_nc_u32_e32 v3, s29, v2
	v_cmp_le_u32_e32 vcc_lo, s29, v2
	v_cndmask_b32_e32 v2, v2, v3, vcc_lo
	s_delay_alu instid0(VALU_DEP_1) | instskip(SKIP_1) | instid1(VALU_DEP_2)
	v_subrev_nc_u32_e32 v3, s29, v2
	v_cmp_le_u32_e32 vcc_lo, s29, v2
	v_cndmask_b32_e32 v12, v2, v3, vcc_lo
	s_delay_alu instid0(VALU_DEP_1)
	v_dual_mov_b32 v2, v12 :: v_dual_mov_b32 v3, v13
.LBB108_151:                            ;   in Loop: Header=BB108_12 Depth=1
	s_delay_alu instid0(VALU_DEP_1) | instskip(NEXT) | instid1(VALU_DEP_2)
	v_sub_co_u32 v2, vcc_lo, s71, v2
	v_sub_co_ci_u32_e32 v3, vcc_lo, s49, v3, vcc_lo
	s_mov_b32 s4, 0
	s_mov_b32 s5, exec_lo
                                        ; implicit-def: $vgpr35
	s_delay_alu instid0(VALU_DEP_1)
	v_cmpx_gt_u64_e64 v[2:3], v[0:1]
	s_cbranch_execz .LBB108_160
; %bb.152:                              ;   in Loop: Header=BB108_12 Depth=1
	v_dual_mov_b32 v4, v10 :: v_dual_mov_b32 v5, v11
	v_dual_mov_b32 v7, v1 :: v_dual_mov_b32 v6, v0
	s_mov_b32 s12, 0
                                        ; implicit-def: $sgpr13
	s_set_inst_prefetch_distance 0x1
	s_branch .LBB108_154
	.p2align	6
.LBB108_153:                            ;   in Loop: Header=BB108_154 Depth=2
	s_or_b32 exec_lo, exec_lo, s4
	s_waitcnt vmcnt(0) lgkmcnt(0)
	s_barrier
	buffer_gl0_inv
	ds_load_b32 v8, v13 offset:3072
	v_add_co_u32 v6, vcc_lo, v6, s29
	v_add_co_ci_u32_e32 v7, vcc_lo, 0, v7, vcc_lo
	s_waitcnt lgkmcnt(0)
	s_barrier
	buffer_gl0_inv
	v_cmp_ge_u64_e32 vcc_lo, v[6:7], v[2:3]
	v_cmp_ne_u16_e64 s4, 0, v8
	s_delay_alu instid0(VALU_DEP_1)
	s_or_b32 s19, vcc_lo, s4
	v_add_co_u32 v4, vcc_lo, v4, s42
	s_and_b32 s19, exec_lo, s19
	v_add_co_ci_u32_e32 v5, vcc_lo, s43, v5, vcc_lo
	s_or_b32 s12, s19, s12
	s_and_not1_b32 s13, s13, exec_lo
	s_and_b32 s4, s4, exec_lo
	s_delay_alu instid0(SALU_CYCLE_1)
	s_or_b32 s13, s13, s4
	s_and_not1_b32 exec_lo, exec_lo, s12
	s_cbranch_execz .LBB108_159
.LBB108_154:                            ;   Parent Loop BB108_12 Depth=1
                                        ; =>  This Inner Loop Header: Depth=2
	s_delay_alu instid0(VALU_DEP_1)
	v_cmp_gt_u64_e32 vcc_lo, s[24:25], v[6:7]
	v_mov_b32_e32 v8, 0
	s_and_saveexec_b32 s4, vcc_lo
	s_cbranch_execz .LBB108_156
; %bb.155:                              ;   in Loop: Header=BB108_154 Depth=2
	global_load_u16 v8, v[4:5], off
.LBB108_156:                            ;   in Loop: Header=BB108_154 Depth=2
	s_or_b32 exec_lo, exec_lo, s4
	s_and_saveexec_b32 s4, vcc_lo
	s_cbranch_execz .LBB108_153
; %bb.157:                              ;   in Loop: Header=BB108_154 Depth=2
	s_waitcnt vmcnt(0)
	v_bfe_i32 v9, v8, 0, 16
	s_delay_alu instid0(VALU_DEP_1) | instskip(NEXT) | instid1(VALU_DEP_1)
	v_add_nc_u32_e32 v9, 0x8000, v9
	v_and_b32_e32 v9, s88, v9
	s_delay_alu instid0(VALU_DEP_1)
	v_cmp_eq_u32_e32 vcc_lo, s87, v9
	s_and_b32 exec_lo, exec_lo, vcc_lo
	s_cbranch_execz .LBB108_153
; %bb.158:                              ;   in Loop: Header=BB108_154 Depth=2
	v_perm_b32 v8, v8, 1, 0x5040100
	ds_store_b32 v13, v8 offset:3072
	s_branch .LBB108_153
.LBB108_159:                            ;   in Loop: Header=BB108_12 Depth=1
	s_set_inst_prefetch_distance 0x2
	s_or_b32 exec_lo, exec_lo, s12
	v_lshrrev_b32_e32 v35, 16, v8
	s_and_b32 s4, s13, exec_lo
.LBB108_160:                            ;   in Loop: Header=BB108_12 Depth=1
	s_or_b32 exec_lo, exec_lo, s5
	s_mov_b32 s19, -1
	s_mov_b32 s13, 0
	s_mov_b32 s12, 0
.LBB108_161:                            ;   in Loop: Header=BB108_12 Depth=1
	s_mov_b32 s5, 0
                                        ; implicit-def: $sgpr46
	s_and_saveexec_b32 s20, s4
	s_cbranch_execz .LBB108_272
; %bb.162:                              ;   in Loop: Header=BB108_12 Depth=1
	s_xor_b32 s4, s21, -1
	s_mov_b32 s46, 1
	s_and_not1_b32 vcc_lo, exec_lo, s4
	s_cbranch_vccnz .LBB108_173
; %bb.163:                              ;   in Loop: Header=BB108_12 Depth=1
	v_cmp_gt_u64_e64 s4, s[40:41], s[10:11]
                                        ; implicit-def: $sgpr46
                                        ; implicit-def: $sgpr5
                                        ; implicit-def: $sgpr21
	s_delay_alu instid0(VALU_DEP_1)
	s_and_b32 vcc_lo, exec_lo, s4
	s_mov_b32 s4, -1
	s_cbranch_vccnz .LBB108_169
; %bb.164:                              ;   in Loop: Header=BB108_12 Depth=1
	ds_load_b64 v[2:3], v13 offset:5120
	s_waitcnt lgkmcnt(0)
	v_cmp_ne_u64_e32 vcc_lo, 0, v[2:3]
	s_cbranch_vccnz .LBB108_168
; %bb.165:                              ;   in Loop: Header=BB108_12 Depth=1
	s_and_saveexec_b32 s4, s2
	s_cbranch_execz .LBB108_167
; %bb.166:                              ;   in Loop: Header=BB108_12 Depth=1
	v_dual_mov_b32 v2, s10 :: v_dual_mov_b32 v3, s11
	ds_store_b64 v13, v[2:3] offset:5128
.LBB108_167:                            ;   in Loop: Header=BB108_12 Depth=1
	s_or_b32 exec_lo, exec_lo, s4
	s_waitcnt lgkmcnt(0)
	s_barrier
	buffer_gl0_inv
.LBB108_168:                            ;   in Loop: Header=BB108_12 Depth=1
	s_lshl_b32 s4, 1, s17
	s_and_b32 s5, s87, s18
	s_or_b32 s21, s88, s16
	s_or_b32 s5, s5, s4
	s_mov_b32 s4, 0
	s_mov_b32 s46, 8
.LBB108_169:                            ;   in Loop: Header=BB108_12 Depth=1
	s_and_not1_b32 vcc_lo, exec_lo, s4
	s_cbranch_vccnz .LBB108_171
; %bb.170:                              ;   in Loop: Header=BB108_12 Depth=1
	s_sub_u32 s40, s40, s10
	s_subb_u32 s41, s41, s11
	s_mov_b32 s4, -1
	s_mov_b32 s46, 0
	s_mov_b32 s5, s87
	;; [unrolled: 1-line block ×3, first 2 shown]
.LBB108_171:                            ;   in Loop: Header=BB108_12 Depth=1
	s_delay_alu instid0(SALU_CYCLE_1)
	s_mov_b32 s88, s21
	s_mov_b32 s87, s5
	s_and_not1_b32 vcc_lo, exec_lo, s4
	s_mov_b32 s5, -1
	s_cbranch_vccz .LBB108_174
.LBB108_172:                            ;   in Loop: Header=BB108_12 Depth=1
                                        ; implicit-def: $sgpr11
                                        ; implicit-def: $sgpr21
                                        ; implicit-def: $sgpr10
	s_branch .LBB108_271
.LBB108_173:                            ;   in Loop: Header=BB108_12 Depth=1
	s_mov_b64 s[40:41], 1
	s_mov_b32 s5, -1
	s_cbranch_execnz .LBB108_172
.LBB108_174:                            ;   in Loop: Header=BB108_12 Depth=1
	s_cmp_eq_u64 s[8:9], 1
	s_cselect_b32 s4, -1, 0
	s_cmp_eq_u64 s[40:41], 1
	s_cselect_b32 s5, -1, 0
	s_delay_alu instid0(SALU_CYCLE_1)
	s_and_b32 s23, s4, s5
	s_mov_b32 s4, -1
	s_and_b32 vcc_lo, exec_lo, s23
	s_cbranch_vccz .LBB108_189
; %bb.175:                              ;   in Loop: Header=BB108_12 Depth=1
	ds_load_b64 v[2:3], v13 offset:5120
	s_waitcnt lgkmcnt(0)
	s_barrier
	buffer_gl0_inv
	v_readfirstlane_b32 s10, v2
	v_readfirstlane_b32 s11, v3
	s_and_saveexec_b32 s4, s3
	s_cbranch_execz .LBB108_177
; %bb.176:                              ;   in Loop: Header=BB108_12 Depth=1
	ds_store_b16 v29, v13
.LBB108_177:                            ;   in Loop: Header=BB108_12 Depth=1
	s_or_b32 exec_lo, exec_lo, s4
	s_lshl_b32 s4, 2, s17
	s_and_b32 s5, s87, s18
	s_or_b32 s88, s88, s16
	s_or_b32 s87, s5, s4
	s_cmp_eq_u64 s[10:11], 0
	s_waitcnt lgkmcnt(0)
	s_barrier
	buffer_gl0_inv
	s_cbranch_scc1 .LBB108_192
; %bb.178:                              ;   in Loop: Header=BB108_12 Depth=1
	s_add_u32 s21, s69, s10
	s_addc_u32 s5, s70, s11
	s_mov_b32 s4, s47
	s_delay_alu instid0(SALU_CYCLE_1)
	s_cmp_lg_u64 s[4:5], 0
	s_cbranch_scc0 .LBB108_237
; %bb.179:                              ;   in Loop: Header=BB108_12 Depth=1
	v_cvt_f32_u32_e32 v2, s29
	s_sub_u32 s46, 0, s29
	s_subb_u32 s48, 0, 0
	s_delay_alu instid0(VALU_DEP_1) | instskip(NEXT) | instid1(VALU_DEP_1)
	v_fmac_f32_e64 v2, 0, 0x4f800000
	v_rcp_f32_e32 v2, v2
	s_waitcnt_depctr 0xfff
	v_mul_f32_e32 v2, 0x5f7ffffc, v2
	s_delay_alu instid0(VALU_DEP_1) | instskip(NEXT) | instid1(VALU_DEP_1)
	v_mul_f32_e32 v3, 0x2f800000, v2
	v_trunc_f32_e32 v3, v3
	s_delay_alu instid0(VALU_DEP_1) | instskip(SKIP_1) | instid1(VALU_DEP_2)
	v_fmac_f32_e32 v2, 0xcf800000, v3
	v_cvt_u32_f32_e32 v3, v3
	v_cvt_u32_f32_e32 v2, v2
	s_delay_alu instid0(VALU_DEP_2) | instskip(NEXT) | instid1(VALU_DEP_2)
	v_readfirstlane_b32 s4, v3
	v_readfirstlane_b32 s22, v2
	s_delay_alu instid0(VALU_DEP_2) | instskip(NEXT) | instid1(VALU_DEP_1)
	s_mul_i32 s56, s46, s4
	s_mul_hi_u32 s58, s46, s22
	s_mul_i32 s57, s48, s22
	s_add_i32 s56, s58, s56
	s_mul_i32 s59, s46, s22
	s_add_i32 s56, s56, s57
	s_mul_hi_u32 s58, s22, s59
	s_mul_hi_u32 s60, s4, s59
	s_mul_i32 s57, s4, s59
	s_mul_hi_u32 s59, s22, s56
	s_mul_i32 s22, s22, s56
	s_mul_hi_u32 s61, s4, s56
	s_add_u32 s22, s58, s22
	s_addc_u32 s58, 0, s59
	s_add_u32 s22, s22, s57
	s_mul_i32 s56, s4, s56
	s_addc_u32 s22, s58, s60
	s_addc_u32 s57, s61, 0
	s_add_u32 s22, s22, s56
	s_addc_u32 s56, 0, s57
	v_add_co_u32 v2, s22, v2, s22
	s_delay_alu instid0(VALU_DEP_1) | instskip(SKIP_1) | instid1(VALU_DEP_1)
	s_cmp_lg_u32 s22, 0
	s_addc_u32 s4, s4, s56
	v_readfirstlane_b32 s22, v2
	s_mul_i32 s56, s46, s4
	s_delay_alu instid0(VALU_DEP_1)
	s_mul_hi_u32 s57, s46, s22
	s_mul_i32 s48, s48, s22
	s_add_i32 s56, s57, s56
	s_mul_i32 s46, s46, s22
	s_add_i32 s56, s56, s48
	s_mul_hi_u32 s57, s4, s46
	s_mul_i32 s58, s4, s46
	s_mul_hi_u32 s46, s22, s46
	s_mul_hi_u32 s59, s22, s56
	s_mul_i32 s22, s22, s56
	s_mul_hi_u32 s48, s4, s56
	s_add_u32 s22, s46, s22
	s_addc_u32 s46, 0, s59
	s_add_u32 s22, s22, s58
	s_mul_i32 s56, s4, s56
	s_addc_u32 s22, s46, s57
	s_addc_u32 s46, s48, 0
	s_add_u32 s22, s22, s56
	s_addc_u32 s46, 0, s46
	v_add_co_u32 v2, s22, v2, s22
	s_delay_alu instid0(VALU_DEP_1) | instskip(SKIP_1) | instid1(VALU_DEP_1)
	s_cmp_lg_u32 s22, 0
	s_addc_u32 s4, s4, s46
	v_readfirstlane_b32 s22, v2
	s_mul_i32 s48, s21, s4
	s_mul_hi_u32 s46, s21, s4
	s_mul_hi_u32 s56, s5, s4
	s_mul_i32 s4, s5, s4
	s_mul_hi_u32 s57, s21, s22
	s_mul_hi_u32 s58, s5, s22
	s_mul_i32 s22, s5, s22
	s_add_u32 s48, s57, s48
	s_addc_u32 s46, 0, s46
	s_add_u32 s22, s48, s22
	s_addc_u32 s22, s46, s58
	s_addc_u32 s46, s56, 0
	s_add_u32 s4, s22, s4
	s_addc_u32 s22, 0, s46
	s_mul_hi_u32 s46, s29, s4
	s_mul_i32 s4, s29, s4
	s_mul_i32 s22, s29, s22
	v_sub_co_u32 v2, s4, s21, s4
	s_add_i32 s46, s46, s22
	s_cmp_lg_u32 s4, 0
	s_delay_alu instid0(VALU_DEP_1) | instskip(SKIP_2) | instid1(VALU_DEP_1)
	v_sub_co_u32 v3, s4, v2, s29
	s_subb_u32 s22, s5, s46
	s_cmp_lg_u32 s4, 0
	v_cmp_le_u32_e32 vcc_lo, s29, v3
	v_sub_co_u32 v4, s4, v3, s29
	s_subb_u32 s46, s22, 0
	s_cmp_lg_u32 s4, 0
	v_cndmask_b32_e64 v5, 0, -1, vcc_lo
	s_subb_u32 s4, s46, 0
	s_cmp_eq_u32 s46, 0
	v_mov_b32_e32 v7, s4
	s_cselect_b32 vcc_lo, -1, 0
	s_cmp_eq_u32 s22, 0
	v_cndmask_b32_e32 v5, -1, v5, vcc_lo
	v_cmp_le_u32_e32 vcc_lo, s29, v2
	s_cselect_b32 s4, -1, 0
	v_cndmask_b32_e64 v6, 0, -1, vcc_lo
	s_delay_alu instid0(VALU_DEP_3) | instskip(NEXT) | instid1(VALU_DEP_2)
	v_cmp_ne_u32_e32 vcc_lo, 0, v5
	v_cndmask_b32_e64 v5, -1, v6, s4
	v_cndmask_b32_e32 v6, s46, v7, vcc_lo
	v_cndmask_b32_e32 v4, v3, v4, vcc_lo
	s_delay_alu instid0(VALU_DEP_3) | instskip(NEXT) | instid1(VALU_DEP_3)
	v_cmp_ne_u32_e32 vcc_lo, 0, v5
	v_cndmask_b32_e32 v3, s22, v6, vcc_lo
	s_delay_alu instid0(VALU_DEP_3)
	v_cndmask_b32_e32 v2, v2, v4, vcc_lo
	s_cbranch_execnz .LBB108_181
.LBB108_180:                            ;   in Loop: Header=BB108_12 Depth=1
	v_cvt_f32_u32_e32 v2, s29
	s_sub_i32 s4, 0, s29
	s_delay_alu instid0(VALU_DEP_1) | instskip(SKIP_2) | instid1(VALU_DEP_1)
	v_rcp_iflag_f32_e32 v2, v2
	s_waitcnt_depctr 0xfff
	v_mul_f32_e32 v2, 0x4f7ffffe, v2
	v_cvt_u32_f32_e32 v2, v2
	s_delay_alu instid0(VALU_DEP_1) | instskip(NEXT) | instid1(VALU_DEP_1)
	v_mul_lo_u32 v3, s4, v2
	v_mul_hi_u32 v3, v2, v3
	s_delay_alu instid0(VALU_DEP_1) | instskip(NEXT) | instid1(VALU_DEP_1)
	v_add_nc_u32_e32 v2, v2, v3
	v_mul_hi_u32 v2, s21, v2
	s_delay_alu instid0(VALU_DEP_1) | instskip(NEXT) | instid1(VALU_DEP_1)
	v_mul_lo_u32 v2, v2, s29
	v_sub_nc_u32_e32 v2, s21, v2
	s_delay_alu instid0(VALU_DEP_1) | instskip(SKIP_1) | instid1(VALU_DEP_2)
	v_subrev_nc_u32_e32 v3, s29, v2
	v_cmp_le_u32_e32 vcc_lo, s29, v2
	v_cndmask_b32_e32 v2, v2, v3, vcc_lo
	s_delay_alu instid0(VALU_DEP_1) | instskip(SKIP_1) | instid1(VALU_DEP_2)
	v_subrev_nc_u32_e32 v3, s29, v2
	v_cmp_le_u32_e32 vcc_lo, s29, v2
	v_cndmask_b32_e32 v12, v2, v3, vcc_lo
	s_delay_alu instid0(VALU_DEP_1)
	v_dual_mov_b32 v2, v12 :: v_dual_mov_b32 v3, v13
.LBB108_181:                            ;   in Loop: Header=BB108_12 Depth=1
	s_delay_alu instid0(VALU_DEP_1) | instskip(NEXT) | instid1(VALU_DEP_2)
	v_sub_co_u32 v2, vcc_lo, s21, v2
	v_sub_co_ci_u32_e32 v3, vcc_lo, s5, v3, vcc_lo
	s_mov_b32 s4, 0
	s_mov_b32 s5, exec_lo
                                        ; implicit-def: $vgpr35
	s_delay_alu instid0(VALU_DEP_1)
	v_cmpx_gt_u64_e64 v[2:3], v[0:1]
	s_cbranch_execz .LBB108_194
; %bb.182:                              ;   in Loop: Header=BB108_12 Depth=1
	v_dual_mov_b32 v6, v28 :: v_dual_mov_b32 v5, v1
	v_mov_b32_e32 v4, v0
	s_mov_b32 s21, 0
                                        ; implicit-def: $sgpr22
	s_set_inst_prefetch_distance 0x1
	s_branch .LBB108_184
	.p2align	6
.LBB108_183:                            ;   in Loop: Header=BB108_184 Depth=2
	s_or_b32 exec_lo, exec_lo, s4
	s_waitcnt lgkmcnt(0)
	s_barrier
	buffer_gl0_inv
	ds_load_b32 v7, v13 offset:3072
	v_add_co_u32 v4, vcc_lo, v4, s29
	v_add_co_ci_u32_e32 v5, vcc_lo, 0, v5, vcc_lo
	v_add_nc_u32_e32 v6, s77, v6
	s_waitcnt lgkmcnt(0)
	s_barrier
	s_delay_alu instid0(VALU_DEP_2) | instskip(SKIP_2) | instid1(VALU_DEP_1)
	v_cmp_ge_u64_e32 vcc_lo, v[4:5], v[2:3]
	buffer_gl0_inv
	v_cmp_ne_u16_e64 s4, 0, v7
	s_or_b32 s46, vcc_lo, s4
	s_delay_alu instid0(SALU_CYCLE_1) | instskip(NEXT) | instid1(SALU_CYCLE_1)
	s_and_b32 s46, exec_lo, s46
	s_or_b32 s21, s46, s21
	s_and_not1_b32 s22, s22, exec_lo
	s_and_b32 s4, s4, exec_lo
	s_delay_alu instid0(SALU_CYCLE_1)
	s_or_b32 s22, s22, s4
	s_and_not1_b32 exec_lo, exec_lo, s21
	s_cbranch_execz .LBB108_193
.LBB108_184:                            ;   Parent Loop BB108_12 Depth=1
                                        ; =>  This Inner Loop Header: Depth=2
	s_delay_alu instid0(VALU_DEP_1)
	v_cmp_gt_u64_e32 vcc_lo, s[10:11], v[4:5]
	v_mov_b32_e32 v7, 0
	s_and_saveexec_b32 s4, vcc_lo
	s_cbranch_execz .LBB108_186
; %bb.185:                              ;   in Loop: Header=BB108_184 Depth=2
	ds_load_u16 v7, v6
.LBB108_186:                            ;   in Loop: Header=BB108_184 Depth=2
	s_or_b32 exec_lo, exec_lo, s4
	s_and_saveexec_b32 s4, vcc_lo
	s_cbranch_execz .LBB108_183
; %bb.187:                              ;   in Loop: Header=BB108_184 Depth=2
	s_waitcnt lgkmcnt(0)
	v_bfe_i32 v8, v7, 0, 16
	s_delay_alu instid0(VALU_DEP_1) | instskip(NEXT) | instid1(VALU_DEP_1)
	v_add_nc_u32_e32 v8, 0x8000, v8
	v_and_b32_e32 v8, s88, v8
	s_delay_alu instid0(VALU_DEP_1)
	v_cmp_eq_u32_e32 vcc_lo, s87, v8
	s_and_b32 exec_lo, exec_lo, vcc_lo
	s_cbranch_execz .LBB108_183
; %bb.188:                              ;   in Loop: Header=BB108_184 Depth=2
	v_perm_b32 v7, v7, 1, 0x5040100
	ds_store_b32 v13, v7 offset:3072
	s_branch .LBB108_183
.LBB108_189:                            ;   in Loop: Header=BB108_12 Depth=1
                                        ; implicit-def: $sgpr10
                                        ; implicit-def: $sgpr21
                                        ; implicit-def: $sgpr11
	s_branch .LBB108_208
.LBB108_190:                            ;   in Loop: Header=BB108_12 Depth=1
                                        ; implicit-def: $vgpr2_vgpr3
	s_branch .LBB108_133
.LBB108_191:                            ;   in Loop: Header=BB108_12 Depth=1
                                        ; implicit-def: $vgpr2_vgpr3
	s_branch .LBB108_150
.LBB108_192:                            ;   in Loop: Header=BB108_12 Depth=1
	s_mov_b32 s10, -1
	s_mov_b32 s4, 0
                                        ; implicit-def: $sgpr11
                                        ; implicit-def: $vgpr35
	s_mov_b32 s21, s10
	s_cbranch_execnz .LBB108_195
	s_branch .LBB108_208
.LBB108_193:                            ;   in Loop: Header=BB108_12 Depth=1
	s_set_inst_prefetch_distance 0x2
	s_or_b32 exec_lo, exec_lo, s21
	v_lshrrev_b32_e32 v35, 16, v7
	s_and_b32 s4, s22, exec_lo
.LBB108_194:                            ;   in Loop: Header=BB108_12 Depth=1
	s_or_b32 exec_lo, exec_lo, s5
	s_mov_b32 s11, -1
	s_mov_b32 s10, 0
	s_delay_alu instid0(SALU_CYCLE_1)
	s_mov_b32 s21, s10
	s_branch .LBB108_208
.LBB108_195:                            ;   in Loop: Header=BB108_12 Depth=1
	s_mov_b32 s48, s47
	s_delay_alu instid0(SALU_CYCLE_1)
	s_cmp_lg_u64 s[48:49], 0
	s_cbranch_scc0 .LBB108_238
; %bb.196:                              ;   in Loop: Header=BB108_12 Depth=1
	v_cvt_f32_u32_e32 v2, s29
	s_sub_u32 s10, 0, s29
	s_subb_u32 s11, 0, 0
	s_delay_alu instid0(VALU_DEP_1) | instskip(NEXT) | instid1(VALU_DEP_1)
	v_fmac_f32_e64 v2, 0, 0x4f800000
	v_rcp_f32_e32 v2, v2
	s_waitcnt_depctr 0xfff
	v_mul_f32_e32 v2, 0x5f7ffffc, v2
	s_delay_alu instid0(VALU_DEP_1) | instskip(NEXT) | instid1(VALU_DEP_1)
	v_mul_f32_e32 v3, 0x2f800000, v2
	v_trunc_f32_e32 v3, v3
	s_delay_alu instid0(VALU_DEP_1) | instskip(SKIP_1) | instid1(VALU_DEP_2)
	v_fmac_f32_e32 v2, 0xcf800000, v3
	v_cvt_u32_f32_e32 v3, v3
	v_cvt_u32_f32_e32 v2, v2
	s_delay_alu instid0(VALU_DEP_2) | instskip(NEXT) | instid1(VALU_DEP_2)
	v_readfirstlane_b32 s4, v3
	v_readfirstlane_b32 s5, v2
	s_delay_alu instid0(VALU_DEP_2) | instskip(NEXT) | instid1(VALU_DEP_1)
	s_mul_i32 s21, s10, s4
	s_mul_hi_u32 s46, s10, s5
	s_mul_i32 s22, s11, s5
	s_add_i32 s21, s46, s21
	s_mul_i32 s48, s10, s5
	s_add_i32 s21, s21, s22
	s_mul_hi_u32 s46, s5, s48
	s_mul_hi_u32 s56, s4, s48
	s_mul_i32 s22, s4, s48
	s_mul_hi_u32 s48, s5, s21
	s_mul_i32 s5, s5, s21
	s_mul_hi_u32 s57, s4, s21
	s_add_u32 s5, s46, s5
	s_addc_u32 s46, 0, s48
	s_add_u32 s5, s5, s22
	s_mul_i32 s21, s4, s21
	s_addc_u32 s5, s46, s56
	s_addc_u32 s22, s57, 0
	s_add_u32 s5, s5, s21
	s_addc_u32 s21, 0, s22
	v_add_co_u32 v2, s5, v2, s5
	s_delay_alu instid0(VALU_DEP_1) | instskip(SKIP_1) | instid1(VALU_DEP_1)
	s_cmp_lg_u32 s5, 0
	s_addc_u32 s4, s4, s21
	v_readfirstlane_b32 s5, v2
	s_mul_i32 s21, s10, s4
	s_delay_alu instid0(VALU_DEP_1)
	s_mul_hi_u32 s22, s10, s5
	s_mul_i32 s11, s11, s5
	s_add_i32 s21, s22, s21
	s_mul_i32 s10, s10, s5
	s_add_i32 s21, s21, s11
	s_mul_hi_u32 s22, s4, s10
	s_mul_i32 s46, s4, s10
	s_mul_hi_u32 s10, s5, s10
	s_mul_hi_u32 s48, s5, s21
	s_mul_i32 s5, s5, s21
	s_mul_hi_u32 s11, s4, s21
	s_add_u32 s5, s10, s5
	s_addc_u32 s10, 0, s48
	s_add_u32 s5, s5, s46
	s_mul_i32 s21, s4, s21
	s_addc_u32 s5, s10, s22
	s_addc_u32 s10, s11, 0
	s_add_u32 s5, s5, s21
	s_addc_u32 s10, 0, s10
	v_add_co_u32 v2, s5, v2, s5
	s_delay_alu instid0(VALU_DEP_1) | instskip(SKIP_1) | instid1(VALU_DEP_1)
	s_cmp_lg_u32 s5, 0
	s_addc_u32 s4, s4, s10
	v_readfirstlane_b32 s5, v2
	s_mul_i32 s11, s71, s4
	s_mul_hi_u32 s10, s71, s4
	s_mul_hi_u32 s21, s49, s4
	s_mul_i32 s4, s49, s4
	s_mul_hi_u32 s22, s71, s5
	s_mul_hi_u32 s46, s49, s5
	s_mul_i32 s5, s49, s5
	s_add_u32 s11, s22, s11
	s_addc_u32 s10, 0, s10
	s_add_u32 s5, s11, s5
	s_addc_u32 s5, s10, s46
	s_addc_u32 s10, s21, 0
	s_add_u32 s4, s5, s4
	s_addc_u32 s5, 0, s10
	s_mul_hi_u32 s10, s29, s4
	s_mul_i32 s4, s29, s4
	s_mul_i32 s5, s29, s5
	v_sub_co_u32 v2, s4, s71, s4
	s_add_i32 s10, s10, s5
	s_cmp_lg_u32 s4, 0
	s_delay_alu instid0(VALU_DEP_1) | instskip(SKIP_2) | instid1(VALU_DEP_1)
	v_sub_co_u32 v3, s4, v2, s29
	s_subb_u32 s5, s49, s10
	s_cmp_lg_u32 s4, 0
	v_cmp_le_u32_e32 vcc_lo, s29, v3
	v_sub_co_u32 v4, s4, v3, s29
	s_subb_u32 s10, s5, 0
	s_cmp_lg_u32 s4, 0
	v_cndmask_b32_e64 v5, 0, -1, vcc_lo
	s_subb_u32 s4, s10, 0
	s_cmp_eq_u32 s10, 0
	v_mov_b32_e32 v7, s4
	s_cselect_b32 vcc_lo, -1, 0
	s_cmp_eq_u32 s5, 0
	v_cndmask_b32_e32 v5, -1, v5, vcc_lo
	v_cmp_le_u32_e32 vcc_lo, s29, v2
	s_cselect_b32 s4, -1, 0
	v_cndmask_b32_e64 v6, 0, -1, vcc_lo
	s_delay_alu instid0(VALU_DEP_3) | instskip(NEXT) | instid1(VALU_DEP_2)
	v_cmp_ne_u32_e32 vcc_lo, 0, v5
	v_cndmask_b32_e64 v5, -1, v6, s4
	v_cndmask_b32_e32 v6, s10, v7, vcc_lo
	v_cndmask_b32_e32 v4, v3, v4, vcc_lo
	s_delay_alu instid0(VALU_DEP_3) | instskip(NEXT) | instid1(VALU_DEP_3)
	v_cmp_ne_u32_e32 vcc_lo, 0, v5
	v_cndmask_b32_e32 v3, s5, v6, vcc_lo
	s_delay_alu instid0(VALU_DEP_3)
	v_cndmask_b32_e32 v2, v2, v4, vcc_lo
	s_cbranch_execnz .LBB108_198
.LBB108_197:                            ;   in Loop: Header=BB108_12 Depth=1
	v_cvt_f32_u32_e32 v2, s29
	s_sub_i32 s4, 0, s29
	s_delay_alu instid0(VALU_DEP_1) | instskip(SKIP_2) | instid1(VALU_DEP_1)
	v_rcp_iflag_f32_e32 v2, v2
	s_waitcnt_depctr 0xfff
	v_mul_f32_e32 v2, 0x4f7ffffe, v2
	v_cvt_u32_f32_e32 v2, v2
	s_delay_alu instid0(VALU_DEP_1) | instskip(NEXT) | instid1(VALU_DEP_1)
	v_mul_lo_u32 v3, s4, v2
	v_mul_hi_u32 v3, v2, v3
	s_delay_alu instid0(VALU_DEP_1) | instskip(NEXT) | instid1(VALU_DEP_1)
	v_add_nc_u32_e32 v2, v2, v3
	v_mul_hi_u32 v2, s71, v2
	s_delay_alu instid0(VALU_DEP_1) | instskip(NEXT) | instid1(VALU_DEP_1)
	v_mul_lo_u32 v2, v2, s29
	v_sub_nc_u32_e32 v2, s71, v2
	s_delay_alu instid0(VALU_DEP_1) | instskip(SKIP_1) | instid1(VALU_DEP_2)
	v_subrev_nc_u32_e32 v3, s29, v2
	v_cmp_le_u32_e32 vcc_lo, s29, v2
	v_cndmask_b32_e32 v2, v2, v3, vcc_lo
	s_delay_alu instid0(VALU_DEP_1) | instskip(SKIP_1) | instid1(VALU_DEP_2)
	v_subrev_nc_u32_e32 v3, s29, v2
	v_cmp_le_u32_e32 vcc_lo, s29, v2
	v_cndmask_b32_e32 v12, v2, v3, vcc_lo
	s_delay_alu instid0(VALU_DEP_1)
	v_dual_mov_b32 v2, v12 :: v_dual_mov_b32 v3, v13
.LBB108_198:                            ;   in Loop: Header=BB108_12 Depth=1
	s_delay_alu instid0(VALU_DEP_1) | instskip(NEXT) | instid1(VALU_DEP_2)
	v_sub_co_u32 v2, vcc_lo, s71, v2
	v_sub_co_ci_u32_e32 v3, vcc_lo, s49, v3, vcc_lo
	s_mov_b32 s4, 0
	s_mov_b32 s5, exec_lo
                                        ; implicit-def: $vgpr35
	s_delay_alu instid0(VALU_DEP_1)
	v_cmpx_gt_u64_e64 v[2:3], v[0:1]
	s_cbranch_execz .LBB108_207
; %bb.199:                              ;   in Loop: Header=BB108_12 Depth=1
	v_dual_mov_b32 v4, v10 :: v_dual_mov_b32 v5, v11
	v_dual_mov_b32 v7, v1 :: v_dual_mov_b32 v6, v0
	s_mov_b32 s10, 0
                                        ; implicit-def: $sgpr11
	s_set_inst_prefetch_distance 0x1
	s_branch .LBB108_201
	.p2align	6
.LBB108_200:                            ;   in Loop: Header=BB108_201 Depth=2
	s_or_b32 exec_lo, exec_lo, s4
	s_waitcnt vmcnt(0) lgkmcnt(0)
	s_barrier
	buffer_gl0_inv
	ds_load_b32 v8, v13 offset:3072
	v_add_co_u32 v6, vcc_lo, v6, s29
	v_add_co_ci_u32_e32 v7, vcc_lo, 0, v7, vcc_lo
	s_waitcnt lgkmcnt(0)
	s_barrier
	buffer_gl0_inv
	v_cmp_ge_u64_e32 vcc_lo, v[6:7], v[2:3]
	v_cmp_ne_u16_e64 s4, 0, v8
	s_delay_alu instid0(VALU_DEP_1)
	s_or_b32 s21, vcc_lo, s4
	v_add_co_u32 v4, vcc_lo, v4, s42
	s_and_b32 s21, exec_lo, s21
	v_add_co_ci_u32_e32 v5, vcc_lo, s43, v5, vcc_lo
	s_or_b32 s10, s21, s10
	s_and_not1_b32 s11, s11, exec_lo
	s_and_b32 s4, s4, exec_lo
	s_delay_alu instid0(SALU_CYCLE_1)
	s_or_b32 s11, s11, s4
	s_and_not1_b32 exec_lo, exec_lo, s10
	s_cbranch_execz .LBB108_206
.LBB108_201:                            ;   Parent Loop BB108_12 Depth=1
                                        ; =>  This Inner Loop Header: Depth=2
	s_delay_alu instid0(VALU_DEP_1)
	v_cmp_gt_u64_e32 vcc_lo, s[24:25], v[6:7]
	v_mov_b32_e32 v8, 0
	s_and_saveexec_b32 s4, vcc_lo
	s_cbranch_execz .LBB108_203
; %bb.202:                              ;   in Loop: Header=BB108_201 Depth=2
	global_load_u16 v8, v[4:5], off
.LBB108_203:                            ;   in Loop: Header=BB108_201 Depth=2
	s_or_b32 exec_lo, exec_lo, s4
	s_and_saveexec_b32 s4, vcc_lo
	s_cbranch_execz .LBB108_200
; %bb.204:                              ;   in Loop: Header=BB108_201 Depth=2
	s_waitcnt vmcnt(0)
	v_bfe_i32 v9, v8, 0, 16
	s_delay_alu instid0(VALU_DEP_1) | instskip(NEXT) | instid1(VALU_DEP_1)
	v_add_nc_u32_e32 v9, 0x8000, v9
	v_and_b32_e32 v9, s88, v9
	s_delay_alu instid0(VALU_DEP_1)
	v_cmp_eq_u32_e32 vcc_lo, s87, v9
	s_and_b32 exec_lo, exec_lo, vcc_lo
	s_cbranch_execz .LBB108_200
; %bb.205:                              ;   in Loop: Header=BB108_201 Depth=2
	v_perm_b32 v8, v8, 1, 0x5040100
	ds_store_b32 v13, v8 offset:3072
	s_branch .LBB108_200
.LBB108_206:                            ;   in Loop: Header=BB108_12 Depth=1
	s_set_inst_prefetch_distance 0x2
	s_or_b32 exec_lo, exec_lo, s10
	v_lshrrev_b32_e32 v35, 16, v8
	s_and_b32 s4, s11, exec_lo
.LBB108_207:                            ;   in Loop: Header=BB108_12 Depth=1
	s_or_b32 exec_lo, exec_lo, s5
	s_mov_b32 s21, -1
	s_mov_b32 s10, 0
	s_mov_b32 s11, 0
.LBB108_208:                            ;   in Loop: Header=BB108_12 Depth=1
	s_mov_b32 s5, 0
                                        ; implicit-def: $sgpr46
	s_and_saveexec_b32 s22, s4
	s_cbranch_execz .LBB108_270
; %bb.209:                              ;   in Loop: Header=BB108_12 Depth=1
	s_xor_b32 s4, s23, -1
	s_mov_b32 s46, 1
	s_and_not1_b32 vcc_lo, exec_lo, s4
	s_cbranch_vccnz .LBB108_220
; %bb.210:                              ;   in Loop: Header=BB108_12 Depth=1
	v_cmp_gt_u64_e64 s4, s[40:41], s[8:9]
                                        ; implicit-def: $sgpr46
                                        ; implicit-def: $sgpr5
                                        ; implicit-def: $sgpr23
	s_delay_alu instid0(VALU_DEP_1)
	s_and_b32 vcc_lo, exec_lo, s4
	s_mov_b32 s4, -1
	s_cbranch_vccnz .LBB108_216
; %bb.211:                              ;   in Loop: Header=BB108_12 Depth=1
	ds_load_b64 v[2:3], v13 offset:5120
	s_waitcnt lgkmcnt(0)
	v_cmp_ne_u64_e32 vcc_lo, 0, v[2:3]
	s_cbranch_vccnz .LBB108_215
; %bb.212:                              ;   in Loop: Header=BB108_12 Depth=1
	s_and_saveexec_b32 s4, s2
	s_cbranch_execz .LBB108_214
; %bb.213:                              ;   in Loop: Header=BB108_12 Depth=1
	v_dual_mov_b32 v2, s8 :: v_dual_mov_b32 v3, s9
	ds_store_b64 v13, v[2:3] offset:5128
.LBB108_214:                            ;   in Loop: Header=BB108_12 Depth=1
	s_or_b32 exec_lo, exec_lo, s4
	s_waitcnt lgkmcnt(0)
	s_barrier
	buffer_gl0_inv
.LBB108_215:                            ;   in Loop: Header=BB108_12 Depth=1
	s_lshl_b32 s4, 2, s17
	s_and_b32 s5, s87, s18
	s_or_b32 s23, s88, s16
	s_or_b32 s5, s5, s4
	s_mov_b32 s4, 0
	s_mov_b32 s46, 8
.LBB108_216:                            ;   in Loop: Header=BB108_12 Depth=1
	s_and_not1_b32 vcc_lo, exec_lo, s4
	s_cbranch_vccnz .LBB108_218
; %bb.217:                              ;   in Loop: Header=BB108_12 Depth=1
	s_sub_u32 s40, s40, s8
	s_subb_u32 s41, s41, s9
	s_mov_b32 s4, -1
	s_mov_b32 s46, 0
	s_mov_b32 s5, s87
	;; [unrolled: 1-line block ×3, first 2 shown]
.LBB108_218:                            ;   in Loop: Header=BB108_12 Depth=1
	s_delay_alu instid0(SALU_CYCLE_1)
	s_mov_b32 s88, s23
	s_mov_b32 s87, s5
	s_and_not1_b32 vcc_lo, exec_lo, s4
	s_mov_b32 s56, -1
	s_cbranch_vccz .LBB108_221
.LBB108_219:                            ;   in Loop: Header=BB108_12 Depth=1
                                        ; implicit-def: $sgpr8
                                        ; implicit-def: $sgpr18
                                        ; implicit-def: $sgpr9
	s_branch .LBB108_269
.LBB108_220:                            ;   in Loop: Header=BB108_12 Depth=1
	s_mov_b64 s[40:41], 1
	s_mov_b32 s56, -1
	s_cbranch_execnz .LBB108_219
.LBB108_221:                            ;   in Loop: Header=BB108_12 Depth=1
	s_cmp_eq_u64 s[6:7], 1
	s_mov_b32 s23, -1
	s_cselect_b32 s4, -1, 0
	s_cmp_eq_u64 s[40:41], 1
	s_cselect_b32 s5, -1, 0
	s_delay_alu instid0(SALU_CYCLE_1) | instskip(NEXT) | instid1(SALU_CYCLE_1)
	s_and_b32 s17, s4, s5
	s_and_b32 vcc_lo, exec_lo, s17
	s_cbranch_vccz .LBB108_236
; %bb.222:                              ;   in Loop: Header=BB108_12 Depth=1
	ds_load_b64 v[2:3], v13 offset:5120
	s_waitcnt lgkmcnt(0)
	s_barrier
	buffer_gl0_inv
	v_readfirstlane_b32 s8, v2
	v_readfirstlane_b32 s9, v3
	s_and_saveexec_b32 s4, s3
	s_cbranch_execz .LBB108_224
; %bb.223:                              ;   in Loop: Header=BB108_12 Depth=1
	ds_store_b16 v29, v13
.LBB108_224:                            ;   in Loop: Header=BB108_12 Depth=1
	s_or_b32 exec_lo, exec_lo, s4
	s_or_b32 s87, s87, s16
	s_or_b32 s88, s88, s16
	s_cmp_eq_u64 s[8:9], 0
	s_waitcnt lgkmcnt(0)
	s_barrier
	buffer_gl0_inv
	s_cbranch_scc1 .LBB108_239
; %bb.225:                              ;   in Loop: Header=BB108_12 Depth=1
	s_add_u32 s18, s69, s8
	s_addc_u32 s5, s70, s9
	s_mov_b32 s4, s47
	s_delay_alu instid0(SALU_CYCLE_1)
	s_cmp_lg_u64 s[4:5], 0
	s_cbranch_scc0 .LBB108_275
; %bb.226:                              ;   in Loop: Header=BB108_12 Depth=1
	v_cvt_f32_u32_e32 v2, s29
	s_sub_u32 s46, 0, s29
	s_subb_u32 s48, 0, 0
	s_delay_alu instid0(VALU_DEP_1) | instskip(NEXT) | instid1(VALU_DEP_1)
	v_fmac_f32_e64 v2, 0, 0x4f800000
	v_rcp_f32_e32 v2, v2
	s_waitcnt_depctr 0xfff
	v_mul_f32_e32 v2, 0x5f7ffffc, v2
	s_delay_alu instid0(VALU_DEP_1) | instskip(NEXT) | instid1(VALU_DEP_1)
	v_mul_f32_e32 v3, 0x2f800000, v2
	v_trunc_f32_e32 v3, v3
	s_delay_alu instid0(VALU_DEP_1) | instskip(SKIP_1) | instid1(VALU_DEP_2)
	v_fmac_f32_e32 v2, 0xcf800000, v3
	v_cvt_u32_f32_e32 v3, v3
	v_cvt_u32_f32_e32 v2, v2
	s_delay_alu instid0(VALU_DEP_2) | instskip(NEXT) | instid1(VALU_DEP_2)
	v_readfirstlane_b32 s4, v3
	v_readfirstlane_b32 s23, v2
	s_delay_alu instid0(VALU_DEP_2) | instskip(NEXT) | instid1(VALU_DEP_1)
	s_mul_i32 s56, s46, s4
	s_mul_hi_u32 s58, s46, s23
	s_mul_i32 s57, s48, s23
	s_add_i32 s56, s58, s56
	s_mul_i32 s59, s46, s23
	s_add_i32 s56, s56, s57
	s_mul_hi_u32 s58, s23, s59
	s_mul_hi_u32 s60, s4, s59
	s_mul_i32 s57, s4, s59
	s_mul_hi_u32 s59, s23, s56
	s_mul_i32 s23, s23, s56
	s_mul_hi_u32 s61, s4, s56
	s_add_u32 s23, s58, s23
	s_addc_u32 s58, 0, s59
	s_add_u32 s23, s23, s57
	s_mul_i32 s56, s4, s56
	s_addc_u32 s23, s58, s60
	s_addc_u32 s57, s61, 0
	s_add_u32 s23, s23, s56
	s_addc_u32 s56, 0, s57
	v_add_co_u32 v2, s23, v2, s23
	s_delay_alu instid0(VALU_DEP_1) | instskip(SKIP_1) | instid1(VALU_DEP_1)
	s_cmp_lg_u32 s23, 0
	s_addc_u32 s4, s4, s56
	v_readfirstlane_b32 s23, v2
	s_mul_i32 s56, s46, s4
	s_delay_alu instid0(VALU_DEP_1)
	s_mul_hi_u32 s57, s46, s23
	s_mul_i32 s48, s48, s23
	s_add_i32 s56, s57, s56
	s_mul_i32 s46, s46, s23
	s_add_i32 s56, s56, s48
	s_mul_hi_u32 s57, s4, s46
	s_mul_i32 s58, s4, s46
	s_mul_hi_u32 s46, s23, s46
	s_mul_hi_u32 s59, s23, s56
	s_mul_i32 s23, s23, s56
	s_mul_hi_u32 s48, s4, s56
	s_add_u32 s23, s46, s23
	s_addc_u32 s46, 0, s59
	s_add_u32 s23, s23, s58
	s_mul_i32 s56, s4, s56
	s_addc_u32 s23, s46, s57
	s_addc_u32 s46, s48, 0
	s_add_u32 s23, s23, s56
	s_addc_u32 s46, 0, s46
	v_add_co_u32 v2, s23, v2, s23
	s_delay_alu instid0(VALU_DEP_1) | instskip(SKIP_1) | instid1(VALU_DEP_1)
	s_cmp_lg_u32 s23, 0
	s_addc_u32 s4, s4, s46
	v_readfirstlane_b32 s23, v2
	s_mul_i32 s48, s18, s4
	s_mul_hi_u32 s46, s18, s4
	s_mul_hi_u32 s56, s5, s4
	s_mul_i32 s4, s5, s4
	s_mul_hi_u32 s57, s18, s23
	s_mul_hi_u32 s58, s5, s23
	s_mul_i32 s23, s5, s23
	s_add_u32 s48, s57, s48
	s_addc_u32 s46, 0, s46
	s_add_u32 s23, s48, s23
	s_addc_u32 s23, s46, s58
	s_addc_u32 s46, s56, 0
	s_add_u32 s4, s23, s4
	s_addc_u32 s23, 0, s46
	s_mul_hi_u32 s46, s29, s4
	s_mul_i32 s4, s29, s4
	s_mul_i32 s23, s29, s23
	v_sub_co_u32 v2, s4, s18, s4
	s_add_i32 s46, s46, s23
	s_cmp_lg_u32 s4, 0
	s_delay_alu instid0(VALU_DEP_1) | instskip(SKIP_2) | instid1(VALU_DEP_1)
	v_sub_co_u32 v3, s4, v2, s29
	s_subb_u32 s23, s5, s46
	s_cmp_lg_u32 s4, 0
	v_cmp_le_u32_e32 vcc_lo, s29, v3
	v_sub_co_u32 v4, s4, v3, s29
	s_subb_u32 s46, s23, 0
	s_cmp_lg_u32 s4, 0
	v_cndmask_b32_e64 v5, 0, -1, vcc_lo
	s_subb_u32 s4, s46, 0
	s_cmp_eq_u32 s46, 0
	v_mov_b32_e32 v7, s4
	s_cselect_b32 vcc_lo, -1, 0
	s_cmp_eq_u32 s23, 0
	v_cndmask_b32_e32 v5, -1, v5, vcc_lo
	v_cmp_le_u32_e32 vcc_lo, s29, v2
	s_cselect_b32 s4, -1, 0
	v_cndmask_b32_e64 v6, 0, -1, vcc_lo
	s_delay_alu instid0(VALU_DEP_3) | instskip(NEXT) | instid1(VALU_DEP_2)
	v_cmp_ne_u32_e32 vcc_lo, 0, v5
	v_cndmask_b32_e64 v5, -1, v6, s4
	v_cndmask_b32_e32 v6, s46, v7, vcc_lo
	v_cndmask_b32_e32 v4, v3, v4, vcc_lo
	s_delay_alu instid0(VALU_DEP_3) | instskip(NEXT) | instid1(VALU_DEP_3)
	v_cmp_ne_u32_e32 vcc_lo, 0, v5
	v_cndmask_b32_e32 v3, s23, v6, vcc_lo
	s_delay_alu instid0(VALU_DEP_3)
	v_cndmask_b32_e32 v2, v2, v4, vcc_lo
	s_cbranch_execnz .LBB108_228
.LBB108_227:                            ;   in Loop: Header=BB108_12 Depth=1
	v_cvt_f32_u32_e32 v2, s29
	s_sub_i32 s4, 0, s29
	s_delay_alu instid0(VALU_DEP_1) | instskip(SKIP_2) | instid1(VALU_DEP_1)
	v_rcp_iflag_f32_e32 v2, v2
	s_waitcnt_depctr 0xfff
	v_mul_f32_e32 v2, 0x4f7ffffe, v2
	v_cvt_u32_f32_e32 v2, v2
	s_delay_alu instid0(VALU_DEP_1) | instskip(NEXT) | instid1(VALU_DEP_1)
	v_mul_lo_u32 v3, s4, v2
	v_mul_hi_u32 v3, v2, v3
	s_delay_alu instid0(VALU_DEP_1) | instskip(NEXT) | instid1(VALU_DEP_1)
	v_add_nc_u32_e32 v2, v2, v3
	v_mul_hi_u32 v2, s18, v2
	s_delay_alu instid0(VALU_DEP_1) | instskip(NEXT) | instid1(VALU_DEP_1)
	v_mul_lo_u32 v2, v2, s29
	v_sub_nc_u32_e32 v2, s18, v2
	s_delay_alu instid0(VALU_DEP_1) | instskip(SKIP_1) | instid1(VALU_DEP_2)
	v_subrev_nc_u32_e32 v3, s29, v2
	v_cmp_le_u32_e32 vcc_lo, s29, v2
	v_cndmask_b32_e32 v2, v2, v3, vcc_lo
	s_delay_alu instid0(VALU_DEP_1) | instskip(SKIP_1) | instid1(VALU_DEP_2)
	v_subrev_nc_u32_e32 v3, s29, v2
	v_cmp_le_u32_e32 vcc_lo, s29, v2
	v_cndmask_b32_e32 v12, v2, v3, vcc_lo
	s_delay_alu instid0(VALU_DEP_1)
	v_dual_mov_b32 v2, v12 :: v_dual_mov_b32 v3, v13
.LBB108_228:                            ;   in Loop: Header=BB108_12 Depth=1
	s_delay_alu instid0(VALU_DEP_1) | instskip(NEXT) | instid1(VALU_DEP_2)
	v_sub_co_u32 v2, vcc_lo, s18, v2
	v_sub_co_ci_u32_e32 v3, vcc_lo, s5, v3, vcc_lo
	s_mov_b32 s23, 0
	s_mov_b32 s5, exec_lo
                                        ; implicit-def: $vgpr35
	s_delay_alu instid0(VALU_DEP_1)
	v_cmpx_gt_u64_e64 v[2:3], v[0:1]
	s_cbranch_execz .LBB108_241
; %bb.229:                              ;   in Loop: Header=BB108_12 Depth=1
	v_dual_mov_b32 v6, v28 :: v_dual_mov_b32 v5, v1
	v_mov_b32_e32 v4, v0
	s_mov_b32 s18, 0
                                        ; implicit-def: $sgpr23
	s_set_inst_prefetch_distance 0x1
	s_branch .LBB108_231
	.p2align	6
.LBB108_230:                            ;   in Loop: Header=BB108_231 Depth=2
	s_or_b32 exec_lo, exec_lo, s4
	s_waitcnt lgkmcnt(0)
	s_barrier
	buffer_gl0_inv
	ds_load_b32 v7, v13 offset:3072
	v_add_co_u32 v4, vcc_lo, v4, s29
	v_add_co_ci_u32_e32 v5, vcc_lo, 0, v5, vcc_lo
	v_add_nc_u32_e32 v6, s77, v6
	s_waitcnt lgkmcnt(0)
	s_barrier
	s_delay_alu instid0(VALU_DEP_2) | instskip(SKIP_2) | instid1(VALU_DEP_1)
	v_cmp_ge_u64_e32 vcc_lo, v[4:5], v[2:3]
	buffer_gl0_inv
	v_cmp_ne_u16_e64 s4, 0, v7
	s_or_b32 s46, vcc_lo, s4
	s_delay_alu instid0(SALU_CYCLE_1) | instskip(NEXT) | instid1(SALU_CYCLE_1)
	s_and_b32 s46, exec_lo, s46
	s_or_b32 s18, s46, s18
	s_and_not1_b32 s23, s23, exec_lo
	s_and_b32 s4, s4, exec_lo
	s_delay_alu instid0(SALU_CYCLE_1)
	s_or_b32 s23, s23, s4
	s_and_not1_b32 exec_lo, exec_lo, s18
	s_cbranch_execz .LBB108_240
.LBB108_231:                            ;   Parent Loop BB108_12 Depth=1
                                        ; =>  This Inner Loop Header: Depth=2
	s_delay_alu instid0(VALU_DEP_1)
	v_cmp_gt_u64_e32 vcc_lo, s[8:9], v[4:5]
	v_mov_b32_e32 v7, 0
	s_and_saveexec_b32 s4, vcc_lo
	s_cbranch_execz .LBB108_233
; %bb.232:                              ;   in Loop: Header=BB108_231 Depth=2
	ds_load_u16 v7, v6
.LBB108_233:                            ;   in Loop: Header=BB108_231 Depth=2
	s_or_b32 exec_lo, exec_lo, s4
	s_and_saveexec_b32 s4, vcc_lo
	s_cbranch_execz .LBB108_230
; %bb.234:                              ;   in Loop: Header=BB108_231 Depth=2
	s_waitcnt lgkmcnt(0)
	v_bfe_i32 v8, v7, 0, 16
	s_delay_alu instid0(VALU_DEP_1) | instskip(NEXT) | instid1(VALU_DEP_1)
	v_add_nc_u32_e32 v8, 0x8000, v8
	v_and_b32_e32 v8, s88, v8
	s_delay_alu instid0(VALU_DEP_1)
	v_cmp_eq_u32_e32 vcc_lo, s87, v8
	s_and_b32 exec_lo, exec_lo, vcc_lo
	s_cbranch_execz .LBB108_230
; %bb.235:                              ;   in Loop: Header=BB108_231 Depth=2
	v_perm_b32 v7, v7, 1, 0x5040100
	ds_store_b32 v13, v7 offset:3072
	s_branch .LBB108_230
.LBB108_236:                            ;   in Loop: Header=BB108_12 Depth=1
                                        ; implicit-def: $sgpr8
                                        ; implicit-def: $sgpr18
                                        ; implicit-def: $sgpr9
	s_branch .LBB108_255
.LBB108_237:                            ;   in Loop: Header=BB108_12 Depth=1
                                        ; implicit-def: $vgpr2_vgpr3
	s_branch .LBB108_180
.LBB108_238:                            ;   in Loop: Header=BB108_12 Depth=1
                                        ; implicit-def: $vgpr2_vgpr3
	s_branch .LBB108_197
.LBB108_239:                            ;   in Loop: Header=BB108_12 Depth=1
	s_mov_b32 s8, -1
	s_mov_b32 s23, 0
                                        ; implicit-def: $sgpr9
                                        ; implicit-def: $vgpr35
	s_mov_b32 s18, s8
	s_cbranch_execnz .LBB108_242
	s_branch .LBB108_255
.LBB108_240:                            ;   in Loop: Header=BB108_12 Depth=1
	s_set_inst_prefetch_distance 0x2
	s_or_b32 exec_lo, exec_lo, s18
	v_lshrrev_b32_e32 v35, 16, v7
	s_and_b32 s23, s23, exec_lo
.LBB108_241:                            ;   in Loop: Header=BB108_12 Depth=1
	s_or_b32 exec_lo, exec_lo, s5
	s_mov_b32 s9, -1
	s_mov_b32 s8, 0
	s_delay_alu instid0(SALU_CYCLE_1)
	s_mov_b32 s18, s8
	s_branch .LBB108_255
.LBB108_242:                            ;   in Loop: Header=BB108_12 Depth=1
	s_mov_b32 s48, s47
	s_delay_alu instid0(SALU_CYCLE_1)
	s_cmp_lg_u64 s[48:49], 0
	s_cbranch_scc0 .LBB108_276
; %bb.243:                              ;   in Loop: Header=BB108_12 Depth=1
	v_cvt_f32_u32_e32 v2, s29
	s_sub_u32 s8, 0, s29
	s_subb_u32 s9, 0, 0
	s_delay_alu instid0(VALU_DEP_1) | instskip(NEXT) | instid1(VALU_DEP_1)
	v_fmac_f32_e64 v2, 0, 0x4f800000
	v_rcp_f32_e32 v2, v2
	s_waitcnt_depctr 0xfff
	v_mul_f32_e32 v2, 0x5f7ffffc, v2
	s_delay_alu instid0(VALU_DEP_1) | instskip(NEXT) | instid1(VALU_DEP_1)
	v_mul_f32_e32 v3, 0x2f800000, v2
	v_trunc_f32_e32 v3, v3
	s_delay_alu instid0(VALU_DEP_1) | instskip(SKIP_1) | instid1(VALU_DEP_2)
	v_fmac_f32_e32 v2, 0xcf800000, v3
	v_cvt_u32_f32_e32 v3, v3
	v_cvt_u32_f32_e32 v2, v2
	s_delay_alu instid0(VALU_DEP_2) | instskip(NEXT) | instid1(VALU_DEP_2)
	v_readfirstlane_b32 s4, v3
	v_readfirstlane_b32 s5, v2
	s_delay_alu instid0(VALU_DEP_2) | instskip(NEXT) | instid1(VALU_DEP_1)
	s_mul_i32 s18, s8, s4
	s_mul_hi_u32 s46, s8, s5
	s_mul_i32 s23, s9, s5
	s_add_i32 s18, s46, s18
	s_mul_i32 s48, s8, s5
	s_add_i32 s18, s18, s23
	s_mul_hi_u32 s46, s5, s48
	s_mul_hi_u32 s56, s4, s48
	s_mul_i32 s23, s4, s48
	s_mul_hi_u32 s48, s5, s18
	s_mul_i32 s5, s5, s18
	s_mul_hi_u32 s57, s4, s18
	s_add_u32 s5, s46, s5
	s_addc_u32 s46, 0, s48
	s_add_u32 s5, s5, s23
	s_mul_i32 s18, s4, s18
	s_addc_u32 s5, s46, s56
	s_addc_u32 s23, s57, 0
	s_add_u32 s5, s5, s18
	s_addc_u32 s18, 0, s23
	v_add_co_u32 v2, s5, v2, s5
	s_delay_alu instid0(VALU_DEP_1) | instskip(SKIP_1) | instid1(VALU_DEP_1)
	s_cmp_lg_u32 s5, 0
	s_addc_u32 s4, s4, s18
	v_readfirstlane_b32 s5, v2
	s_mul_i32 s18, s8, s4
	s_delay_alu instid0(VALU_DEP_1)
	s_mul_hi_u32 s23, s8, s5
	s_mul_i32 s9, s9, s5
	s_add_i32 s18, s23, s18
	s_mul_i32 s8, s8, s5
	s_add_i32 s18, s18, s9
	s_mul_hi_u32 s23, s4, s8
	s_mul_i32 s46, s4, s8
	s_mul_hi_u32 s8, s5, s8
	s_mul_hi_u32 s48, s5, s18
	s_mul_i32 s5, s5, s18
	s_mul_hi_u32 s9, s4, s18
	s_add_u32 s5, s8, s5
	s_addc_u32 s8, 0, s48
	s_add_u32 s5, s5, s46
	s_mul_i32 s18, s4, s18
	s_addc_u32 s5, s8, s23
	s_addc_u32 s8, s9, 0
	s_add_u32 s5, s5, s18
	s_addc_u32 s8, 0, s8
	v_add_co_u32 v2, s5, v2, s5
	s_delay_alu instid0(VALU_DEP_1) | instskip(SKIP_1) | instid1(VALU_DEP_1)
	s_cmp_lg_u32 s5, 0
	s_addc_u32 s4, s4, s8
	v_readfirstlane_b32 s5, v2
	s_mul_i32 s9, s71, s4
	s_mul_hi_u32 s8, s71, s4
	s_mul_hi_u32 s18, s49, s4
	s_mul_i32 s4, s49, s4
	s_mul_hi_u32 s23, s71, s5
	s_mul_hi_u32 s46, s49, s5
	s_mul_i32 s5, s49, s5
	s_add_u32 s9, s23, s9
	s_addc_u32 s8, 0, s8
	s_add_u32 s5, s9, s5
	s_addc_u32 s5, s8, s46
	s_addc_u32 s8, s18, 0
	s_add_u32 s4, s5, s4
	s_addc_u32 s5, 0, s8
	s_mul_hi_u32 s8, s29, s4
	s_mul_i32 s4, s29, s4
	s_mul_i32 s5, s29, s5
	v_sub_co_u32 v2, s4, s71, s4
	s_add_i32 s8, s8, s5
	s_cmp_lg_u32 s4, 0
	s_delay_alu instid0(VALU_DEP_1) | instskip(SKIP_2) | instid1(VALU_DEP_1)
	v_sub_co_u32 v3, s4, v2, s29
	s_subb_u32 s5, s49, s8
	s_cmp_lg_u32 s4, 0
	v_cmp_le_u32_e32 vcc_lo, s29, v3
	v_sub_co_u32 v4, s4, v3, s29
	s_subb_u32 s8, s5, 0
	s_cmp_lg_u32 s4, 0
	v_cndmask_b32_e64 v5, 0, -1, vcc_lo
	s_subb_u32 s4, s8, 0
	s_cmp_eq_u32 s8, 0
	v_mov_b32_e32 v7, s4
	s_cselect_b32 vcc_lo, -1, 0
	s_cmp_eq_u32 s5, 0
	v_cndmask_b32_e32 v5, -1, v5, vcc_lo
	v_cmp_le_u32_e32 vcc_lo, s29, v2
	s_cselect_b32 s4, -1, 0
	v_cndmask_b32_e64 v6, 0, -1, vcc_lo
	s_delay_alu instid0(VALU_DEP_3) | instskip(NEXT) | instid1(VALU_DEP_2)
	v_cmp_ne_u32_e32 vcc_lo, 0, v5
	v_cndmask_b32_e64 v5, -1, v6, s4
	v_cndmask_b32_e32 v6, s8, v7, vcc_lo
	v_cndmask_b32_e32 v4, v3, v4, vcc_lo
	s_delay_alu instid0(VALU_DEP_3) | instskip(NEXT) | instid1(VALU_DEP_3)
	v_cmp_ne_u32_e32 vcc_lo, 0, v5
	v_cndmask_b32_e32 v3, s5, v6, vcc_lo
	s_delay_alu instid0(VALU_DEP_3)
	v_cndmask_b32_e32 v2, v2, v4, vcc_lo
	s_cbranch_execnz .LBB108_245
.LBB108_244:                            ;   in Loop: Header=BB108_12 Depth=1
	v_cvt_f32_u32_e32 v2, s29
	s_sub_i32 s4, 0, s29
	s_delay_alu instid0(VALU_DEP_1) | instskip(SKIP_2) | instid1(VALU_DEP_1)
	v_rcp_iflag_f32_e32 v2, v2
	s_waitcnt_depctr 0xfff
	v_mul_f32_e32 v2, 0x4f7ffffe, v2
	v_cvt_u32_f32_e32 v2, v2
	s_delay_alu instid0(VALU_DEP_1) | instskip(NEXT) | instid1(VALU_DEP_1)
	v_mul_lo_u32 v3, s4, v2
	v_mul_hi_u32 v3, v2, v3
	s_delay_alu instid0(VALU_DEP_1) | instskip(NEXT) | instid1(VALU_DEP_1)
	v_add_nc_u32_e32 v2, v2, v3
	v_mul_hi_u32 v2, s71, v2
	s_delay_alu instid0(VALU_DEP_1) | instskip(NEXT) | instid1(VALU_DEP_1)
	v_mul_lo_u32 v2, v2, s29
	v_sub_nc_u32_e32 v2, s71, v2
	s_delay_alu instid0(VALU_DEP_1) | instskip(SKIP_1) | instid1(VALU_DEP_2)
	v_subrev_nc_u32_e32 v3, s29, v2
	v_cmp_le_u32_e32 vcc_lo, s29, v2
	v_cndmask_b32_e32 v2, v2, v3, vcc_lo
	s_delay_alu instid0(VALU_DEP_1) | instskip(SKIP_1) | instid1(VALU_DEP_2)
	v_subrev_nc_u32_e32 v3, s29, v2
	v_cmp_le_u32_e32 vcc_lo, s29, v2
	v_cndmask_b32_e32 v12, v2, v3, vcc_lo
	s_delay_alu instid0(VALU_DEP_1)
	v_dual_mov_b32 v2, v12 :: v_dual_mov_b32 v3, v13
.LBB108_245:                            ;   in Loop: Header=BB108_12 Depth=1
	s_delay_alu instid0(VALU_DEP_1) | instskip(NEXT) | instid1(VALU_DEP_2)
	v_sub_co_u32 v2, vcc_lo, s71, v2
	v_sub_co_ci_u32_e32 v3, vcc_lo, s49, v3, vcc_lo
	s_mov_b32 s23, 0
	s_mov_b32 s5, exec_lo
                                        ; implicit-def: $vgpr35
	s_delay_alu instid0(VALU_DEP_1)
	v_cmpx_gt_u64_e64 v[2:3], v[0:1]
	s_cbranch_execz .LBB108_254
; %bb.246:                              ;   in Loop: Header=BB108_12 Depth=1
	v_dual_mov_b32 v4, v10 :: v_dual_mov_b32 v5, v11
	v_dual_mov_b32 v7, v1 :: v_dual_mov_b32 v6, v0
	s_mov_b32 s8, 0
                                        ; implicit-def: $sgpr9
	s_set_inst_prefetch_distance 0x1
	s_branch .LBB108_248
	.p2align	6
.LBB108_247:                            ;   in Loop: Header=BB108_248 Depth=2
	s_or_b32 exec_lo, exec_lo, s4
	s_waitcnt vmcnt(0) lgkmcnt(0)
	s_barrier
	buffer_gl0_inv
	ds_load_b32 v8, v13 offset:3072
	v_add_co_u32 v6, vcc_lo, v6, s29
	v_add_co_ci_u32_e32 v7, vcc_lo, 0, v7, vcc_lo
	s_waitcnt lgkmcnt(0)
	s_barrier
	buffer_gl0_inv
	v_cmp_ge_u64_e32 vcc_lo, v[6:7], v[2:3]
	v_cmp_ne_u16_e64 s4, 0, v8
	s_delay_alu instid0(VALU_DEP_1)
	s_or_b32 s18, vcc_lo, s4
	v_add_co_u32 v4, vcc_lo, v4, s42
	s_and_b32 s18, exec_lo, s18
	v_add_co_ci_u32_e32 v5, vcc_lo, s43, v5, vcc_lo
	s_or_b32 s8, s18, s8
	s_and_not1_b32 s9, s9, exec_lo
	s_and_b32 s4, s4, exec_lo
	s_delay_alu instid0(SALU_CYCLE_1)
	s_or_b32 s9, s9, s4
	s_and_not1_b32 exec_lo, exec_lo, s8
	s_cbranch_execz .LBB108_253
.LBB108_248:                            ;   Parent Loop BB108_12 Depth=1
                                        ; =>  This Inner Loop Header: Depth=2
	s_delay_alu instid0(VALU_DEP_1)
	v_cmp_gt_u64_e32 vcc_lo, s[24:25], v[6:7]
	v_mov_b32_e32 v8, 0
	s_and_saveexec_b32 s4, vcc_lo
	s_cbranch_execz .LBB108_250
; %bb.249:                              ;   in Loop: Header=BB108_248 Depth=2
	global_load_u16 v8, v[4:5], off
.LBB108_250:                            ;   in Loop: Header=BB108_248 Depth=2
	s_or_b32 exec_lo, exec_lo, s4
	s_and_saveexec_b32 s4, vcc_lo
	s_cbranch_execz .LBB108_247
; %bb.251:                              ;   in Loop: Header=BB108_248 Depth=2
	s_waitcnt vmcnt(0)
	v_bfe_i32 v9, v8, 0, 16
	s_delay_alu instid0(VALU_DEP_1) | instskip(NEXT) | instid1(VALU_DEP_1)
	v_add_nc_u32_e32 v9, 0x8000, v9
	v_and_b32_e32 v9, s88, v9
	s_delay_alu instid0(VALU_DEP_1)
	v_cmp_eq_u32_e32 vcc_lo, s87, v9
	s_and_b32 exec_lo, exec_lo, vcc_lo
	s_cbranch_execz .LBB108_247
; %bb.252:                              ;   in Loop: Header=BB108_248 Depth=2
	v_perm_b32 v8, v8, 1, 0x5040100
	ds_store_b32 v13, v8 offset:3072
	s_branch .LBB108_247
.LBB108_253:                            ;   in Loop: Header=BB108_12 Depth=1
	s_set_inst_prefetch_distance 0x2
	s_or_b32 exec_lo, exec_lo, s8
	v_lshrrev_b32_e32 v35, 16, v8
	s_and_b32 s23, s9, exec_lo
.LBB108_254:                            ;   in Loop: Header=BB108_12 Depth=1
	s_or_b32 exec_lo, exec_lo, s5
	s_mov_b32 s18, -1
	s_mov_b32 s8, 0
	s_mov_b32 s9, 0
.LBB108_255:                            ;   in Loop: Header=BB108_12 Depth=1
	s_mov_b32 s56, 0
                                        ; implicit-def: $sgpr46
                                        ; implicit-def: $sgpr4_sgpr5
	s_and_saveexec_b32 s48, s23
	s_cbranch_execz .LBB108_268
; %bb.256:                              ;   in Loop: Header=BB108_12 Depth=1
	s_xor_b32 s17, s17, -1
	s_mov_b64 s[4:5], 1
	s_and_not1_b32 vcc_lo, exec_lo, s17
	s_mov_b32 s46, 1
	s_cbranch_vccnz .LBB108_267
; %bb.257:                              ;   in Loop: Header=BB108_12 Depth=1
	v_cmp_gt_u64_e64 s4, s[40:41], s[6:7]
	s_delay_alu instid0(VALU_DEP_1)
	s_and_b32 vcc_lo, exec_lo, s4
	s_cbranch_vccnz .LBB108_263
; %bb.258:                              ;   in Loop: Header=BB108_12 Depth=1
	ds_load_b64 v[2:3], v13 offset:5120
	s_waitcnt lgkmcnt(0)
	v_cmp_ne_u64_e32 vcc_lo, 0, v[2:3]
	s_cbranch_vccnz .LBB108_262
; %bb.259:                              ;   in Loop: Header=BB108_12 Depth=1
	s_and_saveexec_b32 s4, s2
	s_cbranch_execz .LBB108_261
; %bb.260:                              ;   in Loop: Header=BB108_12 Depth=1
	v_dual_mov_b32 v2, s6 :: v_dual_mov_b32 v3, s7
	ds_store_b64 v13, v[2:3] offset:5128
.LBB108_261:                            ;   in Loop: Header=BB108_12 Depth=1
	s_or_b32 exec_lo, exec_lo, s4
	s_waitcnt lgkmcnt(0)
	s_barrier
	buffer_gl0_inv
.LBB108_262:                            ;   in Loop: Header=BB108_12 Depth=1
	s_or_b32 s17, s87, s16
	s_or_b32 s16, s88, s16
	s_mov_b32 s4, 0
	s_mov_b32 s46, 8
	s_branch .LBB108_264
.LBB108_263:                            ;   in Loop: Header=BB108_12 Depth=1
	s_mov_b32 s4, -1
                                        ; implicit-def: $sgpr46
                                        ; implicit-def: $sgpr17
                                        ; implicit-def: $sgpr16
.LBB108_264:                            ;   in Loop: Header=BB108_12 Depth=1
	s_delay_alu instid0(SALU_CYCLE_1)
	s_and_not1_b32 vcc_lo, exec_lo, s4
	s_cbranch_vccnz .LBB108_266
; %bb.265:                              ;   in Loop: Header=BB108_12 Depth=1
	s_sub_u32 s40, s40, s6
	s_subb_u32 s41, s41, s7
	s_mov_b32 s46, 8
	s_mov_b32 s17, s87
	;; [unrolled: 1-line block ×3, first 2 shown]
.LBB108_266:                            ;   in Loop: Header=BB108_12 Depth=1
	s_mov_b64 s[4:5], s[40:41]
	s_mov_b32 s87, s17
	s_mov_b32 s88, s16
.LBB108_267:                            ;   in Loop: Header=BB108_12 Depth=1
	s_mov_b32 s56, exec_lo
.LBB108_268:                            ;   in Loop: Header=BB108_12 Depth=1
	s_or_b32 exec_lo, exec_lo, s48
	s_mov_b64 s[40:41], s[4:5]
.LBB108_269:                            ;   in Loop: Header=BB108_12 Depth=1
	s_and_not1_b32 s4, s10, exec_lo
	s_and_b32 s5, s8, exec_lo
	s_and_not1_b32 s6, s11, exec_lo
	s_or_b32 s10, s4, s5
	s_and_not1_b32 s4, s21, exec_lo
	s_and_b32 s5, s18, exec_lo
	s_and_b32 s7, s9, exec_lo
	s_or_b32 s21, s4, s5
	s_or_b32 s11, s6, s7
	s_and_b32 s5, s56, exec_lo
.LBB108_270:                            ;   in Loop: Header=BB108_12 Depth=1
	s_or_b32 exec_lo, exec_lo, s22
.LBB108_271:                            ;   in Loop: Header=BB108_12 Depth=1
	s_delay_alu instid0(SALU_CYCLE_1)
	s_and_not1_b32 s4, s13, exec_lo
	s_and_b32 s6, s10, exec_lo
	s_and_not1_b32 s7, s12, exec_lo
	s_or_b32 s13, s4, s6
	s_and_not1_b32 s4, s19, exec_lo
	s_and_b32 s6, s21, exec_lo
	s_and_b32 s8, s11, exec_lo
	s_or_b32 s19, s4, s6
	s_or_b32 s12, s7, s8
	s_and_b32 s5, s5, exec_lo
.LBB108_272:                            ;   in Loop: Header=BB108_12 Depth=1
	s_or_b32 exec_lo, exec_lo, s20
	s_and_saveexec_b32 s4, s5
	s_delay_alu instid0(SALU_CYCLE_1)
	s_xor_b32 s4, exec_lo, s4
	s_cbranch_execz .LBB108_10
.LBB108_273:                            ;   in Loop: Header=BB108_12 Depth=1
	s_and_b32 s5, s46, -9
	s_delay_alu instid0(SALU_CYCLE_1)
	s_cmp_eq_u32 s5, 0
	s_cbranch_scc1 .LBB108_8
; %bb.274:                              ;   in Loop: Header=BB108_12 Depth=1
	s_mov_b32 s5, -1
	s_mov_b32 s6, -1
                                        ; implicit-def: $sgpr88
                                        ; implicit-def: $sgpr40_sgpr41
                                        ; implicit-def: $sgpr82
                                        ; implicit-def: $sgpr85
	s_branch .LBB108_9
.LBB108_275:                            ;   in Loop: Header=BB108_12 Depth=1
                                        ; implicit-def: $vgpr2_vgpr3
	s_branch .LBB108_227
.LBB108_276:                            ;   in Loop: Header=BB108_12 Depth=1
                                        ; implicit-def: $vgpr2_vgpr3
	s_branch .LBB108_244
.LBB108_277:
	s_or_b32 exec_lo, exec_lo, s78
	s_xor_b32 s4, s81, -1
	s_xor_b32 s1, s79, -1
	;; [unrolled: 1-line block ×3, first 2 shown]
	s_mov_b32 s2, 0
	s_and_saveexec_b32 s5, s1
	s_delay_alu instid0(SALU_CYCLE_1)
	s_xor_b32 s1, exec_lo, s5
	s_cbranch_execz .LBB108_291
; %bb.278:
	s_and_saveexec_b32 s2, s4
	s_delay_alu instid0(SALU_CYCLE_1)
	s_xor_b32 s2, exec_lo, s2
	s_cbranch_execz .LBB108_289
; %bb.279:
	s_and_saveexec_b32 s4, s3
	s_delay_alu instid0(SALU_CYCLE_1)
	s_xor_b32 s3, exec_lo, s4
; %bb.280:
	v_xor_b32_e32 v35, 0xffff8000, v2
; %bb.281:
	s_or_b32 exec_lo, exec_lo, s3
	s_mul_i32 s3, s39, s28
	s_mul_hi_u32 s5, s38, s28
	s_mul_i32 s4, s38, s28
	s_add_i32 s5, s5, s3
	v_mov_b32_e32 v2, 0
	s_lshl_b64 s[4:5], s[4:5], 1
	s_delay_alu instid0(SALU_CYCLE_1)
	s_add_u32 s4, s36, s4
	s_addc_u32 s5, s37, s5
	global_store_b16 v2, v35, s[4:5]
	s_and_saveexec_b32 s3, s0
	s_cbranch_execz .LBB108_288
; %bb.282:
	s_mov_b32 s4, 0
                                        ; implicit-def: $sgpr5
                                        ; implicit-def: $sgpr7
                                        ; implicit-def: $sgpr6
	s_set_inst_prefetch_distance 0x1
	s_branch .LBB108_284
	.p2align	6
.LBB108_283:                            ;   in Loop: Header=BB108_284 Depth=1
	s_or_b32 exec_lo, exec_lo, s8
	s_delay_alu instid0(SALU_CYCLE_1) | instskip(NEXT) | instid1(SALU_CYCLE_1)
	s_and_b32 s0, exec_lo, s7
	s_or_b32 s4, s0, s4
	s_and_not1_b32 s0, s5, exec_lo
	s_and_b32 s5, s6, exec_lo
	s_delay_alu instid0(SALU_CYCLE_1)
	s_or_b32 s5, s0, s5
	s_and_not1_b32 exec_lo, exec_lo, s4
	s_cbranch_execz .LBB108_286
.LBB108_284:                            ; =>This Inner Loop Header: Depth=1
	global_load_u16 v4, v[10:11], off
	v_dual_mov_b32 v3, v1 :: v_dual_mov_b32 v2, v0
	s_or_b32 s6, s6, exec_lo
	s_or_b32 s7, s7, exec_lo
	s_mov_b32 s8, exec_lo
                                        ; implicit-def: $vgpr0_vgpr1
	s_waitcnt vmcnt(0)
	v_cmpx_ne_u16_e64 v4, v35
	s_cbranch_execz .LBB108_283
; %bb.285:                              ;   in Loop: Header=BB108_284 Depth=1
	v_add_co_u32 v0, vcc_lo, v2, s29
	v_add_co_ci_u32_e32 v1, vcc_lo, 0, v3, vcc_lo
	v_add_co_u32 v10, s0, v10, s42
	s_delay_alu instid0(VALU_DEP_1) | instskip(NEXT) | instid1(VALU_DEP_3)
	v_add_co_ci_u32_e64 v11, s0, s43, v11, s0
	v_cmp_le_u64_e32 vcc_lo, s[24:25], v[0:1]
	s_and_not1_b32 s0, s7, exec_lo
	s_and_not1_b32 s6, s6, exec_lo
	s_and_b32 s7, vcc_lo, exec_lo
	s_delay_alu instid0(SALU_CYCLE_1)
	s_or_b32 s7, s0, s7
	s_branch .LBB108_283
.LBB108_286:
	s_set_inst_prefetch_distance 0x2
	s_or_b32 exec_lo, exec_lo, s4
	s_and_saveexec_b32 s0, s5
	s_delay_alu instid0(SALU_CYCLE_1)
	s_xor_b32 s0, exec_lo, s0
	s_cbranch_execz .LBB108_288
; %bb.287:
	s_mul_i32 s0, s31, s28
	s_mul_hi_u32 s5, s30, s28
	s_mul_i32 s4, s30, s28
	s_add_i32 s5, s5, s0
	v_mov_b32_e32 v0, 0
	s_lshl_b64 s[4:5], s[4:5], 3
	s_delay_alu instid0(SALU_CYCLE_1)
	s_add_u32 s4, s26, s4
	s_addc_u32 s5, s27, s5
	global_store_b64 v0, v[2:3], s[4:5]
.LBB108_288:
	s_or_b32 exec_lo, exec_lo, s3
.LBB108_289:
	s_or_saveexec_b32 s0, s2
	s_mov_b32 s2, 0
	s_xor_b32 exec_lo, exec_lo, s0
	s_cbranch_execnz .LBB108_297
.LBB108_290:
	s_or_b32 exec_lo, exec_lo, s0
	s_delay_alu instid0(SALU_CYCLE_1)
	s_and_b32 s2, s2, exec_lo
.LBB108_291:
	s_and_not1_saveexec_b32 s0, s1
	s_cbranch_execnz .LBB108_295
; %bb.292:
	s_or_b32 exec_lo, exec_lo, s0
	s_and_saveexec_b32 s0, s2
.LBB108_293:
	; divergent unreachable
.LBB108_294:
	s_nop 0
	s_sendmsg sendmsg(MSG_DEALLOC_VGPRS)
	s_endpgm
.LBB108_295:
	s_cbranch_execnz .LBB108_299
; %bb.296:
	s_or_b32 s2, s2, exec_lo
	s_or_b32 exec_lo, exec_lo, s0
	s_and_saveexec_b32 s0, s2
	s_cbranch_execnz .LBB108_293
	s_branch .LBB108_294
.LBB108_297:
	s_cbranch_execnz .LBB108_301
; %bb.298:
	s_mov_b32 s2, exec_lo
	s_branch .LBB108_290
.LBB108_299:
	s_trap 2
	s_sendmsg_rtn_b32 s0, sendmsg(MSG_RTN_GET_DOORBELL)
	s_mov_b32 ttmp2, m0
	s_waitcnt lgkmcnt(0)
	s_and_b32 s0, s0, 0x3ff
	s_delay_alu instid0(SALU_CYCLE_1) | instskip(NEXT) | instid1(SALU_CYCLE_1)
	s_bitset1_b32 s0, 10
	s_mov_b32 m0, s0
	s_sendmsg sendmsg(MSG_INTERRUPT)
	s_mov_b32 m0, ttmp2
.LBB108_300:                            ; =>This Inner Loop Header: Depth=1
	s_sethalt 5
	s_branch .LBB108_300
.LBB108_301:
	s_trap 2
	s_sendmsg_rtn_b32 s0, sendmsg(MSG_RTN_GET_DOORBELL)
	s_mov_b32 ttmp2, m0
	s_waitcnt lgkmcnt(0)
	s_and_b32 s0, s0, 0x3ff
	s_delay_alu instid0(SALU_CYCLE_1) | instskip(NEXT) | instid1(SALU_CYCLE_1)
	s_bitset1_b32 s0, 10
	s_mov_b32 m0, s0
	s_sendmsg sendmsg(MSG_INTERRUPT)
	s_mov_b32 m0, ttmp2
.LBB108_302:                            ; =>This Inner Loop Header: Depth=1
	s_sethalt 5
	s_branch .LBB108_302
	.section	.rodata,"a",@progbits
	.p2align	6, 0x0
	.amdhsa_kernel _ZN2at6native12_GLOBAL__N_112gatherMedianIsmLi1EEEvNS_4cuda6detail10TensorInfoIT_T0_EENS5_IlS7_EENS5_IKS6_S7_EES7_S7_S7_b
		.amdhsa_group_segment_fixed_size 5152
		.amdhsa_private_segment_fixed_size 0
		.amdhsa_kernarg_size 1536
		.amdhsa_user_sgpr_count 13
		.amdhsa_user_sgpr_dispatch_ptr 0
		.amdhsa_user_sgpr_queue_ptr 0
		.amdhsa_user_sgpr_kernarg_segment_ptr 1
		.amdhsa_user_sgpr_dispatch_id 0
		.amdhsa_user_sgpr_private_segment_size 0
		.amdhsa_wavefront_size32 1
		.amdhsa_uses_dynamic_stack 0
		.amdhsa_enable_private_segment 0
		.amdhsa_system_sgpr_workgroup_id_x 1
		.amdhsa_system_sgpr_workgroup_id_y 1
		.amdhsa_system_sgpr_workgroup_id_z 1
		.amdhsa_system_sgpr_workgroup_info 0
		.amdhsa_system_vgpr_workitem_id 0
		.amdhsa_next_free_vgpr 40
		.amdhsa_next_free_sgpr 93
		.amdhsa_reserve_vcc 1
		.amdhsa_float_round_mode_32 0
		.amdhsa_float_round_mode_16_64 0
		.amdhsa_float_denorm_mode_32 3
		.amdhsa_float_denorm_mode_16_64 3
		.amdhsa_dx10_clamp 1
		.amdhsa_ieee_mode 1
		.amdhsa_fp16_overflow 0
		.amdhsa_workgroup_processor_mode 1
		.amdhsa_memory_ordered 1
		.amdhsa_forward_progress 0
		.amdhsa_shared_vgpr_count 0
		.amdhsa_exception_fp_ieee_invalid_op 0
		.amdhsa_exception_fp_denorm_src 0
		.amdhsa_exception_fp_ieee_div_zero 0
		.amdhsa_exception_fp_ieee_overflow 0
		.amdhsa_exception_fp_ieee_underflow 0
		.amdhsa_exception_fp_ieee_inexact 0
		.amdhsa_exception_int_div_zero 0
	.end_amdhsa_kernel
	.section	.text._ZN2at6native12_GLOBAL__N_112gatherMedianIsmLi1EEEvNS_4cuda6detail10TensorInfoIT_T0_EENS5_IlS7_EENS5_IKS6_S7_EES7_S7_S7_b,"axG",@progbits,_ZN2at6native12_GLOBAL__N_112gatherMedianIsmLi1EEEvNS_4cuda6detail10TensorInfoIT_T0_EENS5_IlS7_EENS5_IKS6_S7_EES7_S7_S7_b,comdat
.Lfunc_end108:
	.size	_ZN2at6native12_GLOBAL__N_112gatherMedianIsmLi1EEEvNS_4cuda6detail10TensorInfoIT_T0_EENS5_IlS7_EENS5_IKS6_S7_EES7_S7_S7_b, .Lfunc_end108-_ZN2at6native12_GLOBAL__N_112gatherMedianIsmLi1EEEvNS_4cuda6detail10TensorInfoIT_T0_EENS5_IlS7_EENS5_IKS6_S7_EES7_S7_S7_b
                                        ; -- End function
	.section	.AMDGPU.csdata,"",@progbits
; Kernel info:
; codeLenInByte = 16536
; NumSgprs: 95
; NumVgprs: 40
; ScratchSize: 0
; MemoryBound: 0
; FloatMode: 240
; IeeeMode: 1
; LDSByteSize: 5152 bytes/workgroup (compile time only)
; SGPRBlocks: 11
; VGPRBlocks: 4
; NumSGPRsForWavesPerEU: 95
; NumVGPRsForWavesPerEU: 40
; Occupancy: 16
; WaveLimiterHint : 1
; COMPUTE_PGM_RSRC2:SCRATCH_EN: 0
; COMPUTE_PGM_RSRC2:USER_SGPR: 13
; COMPUTE_PGM_RSRC2:TRAP_HANDLER: 0
; COMPUTE_PGM_RSRC2:TGID_X_EN: 1
; COMPUTE_PGM_RSRC2:TGID_Y_EN: 1
; COMPUTE_PGM_RSRC2:TGID_Z_EN: 1
; COMPUTE_PGM_RSRC2:TIDIG_COMP_CNT: 0
	.section	.text._ZN2at6native12_GLOBAL__N_112gatherMedianIsmLi2EEEvNS_4cuda6detail10TensorInfoIT_T0_EENS5_IlS7_EENS5_IKS6_S7_EES7_S7_S7_b,"axG",@progbits,_ZN2at6native12_GLOBAL__N_112gatherMedianIsmLi2EEEvNS_4cuda6detail10TensorInfoIT_T0_EENS5_IlS7_EENS5_IKS6_S7_EES7_S7_S7_b,comdat
	.globl	_ZN2at6native12_GLOBAL__N_112gatherMedianIsmLi2EEEvNS_4cuda6detail10TensorInfoIT_T0_EENS5_IlS7_EENS5_IKS6_S7_EES7_S7_S7_b ; -- Begin function _ZN2at6native12_GLOBAL__N_112gatherMedianIsmLi2EEEvNS_4cuda6detail10TensorInfoIT_T0_EENS5_IlS7_EENS5_IKS6_S7_EES7_S7_S7_b
	.p2align	8
	.type	_ZN2at6native12_GLOBAL__N_112gatherMedianIsmLi2EEEvNS_4cuda6detail10TensorInfoIT_T0_EENS5_IlS7_EENS5_IKS6_S7_EES7_S7_S7_b,@function
_ZN2at6native12_GLOBAL__N_112gatherMedianIsmLi2EEEvNS_4cuda6detail10TensorInfoIT_T0_EENS5_IlS7_EENS5_IKS6_S7_EES7_S7_S7_b: ; @_ZN2at6native12_GLOBAL__N_112gatherMedianIsmLi2EEEvNS_4cuda6detail10TensorInfoIT_T0_EENS5_IlS7_EENS5_IKS6_S7_EES7_S7_S7_b
; %bb.0:
	s_clause 0x1
	s_load_b64 s[8:9], s[0:1], 0x500
	s_load_b128 s[24:27], s[0:1], 0x4e0
	s_add_u32 s10, s0, 0x500
	s_addc_u32 s11, s1, 0
	s_mov_b32 s35, 0
	s_waitcnt lgkmcnt(0)
	s_mul_i32 s2, s9, s15
	s_delay_alu instid0(SALU_CYCLE_1) | instskip(NEXT) | instid1(SALU_CYCLE_1)
	s_add_i32 s2, s2, s14
	s_mul_i32 s2, s2, s8
	s_delay_alu instid0(SALU_CYCLE_1) | instskip(NEXT) | instid1(SALU_CYCLE_1)
	s_add_i32 s34, s2, s13
	v_cmp_ge_u64_e64 s2, s[34:35], s[26:27]
	s_delay_alu instid0(VALU_DEP_1)
	s_and_b32 vcc_lo, exec_lo, s2
	s_cbranch_vccnz .LBB109_300
; %bb.1:
	s_clause 0x2
	s_load_b64 s[44:45], s[0:1], 0x10
	s_load_b64 s[14:15], s[0:1], 0x350
	;; [unrolled: 1-line block ×3, first 2 shown]
	s_mov_b64 s[40:41], 0
	s_mov_b64 s[46:47], 0
	s_waitcnt lgkmcnt(0)
	v_cmp_lt_u64_e64 s2, s[34:35], s[44:45]
	s_delay_alu instid0(VALU_DEP_1)
	s_and_b32 vcc_lo, exec_lo, s2
	s_cbranch_vccz .LBB109_289
; %bb.2:
	s_load_b64 s[42:43], s[0:1], 0x4f0
	v_cmp_lt_u64_e64 s2, s[34:35], s[26:27]
	s_delay_alu instid0(VALU_DEP_1)
	s_and_b32 vcc_lo, exec_lo, s2
	s_cbranch_vccz .LBB109_290
.LBB109_3:
	v_cmp_lt_u64_e64 s2, s[34:35], s[14:15]
	s_mov_b64 s[16:17], 0
	s_delay_alu instid0(VALU_DEP_1)
	s_and_b32 vcc_lo, exec_lo, s2
	s_cbranch_vccz .LBB109_291
.LBB109_4:
	v_cmp_eq_u32_e64 s2, 0, v0
	s_delay_alu instid0(VALU_DEP_1)
	s_and_saveexec_b32 s3, s2
	s_cbranch_execz .LBB109_6
.LBB109_5:
	v_mov_b32_e32 v1, 0
	s_waitcnt_depctr 0xfff
	v_mov_b32_e32 v2, v1
	ds_store_b64 v1, v[1:2] offset:5136
.LBB109_6:
	s_or_b32 exec_lo, exec_lo, s3
	v_mov_b32_e32 v1, 0
	s_waitcnt lgkmcnt(0)
	s_barrier
	buffer_gl0_inv
	s_barrier
	buffer_gl0_inv
	ds_load_b64 v[1:2], v1 offset:5136
	s_clause 0x1
	s_load_b32 s3, s[0:1], 0x4f8
	s_load_b64 s[18:19], s[0:1], 0x340
	s_mov_b64 s[52:53], s[24:25]
	s_waitcnt lgkmcnt(0)
	v_readfirstlane_b32 s4, v1
	v_readfirstlane_b32 s5, v2
	s_bitcmp1_b32 s3, 0
	s_cselect_b32 s3, -1, 0
	s_delay_alu instid0(VALU_DEP_1) | instskip(NEXT) | instid1(VALU_DEP_1)
	v_cmp_lt_i64_e64 s6, s[4:5], 1
	s_or_b32 s3, s3, s6
	s_delay_alu instid0(SALU_CYCLE_1)
	s_and_not1_b32 vcc_lo, exec_lo, s3
	s_cbranch_vccnz .LBB109_8
; %bb.7:
	s_not_b64 s[4:5], s[4:5]
	s_delay_alu instid0(SALU_CYCLE_1) | instskip(SKIP_1) | instid1(SALU_CYCLE_1)
	s_add_u32 s4, s4, s24
	s_addc_u32 s5, s5, s25
	s_lshr_b64 s[4:5], s[4:5], 1
	s_delay_alu instid0(SALU_CYCLE_1)
	s_add_u32 s52, s4, 1
	s_addc_u32 s53, s5, 0
.LBB109_8:
	s_clause 0x2
	s_load_b64 s[48:49], s[0:1], 0x1a0
	s_load_b64 s[50:51], s[0:1], 0x0
	s_load_b128 s[4:7], s[0:1], 0x410
	s_and_saveexec_b32 s3, s2
	s_cbranch_execz .LBB109_10
; %bb.9:
	v_dual_mov_b32 v1, 0 :: v_dual_mov_b32 v4, s25
	s_delay_alu instid0(VALU_DEP_1)
	v_dual_mov_b32 v3, s24 :: v_dual_mov_b32 v2, v1
	ds_store_b32 v1, v1 offset:5144
	ds_store_b128 v1, v[1:4] offset:5120
.LBB109_10:
	s_or_b32 exec_lo, exec_lo, s3
	s_mul_i32 s3, s16, s15
	s_mul_hi_u32 s9, s16, s14
	s_mul_i32 s12, s16, s14
	s_add_i32 s9, s9, s3
	s_sub_u32 s3, s34, s12
	s_clause 0x1
	s_load_b128 s[28:31], s[0:1], 0x270
	s_load_b128 s[36:39], s[0:1], 0xd0
	s_waitcnt lgkmcnt(0)
	s_mul_i32 s0, s3, s7
	s_mul_hi_u32 s1, s3, s6
	s_subb_u32 s7, 0, s9
	s_add_i32 s9, s1, s0
	s_mul_i32 s0, s16, s5
	s_mul_hi_u32 s1, s16, s4
	s_mul_i32 s7, s7, s6
	s_add_i32 s1, s1, s0
	s_mul_i32 s0, s16, s4
	v_mad_u64_u32 v[2:3], null, v0, s42, 0
	s_lshl_b64 s[0:1], s[0:1], 1
	s_add_i32 s5, s9, s7
	s_mul_i32 s4, s3, s6
	s_add_u32 s3, s18, s0
	s_addc_u32 s6, s19, s1
	s_lshl_b64 s[0:1], s[4:5], 1
	s_barrier
	buffer_gl0_inv
	s_load_b32 s4, s[10:11], 0xc
	v_mad_u64_u32 v[4:5], null, v0, s43, v[3:4]
	v_mbcnt_lo_u32_b32 v20, -1, 0
	s_add_u32 s33, s3, s0
	v_cmp_gt_u32_e32 vcc_lo, 32, v0
	s_addc_u32 s35, s6, s1
	v_lshlrev_b32_e32 v21, 1, v0
	v_cmp_gt_i32_e64 s3, 4, v20
	v_mov_b32_e32 v3, v4
	v_mov_b32_e32 v11, 0
	v_cmp_lt_u64_e64 s70, 0x600, s[24:25]
	v_add_nc_u32_e32 v22, 0xc00, v21
	s_and_b32 s47, vcc_lo, s3
	v_lshlrev_b64 v[2:3], 1, v[2:3]
	v_dual_mov_b32 v1, v11 :: v_dual_lshlrev_b32 v14, 2, v0
	v_cmp_eq_u32_e64 s1, 0, v20
	v_cmp_gt_u32_e64 s3, 2, v0
	v_mov_b32_e32 v15, v11
	s_waitcnt lgkmcnt(0)
	s_and_b32 s41, s4, 0xffff
	s_bfe_u32 s5, s4, 0xb0005
	s_add_u32 s71, s41, -1
	s_addc_u32 s72, 0, -1
	v_add_co_u32 v12, vcc_lo, s33, v2
	v_lshrrev_b32_e32 v2, 3, v0
	s_add_u32 s73, s71, s24
	s_addc_u32 s57, s72, s25
	s_cmp_lt_u32 s13, s8
	v_add_co_ci_u32_e32 v13, vcc_lo, s35, v3, vcc_lo
	s_cselect_b32 s6, 12, 18
	v_and_b32_e32 v23, 0x7c, v2
	v_lshlrev_b64 v[2:3], v20, -1
	s_add_u32 s58, s10, s6
	s_addc_u32 s59, s11, 0
	s_add_i32 s6, s5, -1
	s_bfe_u32 s74, s41, 0x30005
	s_cmp_gt_u32 s6, 6
	v_cmp_gt_u64_e64 s0, s[24:25], v[0:1]
	v_not_b32_e32 v24, v2
	s_cselect_b32 s75, -1, 0
	s_and_b32 s76, s5, 0x7f8
	v_cmp_gt_u16_e64 s77, s4, 31
	v_lshlrev_b32_e32 v25, 3, v0
	v_lshl_or_b32 v26, v20, 3, 0xc00
	v_mov_b32_e32 v27, 0
	s_cmp_lg_u32 s74, 0
	s_mov_b32 s55, 0
	s_cselect_b32 s78, -1, 0
	s_lshl_b32 s79, s41, 1
	s_mov_b32 s84, 14
	s_mov_b32 s80, 0
	;; [unrolled: 1-line block ×5, first 2 shown]
                                        ; implicit-def: $sgpr81
                                        ; implicit-def: $sgpr83
                                        ; implicit-def: $sgpr82
                                        ; implicit-def: $sgpr86
                                        ; implicit-def: $sgpr88
                                        ; implicit-def: $sgpr85
	s_branch .LBB109_15
.LBB109_11:                             ;   in Loop: Header=BB109_15 Depth=1
	s_xor_b32 s87, s87, 1
	s_add_i32 s7, s84, -2
	s_cmp_eq_u32 s84, 0
	s_mov_b32 s5, 0
	s_cselect_b32 s6, -1, 0
	s_mov_b32 s84, s7
.LBB109_12:                             ;   in Loop: Header=BB109_15 Depth=1
	s_and_not1_b32 s7, s13, exec_lo
	s_and_b32 s5, s5, exec_lo
	s_and_not1_b32 s19, s19, exec_lo
	s_or_b32 s13, s7, s5
	s_and_not1_b32 s12, s12, exec_lo
	s_or_not1_b32 s15, s6, exec_lo
.LBB109_13:                             ;   in Loop: Header=BB109_15 Depth=1
	s_or_b32 exec_lo, exec_lo, s4
	s_delay_alu instid0(SALU_CYCLE_1)
	s_and_not1_b32 s4, s85, exec_lo
	s_and_b32 s5, s13, exec_lo
	s_and_not1_b32 s6, s86, exec_lo
	s_or_b32 s85, s4, s5
	s_and_not1_b32 s4, s88, exec_lo
	s_and_b32 s5, s19, exec_lo
	s_and_b32 s7, s12, exec_lo
	s_or_b32 s88, s4, s5
	s_or_b32 s86, s6, s7
	s_or_not1_b32 s19, s15, exec_lo
.LBB109_14:                             ;   in Loop: Header=BB109_15 Depth=1
	s_or_b32 exec_lo, exec_lo, s14
	s_delay_alu instid0(SALU_CYCLE_1)
	s_and_b32 s4, exec_lo, s19
	v_mov_b32_e32 v2, s89
	s_or_b32 s80, s4, s80
	s_and_not1_b32 s4, s82, exec_lo
	s_and_b32 s5, s85, exec_lo
	s_and_not1_b32 s6, s81, exec_lo
	s_or_b32 s82, s4, s5
	s_and_not1_b32 s4, s83, exec_lo
	s_and_b32 s5, s88, exec_lo
	s_and_b32 s7, s86, exec_lo
	s_or_b32 s83, s4, s5
	s_or_b32 s81, s6, s7
	s_and_not1_b32 exec_lo, exec_lo, s80
	s_cbranch_execz .LBB109_280
.LBB109_15:                             ; =>This Loop Header: Depth=1
                                        ;     Child Loop BB109_20 Depth 2
                                        ;     Child Loop BB109_38 Depth 2
	;; [unrolled: 1-line block ×16, first 2 shown]
	ds_load_b128 v[2:5], v11 offset:5120
	s_waitcnt lgkmcnt(0)
	v_readfirstlane_b32 s61, v3
	v_readfirstlane_b32 s60, v2
	s_delay_alu instid0(VALU_DEP_1)
	s_cmp_lg_u64 s[60:61], 0
	s_cbranch_scc1 .LBB109_45
; %bb.16:                               ;   in Loop: Header=BB109_15 Depth=1
	s_and_b32 vcc_lo, exec_lo, s70
	s_cbranch_vccz .LBB109_28
; %bb.17:                               ;   in Loop: Header=BB109_15 Depth=1
	v_cmp_gt_u64_e32 vcc_lo, 0x601, v[4:5]
	s_mov_b32 s6, 0
	s_mov_b32 s4, 0
	s_cbranch_vccz .LBB109_29
; %bb.18:                               ;   in Loop: Header=BB109_15 Depth=1
	global_load_u16 v2, v11, s[58:59]
	global_load_u16 v5, v[12:13], off
	s_mov_b32 s7, 0
	s_waitcnt vmcnt(1)
	v_dual_mov_b32 v3, v1 :: v_dual_and_b32 v4, 0xffff, v2
	v_mov_b32_e32 v2, v0
	s_branch .LBB109_20
.LBB109_19:                             ;   in Loop: Header=BB109_20 Depth=2
	s_or_b32 exec_lo, exec_lo, s5
	v_mov_b32_e32 v5, v6
	s_and_not1_b32 exec_lo, exec_lo, s7
	s_cbranch_execz .LBB109_30
.LBB109_20:                             ;   Parent Loop BB109_15 Depth=1
                                        ; =>  This Inner Loop Header: Depth=2
	s_delay_alu instid0(VALU_DEP_1) | instskip(NEXT) | instid1(VALU_DEP_3)
	v_add_co_u32 v2, vcc_lo, v2, v4
	v_add_co_ci_u32_e32 v3, vcc_lo, 0, v3, vcc_lo
	s_waitcnt lgkmcnt(0)
	v_dual_mov_b32 v7, 0 :: v_dual_mov_b32 v6, 0
	s_mov_b32 s5, exec_lo
	s_delay_alu instid0(VALU_DEP_2)
	v_cmp_le_u64_e32 vcc_lo, s[24:25], v[2:3]
	v_cmpx_gt_u64_e64 s[24:25], v[2:3]
	s_cbranch_execz .LBB109_22
; %bb.21:                               ;   in Loop: Header=BB109_20 Depth=2
	v_mul_lo_u32 v6, v3, s42
	v_mul_lo_u32 v10, v2, s43
	v_mad_u64_u32 v[8:9], null, v2, s42, 0
	s_delay_alu instid0(VALU_DEP_1) | instskip(NEXT) | instid1(VALU_DEP_1)
	v_add3_u32 v9, v9, v10, v6
	v_lshlrev_b64 v[8:9], 1, v[8:9]
	s_delay_alu instid0(VALU_DEP_1) | instskip(NEXT) | instid1(VALU_DEP_1)
	v_add_co_u32 v8, s4, s33, v8
	v_add_co_ci_u32_e64 v9, s4, s35, v9, s4
	global_load_u16 v6, v[8:9], off
.LBB109_22:                             ;   in Loop: Header=BB109_20 Depth=2
	s_or_b32 exec_lo, exec_lo, s5
	s_waitcnt vmcnt(0)
	v_bfe_i32 v8, v5, 0, 16
	s_delay_alu instid0(VALU_DEP_1) | instskip(NEXT) | instid1(VALU_DEP_1)
	v_add_nc_u32_e32 v8, 0x8000, v8
	v_and_b32_e32 v8, s90, v8
	s_delay_alu instid0(VALU_DEP_1) | instskip(NEXT) | instid1(VALU_DEP_1)
	v_cmp_eq_u32_e64 s4, s89, v8
	s_cmp_lg_u32 s4, 0
	s_cselect_b32 s5, -1, 0
	s_delay_alu instid0(SALU_CYCLE_1) | instskip(NEXT) | instid1(SALU_CYCLE_1)
	s_and_b32 s5, s1, s5
	s_and_saveexec_b32 s8, s5
	s_cbranch_execz .LBB109_26
; %bb.23:                               ;   in Loop: Header=BB109_20 Depth=2
	s_mov_b32 s11, exec_lo
	s_bcnt1_i32_b32 s9, s4
	v_mbcnt_lo_u32_b32 v7, s11, 0
	s_mov_b32 s10, exec_lo
                                        ; implicit-def: $vgpr8
	s_delay_alu instid0(VALU_DEP_1)
	v_cmpx_eq_u32_e32 0, v7
	s_cbranch_execz .LBB109_25
; %bb.24:                               ;   in Loop: Header=BB109_20 Depth=2
	s_bcnt1_i32_b32 s5, s11
	s_delay_alu instid0(SALU_CYCLE_1) | instskip(NEXT) | instid1(SALU_CYCLE_1)
	s_mul_i32 s5, s9, s5
	v_mov_b32_e32 v8, s5
	ds_add_rtn_u32 v8, v11, v8 offset:5144
.LBB109_25:                             ;   in Loop: Header=BB109_20 Depth=2
	s_or_b32 exec_lo, exec_lo, s10
	s_waitcnt lgkmcnt(0)
	v_readfirstlane_b32 s5, v8
	s_delay_alu instid0(VALU_DEP_1)
	v_mad_u32_u24 v7, s9, v7, s5
.LBB109_26:                             ;   in Loop: Header=BB109_20 Depth=2
	s_or_b32 exec_lo, exec_lo, s8
	ds_bpermute_b32 v7, v11, v7
	s_and_b32 s5, exec_lo, vcc_lo
	s_delay_alu instid0(SALU_CYCLE_1)
	s_or_b32 s7, s5, s7
	s_and_saveexec_b32 s5, s4
	s_cbranch_execz .LBB109_19
; %bb.27:                               ;   in Loop: Header=BB109_20 Depth=2
	v_and_b32_e32 v8, s4, v24
	s_delay_alu instid0(VALU_DEP_1) | instskip(NEXT) | instid1(VALU_DEP_1)
	v_bcnt_u32_b32 v8, v8, 0
	v_lshlrev_b32_e32 v8, 1, v8
	s_waitcnt lgkmcnt(0)
	s_delay_alu instid0(VALU_DEP_1)
	v_lshl_add_u32 v7, v7, 1, v8
	ds_store_b16 v7, v5
	s_branch .LBB109_19
.LBB109_28:                             ;   in Loop: Header=BB109_15 Depth=1
	s_mov_b32 s4, 0
                                        ; implicit-def: $sgpr60_sgpr61
	s_cbranch_execnz .LBB109_33
	s_branch .LBB109_43
.LBB109_29:                             ;   in Loop: Header=BB109_15 Depth=1
	s_mov_b64 s[60:61], 0
	s_and_b32 vcc_lo, exec_lo, s6
	s_cbranch_vccnz .LBB109_33
	s_branch .LBB109_43
.LBB109_30:                             ;   in Loop: Header=BB109_15 Depth=1
	s_or_b32 exec_lo, exec_lo, s7
	s_waitcnt lgkmcnt(0)
	s_barrier
	buffer_gl0_inv
	s_and_saveexec_b32 s4, s2
	s_cbranch_execz .LBB109_32
; %bb.31:                               ;   in Loop: Header=BB109_15 Depth=1
	ds_load_b32 v2, v11 offset:5144
	s_waitcnt lgkmcnt(0)
	v_ashrrev_i32_e32 v3, 31, v2
	ds_store_b64 v11, v[2:3] offset:5120
.LBB109_32:                             ;   in Loop: Header=BB109_15 Depth=1
	s_or_b32 exec_lo, exec_lo, s4
	s_waitcnt lgkmcnt(0)
	s_mov_b32 s4, -1
	s_barrier
	s_mov_b64 s[60:61], 0
	s_and_b32 vcc_lo, exec_lo, s6
	s_cbranch_vccz .LBB109_43
.LBB109_33:                             ;   in Loop: Header=BB109_15 Depth=1
	v_mov_b32_e32 v4, 0
	s_and_saveexec_b32 s4, s0
	s_cbranch_execz .LBB109_35
; %bb.34:                               ;   in Loop: Header=BB109_15 Depth=1
	global_load_u16 v4, v[12:13], off
.LBB109_35:                             ;   in Loop: Header=BB109_15 Depth=1
	s_or_b32 exec_lo, exec_lo, s4
	s_and_saveexec_b32 s5, s0
	s_cbranch_execz .LBB109_40
; %bb.36:                               ;   in Loop: Header=BB109_15 Depth=1
	global_load_u16 v2, v11, s[58:59]
	s_mov_b32 s6, 0
	s_waitcnt vmcnt(0)
	v_dual_mov_b32 v6, v21 :: v_dual_and_b32 v5, 0xffff, v2
	v_dual_mov_b32 v3, v1 :: v_dual_mov_b32 v2, v0
	s_delay_alu instid0(VALU_DEP_2)
	v_lshlrev_b32_e32 v7, 1, v5
	s_set_inst_prefetch_distance 0x1
	s_branch .LBB109_38
	.p2align	6
.LBB109_37:                             ;   in Loop: Header=BB109_38 Depth=2
	s_or_b32 exec_lo, exec_lo, s7
	ds_store_b16 v6, v4
	v_add_nc_u32_e32 v6, v6, v7
	s_waitcnt vmcnt(0)
	v_mov_b32_e32 v4, v8
	s_and_b32 s4, exec_lo, vcc_lo
	s_delay_alu instid0(SALU_CYCLE_1) | instskip(NEXT) | instid1(SALU_CYCLE_1)
	s_or_b32 s6, s4, s6
	s_and_not1_b32 exec_lo, exec_lo, s6
	s_cbranch_execz .LBB109_40
.LBB109_38:                             ;   Parent Loop BB109_15 Depth=1
                                        ; =>  This Inner Loop Header: Depth=2
	s_delay_alu instid0(VALU_DEP_2) | instskip(SKIP_3) | instid1(VALU_DEP_2)
	v_add_co_u32 v2, vcc_lo, v2, v5
	v_add_co_ci_u32_e32 v3, vcc_lo, 0, v3, vcc_lo
	v_mov_b32_e32 v8, 0
	s_mov_b32 s7, exec_lo
	v_cmp_le_u64_e32 vcc_lo, s[24:25], v[2:3]
	v_cmpx_gt_u64_e64 s[24:25], v[2:3]
	s_cbranch_execz .LBB109_37
; %bb.39:                               ;   in Loop: Header=BB109_38 Depth=2
	v_mul_lo_u32 v10, v3, s42
	v_mul_lo_u32 v16, v2, s43
	v_mad_u64_u32 v[8:9], null, v2, s42, 0
	s_delay_alu instid0(VALU_DEP_1) | instskip(NEXT) | instid1(VALU_DEP_1)
	v_add3_u32 v9, v9, v16, v10
	v_lshlrev_b64 v[8:9], 1, v[8:9]
	s_delay_alu instid0(VALU_DEP_1) | instskip(NEXT) | instid1(VALU_DEP_1)
	v_add_co_u32 v8, s4, s33, v8
	v_add_co_ci_u32_e64 v9, s4, s35, v9, s4
	global_load_u16 v8, v[8:9], off
	s_branch .LBB109_37
.LBB109_40:                             ;   in Loop: Header=BB109_15 Depth=1
	s_set_inst_prefetch_distance 0x2
	s_or_b32 exec_lo, exec_lo, s5
	s_waitcnt vmcnt(0) lgkmcnt(0)
	s_barrier
	buffer_gl0_inv
	s_and_saveexec_b32 s4, s2
	s_cbranch_execz .LBB109_42
; %bb.41:                               ;   in Loop: Header=BB109_15 Depth=1
	v_dual_mov_b32 v2, s24 :: v_dual_mov_b32 v3, s25
	ds_store_b64 v11, v[2:3] offset:5120
.LBB109_42:                             ;   in Loop: Header=BB109_15 Depth=1
	s_or_b32 exec_lo, exec_lo, s4
	s_mov_b32 s4, -1
	s_waitcnt lgkmcnt(0)
	s_barrier
                                        ; implicit-def: $sgpr60_sgpr61
.LBB109_43:                             ;   in Loop: Header=BB109_15 Depth=1
	s_and_b32 vcc_lo, exec_lo, s4
	s_cbranch_vccz .LBB109_45
; %bb.44:                               ;   in Loop: Header=BB109_15 Depth=1
	buffer_gl0_inv
	ds_load_b64 v[2:3], v11 offset:5120
	s_waitcnt lgkmcnt(0)
	v_readfirstlane_b32 s60, v2
.LBB109_45:                             ;   in Loop: Header=BB109_15 Depth=1
	s_delay_alu instid0(VALU_DEP_1)
	s_cmp_lt_i32 s60, 1
	s_cbranch_scc0 .LBB109_60
; %bb.46:                               ;   in Loop: Header=BB109_15 Depth=1
	global_load_u16 v28, v11, s[58:59]
	s_mov_b32 s5, s25
	s_waitcnt vmcnt(0)
	v_readfirstlane_b32 s4, v28
	s_delay_alu instid0(VALU_DEP_1)
	s_and_b32 s6, 0xffff, s4
	s_mov_b32 s4, s55
	s_lshl_b32 s54, s6, 2
	s_cmp_lg_u64 s[4:5], 0
	s_cbranch_scc0 .LBB109_80
; %bb.47:                               ;   in Loop: Header=BB109_15 Depth=1
	v_cvt_f32_u32_e32 v2, s54
	s_sub_u32 s6, 0, s54
	s_subb_u32 s7, 0, 0
	s_delay_alu instid0(VALU_DEP_1) | instskip(NEXT) | instid1(VALU_DEP_1)
	v_fmac_f32_e64 v2, 0, 0x4f800000
	v_rcp_f32_e32 v2, v2
	s_waitcnt_depctr 0xfff
	v_mul_f32_e32 v2, 0x5f7ffffc, v2
	s_delay_alu instid0(VALU_DEP_1) | instskip(NEXT) | instid1(VALU_DEP_1)
	v_mul_f32_e32 v3, 0x2f800000, v2
	v_trunc_f32_e32 v3, v3
	s_delay_alu instid0(VALU_DEP_1) | instskip(SKIP_1) | instid1(VALU_DEP_2)
	v_fmac_f32_e32 v2, 0xcf800000, v3
	v_cvt_u32_f32_e32 v3, v3
	v_cvt_u32_f32_e32 v2, v2
	s_delay_alu instid0(VALU_DEP_2) | instskip(NEXT) | instid1(VALU_DEP_2)
	v_readfirstlane_b32 s4, v3
	v_readfirstlane_b32 s5, v2
	s_delay_alu instid0(VALU_DEP_2) | instskip(NEXT) | instid1(VALU_DEP_1)
	s_mul_i32 s8, s6, s4
	s_mul_hi_u32 s10, s6, s5
	s_mul_i32 s9, s7, s5
	s_add_i32 s8, s10, s8
	s_mul_i32 s11, s6, s5
	s_add_i32 s8, s8, s9
	s_mul_hi_u32 s10, s5, s11
	s_mul_hi_u32 s12, s4, s11
	s_mul_i32 s9, s4, s11
	s_mul_hi_u32 s11, s5, s8
	s_mul_i32 s5, s5, s8
	s_mul_hi_u32 s13, s4, s8
	s_add_u32 s5, s10, s5
	s_addc_u32 s10, 0, s11
	s_add_u32 s5, s5, s9
	s_mul_i32 s8, s4, s8
	s_addc_u32 s5, s10, s12
	s_addc_u32 s9, s13, 0
	s_add_u32 s5, s5, s8
	s_addc_u32 s8, 0, s9
	v_add_co_u32 v2, s5, v2, s5
	s_delay_alu instid0(VALU_DEP_1) | instskip(SKIP_1) | instid1(VALU_DEP_1)
	s_cmp_lg_u32 s5, 0
	s_addc_u32 s4, s4, s8
	v_readfirstlane_b32 s5, v2
	s_mul_i32 s8, s6, s4
	s_delay_alu instid0(VALU_DEP_1)
	s_mul_hi_u32 s9, s6, s5
	s_mul_i32 s7, s7, s5
	s_add_i32 s8, s9, s8
	s_mul_i32 s6, s6, s5
	s_add_i32 s8, s8, s7
	s_mul_hi_u32 s9, s4, s6
	s_mul_i32 s10, s4, s6
	s_mul_hi_u32 s6, s5, s6
	s_mul_hi_u32 s11, s5, s8
	s_mul_i32 s5, s5, s8
	s_mul_hi_u32 s7, s4, s8
	s_add_u32 s5, s6, s5
	s_addc_u32 s6, 0, s11
	s_add_u32 s5, s5, s10
	s_mul_i32 s8, s4, s8
	s_addc_u32 s5, s6, s9
	s_addc_u32 s6, s7, 0
	s_add_u32 s5, s5, s8
	s_addc_u32 s6, 0, s6
	v_add_co_u32 v2, s5, v2, s5
	s_delay_alu instid0(VALU_DEP_1) | instskip(SKIP_1) | instid1(VALU_DEP_1)
	s_cmp_lg_u32 s5, 0
	s_addc_u32 s4, s4, s6
	v_readfirstlane_b32 s5, v2
	s_mul_i32 s7, s24, s4
	s_mul_hi_u32 s6, s24, s4
	s_mul_hi_u32 s8, s25, s4
	s_mul_i32 s4, s25, s4
	s_mul_hi_u32 s9, s24, s5
	s_mul_hi_u32 s10, s25, s5
	s_mul_i32 s5, s25, s5
	s_add_u32 s7, s9, s7
	s_addc_u32 s6, 0, s6
	s_add_u32 s5, s7, s5
	s_addc_u32 s5, s6, s10
	s_addc_u32 s6, s8, 0
	s_add_u32 s4, s5, s4
	s_addc_u32 s5, 0, s6
	s_mul_hi_u32 s6, s54, s4
	s_mul_i32 s4, s54, s4
	s_mul_i32 s5, s54, s5
	v_sub_co_u32 v2, s4, s24, s4
	s_add_i32 s6, s6, s5
	s_cmp_lg_u32 s4, 0
	s_delay_alu instid0(VALU_DEP_1) | instskip(SKIP_2) | instid1(VALU_DEP_1)
	v_sub_co_u32 v3, s4, v2, s54
	s_subb_u32 s5, s25, s6
	s_cmp_lg_u32 s4, 0
	v_cmp_le_u32_e32 vcc_lo, s54, v3
	v_sub_co_u32 v4, s4, v3, s54
	s_subb_u32 s6, s5, 0
	s_cmp_lg_u32 s4, 0
	v_cndmask_b32_e64 v5, 0, -1, vcc_lo
	s_subb_u32 s4, s6, 0
	s_cmp_eq_u32 s6, 0
	v_mov_b32_e32 v7, s4
	s_cselect_b32 vcc_lo, -1, 0
	s_cmp_eq_u32 s5, 0
	v_cndmask_b32_e32 v5, -1, v5, vcc_lo
	v_cmp_le_u32_e32 vcc_lo, s54, v2
	s_cselect_b32 s4, -1, 0
	v_cndmask_b32_e64 v6, 0, -1, vcc_lo
	s_delay_alu instid0(VALU_DEP_3) | instskip(NEXT) | instid1(VALU_DEP_2)
	v_cmp_ne_u32_e32 vcc_lo, 0, v5
	v_cndmask_b32_e64 v5, -1, v6, s4
	v_cndmask_b32_e32 v6, s6, v7, vcc_lo
	v_cndmask_b32_e32 v4, v3, v4, vcc_lo
	s_delay_alu instid0(VALU_DEP_3) | instskip(NEXT) | instid1(VALU_DEP_3)
	v_cmp_ne_u32_e32 vcc_lo, 0, v5
	v_cndmask_b32_e32 v3, s5, v6, vcc_lo
	s_delay_alu instid0(VALU_DEP_3)
	v_cndmask_b32_e32 v2, v2, v4, vcc_lo
	s_cbranch_execnz .LBB109_49
.LBB109_48:                             ;   in Loop: Header=BB109_15 Depth=1
	v_cvt_f32_u32_e32 v2, s54
	s_sub_i32 s4, 0, s54
	s_delay_alu instid0(VALU_DEP_1) | instskip(SKIP_2) | instid1(VALU_DEP_1)
	v_rcp_iflag_f32_e32 v2, v2
	s_waitcnt_depctr 0xfff
	v_mul_f32_e32 v2, 0x4f7ffffe, v2
	v_cvt_u32_f32_e32 v2, v2
	s_delay_alu instid0(VALU_DEP_1) | instskip(NEXT) | instid1(VALU_DEP_1)
	v_mul_lo_u32 v3, s4, v2
	v_mul_hi_u32 v3, v2, v3
	s_delay_alu instid0(VALU_DEP_1) | instskip(NEXT) | instid1(VALU_DEP_1)
	v_add_nc_u32_e32 v2, v2, v3
	v_mul_hi_u32 v2, s24, v2
	s_delay_alu instid0(VALU_DEP_1) | instskip(NEXT) | instid1(VALU_DEP_1)
	v_mul_lo_u32 v2, v2, s54
	v_sub_nc_u32_e32 v2, s24, v2
	s_delay_alu instid0(VALU_DEP_1) | instskip(SKIP_1) | instid1(VALU_DEP_2)
	v_subrev_nc_u32_e32 v3, s54, v2
	v_cmp_le_u32_e32 vcc_lo, s54, v2
	v_cndmask_b32_e32 v2, v2, v3, vcc_lo
	s_delay_alu instid0(VALU_DEP_1) | instskip(SKIP_1) | instid1(VALU_DEP_2)
	v_subrev_nc_u32_e32 v3, s54, v2
	v_cmp_le_u32_e32 vcc_lo, s54, v2
	v_cndmask_b32_e32 v10, v2, v3, vcc_lo
	s_delay_alu instid0(VALU_DEP_1)
	v_dual_mov_b32 v2, v10 :: v_dual_mov_b32 v3, v11
.LBB109_49:                             ;   in Loop: Header=BB109_15 Depth=1
	s_delay_alu instid0(VALU_DEP_1) | instskip(NEXT) | instid1(VALU_DEP_2)
	v_sub_co_u32 v16, vcc_lo, s24, v2
	v_sub_co_ci_u32_e32 v17, vcc_lo, s25, v3, vcc_lo
	v_mov_b32_e32 v2, 0
	v_mov_b32_e32 v3, 0
	s_mov_b64 s[22:23], 0
	s_mov_b32 s56, exec_lo
	s_delay_alu instid0(VALU_DEP_1)
	v_dual_mov_b32 v5, v3 :: v_dual_mov_b32 v4, v2
	v_dual_mov_b32 v7, v3 :: v_dual_mov_b32 v6, v2
	;; [unrolled: 1-line block ×3, first 2 shown]
	v_cmpx_gt_u64_e64 v[16:17], v[14:15]
	s_cbranch_execz .LBB109_53
; %bb.50:                               ;   in Loop: Header=BB109_15 Depth=1
	v_dual_mov_b32 v19, v15 :: v_dual_mov_b32 v18, v14
	s_and_b32 s68, s84, 0xfe
	s_mov_b32 s61, 0
	s_mov_b64 s[62:63], 0
	s_mov_b64 s[64:65], 0
	;; [unrolled: 1-line block ×3, first 2 shown]
.LBB109_51:                             ;   Parent Loop BB109_15 Depth=1
                                        ; =>  This Inner Loop Header: Depth=2
	v_mul_lo_u32 v4, v19, s42
	v_mul_lo_u32 v5, v18, s43
	v_mad_u64_u32 v[2:3], null, v18, s42, 0
	s_lshl_b64 s[4:5], s[42:43], 1
	s_delay_alu instid0(VALU_DEP_1) | instskip(NEXT) | instid1(VALU_DEP_1)
	v_add3_u32 v3, v3, v5, v4
	v_lshlrev_b64 v[2:3], 1, v[2:3]
	s_delay_alu instid0(VALU_DEP_1) | instskip(NEXT) | instid1(VALU_DEP_2)
	v_add_co_u32 v2, vcc_lo, s33, v2
	v_add_co_ci_u32_e32 v3, vcc_lo, s35, v3, vcc_lo
	s_delay_alu instid0(VALU_DEP_2) | instskip(NEXT) | instid1(VALU_DEP_2)
	v_add_co_u32 v4, vcc_lo, v2, s4
	v_add_co_ci_u32_e32 v5, vcc_lo, s5, v3, vcc_lo
	global_load_i16 v6, v[2:3], off
	v_add_co_u32 v2, vcc_lo, v4, s4
	v_add_co_ci_u32_e32 v3, vcc_lo, s5, v5, vcc_lo
	s_clause 0x1
	global_load_i16 v4, v[4:5], off
	global_load_i16 v5, v[2:3], off
	v_add_co_u32 v2, vcc_lo, v2, s4
	v_add_co_ci_u32_e32 v3, vcc_lo, s5, v3, vcc_lo
	v_add_co_u32 v18, vcc_lo, v18, s54
	v_add_co_ci_u32_e32 v19, vcc_lo, 0, v19, vcc_lo
	global_load_i16 v2, v[2:3], off
	v_cmp_ge_u64_e32 vcc_lo, v[18:19], v[16:17]
	s_waitcnt vmcnt(3)
	v_add_nc_u32_e32 v3, 0x8000, v6
	s_delay_alu instid0(VALU_DEP_1)
	v_and_b32_e32 v6, s90, v3
	s_waitcnt vmcnt(2)
	v_add_nc_u32_e32 v4, 0x8000, v4
	v_bfe_u32 v3, v3, s68, 2
	s_waitcnt vmcnt(1)
	v_add_nc_u32_e32 v5, 0x8000, v5
	v_cmp_eq_u32_e64 s4, s89, v6
	v_and_b32_e32 v6, s90, v4
	v_bfe_u32 v4, v4, s68, 2
	v_cmp_eq_u32_e64 s5, 0, v3
	v_cmp_eq_u32_e64 s6, 1, v3
	;; [unrolled: 1-line block ×4, first 2 shown]
	s_waitcnt vmcnt(0)
	v_add_nc_u32_e32 v2, 0x8000, v2
	v_and_b32_e32 v3, s90, v5
	v_cmp_eq_u32_e64 s9, s89, v6
	v_bfe_u32 v5, v5, s68, 2
	v_cmp_eq_u32_e64 s10, 0, v4
	s_and_b32 s5, s4, s5
	v_cmp_eq_u32_e64 s13, s89, v3
	v_cndmask_b32_e64 v6, 0, 1, s5
	v_and_b32_e32 v3, s90, v2
	v_bfe_u32 v2, v2, s68, 2
	v_cmp_eq_u32_e64 s14, 0, v5
	s_and_b32 s10, s9, s10
	v_cmp_eq_u32_e64 s5, 1, v4
	v_cmp_eq_u32_e64 s11, 2, v4
	;; [unrolled: 1-line block ×3, first 2 shown]
	v_cmp_ne_u32_e64 s15, 0, v6
	v_cndmask_b32_e64 v4, 0, 1, s10
	v_cmp_eq_u32_e64 s18, s89, v3
	v_cmp_eq_u32_e64 s19, 0, v2
	s_and_b32 s14, s13, s14
	s_bcnt1_i32_b32 s69, s15
	v_cmp_ne_u32_e64 s15, 0, v4
	v_cndmask_b32_e64 v3, 0, 1, s14
	s_and_b32 s19, s18, s19
	v_cmp_eq_u32_e64 s14, 1, v2
	v_cmp_eq_u32_e64 s20, 2, v2
	;; [unrolled: 1-line block ×3, first 2 shown]
	v_cndmask_b32_e64 v2, 0, 1, s19
	s_bcnt1_i32_b32 s19, s15
	v_cmp_ne_u32_e64 s15, 0, v3
	s_add_i32 s69, s19, s69
	v_cmp_eq_u32_e64 s10, 1, v5
	v_cmp_ne_u32_e64 s19, 0, v2
	v_cmp_eq_u32_e64 s16, 2, v5
	s_bcnt1_i32_b32 s15, s15
	v_cmp_eq_u32_e64 s17, 3, v5
	s_add_i32 s15, s69, s15
	s_bcnt1_i32_b32 s19, s19
	s_delay_alu instid0(SALU_CYCLE_1) | instskip(NEXT) | instid1(SALU_CYCLE_1)
	s_add_i32 s15, s15, s19
	s_add_u32 s66, s66, s15
	s_addc_u32 s67, s67, 0
	s_and_b32 s6, s4, s6
	s_and_b32 s5, s9, s5
	v_cndmask_b32_e64 v2, 0, 1, s6
	v_cndmask_b32_e64 v3, 0, 1, s5
	s_and_b32 s5, s13, s10
	s_delay_alu instid0(SALU_CYCLE_1) | instskip(SKIP_1) | instid1(VALU_DEP_2)
	v_cndmask_b32_e64 v4, 0, 1, s5
	s_and_b32 s5, s18, s14
	v_cmp_ne_u32_e64 s6, 0, v3
	v_cndmask_b32_e64 v5, 0, 1, s5
	v_cmp_ne_u32_e64 s5, 0, v2
	v_cmp_ne_u32_e64 s10, 0, v4
	s_delay_alu instid0(VALU_DEP_4) | instskip(NEXT) | instid1(VALU_DEP_3)
	s_bcnt1_i32_b32 s6, s6
	v_cmp_ne_u32_e64 s14, 0, v5
	s_delay_alu instid0(VALU_DEP_3) | instskip(NEXT) | instid1(VALU_DEP_2)
	s_bcnt1_i32_b32 s5, s5
	s_bcnt1_i32_b32 s10, s10
	s_add_i32 s5, s6, s5
	s_delay_alu instid0(VALU_DEP_1) | instskip(SKIP_1) | instid1(SALU_CYCLE_1)
	s_bcnt1_i32_b32 s14, s14
	s_add_i32 s5, s5, s10
	s_add_i32 s5, s5, s14
	s_delay_alu instid0(SALU_CYCLE_1) | instskip(SKIP_2) | instid1(SALU_CYCLE_1)
	s_add_u32 s64, s64, s5
	s_addc_u32 s65, s65, 0
	s_and_b32 s5, s4, s7
	v_cndmask_b32_e64 v2, 0, 1, s5
	s_and_b32 s5, s9, s11
	s_delay_alu instid0(SALU_CYCLE_1) | instskip(SKIP_1) | instid1(SALU_CYCLE_1)
	v_cndmask_b32_e64 v3, 0, 1, s5
	s_and_b32 s5, s13, s16
	v_cndmask_b32_e64 v4, 0, 1, s5
	s_and_b32 s5, s18, s20
	s_delay_alu instid0(VALU_DEP_2) | instskip(SKIP_3) | instid1(VALU_DEP_4)
	v_cmp_ne_u32_e64 s6, 0, v3
	v_cndmask_b32_e64 v5, 0, 1, s5
	v_cmp_ne_u32_e64 s5, 0, v2
	v_cmp_ne_u32_e64 s7, 0, v4
	s_bcnt1_i32_b32 s6, s6
	s_delay_alu instid0(VALU_DEP_3) | instskip(NEXT) | instid1(VALU_DEP_3)
	v_cmp_ne_u32_e64 s10, 0, v5
	s_bcnt1_i32_b32 s5, s5
	s_delay_alu instid0(VALU_DEP_2) | instskip(SKIP_1) | instid1(VALU_DEP_1)
	s_bcnt1_i32_b32 s7, s7
	s_add_i32 s5, s6, s5
	s_bcnt1_i32_b32 s10, s10
	s_add_i32 s5, s5, s7
	s_delay_alu instid0(SALU_CYCLE_1) | instskip(NEXT) | instid1(SALU_CYCLE_1)
	s_add_i32 s5, s5, s10
	s_add_u32 s62, s62, s5
	s_addc_u32 s63, s63, 0
	s_and_b32 s4, s4, s8
	v_mov_b32_e32 v6, s62
	v_cndmask_b32_e64 v2, 0, 1, s4
	s_and_b32 s4, s9, s12
	v_mov_b32_e32 v7, s63
	v_cndmask_b32_e64 v3, 0, 1, s4
	s_and_b32 s4, s13, s17
	s_delay_alu instid0(SALU_CYCLE_1) | instskip(SKIP_1) | instid1(VALU_DEP_2)
	v_cndmask_b32_e64 v4, 0, 1, s4
	s_and_b32 s4, s18, s21
	v_cmp_ne_u32_e64 s5, 0, v3
	v_cndmask_b32_e64 v5, 0, 1, s4
	v_cmp_ne_u32_e64 s4, 0, v2
	v_cmp_ne_u32_e64 s6, 0, v4
	v_mov_b32_e32 v2, s66
	s_bcnt1_i32_b32 s5, s5
	v_cmp_ne_u32_e64 s7, 0, v5
	s_bcnt1_i32_b32 s4, s4
	s_bcnt1_i32_b32 s6, s6
	s_add_i32 s4, s5, s4
	v_mov_b32_e32 v4, s64
	s_bcnt1_i32_b32 s5, s7
	s_add_i32 s4, s4, s6
	v_mov_b32_e32 v3, s67
	s_add_i32 s4, s4, s5
	v_mov_b32_e32 v5, s65
	s_add_u32 s22, s22, s4
	s_addc_u32 s23, s23, 0
	s_delay_alu instid0(SALU_CYCLE_1) | instskip(SKIP_1) | instid1(SALU_CYCLE_1)
	v_dual_mov_b32 v8, s22 :: v_dual_mov_b32 v9, s23
	s_or_b32 s61, vcc_lo, s61
	s_and_not1_b32 exec_lo, exec_lo, s61
	s_cbranch_execnz .LBB109_51
; %bb.52:                               ;   in Loop: Header=BB109_15 Depth=1
	s_or_b32 exec_lo, exec_lo, s61
.LBB109_53:                             ;   in Loop: Header=BB109_15 Depth=1
	s_delay_alu instid0(SALU_CYCLE_1) | instskip(SKIP_3) | instid1(VALU_DEP_2)
	s_or_b32 exec_lo, exec_lo, s56
	v_add_co_u32 v16, vcc_lo, v16, v0
	v_add_co_ci_u32_e32 v17, vcc_lo, 0, v17, vcc_lo
	v_dual_mov_b32 v19, 0 :: v_dual_and_b32 v10, 0xffff, v28
	v_cmp_gt_u64_e32 vcc_lo, s[24:25], v[16:17]
	s_and_saveexec_b32 s5, vcc_lo
	s_cbranch_execz .LBB109_55
; %bb.54:                               ;   in Loop: Header=BB109_15 Depth=1
	v_mul_lo_u32 v28, v17, s42
	v_mul_lo_u32 v29, v16, s43
	v_mad_u64_u32 v[18:19], null, v16, s42, 0
	s_delay_alu instid0(VALU_DEP_1) | instskip(NEXT) | instid1(VALU_DEP_1)
	v_add3_u32 v19, v19, v29, v28
	v_lshlrev_b64 v[18:19], 1, v[18:19]
	s_delay_alu instid0(VALU_DEP_1) | instskip(NEXT) | instid1(VALU_DEP_1)
	v_add_co_u32 v18, s4, s33, v18
	v_add_co_ci_u32_e64 v19, s4, s35, v19, s4
	global_load_u16 v19, v[18:19], off
.LBB109_55:                             ;   in Loop: Header=BB109_15 Depth=1
	s_or_b32 exec_lo, exec_lo, s5
	s_and_saveexec_b32 s8, vcc_lo
	s_cbranch_execz .LBB109_62
; %bb.56:                               ;   in Loop: Header=BB109_15 Depth=1
	s_and_b32 s10, s84, 0xfe
	s_mov_b32 s9, 0
	s_branch .LBB109_58
.LBB109_57:                             ;   in Loop: Header=BB109_58 Depth=2
	s_or_b32 exec_lo, exec_lo, s5
	s_waitcnt vmcnt(0)
	v_bfe_i32 v19, v19, 0, 16
	s_and_b32 s6, exec_lo, vcc_lo
	s_delay_alu instid0(SALU_CYCLE_1) | instskip(NEXT) | instid1(VALU_DEP_1)
	s_or_b32 s9, s6, s9
	v_add_nc_u32_e32 v19, 0x8000, v19
	s_delay_alu instid0(VALU_DEP_1) | instskip(SKIP_1) | instid1(VALU_DEP_2)
	v_and_b32_e32 v28, s90, v19
	v_bfe_u32 v19, v19, s10, 2
	v_cmp_eq_u32_e64 s4, s89, v28
	s_delay_alu instid0(VALU_DEP_2) | instskip(SKIP_2) | instid1(VALU_DEP_3)
	v_cmp_eq_u32_e64 s5, 0, v19
	v_cmp_eq_u32_e32 vcc_lo, 1, v19
	v_cmp_eq_u32_e64 s6, 2, v19
	s_and_b32 s5, s4, s5
	s_delay_alu instid0(SALU_CYCLE_1) | instskip(SKIP_4) | instid1(SALU_CYCLE_1)
	v_cndmask_b32_e64 v28, 0, 1, s5
	s_and_b32 s5, s4, vcc_lo
	v_cmp_eq_u32_e32 vcc_lo, 3, v19
	v_cndmask_b32_e64 v29, 0, 1, s5
	s_and_b32 s5, s4, s6
	v_cndmask_b32_e64 v30, 0, 1, s5
	v_cmp_ne_u32_e64 s5, 0, v28
	s_delay_alu instid0(VALU_DEP_3) | instskip(SKIP_1) | instid1(SALU_CYCLE_1)
	v_cmp_ne_u32_e64 s6, 0, v29
	s_and_b32 s4, s4, vcc_lo
	v_cndmask_b32_e64 v19, 0, 1, s4
	s_delay_alu instid0(VALU_DEP_3)
	s_bcnt1_i32_b32 s4, s5
	v_cmp_ne_u32_e64 s7, 0, v30
	v_add_co_u32 v2, vcc_lo, v2, s4
	s_bcnt1_i32_b32 s5, s6
	v_add_co_ci_u32_e32 v3, vcc_lo, 0, v3, vcc_lo
	v_add_co_u32 v4, vcc_lo, v4, s5
	v_add_co_ci_u32_e32 v5, vcc_lo, 0, v5, vcc_lo
	s_bcnt1_i32_b32 s6, s7
	v_cmp_ne_u32_e32 vcc_lo, 0, v19
	v_mov_b32_e32 v19, v18
	v_add_co_u32 v6, s4, v6, s6
	s_delay_alu instid0(VALU_DEP_1) | instskip(SKIP_1) | instid1(SALU_CYCLE_1)
	v_add_co_ci_u32_e64 v7, s4, 0, v7, s4
	s_bcnt1_i32_b32 s4, vcc_lo
	v_add_co_u32 v8, vcc_lo, v8, s4
	v_add_co_ci_u32_e32 v9, vcc_lo, 0, v9, vcc_lo
	s_and_not1_b32 exec_lo, exec_lo, s9
	s_cbranch_execz .LBB109_61
.LBB109_58:                             ;   Parent Loop BB109_15 Depth=1
                                        ; =>  This Inner Loop Header: Depth=2
	v_add_co_u32 v16, vcc_lo, v16, v10
	v_add_co_ci_u32_e32 v17, vcc_lo, 0, v17, vcc_lo
	v_mov_b32_e32 v18, 0
	s_mov_b32 s5, exec_lo
	s_delay_alu instid0(VALU_DEP_2)
	v_cmp_le_u64_e32 vcc_lo, s[24:25], v[16:17]
	v_cmpx_gt_u64_e64 s[24:25], v[16:17]
	s_cbranch_execz .LBB109_57
; %bb.59:                               ;   in Loop: Header=BB109_58 Depth=2
	v_mul_lo_u32 v18, v17, s42
	v_mul_lo_u32 v30, v16, s43
	v_mad_u64_u32 v[28:29], null, v16, s42, 0
	s_delay_alu instid0(VALU_DEP_1) | instskip(NEXT) | instid1(VALU_DEP_1)
	v_add3_u32 v29, v29, v30, v18
	v_lshlrev_b64 v[28:29], 1, v[28:29]
	s_delay_alu instid0(VALU_DEP_1) | instskip(NEXT) | instid1(VALU_DEP_1)
	v_add_co_u32 v28, s4, s33, v28
	v_add_co_ci_u32_e64 v29, s4, s35, v29, s4
	global_load_u16 v18, v[28:29], off
	s_branch .LBB109_57
.LBB109_60:                             ;   in Loop: Header=BB109_15 Depth=1
                                        ; implicit-def: $vgpr8_vgpr9
                                        ; implicit-def: $vgpr4_vgpr5
	s_cbranch_execnz .LBB109_63
	s_branch .LBB109_72
.LBB109_61:                             ;   in Loop: Header=BB109_15 Depth=1
	s_or_b32 exec_lo, exec_lo, s9
.LBB109_62:                             ;   in Loop: Header=BB109_15 Depth=1
	s_delay_alu instid0(SALU_CYCLE_1)
	s_or_b32 exec_lo, exec_lo, s8
	s_branch .LBB109_72
.LBB109_63:                             ;   in Loop: Header=BB109_15 Depth=1
	global_load_u16 v8, v11, s[58:59]
	s_mov_b64 s[62:63], 0
	s_mov_b32 s61, exec_lo
	s_waitcnt vmcnt(0)
	v_readfirstlane_b32 s4, v8
	v_and_b32_e32 v18, 0xffff, v8
	s_delay_alu instid0(VALU_DEP_2) | instskip(NEXT) | instid1(SALU_CYCLE_1)
	s_and_b32 s4, 0xffff, s4
	s_lshl_b32 s56, s4, 2
	s_delay_alu instid0(SALU_CYCLE_1) | instskip(SKIP_1) | instid1(VALU_DEP_1)
	v_cvt_f32_u32_e32 v2, s56
	s_sub_i32 s5, 0, s56
	v_rcp_iflag_f32_e32 v2, v2
	s_waitcnt_depctr 0xfff
	v_mul_f32_e32 v2, 0x4f7ffffe, v2
	s_delay_alu instid0(VALU_DEP_1) | instskip(NEXT) | instid1(VALU_DEP_1)
	v_cvt_u32_f32_e32 v2, v2
	v_readfirstlane_b32 s4, v2
	v_mov_b32_e32 v2, 0
	v_mov_b32_e32 v3, 0
	s_delay_alu instid0(VALU_DEP_3) | instskip(NEXT) | instid1(VALU_DEP_1)
	s_mul_i32 s5, s5, s4
	v_dual_mov_b32 v5, v3 :: v_dual_mov_b32 v4, v2
	s_mul_hi_u32 s5, s4, s5
	v_dual_mov_b32 v7, v3 :: v_dual_mov_b32 v6, v2
	s_add_i32 s4, s4, s5
	v_dual_mov_b32 v9, v3 :: v_dual_mov_b32 v8, v2
	s_mul_hi_u32 s4, s60, s4
	s_delay_alu instid0(SALU_CYCLE_1) | instskip(NEXT) | instid1(SALU_CYCLE_1)
	s_mul_i32 s4, s4, s56
	s_sub_i32 s4, s60, s4
	s_delay_alu instid0(SALU_CYCLE_1) | instskip(SKIP_2) | instid1(SALU_CYCLE_1)
	s_sub_i32 s5, s4, s56
	s_cmp_ge_u32 s4, s56
	s_cselect_b32 s4, s5, s4
	s_sub_i32 s5, s4, s56
	s_cmp_ge_u32 s4, s56
	s_cselect_b32 s4, s5, s4
	s_delay_alu instid0(SALU_CYCLE_1) | instskip(NEXT) | instid1(SALU_CYCLE_1)
	s_sub_i32 s54, s60, s4
	v_cmpx_gt_u32_e64 s54, v14
	s_cbranch_execz .LBB109_67
; %bb.64:                               ;   in Loop: Header=BB109_15 Depth=1
	v_dual_mov_b32 v19, v25 :: v_dual_lshlrev_b32 v10, 3, v18
	v_dual_mov_b32 v17, v15 :: v_dual_mov_b32 v16, v14
	s_and_b32 s91, s84, 0xfe
	s_mov_b32 s92, 0
	s_mov_b64 s[64:65], 0
	s_mov_b64 s[66:67], 0
	;; [unrolled: 1-line block ×3, first 2 shown]
.LBB109_65:                             ;   Parent Loop BB109_15 Depth=1
                                        ; =>  This Inner Loop Header: Depth=2
	ds_load_b64 v[2:3], v19
	v_add_co_u32 v16, vcc_lo, v16, s56
	v_add_co_ci_u32_e32 v17, vcc_lo, 0, v17, vcc_lo
	s_delay_alu instid0(VALU_DEP_1)
	v_cmp_le_u64_e32 vcc_lo, s[54:55], v[16:17]
	s_waitcnt lgkmcnt(0)
	v_bfe_i32 v4, v2, 0, 16
	v_ashrrev_i32_e32 v2, 16, v2
	v_bfe_i32 v5, v3, 0, 16
	v_ashrrev_i32_e32 v3, 16, v3
	s_delay_alu instid0(VALU_DEP_4) | instskip(NEXT) | instid1(VALU_DEP_4)
	v_add_nc_u32_e32 v4, 0x8000, v4
	v_add_nc_u32_e32 v2, 0x8000, v2
	s_delay_alu instid0(VALU_DEP_4) | instskip(NEXT) | instid1(VALU_DEP_4)
	v_add_nc_u32_e32 v5, 0x8000, v5
	v_add_nc_u32_e32 v3, 0x8000, v3
	s_delay_alu instid0(VALU_DEP_4)
	v_and_b32_e32 v6, s90, v4
	v_bfe_u32 v4, v4, s91, 2
	v_and_b32_e32 v7, s90, v2
	v_bfe_u32 v2, v2, s91, 2
	;; [unrolled: 2-line block ×3, first 2 shown]
	v_cmp_eq_u32_e64 s4, s89, v6
	v_cmp_eq_u32_e64 s8, 0, v4
	v_and_b32_e32 v9, s90, v3
	v_bfe_u32 v3, v3, s91, 2
	v_cmp_eq_u32_e64 s5, s89, v7
	v_cmp_eq_u32_e64 s9, 0, v2
	v_cmp_eq_u32_e64 s6, s89, v8
	v_cmp_eq_u32_e64 s10, 0, v5
	s_and_b32 s8, s4, s8
	v_cmp_eq_u32_e64 s7, s89, v9
	v_cmp_eq_u32_e64 s11, 0, v3
	;; [unrolled: 1-line block ×5, first 2 shown]
	v_cndmask_b32_e64 v2, 0, 1, s8
	s_and_b32 s8, s5, s9
	v_cmp_eq_u32_e64 s15, 1, v3
	v_cmp_eq_u32_e64 s19, 2, v3
	v_cmp_eq_u32_e64 s23, 3, v3
	v_cndmask_b32_e64 v3, 0, 1, s8
	s_and_b32 s8, s6, s10
	v_cmp_eq_u32_e64 s12, 1, v4
	v_cmp_eq_u32_e64 s16, 2, v4
	v_cmp_eq_u32_e64 s20, 3, v4
	;; [unrolled: 5-line block ×3, first 2 shown]
	v_cndmask_b32_e64 v5, 0, 1, s8
	v_cmp_ne_u32_e64 s8, 0, v2
	v_cmp_ne_u32_e64 s9, 0, v3
	v_cmp_ne_u32_e64 s10, 0, v4
	s_delay_alu instid0(VALU_DEP_4) | instskip(NEXT) | instid1(VALU_DEP_4)
	v_cmp_ne_u32_e64 s11, 0, v5
	s_bcnt1_i32_b32 s8, s8
	s_delay_alu instid0(VALU_DEP_3) | instskip(NEXT) | instid1(VALU_DEP_2)
	s_bcnt1_i32_b32 s9, s9
	s_bcnt1_i32_b32 s10, s10
	s_add_i32 s8, s9, s8
	s_bcnt1_i32_b32 s11, s11
	s_add_i32 s8, s8, s10
	s_delay_alu instid0(SALU_CYCLE_1) | instskip(NEXT) | instid1(SALU_CYCLE_1)
	s_add_i32 s8, s8, s11
	s_add_u32 s68, s68, s8
	s_addc_u32 s69, s69, 0
	s_and_b32 s8, s4, s12
	v_add_nc_u32_e32 v19, v19, v10
	v_cndmask_b32_e64 v2, 0, 1, s8
	s_and_b32 s8, s5, s13
	s_delay_alu instid0(SALU_CYCLE_1) | instskip(SKIP_1) | instid1(SALU_CYCLE_1)
	v_cndmask_b32_e64 v3, 0, 1, s8
	s_and_b32 s8, s6, s14
	v_cndmask_b32_e64 v4, 0, 1, s8
	s_and_b32 s8, s7, s15
	s_delay_alu instid0(VALU_DEP_2) | instskip(SKIP_3) | instid1(VALU_DEP_4)
	v_cmp_ne_u32_e64 s9, 0, v3
	v_cndmask_b32_e64 v5, 0, 1, s8
	v_cmp_ne_u32_e64 s8, 0, v2
	v_cmp_ne_u32_e64 s10, 0, v4
	s_bcnt1_i32_b32 s9, s9
	s_delay_alu instid0(VALU_DEP_3) | instskip(NEXT) | instid1(VALU_DEP_3)
	v_cmp_ne_u32_e64 s11, 0, v5
	s_bcnt1_i32_b32 s8, s8
	s_delay_alu instid0(VALU_DEP_2) | instskip(SKIP_1) | instid1(VALU_DEP_1)
	s_bcnt1_i32_b32 s10, s10
	s_add_i32 s8, s9, s8
	s_bcnt1_i32_b32 s11, s11
	s_add_i32 s8, s8, s10
	s_delay_alu instid0(SALU_CYCLE_1) | instskip(NEXT) | instid1(SALU_CYCLE_1)
	s_add_i32 s8, s8, s11
	s_add_u32 s66, s66, s8
	s_addc_u32 s67, s67, 0
	s_and_b32 s8, s4, s16
	s_delay_alu instid0(SALU_CYCLE_1) | instskip(SKIP_1) | instid1(SALU_CYCLE_1)
	v_cndmask_b32_e64 v2, 0, 1, s8
	s_and_b32 s8, s5, s17
	v_cndmask_b32_e64 v3, 0, 1, s8
	s_and_b32 s8, s6, s18
	s_delay_alu instid0(SALU_CYCLE_1) | instskip(SKIP_1) | instid1(VALU_DEP_2)
	v_cndmask_b32_e64 v4, 0, 1, s8
	s_and_b32 s8, s7, s19
	v_cmp_ne_u32_e64 s9, 0, v3
	v_cndmask_b32_e64 v5, 0, 1, s8
	v_cmp_ne_u32_e64 s8, 0, v2
	v_cmp_ne_u32_e64 s10, 0, v4
	s_delay_alu instid0(VALU_DEP_4) | instskip(NEXT) | instid1(VALU_DEP_3)
	s_bcnt1_i32_b32 s9, s9
	v_cmp_ne_u32_e64 s11, 0, v5
	s_delay_alu instid0(VALU_DEP_3) | instskip(NEXT) | instid1(VALU_DEP_2)
	s_bcnt1_i32_b32 s8, s8
	s_bcnt1_i32_b32 s10, s10
	s_add_i32 s8, s9, s8
	s_delay_alu instid0(VALU_DEP_1) | instskip(SKIP_1) | instid1(SALU_CYCLE_1)
	s_bcnt1_i32_b32 s11, s11
	s_add_i32 s8, s8, s10
	s_add_i32 s8, s8, s11
	s_delay_alu instid0(SALU_CYCLE_1)
	s_add_u32 s64, s64, s8
	s_addc_u32 s65, s65, 0
	s_and_b32 s4, s4, s20
	v_mov_b32_e32 v6, s64
	v_cndmask_b32_e64 v2, 0, 1, s4
	s_and_b32 s4, s5, s21
	v_mov_b32_e32 v7, s65
	v_cndmask_b32_e64 v3, 0, 1, s4
	s_and_b32 s4, s6, s22
	s_delay_alu instid0(SALU_CYCLE_1) | instskip(SKIP_1) | instid1(VALU_DEP_2)
	v_cndmask_b32_e64 v4, 0, 1, s4
	s_and_b32 s4, s7, s23
	v_cmp_ne_u32_e64 s5, 0, v3
	v_cndmask_b32_e64 v5, 0, 1, s4
	v_cmp_ne_u32_e64 s4, 0, v2
	v_mov_b32_e32 v2, s68
	v_cmp_ne_u32_e64 s6, 0, v4
	s_bcnt1_i32_b32 s5, s5
	v_cmp_ne_u32_e64 s7, 0, v5
	s_bcnt1_i32_b32 s4, s4
	v_mov_b32_e32 v4, s66
	s_bcnt1_i32_b32 s6, s6
	s_add_i32 s4, s5, s4
	s_bcnt1_i32_b32 s5, s7
	s_add_i32 s4, s4, s6
	v_mov_b32_e32 v3, s69
	s_add_i32 s4, s4, s5
	v_mov_b32_e32 v5, s67
	s_add_u32 s62, s62, s4
	s_addc_u32 s63, s63, 0
	s_delay_alu instid0(SALU_CYCLE_1) | instskip(SKIP_1) | instid1(SALU_CYCLE_1)
	v_dual_mov_b32 v8, s62 :: v_dual_mov_b32 v9, s63
	s_or_b32 s92, vcc_lo, s92
	s_and_not1_b32 exec_lo, exec_lo, s92
	s_cbranch_execnz .LBB109_65
; %bb.66:                               ;   in Loop: Header=BB109_15 Depth=1
	s_or_b32 exec_lo, exec_lo, s92
.LBB109_67:                             ;   in Loop: Header=BB109_15 Depth=1
	s_delay_alu instid0(SALU_CYCLE_1) | instskip(SKIP_2) | instid1(VALU_DEP_1)
	s_or_b32 exec_lo, exec_lo, s61
	v_add_nc_u32_e32 v10, s54, v0
	s_mov_b32 s9, exec_lo
	v_cmpx_gt_u32_e64 s60, v10
	s_cbranch_execz .LBB109_71
; %bb.68:                               ;   in Loop: Header=BB109_15 Depth=1
	v_dual_mov_b32 v17, v11 :: v_dual_lshlrev_b32 v28, 1, v18
	v_dual_mov_b32 v16, v10 :: v_dual_lshlrev_b32 v19, 1, v10
	s_mov_b32 s11, 0
	s_and_b32 s10, s60, 0x7fffffff
	s_and_b32 s13, s84, 0xfe
	s_mov_b32 s12, s11
.LBB109_69:                             ;   Parent Loop BB109_15 Depth=1
                                        ; =>  This Inner Loop Header: Depth=2
	ds_load_i16 v10, v19
	v_add_co_u32 v16, vcc_lo, v16, v18
	v_add_co_ci_u32_e32 v17, vcc_lo, 0, v17, vcc_lo
	v_add_nc_u32_e32 v19, v19, v28
	s_delay_alu instid0(VALU_DEP_2) | instskip(SKIP_2) | instid1(VALU_DEP_1)
	v_cmp_le_u64_e32 vcc_lo, s[10:11], v[16:17]
	s_waitcnt lgkmcnt(0)
	v_add_nc_u32_e32 v10, 0x8000, v10
	v_and_b32_e32 v29, s90, v10
	v_bfe_u32 v10, v10, s13, 2
	s_delay_alu instid0(VALU_DEP_2) | instskip(NEXT) | instid1(VALU_DEP_2)
	v_cmp_eq_u32_e64 s4, s89, v29
	v_cmp_eq_u32_e64 s5, 0, v10
	;; [unrolled: 1-line block ×5, first 2 shown]
	s_delay_alu instid0(VALU_DEP_4) | instskip(NEXT) | instid1(SALU_CYCLE_1)
	s_and_b32 s5, s4, s5
	v_cndmask_b32_e64 v10, 0, 1, s5
	s_and_b32 s5, s4, s6
	s_delay_alu instid0(SALU_CYCLE_1)
	v_cndmask_b32_e64 v29, 0, 1, s5
	s_and_b32 s5, s4, s7
	s_and_b32 s4, s4, s8
	v_cndmask_b32_e64 v30, 0, 1, s5
	v_cndmask_b32_e64 v31, 0, 1, s4
	v_cmp_ne_u32_e64 s4, 0, v10
	v_cmp_ne_u32_e64 s5, 0, v29
	s_delay_alu instid0(VALU_DEP_4) | instskip(NEXT) | instid1(VALU_DEP_4)
	v_cmp_ne_u32_e64 s6, 0, v30
	v_cmp_ne_u32_e64 s7, 0, v31
	s_delay_alu instid0(VALU_DEP_4) | instskip(NEXT) | instid1(VALU_DEP_3)
	s_bcnt1_i32_b32 s4, s4
	s_bcnt1_i32_b32 s5, s5
	v_add_co_u32 v2, s4, v2, s4
	s_delay_alu instid0(VALU_DEP_1)
	v_add_co_ci_u32_e64 v3, s4, 0, v3, s4
	v_add_co_u32 v4, s4, v4, s5
	s_bcnt1_i32_b32 s6, s6
	v_add_co_ci_u32_e64 v5, s4, 0, v5, s4
	v_add_co_u32 v6, s4, v6, s6
	s_bcnt1_i32_b32 s7, s7
	v_add_co_ci_u32_e64 v7, s4, 0, v7, s4
	v_add_co_u32 v8, s4, v8, s7
	s_delay_alu instid0(VALU_DEP_1) | instskip(SKIP_1) | instid1(SALU_CYCLE_1)
	v_add_co_ci_u32_e64 v9, s4, 0, v9, s4
	s_or_b32 s12, vcc_lo, s12
	s_and_not1_b32 exec_lo, exec_lo, s12
	s_cbranch_execnz .LBB109_69
; %bb.70:                               ;   in Loop: Header=BB109_15 Depth=1
	s_or_b32 exec_lo, exec_lo, s12
.LBB109_71:                             ;   in Loop: Header=BB109_15 Depth=1
	s_delay_alu instid0(SALU_CYCLE_1)
	s_or_b32 exec_lo, exec_lo, s9
.LBB109_72:                             ;   in Loop: Header=BB109_15 Depth=1
	s_lshl_b32 s4, s87, 7
	s_and_saveexec_b32 s5, s1
	s_cbranch_execz .LBB109_74
; %bb.73:                               ;   in Loop: Header=BB109_15 Depth=1
	v_or_b32_e32 v10, s4, v23
	s_delay_alu instid0(VALU_DEP_1)
	v_lshlrev_b32_e32 v10, 3, v10
	ds_store_b128 v10, v[2:5] offset:3072
	ds_store_b128 v10, v[6:9] offset:3088
.LBB109_74:                             ;   in Loop: Header=BB109_15 Depth=1
	s_or_b32 exec_lo, exec_lo, s5
	s_waitcnt vmcnt(0) lgkmcnt(0)
	s_barrier
	buffer_gl0_inv
	s_and_saveexec_b32 s5, s47
	s_cbranch_execz .LBB109_85
; %bb.75:                               ;   in Loop: Header=BB109_15 Depth=1
	v_mov_b32_e32 v2, 0
	v_mov_b32_e32 v3, 0
	s_and_not1_b32 vcc_lo, exec_lo, s77
	s_cbranch_vccnz .LBB109_84
; %bb.76:                               ;   in Loop: Header=BB109_15 Depth=1
	v_mov_b32_e32 v2, 0
	v_mov_b32_e32 v3, 0
	s_and_not1_b32 vcc_lo, exec_lo, s75
	s_cbranch_vccnz .LBB109_81
; %bb.77:                               ;   in Loop: Header=BB109_15 Depth=1
	v_lshl_add_u32 v4, s87, 10, v26
	s_mov_b32 s6, 0
	s_set_inst_prefetch_distance 0x1
	.p2align	6
.LBB109_78:                             ;   Parent Loop BB109_15 Depth=1
                                        ; =>  This Inner Loop Header: Depth=2
	ds_load_2addr_b64 v[5:8], v4 offset1:4
	ds_load_2addr_b64 v[16:19], v4 offset0:8 offset1:12
	ds_load_2addr_b64 v[28:31], v4 offset0:16 offset1:20
	s_add_i32 s6, s6, 8
	s_delay_alu instid0(SALU_CYCLE_1) | instskip(SKIP_3) | instid1(VALU_DEP_2)
	s_cmp_eq_u32 s76, s6
	s_waitcnt lgkmcnt(2)
	v_add_co_u32 v2, vcc_lo, v5, v2
	v_add_co_ci_u32_e32 v3, vcc_lo, v6, v3, vcc_lo
	v_add_co_u32 v2, vcc_lo, v7, v2
	s_delay_alu instid0(VALU_DEP_2)
	v_add_co_ci_u32_e32 v3, vcc_lo, v8, v3, vcc_lo
	ds_load_2addr_b64 v[5:8], v4 offset0:24 offset1:28
	s_waitcnt lgkmcnt(2)
	v_add_co_u32 v2, vcc_lo, v16, v2
	v_add_co_ci_u32_e32 v3, vcc_lo, v17, v3, vcc_lo
	v_add_nc_u32_e32 v4, 0x100, v4
	s_delay_alu instid0(VALU_DEP_3) | instskip(NEXT) | instid1(VALU_DEP_3)
	v_add_co_u32 v2, vcc_lo, v18, v2
	v_add_co_ci_u32_e32 v3, vcc_lo, v19, v3, vcc_lo
	s_waitcnt lgkmcnt(1)
	s_delay_alu instid0(VALU_DEP_2) | instskip(NEXT) | instid1(VALU_DEP_2)
	v_add_co_u32 v2, vcc_lo, v28, v2
	v_add_co_ci_u32_e32 v3, vcc_lo, v29, v3, vcc_lo
	s_delay_alu instid0(VALU_DEP_2) | instskip(NEXT) | instid1(VALU_DEP_2)
	v_add_co_u32 v2, vcc_lo, v30, v2
	v_add_co_ci_u32_e32 v3, vcc_lo, v31, v3, vcc_lo
	s_waitcnt lgkmcnt(0)
	s_delay_alu instid0(VALU_DEP_2) | instskip(NEXT) | instid1(VALU_DEP_2)
	v_add_co_u32 v2, vcc_lo, v5, v2
	v_add_co_ci_u32_e32 v3, vcc_lo, v6, v3, vcc_lo
	s_delay_alu instid0(VALU_DEP_2) | instskip(NEXT) | instid1(VALU_DEP_2)
	v_add_co_u32 v2, vcc_lo, v7, v2
	v_add_co_ci_u32_e32 v3, vcc_lo, v8, v3, vcc_lo
	s_cbranch_scc0 .LBB109_78
; %bb.79:                               ;   in Loop: Header=BB109_15 Depth=1
	s_set_inst_prefetch_distance 0x2
	s_mov_b32 s6, s76
	s_and_not1_b32 vcc_lo, exec_lo, s78
	s_cbranch_vccz .LBB109_82
	s_branch .LBB109_84
.LBB109_80:                             ;   in Loop: Header=BB109_15 Depth=1
                                        ; implicit-def: $vgpr2_vgpr3
	s_branch .LBB109_48
.LBB109_81:                             ;   in Loop: Header=BB109_15 Depth=1
	s_mov_b32 s6, 0
	s_and_not1_b32 vcc_lo, exec_lo, s78
	s_cbranch_vccnz .LBB109_84
.LBB109_82:                             ;   in Loop: Header=BB109_15 Depth=1
	s_lshl_b32 s7, s87, 10
	s_lshl_b32 s6, s6, 5
	s_delay_alu instid0(SALU_CYCLE_1)
	v_add3_u32 v4, s7, s6, v26
	s_mov_b32 s6, s74
.LBB109_83:                             ;   Parent Loop BB109_15 Depth=1
                                        ; =>  This Inner Loop Header: Depth=2
	ds_load_b64 v[5:6], v4
	v_add_nc_u32_e32 v4, 32, v4
	s_add_i32 s6, s6, -1
	s_delay_alu instid0(SALU_CYCLE_1)
	s_cmp_lg_u32 s6, 0
	s_waitcnt lgkmcnt(0)
	v_add_co_u32 v2, vcc_lo, v5, v2
	v_add_co_ci_u32_e32 v3, vcc_lo, v6, v3, vcc_lo
	s_cbranch_scc1 .LBB109_83
.LBB109_84:                             ;   in Loop: Header=BB109_15 Depth=1
	v_add_lshl_u32 v4, s4, v20, 3
	ds_store_b64 v4, v[2:3] offset:3072
.LBB109_85:                             ;   in Loop: Header=BB109_15 Depth=1
	s_or_b32 exec_lo, exec_lo, s5
	s_lshl_b32 s4, s4, 3
	s_waitcnt lgkmcnt(0)
	v_mov_b32_e32 v6, s4
	s_barrier
	buffer_gl0_inv
	s_and_b32 s17, s84, 0xfe
	s_mov_b32 s19, -1
	ds_load_b128 v[2:5], v6 offset:3072
	ds_load_b128 v[6:9], v6 offset:3088
	s_lshl_b32 s16, 3, s17
	s_delay_alu instid0(SALU_CYCLE_1)
	s_not_b32 s18, s16
	s_waitcnt lgkmcnt(1)
	v_readfirstlane_b32 s13, v3
	v_readfirstlane_b32 s12, v2
	;; [unrolled: 1-line block ×4, first 2 shown]
	s_waitcnt lgkmcnt(0)
	v_readfirstlane_b32 s8, v6
	v_readfirstlane_b32 s9, v7
	s_cmp_eq_u64 s[12:13], 1
	v_readfirstlane_b32 s6, v8
	s_cselect_b32 s4, -1, 0
	s_cmp_eq_u64 s[52:53], 1
	v_readfirstlane_b32 s7, v9
	s_cselect_b32 s5, -1, 0
	s_delay_alu instid0(SALU_CYCLE_1) | instskip(NEXT) | instid1(SALU_CYCLE_1)
	s_and_b32 s20, s4, s5
	s_and_b32 vcc_lo, exec_lo, s20
	s_cbranch_vccz .LBB109_100
; %bb.86:                               ;   in Loop: Header=BB109_15 Depth=1
	ds_load_b64 v[2:3], v11 offset:5120
	s_waitcnt lgkmcnt(0)
	s_barrier
	buffer_gl0_inv
	v_readfirstlane_b32 s14, v2
	v_readfirstlane_b32 s15, v3
	s_and_saveexec_b32 s4, s3
	s_cbranch_execz .LBB109_88
; %bb.87:                               ;   in Loop: Header=BB109_15 Depth=1
	ds_store_b16 v22, v11
.LBB109_88:                             ;   in Loop: Header=BB109_15 Depth=1
	s_or_b32 exec_lo, exec_lo, s4
	s_and_b32 s89, s89, s18
	s_or_b32 s90, s90, s16
	s_cmp_eq_u64 s[14:15], 0
	s_waitcnt lgkmcnt(0)
	s_barrier
	buffer_gl0_inv
	s_cbranch_scc1 .LBB109_101
; %bb.89:                               ;   in Loop: Header=BB109_15 Depth=1
	s_add_u32 s21, s71, s14
	s_addc_u32 s5, s72, s15
	s_mov_b32 s4, s55
	s_delay_alu instid0(SALU_CYCLE_1)
	s_cmp_lg_u64 s[4:5], 0
	s_cbranch_scc0 .LBB109_146
; %bb.90:                               ;   in Loop: Header=BB109_15 Depth=1
	v_cvt_f32_u32_e32 v2, s41
	s_sub_u32 s23, 0, s41
	s_subb_u32 s54, 0, 0
	s_delay_alu instid0(VALU_DEP_1) | instskip(NEXT) | instid1(VALU_DEP_1)
	v_fmac_f32_e64 v2, 0, 0x4f800000
	v_rcp_f32_e32 v2, v2
	s_waitcnt_depctr 0xfff
	v_mul_f32_e32 v2, 0x5f7ffffc, v2
	s_delay_alu instid0(VALU_DEP_1) | instskip(NEXT) | instid1(VALU_DEP_1)
	v_mul_f32_e32 v3, 0x2f800000, v2
	v_trunc_f32_e32 v3, v3
	s_delay_alu instid0(VALU_DEP_1) | instskip(SKIP_1) | instid1(VALU_DEP_2)
	v_fmac_f32_e32 v2, 0xcf800000, v3
	v_cvt_u32_f32_e32 v3, v3
	v_cvt_u32_f32_e32 v2, v2
	s_delay_alu instid0(VALU_DEP_2) | instskip(NEXT) | instid1(VALU_DEP_2)
	v_readfirstlane_b32 s4, v3
	v_readfirstlane_b32 s22, v2
	s_delay_alu instid0(VALU_DEP_2) | instskip(NEXT) | instid1(VALU_DEP_1)
	s_mul_i32 s56, s23, s4
	s_mul_hi_u32 s61, s23, s22
	s_mul_i32 s60, s54, s22
	s_add_i32 s56, s61, s56
	s_mul_i32 s62, s23, s22
	s_add_i32 s56, s56, s60
	s_mul_hi_u32 s61, s22, s62
	s_mul_hi_u32 s63, s4, s62
	s_mul_i32 s60, s4, s62
	s_mul_hi_u32 s62, s22, s56
	s_mul_i32 s22, s22, s56
	s_mul_hi_u32 s64, s4, s56
	s_add_u32 s22, s61, s22
	s_addc_u32 s61, 0, s62
	s_add_u32 s22, s22, s60
	s_mul_i32 s56, s4, s56
	s_addc_u32 s22, s61, s63
	s_addc_u32 s60, s64, 0
	s_add_u32 s22, s22, s56
	s_addc_u32 s56, 0, s60
	v_add_co_u32 v2, s22, v2, s22
	s_delay_alu instid0(VALU_DEP_1) | instskip(SKIP_1) | instid1(VALU_DEP_1)
	s_cmp_lg_u32 s22, 0
	s_addc_u32 s4, s4, s56
	v_readfirstlane_b32 s22, v2
	s_mul_i32 s56, s23, s4
	s_delay_alu instid0(VALU_DEP_1)
	s_mul_hi_u32 s60, s23, s22
	s_mul_i32 s54, s54, s22
	s_add_i32 s56, s60, s56
	s_mul_i32 s23, s23, s22
	s_add_i32 s56, s56, s54
	s_mul_hi_u32 s60, s4, s23
	s_mul_i32 s61, s4, s23
	s_mul_hi_u32 s23, s22, s23
	s_mul_hi_u32 s62, s22, s56
	s_mul_i32 s22, s22, s56
	s_mul_hi_u32 s54, s4, s56
	s_add_u32 s22, s23, s22
	s_addc_u32 s23, 0, s62
	s_add_u32 s22, s22, s61
	s_mul_i32 s56, s4, s56
	s_addc_u32 s22, s23, s60
	s_addc_u32 s23, s54, 0
	s_add_u32 s22, s22, s56
	s_addc_u32 s23, 0, s23
	v_add_co_u32 v2, s22, v2, s22
	s_delay_alu instid0(VALU_DEP_1) | instskip(SKIP_1) | instid1(VALU_DEP_1)
	s_cmp_lg_u32 s22, 0
	s_addc_u32 s4, s4, s23
	v_readfirstlane_b32 s22, v2
	s_mul_i32 s54, s21, s4
	s_mul_hi_u32 s23, s21, s4
	s_mul_hi_u32 s56, s5, s4
	s_mul_i32 s4, s5, s4
	s_mul_hi_u32 s60, s21, s22
	s_mul_hi_u32 s61, s5, s22
	s_mul_i32 s22, s5, s22
	s_add_u32 s54, s60, s54
	s_addc_u32 s23, 0, s23
	s_add_u32 s22, s54, s22
	s_addc_u32 s22, s23, s61
	s_addc_u32 s23, s56, 0
	s_add_u32 s4, s22, s4
	s_addc_u32 s22, 0, s23
	s_mul_hi_u32 s23, s41, s4
	s_mul_i32 s4, s41, s4
	s_mul_i32 s22, s41, s22
	v_sub_co_u32 v2, s4, s21, s4
	s_add_i32 s23, s23, s22
	s_cmp_lg_u32 s4, 0
	s_delay_alu instid0(VALU_DEP_1) | instskip(SKIP_2) | instid1(VALU_DEP_1)
	v_sub_co_u32 v3, s4, v2, s41
	s_subb_u32 s22, s5, s23
	s_cmp_lg_u32 s4, 0
	v_cmp_le_u32_e32 vcc_lo, s41, v3
	v_sub_co_u32 v4, s4, v3, s41
	s_subb_u32 s23, s22, 0
	s_cmp_lg_u32 s4, 0
	v_cndmask_b32_e64 v5, 0, -1, vcc_lo
	s_subb_u32 s4, s23, 0
	s_cmp_eq_u32 s23, 0
	v_mov_b32_e32 v7, s4
	s_cselect_b32 vcc_lo, -1, 0
	s_cmp_eq_u32 s22, 0
	v_cndmask_b32_e32 v5, -1, v5, vcc_lo
	v_cmp_le_u32_e32 vcc_lo, s41, v2
	s_cselect_b32 s4, -1, 0
	v_cndmask_b32_e64 v6, 0, -1, vcc_lo
	s_delay_alu instid0(VALU_DEP_3) | instskip(NEXT) | instid1(VALU_DEP_2)
	v_cmp_ne_u32_e32 vcc_lo, 0, v5
	v_cndmask_b32_e64 v5, -1, v6, s4
	v_cndmask_b32_e32 v6, s23, v7, vcc_lo
	v_cndmask_b32_e32 v4, v3, v4, vcc_lo
	s_delay_alu instid0(VALU_DEP_3) | instskip(NEXT) | instid1(VALU_DEP_3)
	v_cmp_ne_u32_e32 vcc_lo, 0, v5
	v_cndmask_b32_e32 v3, s22, v6, vcc_lo
	s_delay_alu instid0(VALU_DEP_3)
	v_cndmask_b32_e32 v2, v2, v4, vcc_lo
	s_cbranch_execnz .LBB109_92
.LBB109_91:                             ;   in Loop: Header=BB109_15 Depth=1
	v_cvt_f32_u32_e32 v2, s41
	s_sub_i32 s4, 0, s41
	s_delay_alu instid0(VALU_DEP_1) | instskip(SKIP_2) | instid1(VALU_DEP_1)
	v_rcp_iflag_f32_e32 v2, v2
	s_waitcnt_depctr 0xfff
	v_mul_f32_e32 v2, 0x4f7ffffe, v2
	v_cvt_u32_f32_e32 v2, v2
	s_delay_alu instid0(VALU_DEP_1) | instskip(NEXT) | instid1(VALU_DEP_1)
	v_mul_lo_u32 v3, s4, v2
	v_mul_hi_u32 v3, v2, v3
	s_delay_alu instid0(VALU_DEP_1) | instskip(NEXT) | instid1(VALU_DEP_1)
	v_add_nc_u32_e32 v2, v2, v3
	v_mul_hi_u32 v2, s21, v2
	s_delay_alu instid0(VALU_DEP_1) | instskip(NEXT) | instid1(VALU_DEP_1)
	v_mul_lo_u32 v2, v2, s41
	v_sub_nc_u32_e32 v2, s21, v2
	s_delay_alu instid0(VALU_DEP_1) | instskip(SKIP_1) | instid1(VALU_DEP_2)
	v_subrev_nc_u32_e32 v3, s41, v2
	v_cmp_le_u32_e32 vcc_lo, s41, v2
	v_cndmask_b32_e32 v2, v2, v3, vcc_lo
	s_delay_alu instid0(VALU_DEP_1) | instskip(SKIP_1) | instid1(VALU_DEP_2)
	v_subrev_nc_u32_e32 v3, s41, v2
	v_cmp_le_u32_e32 vcc_lo, s41, v2
	v_cndmask_b32_e32 v10, v2, v3, vcc_lo
	s_delay_alu instid0(VALU_DEP_1)
	v_dual_mov_b32 v2, v10 :: v_dual_mov_b32 v3, v11
.LBB109_92:                             ;   in Loop: Header=BB109_15 Depth=1
	s_delay_alu instid0(VALU_DEP_1) | instskip(NEXT) | instid1(VALU_DEP_2)
	v_sub_co_u32 v2, vcc_lo, s21, v2
	v_sub_co_ci_u32_e32 v3, vcc_lo, s5, v3, vcc_lo
	s_mov_b32 s4, 0
	s_mov_b32 s5, exec_lo
                                        ; implicit-def: $vgpr27
	s_delay_alu instid0(VALU_DEP_1)
	v_cmpx_gt_u64_e64 v[2:3], v[0:1]
	s_cbranch_execz .LBB109_103
; %bb.93:                               ;   in Loop: Header=BB109_15 Depth=1
	v_mov_b32_e32 v6, v21
	v_dual_mov_b32 v5, v1 :: v_dual_mov_b32 v4, v0
	s_mov_b32 s21, 0
                                        ; implicit-def: $sgpr22
	s_set_inst_prefetch_distance 0x1
	s_branch .LBB109_95
	.p2align	6
.LBB109_94:                             ;   in Loop: Header=BB109_95 Depth=2
	s_or_b32 exec_lo, exec_lo, s4
	s_waitcnt lgkmcnt(0)
	s_barrier
	buffer_gl0_inv
	ds_load_b32 v7, v11 offset:3072
	v_add_co_u32 v4, vcc_lo, v4, s41
	v_add_co_ci_u32_e32 v5, vcc_lo, 0, v5, vcc_lo
	v_add_nc_u32_e32 v6, s79, v6
	s_waitcnt lgkmcnt(0)
	s_barrier
	s_delay_alu instid0(VALU_DEP_2) | instskip(SKIP_2) | instid1(VALU_DEP_1)
	v_cmp_ge_u64_e32 vcc_lo, v[4:5], v[2:3]
	buffer_gl0_inv
	v_cmp_ne_u16_e64 s4, 0, v7
	s_or_b32 s23, vcc_lo, s4
	s_delay_alu instid0(SALU_CYCLE_1) | instskip(NEXT) | instid1(SALU_CYCLE_1)
	s_and_b32 s23, exec_lo, s23
	s_or_b32 s21, s23, s21
	s_and_not1_b32 s22, s22, exec_lo
	s_and_b32 s4, s4, exec_lo
	s_delay_alu instid0(SALU_CYCLE_1)
	s_or_b32 s22, s22, s4
	s_and_not1_b32 exec_lo, exec_lo, s21
	s_cbranch_execz .LBB109_102
.LBB109_95:                             ;   Parent Loop BB109_15 Depth=1
                                        ; =>  This Inner Loop Header: Depth=2
	s_delay_alu instid0(VALU_DEP_1)
	v_cmp_gt_u64_e32 vcc_lo, s[14:15], v[4:5]
	v_mov_b32_e32 v7, 0
	s_and_saveexec_b32 s4, vcc_lo
	s_cbranch_execz .LBB109_97
; %bb.96:                               ;   in Loop: Header=BB109_95 Depth=2
	ds_load_u16 v7, v6
.LBB109_97:                             ;   in Loop: Header=BB109_95 Depth=2
	s_or_b32 exec_lo, exec_lo, s4
	s_and_saveexec_b32 s4, vcc_lo
	s_cbranch_execz .LBB109_94
; %bb.98:                               ;   in Loop: Header=BB109_95 Depth=2
	s_waitcnt lgkmcnt(0)
	v_bfe_i32 v8, v7, 0, 16
	s_delay_alu instid0(VALU_DEP_1) | instskip(NEXT) | instid1(VALU_DEP_1)
	v_add_nc_u32_e32 v8, 0x8000, v8
	v_and_b32_e32 v8, s90, v8
	s_delay_alu instid0(VALU_DEP_1)
	v_cmp_eq_u32_e32 vcc_lo, s89, v8
	s_and_b32 exec_lo, exec_lo, vcc_lo
	s_cbranch_execz .LBB109_94
; %bb.99:                               ;   in Loop: Header=BB109_95 Depth=2
	v_perm_b32 v7, v7, 1, 0x5040100
	ds_store_b32 v11, v7 offset:3072
	s_branch .LBB109_94
.LBB109_100:                            ;   in Loop: Header=BB109_15 Depth=1
	s_mov_b32 s4, -1
                                        ; implicit-def: $sgpr5
                                        ; implicit-def: $sgpr15
                                        ; implicit-def: $sgpr14
	s_branch .LBB109_117
.LBB109_101:                            ;   in Loop: Header=BB109_15 Depth=1
	s_mov_b32 s5, -1
	s_mov_b32 s4, 0
                                        ; implicit-def: $sgpr14
                                        ; implicit-def: $vgpr27
	s_mov_b32 s15, s5
	s_cbranch_execnz .LBB109_104
	s_branch .LBB109_117
.LBB109_102:                            ;   in Loop: Header=BB109_15 Depth=1
	s_set_inst_prefetch_distance 0x2
	s_or_b32 exec_lo, exec_lo, s21
	v_lshrrev_b32_e32 v27, 16, v7
	s_and_b32 s4, s22, exec_lo
.LBB109_103:                            ;   in Loop: Header=BB109_15 Depth=1
	s_or_b32 exec_lo, exec_lo, s5
	s_mov_b32 s14, -1
	s_mov_b32 s5, 0
	s_delay_alu instid0(SALU_CYCLE_1)
	s_mov_b32 s15, s5
	s_branch .LBB109_117
.LBB109_104:                            ;   in Loop: Header=BB109_15 Depth=1
	s_mov_b32 s56, s55
	s_delay_alu instid0(SALU_CYCLE_1)
	s_cmp_lg_u64 s[56:57], 0
	s_cbranch_scc0 .LBB109_147
; %bb.105:                              ;   in Loop: Header=BB109_15 Depth=1
	v_cvt_f32_u32_e32 v2, s41
	s_sub_u32 s14, 0, s41
	s_subb_u32 s15, 0, 0
	s_delay_alu instid0(VALU_DEP_1) | instskip(NEXT) | instid1(VALU_DEP_1)
	v_fmac_f32_e64 v2, 0, 0x4f800000
	v_rcp_f32_e32 v2, v2
	s_waitcnt_depctr 0xfff
	v_mul_f32_e32 v2, 0x5f7ffffc, v2
	s_delay_alu instid0(VALU_DEP_1) | instskip(NEXT) | instid1(VALU_DEP_1)
	v_mul_f32_e32 v3, 0x2f800000, v2
	v_trunc_f32_e32 v3, v3
	s_delay_alu instid0(VALU_DEP_1) | instskip(SKIP_1) | instid1(VALU_DEP_2)
	v_fmac_f32_e32 v2, 0xcf800000, v3
	v_cvt_u32_f32_e32 v3, v3
	v_cvt_u32_f32_e32 v2, v2
	s_delay_alu instid0(VALU_DEP_2) | instskip(NEXT) | instid1(VALU_DEP_2)
	v_readfirstlane_b32 s4, v3
	v_readfirstlane_b32 s5, v2
	s_delay_alu instid0(VALU_DEP_2) | instskip(NEXT) | instid1(VALU_DEP_1)
	s_mul_i32 s21, s14, s4
	s_mul_hi_u32 s23, s14, s5
	s_mul_i32 s22, s15, s5
	s_add_i32 s21, s23, s21
	s_mul_i32 s54, s14, s5
	s_add_i32 s21, s21, s22
	s_mul_hi_u32 s23, s5, s54
	s_mul_hi_u32 s56, s4, s54
	s_mul_i32 s22, s4, s54
	s_mul_hi_u32 s54, s5, s21
	s_mul_i32 s5, s5, s21
	s_mul_hi_u32 s60, s4, s21
	s_add_u32 s5, s23, s5
	s_addc_u32 s23, 0, s54
	s_add_u32 s5, s5, s22
	s_mul_i32 s21, s4, s21
	s_addc_u32 s5, s23, s56
	s_addc_u32 s22, s60, 0
	s_add_u32 s5, s5, s21
	s_addc_u32 s21, 0, s22
	v_add_co_u32 v2, s5, v2, s5
	s_delay_alu instid0(VALU_DEP_1) | instskip(SKIP_1) | instid1(VALU_DEP_1)
	s_cmp_lg_u32 s5, 0
	s_addc_u32 s4, s4, s21
	v_readfirstlane_b32 s5, v2
	s_mul_i32 s21, s14, s4
	s_delay_alu instid0(VALU_DEP_1)
	s_mul_hi_u32 s22, s14, s5
	s_mul_i32 s15, s15, s5
	s_add_i32 s21, s22, s21
	s_mul_i32 s14, s14, s5
	s_add_i32 s21, s21, s15
	s_mul_hi_u32 s22, s4, s14
	s_mul_i32 s23, s4, s14
	s_mul_hi_u32 s14, s5, s14
	s_mul_hi_u32 s54, s5, s21
	s_mul_i32 s5, s5, s21
	s_mul_hi_u32 s15, s4, s21
	s_add_u32 s5, s14, s5
	s_addc_u32 s14, 0, s54
	s_add_u32 s5, s5, s23
	s_mul_i32 s21, s4, s21
	s_addc_u32 s5, s14, s22
	s_addc_u32 s14, s15, 0
	s_add_u32 s5, s5, s21
	s_addc_u32 s14, 0, s14
	v_add_co_u32 v2, s5, v2, s5
	s_delay_alu instid0(VALU_DEP_1) | instskip(SKIP_1) | instid1(VALU_DEP_1)
	s_cmp_lg_u32 s5, 0
	s_addc_u32 s4, s4, s14
	v_readfirstlane_b32 s5, v2
	s_mul_i32 s15, s73, s4
	s_mul_hi_u32 s14, s73, s4
	s_mul_hi_u32 s21, s57, s4
	s_mul_i32 s4, s57, s4
	s_mul_hi_u32 s22, s73, s5
	s_mul_hi_u32 s23, s57, s5
	s_mul_i32 s5, s57, s5
	s_add_u32 s15, s22, s15
	s_addc_u32 s14, 0, s14
	s_add_u32 s5, s15, s5
	s_addc_u32 s5, s14, s23
	s_addc_u32 s14, s21, 0
	s_add_u32 s4, s5, s4
	s_addc_u32 s5, 0, s14
	s_mul_hi_u32 s14, s41, s4
	s_mul_i32 s4, s41, s4
	s_mul_i32 s5, s41, s5
	v_sub_co_u32 v2, s4, s73, s4
	s_add_i32 s14, s14, s5
	s_cmp_lg_u32 s4, 0
	s_delay_alu instid0(VALU_DEP_1) | instskip(SKIP_2) | instid1(VALU_DEP_1)
	v_sub_co_u32 v3, s4, v2, s41
	s_subb_u32 s5, s57, s14
	s_cmp_lg_u32 s4, 0
	v_cmp_le_u32_e32 vcc_lo, s41, v3
	v_sub_co_u32 v4, s4, v3, s41
	s_subb_u32 s14, s5, 0
	s_cmp_lg_u32 s4, 0
	v_cndmask_b32_e64 v5, 0, -1, vcc_lo
	s_subb_u32 s4, s14, 0
	s_cmp_eq_u32 s14, 0
	v_mov_b32_e32 v7, s4
	s_cselect_b32 vcc_lo, -1, 0
	s_cmp_eq_u32 s5, 0
	v_cndmask_b32_e32 v5, -1, v5, vcc_lo
	v_cmp_le_u32_e32 vcc_lo, s41, v2
	s_cselect_b32 s4, -1, 0
	v_cndmask_b32_e64 v6, 0, -1, vcc_lo
	s_delay_alu instid0(VALU_DEP_3) | instskip(NEXT) | instid1(VALU_DEP_2)
	v_cmp_ne_u32_e32 vcc_lo, 0, v5
	v_cndmask_b32_e64 v5, -1, v6, s4
	v_cndmask_b32_e32 v6, s14, v7, vcc_lo
	v_cndmask_b32_e32 v4, v3, v4, vcc_lo
	s_delay_alu instid0(VALU_DEP_3) | instskip(NEXT) | instid1(VALU_DEP_3)
	v_cmp_ne_u32_e32 vcc_lo, 0, v5
	v_cndmask_b32_e32 v3, s5, v6, vcc_lo
	s_delay_alu instid0(VALU_DEP_3)
	v_cndmask_b32_e32 v2, v2, v4, vcc_lo
	s_cbranch_execnz .LBB109_107
.LBB109_106:                            ;   in Loop: Header=BB109_15 Depth=1
	v_cvt_f32_u32_e32 v2, s41
	s_sub_i32 s4, 0, s41
	s_delay_alu instid0(VALU_DEP_1) | instskip(SKIP_2) | instid1(VALU_DEP_1)
	v_rcp_iflag_f32_e32 v2, v2
	s_waitcnt_depctr 0xfff
	v_mul_f32_e32 v2, 0x4f7ffffe, v2
	v_cvt_u32_f32_e32 v2, v2
	s_delay_alu instid0(VALU_DEP_1) | instskip(NEXT) | instid1(VALU_DEP_1)
	v_mul_lo_u32 v3, s4, v2
	v_mul_hi_u32 v3, v2, v3
	s_delay_alu instid0(VALU_DEP_1) | instskip(NEXT) | instid1(VALU_DEP_1)
	v_add_nc_u32_e32 v2, v2, v3
	v_mul_hi_u32 v2, s73, v2
	s_delay_alu instid0(VALU_DEP_1) | instskip(NEXT) | instid1(VALU_DEP_1)
	v_mul_lo_u32 v2, v2, s41
	v_sub_nc_u32_e32 v2, s73, v2
	s_delay_alu instid0(VALU_DEP_1) | instskip(SKIP_1) | instid1(VALU_DEP_2)
	v_subrev_nc_u32_e32 v3, s41, v2
	v_cmp_le_u32_e32 vcc_lo, s41, v2
	v_cndmask_b32_e32 v2, v2, v3, vcc_lo
	s_delay_alu instid0(VALU_DEP_1) | instskip(SKIP_1) | instid1(VALU_DEP_2)
	v_subrev_nc_u32_e32 v3, s41, v2
	v_cmp_le_u32_e32 vcc_lo, s41, v2
	v_cndmask_b32_e32 v10, v2, v3, vcc_lo
	s_delay_alu instid0(VALU_DEP_1)
	v_dual_mov_b32 v2, v10 :: v_dual_mov_b32 v3, v11
.LBB109_107:                            ;   in Loop: Header=BB109_15 Depth=1
	s_delay_alu instid0(VALU_DEP_1) | instskip(NEXT) | instid1(VALU_DEP_2)
	v_sub_co_u32 v2, vcc_lo, s73, v2
	v_sub_co_ci_u32_e32 v3, vcc_lo, s57, v3, vcc_lo
	s_mov_b32 s4, 0
	s_mov_b32 s5, exec_lo
                                        ; implicit-def: $vgpr27
	s_delay_alu instid0(VALU_DEP_1)
	v_cmpx_gt_u64_e64 v[2:3], v[0:1]
	s_cbranch_execz .LBB109_116
; %bb.108:                              ;   in Loop: Header=BB109_15 Depth=1
	v_dual_mov_b32 v5, v1 :: v_dual_mov_b32 v4, v0
	s_mov_b32 s14, 0
                                        ; implicit-def: $sgpr15
	s_branch .LBB109_110
.LBB109_109:                            ;   in Loop: Header=BB109_110 Depth=2
	s_or_b32 exec_lo, exec_lo, s4
	s_waitcnt vmcnt(0) lgkmcnt(0)
	s_barrier
	buffer_gl0_inv
	ds_load_b32 v6, v11 offset:3072
	v_add_co_u32 v4, vcc_lo, v4, s41
	v_add_co_ci_u32_e32 v5, vcc_lo, 0, v5, vcc_lo
	s_waitcnt lgkmcnt(0)
	s_barrier
	buffer_gl0_inv
	v_cmp_ge_u64_e32 vcc_lo, v[4:5], v[2:3]
	v_cmp_ne_u16_e64 s4, 0, v6
	s_delay_alu instid0(VALU_DEP_1) | instskip(NEXT) | instid1(SALU_CYCLE_1)
	s_or_b32 s21, vcc_lo, s4
	s_and_b32 s21, exec_lo, s21
	s_delay_alu instid0(SALU_CYCLE_1) | instskip(SKIP_2) | instid1(SALU_CYCLE_1)
	s_or_b32 s14, s21, s14
	s_and_not1_b32 s15, s15, exec_lo
	s_and_b32 s4, s4, exec_lo
	s_or_b32 s15, s15, s4
	s_and_not1_b32 exec_lo, exec_lo, s14
	s_cbranch_execz .LBB109_115
.LBB109_110:                            ;   Parent Loop BB109_15 Depth=1
                                        ; =>  This Inner Loop Header: Depth=2
	s_delay_alu instid0(VALU_DEP_1)
	v_cmp_gt_u64_e32 vcc_lo, s[24:25], v[4:5]
	v_mov_b32_e32 v6, 0
	s_and_saveexec_b32 s21, vcc_lo
	s_cbranch_execz .LBB109_112
; %bb.111:                              ;   in Loop: Header=BB109_110 Depth=2
	v_mul_lo_u32 v8, v5, s42
	v_mul_lo_u32 v9, v4, s43
	v_mad_u64_u32 v[6:7], null, v4, s42, 0
	s_delay_alu instid0(VALU_DEP_1) | instskip(NEXT) | instid1(VALU_DEP_1)
	v_add3_u32 v7, v7, v9, v8
	v_lshlrev_b64 v[6:7], 1, v[6:7]
	s_delay_alu instid0(VALU_DEP_1) | instskip(NEXT) | instid1(VALU_DEP_1)
	v_add_co_u32 v6, s4, s33, v6
	v_add_co_ci_u32_e64 v7, s4, s35, v7, s4
	global_load_u16 v6, v[6:7], off
.LBB109_112:                            ;   in Loop: Header=BB109_110 Depth=2
	s_or_b32 exec_lo, exec_lo, s21
	s_and_saveexec_b32 s4, vcc_lo
	s_cbranch_execz .LBB109_109
; %bb.113:                              ;   in Loop: Header=BB109_110 Depth=2
	s_waitcnt vmcnt(0)
	v_bfe_i32 v7, v6, 0, 16
	s_delay_alu instid0(VALU_DEP_1) | instskip(NEXT) | instid1(VALU_DEP_1)
	v_add_nc_u32_e32 v7, 0x8000, v7
	v_and_b32_e32 v7, s90, v7
	s_delay_alu instid0(VALU_DEP_1)
	v_cmp_eq_u32_e32 vcc_lo, s89, v7
	s_and_b32 exec_lo, exec_lo, vcc_lo
	s_cbranch_execz .LBB109_109
; %bb.114:                              ;   in Loop: Header=BB109_110 Depth=2
	v_perm_b32 v6, v6, 1, 0x5040100
	ds_store_b32 v11, v6 offset:3072
	s_branch .LBB109_109
.LBB109_115:                            ;   in Loop: Header=BB109_15 Depth=1
	s_or_b32 exec_lo, exec_lo, s14
	v_lshrrev_b32_e32 v27, 16, v6
	s_and_b32 s4, s15, exec_lo
.LBB109_116:                            ;   in Loop: Header=BB109_15 Depth=1
	s_or_b32 exec_lo, exec_lo, s5
	s_mov_b32 s15, -1
	s_mov_b32 s5, 0
	s_mov_b32 s14, 0
.LBB109_117:                            ;   in Loop: Header=BB109_15 Depth=1
	s_and_not1_b32 s21, s85, exec_lo
	s_and_b32 s5, s5, exec_lo
	s_and_b32 s15, s15, exec_lo
	s_or_b32 s85, s21, s5
	s_and_not1_b32 s5, s88, exec_lo
	s_and_not1_b32 s21, s86, exec_lo
	s_and_b32 s14, s14, exec_lo
	s_or_b32 s88, s5, s15
	s_or_b32 s86, s21, s14
	s_and_saveexec_b32 s14, s4
	s_cbranch_execz .LBB109_14
; %bb.118:                              ;   in Loop: Header=BB109_15 Depth=1
	s_xor_b32 s4, s20, -1
	s_mov_b32 s54, 1
	s_and_not1_b32 vcc_lo, exec_lo, s4
	s_cbranch_vccnz .LBB109_129
; %bb.119:                              ;   in Loop: Header=BB109_15 Depth=1
	v_cmp_gt_u64_e64 s4, s[52:53], s[12:13]
                                        ; implicit-def: $sgpr54
                                        ; implicit-def: $sgpr5
                                        ; implicit-def: $sgpr15
	s_delay_alu instid0(VALU_DEP_1)
	s_and_b32 vcc_lo, exec_lo, s4
	s_mov_b32 s4, -1
	s_cbranch_vccnz .LBB109_125
; %bb.120:                              ;   in Loop: Header=BB109_15 Depth=1
	ds_load_b64 v[2:3], v11 offset:5120
	s_waitcnt lgkmcnt(0)
	v_cmp_ne_u64_e32 vcc_lo, 0, v[2:3]
	s_cbranch_vccnz .LBB109_124
; %bb.121:                              ;   in Loop: Header=BB109_15 Depth=1
	s_and_saveexec_b32 s4, s2
	s_cbranch_execz .LBB109_123
; %bb.122:                              ;   in Loop: Header=BB109_15 Depth=1
	v_dual_mov_b32 v2, s12 :: v_dual_mov_b32 v3, s13
	ds_store_b64 v11, v[2:3] offset:5128
.LBB109_123:                            ;   in Loop: Header=BB109_15 Depth=1
	s_or_b32 exec_lo, exec_lo, s4
	s_waitcnt lgkmcnt(0)
	s_barrier
	buffer_gl0_inv
.LBB109_124:                            ;   in Loop: Header=BB109_15 Depth=1
	s_and_b32 s5, s89, s18
	s_or_b32 s15, s90, s16
	s_mov_b32 s4, 0
	s_mov_b32 s54, 8
.LBB109_125:                            ;   in Loop: Header=BB109_15 Depth=1
	s_and_not1_b32 vcc_lo, exec_lo, s4
	s_cbranch_vccnz .LBB109_127
; %bb.126:                              ;   in Loop: Header=BB109_15 Depth=1
	s_sub_u32 s52, s52, s12
	s_subb_u32 s53, s53, s13
	s_mov_b32 s4, -1
	s_mov_b32 s54, 0
	s_mov_b32 s5, s89
	;; [unrolled: 1-line block ×3, first 2 shown]
.LBB109_127:                            ;   in Loop: Header=BB109_15 Depth=1
	s_delay_alu instid0(SALU_CYCLE_1)
	s_mov_b32 s90, s15
	s_mov_b32 s89, s5
	s_and_b32 vcc_lo, exec_lo, s4
	s_mov_b32 s15, -1
	s_cbranch_vccnz .LBB109_130
.LBB109_128:                            ;   in Loop: Header=BB109_15 Depth=1
	s_mov_b32 s5, -1
                                        ; implicit-def: $sgpr12
                                        ; implicit-def: $sgpr19
                                        ; implicit-def: $sgpr13
	s_delay_alu instid0(SALU_CYCLE_1) | instskip(NEXT) | instid1(SALU_CYCLE_1)
	s_and_saveexec_b32 s4, s5
	s_xor_b32 s4, exec_lo, s4
	s_cbranch_execz .LBB109_13
	s_branch .LBB109_276
.LBB109_129:                            ;   in Loop: Header=BB109_15 Depth=1
	s_mov_b64 s[52:53], 1
	s_mov_b32 s15, -1
	s_branch .LBB109_128
.LBB109_130:                            ;   in Loop: Header=BB109_15 Depth=1
	s_cmp_eq_u64 s[10:11], 1
	s_cselect_b32 s4, -1, 0
	s_cmp_eq_u64 s[52:53], 1
	s_cselect_b32 s5, -1, 0
	s_delay_alu instid0(SALU_CYCLE_1)
	s_and_b32 s21, s4, s5
	s_mov_b32 s4, -1
	s_and_b32 vcc_lo, exec_lo, s21
	s_cbranch_vccz .LBB109_145
; %bb.131:                              ;   in Loop: Header=BB109_15 Depth=1
	ds_load_b64 v[2:3], v11 offset:5120
	s_waitcnt lgkmcnt(0)
	s_barrier
	buffer_gl0_inv
	v_readfirstlane_b32 s12, v2
	v_readfirstlane_b32 s13, v3
	s_and_saveexec_b32 s4, s3
	s_cbranch_execz .LBB109_133
; %bb.132:                              ;   in Loop: Header=BB109_15 Depth=1
	ds_store_b16 v22, v11
.LBB109_133:                            ;   in Loop: Header=BB109_15 Depth=1
	s_or_b32 exec_lo, exec_lo, s4
	s_lshl_b32 s4, 1, s17
	s_and_b32 s5, s89, s18
	s_or_b32 s90, s90, s16
	s_or_b32 s89, s5, s4
	s_cmp_eq_u64 s[12:13], 0
	s_waitcnt lgkmcnt(0)
	s_barrier
	buffer_gl0_inv
	s_cbranch_scc1 .LBB109_148
; %bb.134:                              ;   in Loop: Header=BB109_15 Depth=1
	s_add_u32 s19, s71, s12
	s_addc_u32 s5, s72, s13
	s_mov_b32 s4, s55
	s_delay_alu instid0(SALU_CYCLE_1)
	s_cmp_lg_u64 s[4:5], 0
	s_cbranch_scc0 .LBB109_193
; %bb.135:                              ;   in Loop: Header=BB109_15 Depth=1
	v_cvt_f32_u32_e32 v2, s41
	s_sub_u32 s22, 0, s41
	s_subb_u32 s23, 0, 0
	s_delay_alu instid0(VALU_DEP_1) | instskip(NEXT) | instid1(VALU_DEP_1)
	v_fmac_f32_e64 v2, 0, 0x4f800000
	v_rcp_f32_e32 v2, v2
	s_waitcnt_depctr 0xfff
	v_mul_f32_e32 v2, 0x5f7ffffc, v2
	s_delay_alu instid0(VALU_DEP_1) | instskip(NEXT) | instid1(VALU_DEP_1)
	v_mul_f32_e32 v3, 0x2f800000, v2
	v_trunc_f32_e32 v3, v3
	s_delay_alu instid0(VALU_DEP_1) | instskip(SKIP_1) | instid1(VALU_DEP_2)
	v_fmac_f32_e32 v2, 0xcf800000, v3
	v_cvt_u32_f32_e32 v3, v3
	v_cvt_u32_f32_e32 v2, v2
	s_delay_alu instid0(VALU_DEP_2) | instskip(NEXT) | instid1(VALU_DEP_2)
	v_readfirstlane_b32 s4, v3
	v_readfirstlane_b32 s20, v2
	s_delay_alu instid0(VALU_DEP_2) | instskip(NEXT) | instid1(VALU_DEP_1)
	s_mul_i32 s54, s22, s4
	s_mul_hi_u32 s60, s22, s20
	s_mul_i32 s56, s23, s20
	s_add_i32 s54, s60, s54
	s_mul_i32 s61, s22, s20
	s_add_i32 s54, s54, s56
	s_mul_hi_u32 s60, s20, s61
	s_mul_hi_u32 s62, s4, s61
	s_mul_i32 s56, s4, s61
	s_mul_hi_u32 s61, s20, s54
	s_mul_i32 s20, s20, s54
	s_mul_hi_u32 s63, s4, s54
	s_add_u32 s20, s60, s20
	s_addc_u32 s60, 0, s61
	s_add_u32 s20, s20, s56
	s_mul_i32 s54, s4, s54
	s_addc_u32 s20, s60, s62
	s_addc_u32 s56, s63, 0
	s_add_u32 s20, s20, s54
	s_addc_u32 s54, 0, s56
	v_add_co_u32 v2, s20, v2, s20
	s_delay_alu instid0(VALU_DEP_1) | instskip(SKIP_1) | instid1(VALU_DEP_1)
	s_cmp_lg_u32 s20, 0
	s_addc_u32 s4, s4, s54
	v_readfirstlane_b32 s20, v2
	s_mul_i32 s54, s22, s4
	s_delay_alu instid0(VALU_DEP_1)
	s_mul_hi_u32 s56, s22, s20
	s_mul_i32 s23, s23, s20
	s_add_i32 s54, s56, s54
	s_mul_i32 s22, s22, s20
	s_add_i32 s54, s54, s23
	s_mul_hi_u32 s56, s4, s22
	s_mul_i32 s60, s4, s22
	s_mul_hi_u32 s22, s20, s22
	s_mul_hi_u32 s61, s20, s54
	s_mul_i32 s20, s20, s54
	s_mul_hi_u32 s23, s4, s54
	s_add_u32 s20, s22, s20
	s_addc_u32 s22, 0, s61
	s_add_u32 s20, s20, s60
	s_mul_i32 s54, s4, s54
	s_addc_u32 s20, s22, s56
	s_addc_u32 s22, s23, 0
	s_add_u32 s20, s20, s54
	s_addc_u32 s22, 0, s22
	v_add_co_u32 v2, s20, v2, s20
	s_delay_alu instid0(VALU_DEP_1) | instskip(SKIP_1) | instid1(VALU_DEP_1)
	s_cmp_lg_u32 s20, 0
	s_addc_u32 s4, s4, s22
	v_readfirstlane_b32 s20, v2
	s_mul_i32 s23, s19, s4
	s_mul_hi_u32 s22, s19, s4
	s_mul_hi_u32 s54, s5, s4
	s_mul_i32 s4, s5, s4
	s_mul_hi_u32 s56, s19, s20
	s_mul_hi_u32 s60, s5, s20
	s_mul_i32 s20, s5, s20
	s_add_u32 s23, s56, s23
	s_addc_u32 s22, 0, s22
	s_add_u32 s20, s23, s20
	s_addc_u32 s20, s22, s60
	s_addc_u32 s22, s54, 0
	s_add_u32 s4, s20, s4
	s_addc_u32 s20, 0, s22
	s_mul_hi_u32 s22, s41, s4
	s_mul_i32 s4, s41, s4
	s_mul_i32 s20, s41, s20
	v_sub_co_u32 v2, s4, s19, s4
	s_add_i32 s22, s22, s20
	s_cmp_lg_u32 s4, 0
	s_delay_alu instid0(VALU_DEP_1) | instskip(SKIP_2) | instid1(VALU_DEP_1)
	v_sub_co_u32 v3, s4, v2, s41
	s_subb_u32 s20, s5, s22
	s_cmp_lg_u32 s4, 0
	v_cmp_le_u32_e32 vcc_lo, s41, v3
	v_sub_co_u32 v4, s4, v3, s41
	s_subb_u32 s22, s20, 0
	s_cmp_lg_u32 s4, 0
	v_cndmask_b32_e64 v5, 0, -1, vcc_lo
	s_subb_u32 s4, s22, 0
	s_cmp_eq_u32 s22, 0
	v_mov_b32_e32 v7, s4
	s_cselect_b32 vcc_lo, -1, 0
	s_cmp_eq_u32 s20, 0
	v_cndmask_b32_e32 v5, -1, v5, vcc_lo
	v_cmp_le_u32_e32 vcc_lo, s41, v2
	s_cselect_b32 s4, -1, 0
	v_cndmask_b32_e64 v6, 0, -1, vcc_lo
	s_delay_alu instid0(VALU_DEP_3) | instskip(NEXT) | instid1(VALU_DEP_2)
	v_cmp_ne_u32_e32 vcc_lo, 0, v5
	v_cndmask_b32_e64 v5, -1, v6, s4
	v_cndmask_b32_e32 v6, s22, v7, vcc_lo
	v_cndmask_b32_e32 v4, v3, v4, vcc_lo
	s_delay_alu instid0(VALU_DEP_3) | instskip(NEXT) | instid1(VALU_DEP_3)
	v_cmp_ne_u32_e32 vcc_lo, 0, v5
	v_cndmask_b32_e32 v3, s20, v6, vcc_lo
	s_delay_alu instid0(VALU_DEP_3)
	v_cndmask_b32_e32 v2, v2, v4, vcc_lo
	s_cbranch_execnz .LBB109_137
.LBB109_136:                            ;   in Loop: Header=BB109_15 Depth=1
	v_cvt_f32_u32_e32 v2, s41
	s_sub_i32 s4, 0, s41
	s_delay_alu instid0(VALU_DEP_1) | instskip(SKIP_2) | instid1(VALU_DEP_1)
	v_rcp_iflag_f32_e32 v2, v2
	s_waitcnt_depctr 0xfff
	v_mul_f32_e32 v2, 0x4f7ffffe, v2
	v_cvt_u32_f32_e32 v2, v2
	s_delay_alu instid0(VALU_DEP_1) | instskip(NEXT) | instid1(VALU_DEP_1)
	v_mul_lo_u32 v3, s4, v2
	v_mul_hi_u32 v3, v2, v3
	s_delay_alu instid0(VALU_DEP_1) | instskip(NEXT) | instid1(VALU_DEP_1)
	v_add_nc_u32_e32 v2, v2, v3
	v_mul_hi_u32 v2, s19, v2
	s_delay_alu instid0(VALU_DEP_1) | instskip(NEXT) | instid1(VALU_DEP_1)
	v_mul_lo_u32 v2, v2, s41
	v_sub_nc_u32_e32 v2, s19, v2
	s_delay_alu instid0(VALU_DEP_1) | instskip(SKIP_1) | instid1(VALU_DEP_2)
	v_subrev_nc_u32_e32 v3, s41, v2
	v_cmp_le_u32_e32 vcc_lo, s41, v2
	v_cndmask_b32_e32 v2, v2, v3, vcc_lo
	s_delay_alu instid0(VALU_DEP_1) | instskip(SKIP_1) | instid1(VALU_DEP_2)
	v_subrev_nc_u32_e32 v3, s41, v2
	v_cmp_le_u32_e32 vcc_lo, s41, v2
	v_cndmask_b32_e32 v10, v2, v3, vcc_lo
	s_delay_alu instid0(VALU_DEP_1)
	v_dual_mov_b32 v2, v10 :: v_dual_mov_b32 v3, v11
.LBB109_137:                            ;   in Loop: Header=BB109_15 Depth=1
	s_delay_alu instid0(VALU_DEP_1) | instskip(NEXT) | instid1(VALU_DEP_2)
	v_sub_co_u32 v2, vcc_lo, s19, v2
	v_sub_co_ci_u32_e32 v3, vcc_lo, s5, v3, vcc_lo
	s_mov_b32 s4, 0
	s_mov_b32 s5, exec_lo
                                        ; implicit-def: $vgpr27
	s_delay_alu instid0(VALU_DEP_1)
	v_cmpx_gt_u64_e64 v[2:3], v[0:1]
	s_cbranch_execz .LBB109_150
; %bb.138:                              ;   in Loop: Header=BB109_15 Depth=1
	v_mov_b32_e32 v6, v21
	v_dual_mov_b32 v5, v1 :: v_dual_mov_b32 v4, v0
	s_mov_b32 s19, 0
                                        ; implicit-def: $sgpr20
	s_set_inst_prefetch_distance 0x1
	s_branch .LBB109_140
	.p2align	6
.LBB109_139:                            ;   in Loop: Header=BB109_140 Depth=2
	s_or_b32 exec_lo, exec_lo, s4
	s_waitcnt lgkmcnt(0)
	s_barrier
	buffer_gl0_inv
	ds_load_b32 v7, v11 offset:3072
	v_add_co_u32 v4, vcc_lo, v4, s41
	v_add_co_ci_u32_e32 v5, vcc_lo, 0, v5, vcc_lo
	v_add_nc_u32_e32 v6, s79, v6
	s_waitcnt lgkmcnt(0)
	s_barrier
	s_delay_alu instid0(VALU_DEP_2) | instskip(SKIP_2) | instid1(VALU_DEP_1)
	v_cmp_ge_u64_e32 vcc_lo, v[4:5], v[2:3]
	buffer_gl0_inv
	v_cmp_ne_u16_e64 s4, 0, v7
	s_or_b32 s22, vcc_lo, s4
	s_delay_alu instid0(SALU_CYCLE_1) | instskip(NEXT) | instid1(SALU_CYCLE_1)
	s_and_b32 s22, exec_lo, s22
	s_or_b32 s19, s22, s19
	s_and_not1_b32 s20, s20, exec_lo
	s_and_b32 s4, s4, exec_lo
	s_delay_alu instid0(SALU_CYCLE_1)
	s_or_b32 s20, s20, s4
	s_and_not1_b32 exec_lo, exec_lo, s19
	s_cbranch_execz .LBB109_149
.LBB109_140:                            ;   Parent Loop BB109_15 Depth=1
                                        ; =>  This Inner Loop Header: Depth=2
	s_delay_alu instid0(VALU_DEP_1)
	v_cmp_gt_u64_e32 vcc_lo, s[12:13], v[4:5]
	v_mov_b32_e32 v7, 0
	s_and_saveexec_b32 s4, vcc_lo
	s_cbranch_execz .LBB109_142
; %bb.141:                              ;   in Loop: Header=BB109_140 Depth=2
	ds_load_u16 v7, v6
.LBB109_142:                            ;   in Loop: Header=BB109_140 Depth=2
	s_or_b32 exec_lo, exec_lo, s4
	s_and_saveexec_b32 s4, vcc_lo
	s_cbranch_execz .LBB109_139
; %bb.143:                              ;   in Loop: Header=BB109_140 Depth=2
	s_waitcnt lgkmcnt(0)
	v_bfe_i32 v8, v7, 0, 16
	s_delay_alu instid0(VALU_DEP_1) | instskip(NEXT) | instid1(VALU_DEP_1)
	v_add_nc_u32_e32 v8, 0x8000, v8
	v_and_b32_e32 v8, s90, v8
	s_delay_alu instid0(VALU_DEP_1)
	v_cmp_eq_u32_e32 vcc_lo, s89, v8
	s_and_b32 exec_lo, exec_lo, vcc_lo
	s_cbranch_execz .LBB109_139
; %bb.144:                              ;   in Loop: Header=BB109_140 Depth=2
	v_perm_b32 v7, v7, 1, 0x5040100
	ds_store_b32 v11, v7 offset:3072
	s_branch .LBB109_139
.LBB109_145:                            ;   in Loop: Header=BB109_15 Depth=1
                                        ; implicit-def: $sgpr13
                                        ; implicit-def: $sgpr19
                                        ; implicit-def: $sgpr12
	s_branch .LBB109_164
.LBB109_146:                            ;   in Loop: Header=BB109_15 Depth=1
                                        ; implicit-def: $vgpr2_vgpr3
	s_branch .LBB109_91
.LBB109_147:                            ;   in Loop: Header=BB109_15 Depth=1
                                        ; implicit-def: $vgpr2_vgpr3
	s_branch .LBB109_106
.LBB109_148:                            ;   in Loop: Header=BB109_15 Depth=1
	s_mov_b32 s13, -1
	s_mov_b32 s4, 0
                                        ; implicit-def: $sgpr12
                                        ; implicit-def: $vgpr27
	s_mov_b32 s19, s13
	s_cbranch_execnz .LBB109_151
	s_branch .LBB109_164
.LBB109_149:                            ;   in Loop: Header=BB109_15 Depth=1
	s_set_inst_prefetch_distance 0x2
	s_or_b32 exec_lo, exec_lo, s19
	v_lshrrev_b32_e32 v27, 16, v7
	s_and_b32 s4, s20, exec_lo
.LBB109_150:                            ;   in Loop: Header=BB109_15 Depth=1
	s_or_b32 exec_lo, exec_lo, s5
	s_mov_b32 s12, -1
	s_mov_b32 s13, 0
	s_delay_alu instid0(SALU_CYCLE_1)
	s_mov_b32 s19, s13
	s_branch .LBB109_164
.LBB109_151:                            ;   in Loop: Header=BB109_15 Depth=1
	s_mov_b32 s56, s55
	s_delay_alu instid0(SALU_CYCLE_1)
	s_cmp_lg_u64 s[56:57], 0
	s_cbranch_scc0 .LBB109_194
; %bb.152:                              ;   in Loop: Header=BB109_15 Depth=1
	v_cvt_f32_u32_e32 v2, s41
	s_sub_u32 s12, 0, s41
	s_subb_u32 s13, 0, 0
	s_delay_alu instid0(VALU_DEP_1) | instskip(NEXT) | instid1(VALU_DEP_1)
	v_fmac_f32_e64 v2, 0, 0x4f800000
	v_rcp_f32_e32 v2, v2
	s_waitcnt_depctr 0xfff
	v_mul_f32_e32 v2, 0x5f7ffffc, v2
	s_delay_alu instid0(VALU_DEP_1) | instskip(NEXT) | instid1(VALU_DEP_1)
	v_mul_f32_e32 v3, 0x2f800000, v2
	v_trunc_f32_e32 v3, v3
	s_delay_alu instid0(VALU_DEP_1) | instskip(SKIP_1) | instid1(VALU_DEP_2)
	v_fmac_f32_e32 v2, 0xcf800000, v3
	v_cvt_u32_f32_e32 v3, v3
	v_cvt_u32_f32_e32 v2, v2
	s_delay_alu instid0(VALU_DEP_2) | instskip(NEXT) | instid1(VALU_DEP_2)
	v_readfirstlane_b32 s4, v3
	v_readfirstlane_b32 s5, v2
	s_delay_alu instid0(VALU_DEP_2) | instskip(NEXT) | instid1(VALU_DEP_1)
	s_mul_i32 s19, s12, s4
	s_mul_hi_u32 s22, s12, s5
	s_mul_i32 s20, s13, s5
	s_add_i32 s19, s22, s19
	s_mul_i32 s23, s12, s5
	s_add_i32 s19, s19, s20
	s_mul_hi_u32 s22, s5, s23
	s_mul_hi_u32 s54, s4, s23
	s_mul_i32 s20, s4, s23
	s_mul_hi_u32 s23, s5, s19
	s_mul_i32 s5, s5, s19
	s_mul_hi_u32 s56, s4, s19
	s_add_u32 s5, s22, s5
	s_addc_u32 s22, 0, s23
	s_add_u32 s5, s5, s20
	s_mul_i32 s19, s4, s19
	s_addc_u32 s5, s22, s54
	s_addc_u32 s20, s56, 0
	s_add_u32 s5, s5, s19
	s_addc_u32 s19, 0, s20
	v_add_co_u32 v2, s5, v2, s5
	s_delay_alu instid0(VALU_DEP_1) | instskip(SKIP_1) | instid1(VALU_DEP_1)
	s_cmp_lg_u32 s5, 0
	s_addc_u32 s4, s4, s19
	v_readfirstlane_b32 s5, v2
	s_mul_i32 s19, s12, s4
	s_delay_alu instid0(VALU_DEP_1)
	s_mul_hi_u32 s20, s12, s5
	s_mul_i32 s13, s13, s5
	s_add_i32 s19, s20, s19
	s_mul_i32 s12, s12, s5
	s_add_i32 s19, s19, s13
	s_mul_hi_u32 s20, s4, s12
	s_mul_i32 s22, s4, s12
	s_mul_hi_u32 s12, s5, s12
	s_mul_hi_u32 s23, s5, s19
	s_mul_i32 s5, s5, s19
	s_mul_hi_u32 s13, s4, s19
	s_add_u32 s5, s12, s5
	s_addc_u32 s12, 0, s23
	s_add_u32 s5, s5, s22
	s_mul_i32 s19, s4, s19
	s_addc_u32 s5, s12, s20
	s_addc_u32 s12, s13, 0
	s_add_u32 s5, s5, s19
	s_addc_u32 s12, 0, s12
	v_add_co_u32 v2, s5, v2, s5
	s_delay_alu instid0(VALU_DEP_1) | instskip(SKIP_1) | instid1(VALU_DEP_1)
	s_cmp_lg_u32 s5, 0
	s_addc_u32 s4, s4, s12
	v_readfirstlane_b32 s5, v2
	s_mul_i32 s13, s73, s4
	s_mul_hi_u32 s12, s73, s4
	s_mul_hi_u32 s19, s57, s4
	s_mul_i32 s4, s57, s4
	s_mul_hi_u32 s20, s73, s5
	s_mul_hi_u32 s22, s57, s5
	s_mul_i32 s5, s57, s5
	s_add_u32 s13, s20, s13
	s_addc_u32 s12, 0, s12
	s_add_u32 s5, s13, s5
	s_addc_u32 s5, s12, s22
	s_addc_u32 s12, s19, 0
	s_add_u32 s4, s5, s4
	s_addc_u32 s5, 0, s12
	s_mul_hi_u32 s12, s41, s4
	s_mul_i32 s4, s41, s4
	s_mul_i32 s5, s41, s5
	v_sub_co_u32 v2, s4, s73, s4
	s_add_i32 s12, s12, s5
	s_cmp_lg_u32 s4, 0
	s_delay_alu instid0(VALU_DEP_1) | instskip(SKIP_2) | instid1(VALU_DEP_1)
	v_sub_co_u32 v3, s4, v2, s41
	s_subb_u32 s5, s57, s12
	s_cmp_lg_u32 s4, 0
	v_cmp_le_u32_e32 vcc_lo, s41, v3
	v_sub_co_u32 v4, s4, v3, s41
	s_subb_u32 s12, s5, 0
	s_cmp_lg_u32 s4, 0
	v_cndmask_b32_e64 v5, 0, -1, vcc_lo
	s_subb_u32 s4, s12, 0
	s_cmp_eq_u32 s12, 0
	v_mov_b32_e32 v7, s4
	s_cselect_b32 vcc_lo, -1, 0
	s_cmp_eq_u32 s5, 0
	v_cndmask_b32_e32 v5, -1, v5, vcc_lo
	v_cmp_le_u32_e32 vcc_lo, s41, v2
	s_cselect_b32 s4, -1, 0
	v_cndmask_b32_e64 v6, 0, -1, vcc_lo
	s_delay_alu instid0(VALU_DEP_3) | instskip(NEXT) | instid1(VALU_DEP_2)
	v_cmp_ne_u32_e32 vcc_lo, 0, v5
	v_cndmask_b32_e64 v5, -1, v6, s4
	v_cndmask_b32_e32 v6, s12, v7, vcc_lo
	v_cndmask_b32_e32 v4, v3, v4, vcc_lo
	s_delay_alu instid0(VALU_DEP_3) | instskip(NEXT) | instid1(VALU_DEP_3)
	v_cmp_ne_u32_e32 vcc_lo, 0, v5
	v_cndmask_b32_e32 v3, s5, v6, vcc_lo
	s_delay_alu instid0(VALU_DEP_3)
	v_cndmask_b32_e32 v2, v2, v4, vcc_lo
	s_cbranch_execnz .LBB109_154
.LBB109_153:                            ;   in Loop: Header=BB109_15 Depth=1
	v_cvt_f32_u32_e32 v2, s41
	s_sub_i32 s4, 0, s41
	s_delay_alu instid0(VALU_DEP_1) | instskip(SKIP_2) | instid1(VALU_DEP_1)
	v_rcp_iflag_f32_e32 v2, v2
	s_waitcnt_depctr 0xfff
	v_mul_f32_e32 v2, 0x4f7ffffe, v2
	v_cvt_u32_f32_e32 v2, v2
	s_delay_alu instid0(VALU_DEP_1) | instskip(NEXT) | instid1(VALU_DEP_1)
	v_mul_lo_u32 v3, s4, v2
	v_mul_hi_u32 v3, v2, v3
	s_delay_alu instid0(VALU_DEP_1) | instskip(NEXT) | instid1(VALU_DEP_1)
	v_add_nc_u32_e32 v2, v2, v3
	v_mul_hi_u32 v2, s73, v2
	s_delay_alu instid0(VALU_DEP_1) | instskip(NEXT) | instid1(VALU_DEP_1)
	v_mul_lo_u32 v2, v2, s41
	v_sub_nc_u32_e32 v2, s73, v2
	s_delay_alu instid0(VALU_DEP_1) | instskip(SKIP_1) | instid1(VALU_DEP_2)
	v_subrev_nc_u32_e32 v3, s41, v2
	v_cmp_le_u32_e32 vcc_lo, s41, v2
	v_cndmask_b32_e32 v2, v2, v3, vcc_lo
	s_delay_alu instid0(VALU_DEP_1) | instskip(SKIP_1) | instid1(VALU_DEP_2)
	v_subrev_nc_u32_e32 v3, s41, v2
	v_cmp_le_u32_e32 vcc_lo, s41, v2
	v_cndmask_b32_e32 v10, v2, v3, vcc_lo
	s_delay_alu instid0(VALU_DEP_1)
	v_dual_mov_b32 v2, v10 :: v_dual_mov_b32 v3, v11
.LBB109_154:                            ;   in Loop: Header=BB109_15 Depth=1
	s_delay_alu instid0(VALU_DEP_1) | instskip(NEXT) | instid1(VALU_DEP_2)
	v_sub_co_u32 v2, vcc_lo, s73, v2
	v_sub_co_ci_u32_e32 v3, vcc_lo, s57, v3, vcc_lo
	s_mov_b32 s4, 0
	s_mov_b32 s5, exec_lo
                                        ; implicit-def: $vgpr27
	s_delay_alu instid0(VALU_DEP_1)
	v_cmpx_gt_u64_e64 v[2:3], v[0:1]
	s_cbranch_execz .LBB109_163
; %bb.155:                              ;   in Loop: Header=BB109_15 Depth=1
	v_dual_mov_b32 v5, v1 :: v_dual_mov_b32 v4, v0
	s_mov_b32 s12, 0
                                        ; implicit-def: $sgpr13
	s_branch .LBB109_157
.LBB109_156:                            ;   in Loop: Header=BB109_157 Depth=2
	s_or_b32 exec_lo, exec_lo, s4
	s_waitcnt vmcnt(0) lgkmcnt(0)
	s_barrier
	buffer_gl0_inv
	ds_load_b32 v6, v11 offset:3072
	v_add_co_u32 v4, vcc_lo, v4, s41
	v_add_co_ci_u32_e32 v5, vcc_lo, 0, v5, vcc_lo
	s_waitcnt lgkmcnt(0)
	s_barrier
	buffer_gl0_inv
	v_cmp_ge_u64_e32 vcc_lo, v[4:5], v[2:3]
	v_cmp_ne_u16_e64 s4, 0, v6
	s_delay_alu instid0(VALU_DEP_1) | instskip(NEXT) | instid1(SALU_CYCLE_1)
	s_or_b32 s19, vcc_lo, s4
	s_and_b32 s19, exec_lo, s19
	s_delay_alu instid0(SALU_CYCLE_1) | instskip(SKIP_2) | instid1(SALU_CYCLE_1)
	s_or_b32 s12, s19, s12
	s_and_not1_b32 s13, s13, exec_lo
	s_and_b32 s4, s4, exec_lo
	s_or_b32 s13, s13, s4
	s_and_not1_b32 exec_lo, exec_lo, s12
	s_cbranch_execz .LBB109_162
.LBB109_157:                            ;   Parent Loop BB109_15 Depth=1
                                        ; =>  This Inner Loop Header: Depth=2
	s_delay_alu instid0(VALU_DEP_1)
	v_cmp_gt_u64_e32 vcc_lo, s[24:25], v[4:5]
	v_mov_b32_e32 v6, 0
	s_and_saveexec_b32 s19, vcc_lo
	s_cbranch_execz .LBB109_159
; %bb.158:                              ;   in Loop: Header=BB109_157 Depth=2
	v_mul_lo_u32 v8, v5, s42
	v_mul_lo_u32 v9, v4, s43
	v_mad_u64_u32 v[6:7], null, v4, s42, 0
	s_delay_alu instid0(VALU_DEP_1) | instskip(NEXT) | instid1(VALU_DEP_1)
	v_add3_u32 v7, v7, v9, v8
	v_lshlrev_b64 v[6:7], 1, v[6:7]
	s_delay_alu instid0(VALU_DEP_1) | instskip(NEXT) | instid1(VALU_DEP_1)
	v_add_co_u32 v6, s4, s33, v6
	v_add_co_ci_u32_e64 v7, s4, s35, v7, s4
	global_load_u16 v6, v[6:7], off
.LBB109_159:                            ;   in Loop: Header=BB109_157 Depth=2
	s_or_b32 exec_lo, exec_lo, s19
	s_and_saveexec_b32 s4, vcc_lo
	s_cbranch_execz .LBB109_156
; %bb.160:                              ;   in Loop: Header=BB109_157 Depth=2
	s_waitcnt vmcnt(0)
	v_bfe_i32 v7, v6, 0, 16
	s_delay_alu instid0(VALU_DEP_1) | instskip(NEXT) | instid1(VALU_DEP_1)
	v_add_nc_u32_e32 v7, 0x8000, v7
	v_and_b32_e32 v7, s90, v7
	s_delay_alu instid0(VALU_DEP_1)
	v_cmp_eq_u32_e32 vcc_lo, s89, v7
	s_and_b32 exec_lo, exec_lo, vcc_lo
	s_cbranch_execz .LBB109_156
; %bb.161:                              ;   in Loop: Header=BB109_157 Depth=2
	v_perm_b32 v6, v6, 1, 0x5040100
	ds_store_b32 v11, v6 offset:3072
	s_branch .LBB109_156
.LBB109_162:                            ;   in Loop: Header=BB109_15 Depth=1
	s_or_b32 exec_lo, exec_lo, s12
	v_lshrrev_b32_e32 v27, 16, v6
	s_and_b32 s4, s13, exec_lo
.LBB109_163:                            ;   in Loop: Header=BB109_15 Depth=1
	s_or_b32 exec_lo, exec_lo, s5
	s_mov_b32 s19, -1
	s_mov_b32 s13, 0
	s_mov_b32 s12, 0
.LBB109_164:                            ;   in Loop: Header=BB109_15 Depth=1
	s_mov_b32 s5, 0
                                        ; implicit-def: $sgpr54
	s_and_saveexec_b32 s20, s4
	s_cbranch_execz .LBB109_275
; %bb.165:                              ;   in Loop: Header=BB109_15 Depth=1
	s_xor_b32 s4, s21, -1
	s_mov_b32 s54, 1
	s_and_not1_b32 vcc_lo, exec_lo, s4
	s_cbranch_vccnz .LBB109_176
; %bb.166:                              ;   in Loop: Header=BB109_15 Depth=1
	v_cmp_gt_u64_e64 s4, s[52:53], s[10:11]
                                        ; implicit-def: $sgpr54
                                        ; implicit-def: $sgpr5
                                        ; implicit-def: $sgpr21
	s_delay_alu instid0(VALU_DEP_1)
	s_and_b32 vcc_lo, exec_lo, s4
	s_mov_b32 s4, -1
	s_cbranch_vccnz .LBB109_172
; %bb.167:                              ;   in Loop: Header=BB109_15 Depth=1
	ds_load_b64 v[2:3], v11 offset:5120
	s_waitcnt lgkmcnt(0)
	v_cmp_ne_u64_e32 vcc_lo, 0, v[2:3]
	s_cbranch_vccnz .LBB109_171
; %bb.168:                              ;   in Loop: Header=BB109_15 Depth=1
	s_and_saveexec_b32 s4, s2
	s_cbranch_execz .LBB109_170
; %bb.169:                              ;   in Loop: Header=BB109_15 Depth=1
	v_dual_mov_b32 v2, s10 :: v_dual_mov_b32 v3, s11
	ds_store_b64 v11, v[2:3] offset:5128
.LBB109_170:                            ;   in Loop: Header=BB109_15 Depth=1
	s_or_b32 exec_lo, exec_lo, s4
	s_waitcnt lgkmcnt(0)
	s_barrier
	buffer_gl0_inv
.LBB109_171:                            ;   in Loop: Header=BB109_15 Depth=1
	s_lshl_b32 s4, 1, s17
	s_and_b32 s5, s89, s18
	s_or_b32 s21, s90, s16
	s_or_b32 s5, s5, s4
	s_mov_b32 s4, 0
	s_mov_b32 s54, 8
.LBB109_172:                            ;   in Loop: Header=BB109_15 Depth=1
	s_and_not1_b32 vcc_lo, exec_lo, s4
	s_cbranch_vccnz .LBB109_174
; %bb.173:                              ;   in Loop: Header=BB109_15 Depth=1
	s_sub_u32 s52, s52, s10
	s_subb_u32 s53, s53, s11
	s_mov_b32 s4, -1
	s_mov_b32 s54, 0
	s_mov_b32 s5, s89
	;; [unrolled: 1-line block ×3, first 2 shown]
.LBB109_174:                            ;   in Loop: Header=BB109_15 Depth=1
	s_delay_alu instid0(SALU_CYCLE_1)
	s_mov_b32 s90, s21
	s_mov_b32 s89, s5
	s_and_not1_b32 vcc_lo, exec_lo, s4
	s_mov_b32 s5, -1
	s_cbranch_vccz .LBB109_177
.LBB109_175:                            ;   in Loop: Header=BB109_15 Depth=1
                                        ; implicit-def: $sgpr11
                                        ; implicit-def: $sgpr21
                                        ; implicit-def: $sgpr10
	s_branch .LBB109_274
.LBB109_176:                            ;   in Loop: Header=BB109_15 Depth=1
	s_mov_b64 s[52:53], 1
	s_mov_b32 s5, -1
	s_cbranch_execnz .LBB109_175
.LBB109_177:                            ;   in Loop: Header=BB109_15 Depth=1
	s_cmp_eq_u64 s[8:9], 1
	s_cselect_b32 s4, -1, 0
	s_cmp_eq_u64 s[52:53], 1
	s_cselect_b32 s5, -1, 0
	s_delay_alu instid0(SALU_CYCLE_1)
	s_and_b32 s23, s4, s5
	s_mov_b32 s4, -1
	s_and_b32 vcc_lo, exec_lo, s23
	s_cbranch_vccz .LBB109_192
; %bb.178:                              ;   in Loop: Header=BB109_15 Depth=1
	ds_load_b64 v[2:3], v11 offset:5120
	s_waitcnt lgkmcnt(0)
	s_barrier
	buffer_gl0_inv
	v_readfirstlane_b32 s10, v2
	v_readfirstlane_b32 s11, v3
	s_and_saveexec_b32 s4, s3
	s_cbranch_execz .LBB109_180
; %bb.179:                              ;   in Loop: Header=BB109_15 Depth=1
	ds_store_b16 v22, v11
.LBB109_180:                            ;   in Loop: Header=BB109_15 Depth=1
	s_or_b32 exec_lo, exec_lo, s4
	s_lshl_b32 s4, 2, s17
	s_and_b32 s5, s89, s18
	s_or_b32 s90, s90, s16
	s_or_b32 s89, s5, s4
	s_cmp_eq_u64 s[10:11], 0
	s_waitcnt lgkmcnt(0)
	s_barrier
	buffer_gl0_inv
	s_cbranch_scc1 .LBB109_195
; %bb.181:                              ;   in Loop: Header=BB109_15 Depth=1
	s_add_u32 s21, s71, s10
	s_addc_u32 s5, s72, s11
	s_mov_b32 s4, s55
	s_delay_alu instid0(SALU_CYCLE_1)
	s_cmp_lg_u64 s[4:5], 0
	s_cbranch_scc0 .LBB109_240
; %bb.182:                              ;   in Loop: Header=BB109_15 Depth=1
	v_cvt_f32_u32_e32 v2, s41
	s_sub_u32 s54, 0, s41
	s_subb_u32 s56, 0, 0
	s_delay_alu instid0(VALU_DEP_1) | instskip(NEXT) | instid1(VALU_DEP_1)
	v_fmac_f32_e64 v2, 0, 0x4f800000
	v_rcp_f32_e32 v2, v2
	s_waitcnt_depctr 0xfff
	v_mul_f32_e32 v2, 0x5f7ffffc, v2
	s_delay_alu instid0(VALU_DEP_1) | instskip(NEXT) | instid1(VALU_DEP_1)
	v_mul_f32_e32 v3, 0x2f800000, v2
	v_trunc_f32_e32 v3, v3
	s_delay_alu instid0(VALU_DEP_1) | instskip(SKIP_1) | instid1(VALU_DEP_2)
	v_fmac_f32_e32 v2, 0xcf800000, v3
	v_cvt_u32_f32_e32 v3, v3
	v_cvt_u32_f32_e32 v2, v2
	s_delay_alu instid0(VALU_DEP_2) | instskip(NEXT) | instid1(VALU_DEP_2)
	v_readfirstlane_b32 s4, v3
	v_readfirstlane_b32 s22, v2
	s_delay_alu instid0(VALU_DEP_2) | instskip(NEXT) | instid1(VALU_DEP_1)
	s_mul_i32 s60, s54, s4
	s_mul_hi_u32 s62, s54, s22
	s_mul_i32 s61, s56, s22
	s_add_i32 s60, s62, s60
	s_mul_i32 s63, s54, s22
	s_add_i32 s60, s60, s61
	s_mul_hi_u32 s62, s22, s63
	s_mul_hi_u32 s64, s4, s63
	s_mul_i32 s61, s4, s63
	s_mul_hi_u32 s63, s22, s60
	s_mul_i32 s22, s22, s60
	s_mul_hi_u32 s65, s4, s60
	s_add_u32 s22, s62, s22
	s_addc_u32 s62, 0, s63
	s_add_u32 s22, s22, s61
	s_mul_i32 s60, s4, s60
	s_addc_u32 s22, s62, s64
	s_addc_u32 s61, s65, 0
	s_add_u32 s22, s22, s60
	s_addc_u32 s60, 0, s61
	v_add_co_u32 v2, s22, v2, s22
	s_delay_alu instid0(VALU_DEP_1) | instskip(SKIP_1) | instid1(VALU_DEP_1)
	s_cmp_lg_u32 s22, 0
	s_addc_u32 s4, s4, s60
	v_readfirstlane_b32 s22, v2
	s_mul_i32 s60, s54, s4
	s_delay_alu instid0(VALU_DEP_1)
	s_mul_hi_u32 s61, s54, s22
	s_mul_i32 s56, s56, s22
	s_add_i32 s60, s61, s60
	s_mul_i32 s54, s54, s22
	s_add_i32 s60, s60, s56
	s_mul_hi_u32 s61, s4, s54
	s_mul_i32 s62, s4, s54
	s_mul_hi_u32 s54, s22, s54
	s_mul_hi_u32 s63, s22, s60
	s_mul_i32 s22, s22, s60
	s_mul_hi_u32 s56, s4, s60
	s_add_u32 s22, s54, s22
	s_addc_u32 s54, 0, s63
	s_add_u32 s22, s22, s62
	s_mul_i32 s60, s4, s60
	s_addc_u32 s22, s54, s61
	s_addc_u32 s54, s56, 0
	s_add_u32 s22, s22, s60
	s_addc_u32 s54, 0, s54
	v_add_co_u32 v2, s22, v2, s22
	s_delay_alu instid0(VALU_DEP_1) | instskip(SKIP_1) | instid1(VALU_DEP_1)
	s_cmp_lg_u32 s22, 0
	s_addc_u32 s4, s4, s54
	v_readfirstlane_b32 s22, v2
	s_mul_i32 s56, s21, s4
	s_mul_hi_u32 s54, s21, s4
	s_mul_hi_u32 s60, s5, s4
	s_mul_i32 s4, s5, s4
	s_mul_hi_u32 s61, s21, s22
	s_mul_hi_u32 s62, s5, s22
	s_mul_i32 s22, s5, s22
	s_add_u32 s56, s61, s56
	s_addc_u32 s54, 0, s54
	s_add_u32 s22, s56, s22
	s_addc_u32 s22, s54, s62
	s_addc_u32 s54, s60, 0
	s_add_u32 s4, s22, s4
	s_addc_u32 s22, 0, s54
	s_mul_hi_u32 s54, s41, s4
	s_mul_i32 s4, s41, s4
	s_mul_i32 s22, s41, s22
	v_sub_co_u32 v2, s4, s21, s4
	s_add_i32 s54, s54, s22
	s_cmp_lg_u32 s4, 0
	s_delay_alu instid0(VALU_DEP_1) | instskip(SKIP_2) | instid1(VALU_DEP_1)
	v_sub_co_u32 v3, s4, v2, s41
	s_subb_u32 s22, s5, s54
	s_cmp_lg_u32 s4, 0
	v_cmp_le_u32_e32 vcc_lo, s41, v3
	v_sub_co_u32 v4, s4, v3, s41
	s_subb_u32 s54, s22, 0
	s_cmp_lg_u32 s4, 0
	v_cndmask_b32_e64 v5, 0, -1, vcc_lo
	s_subb_u32 s4, s54, 0
	s_cmp_eq_u32 s54, 0
	v_mov_b32_e32 v7, s4
	s_cselect_b32 vcc_lo, -1, 0
	s_cmp_eq_u32 s22, 0
	v_cndmask_b32_e32 v5, -1, v5, vcc_lo
	v_cmp_le_u32_e32 vcc_lo, s41, v2
	s_cselect_b32 s4, -1, 0
	v_cndmask_b32_e64 v6, 0, -1, vcc_lo
	s_delay_alu instid0(VALU_DEP_3) | instskip(NEXT) | instid1(VALU_DEP_2)
	v_cmp_ne_u32_e32 vcc_lo, 0, v5
	v_cndmask_b32_e64 v5, -1, v6, s4
	v_cndmask_b32_e32 v6, s54, v7, vcc_lo
	v_cndmask_b32_e32 v4, v3, v4, vcc_lo
	s_delay_alu instid0(VALU_DEP_3) | instskip(NEXT) | instid1(VALU_DEP_3)
	v_cmp_ne_u32_e32 vcc_lo, 0, v5
	v_cndmask_b32_e32 v3, s22, v6, vcc_lo
	s_delay_alu instid0(VALU_DEP_3)
	v_cndmask_b32_e32 v2, v2, v4, vcc_lo
	s_cbranch_execnz .LBB109_184
.LBB109_183:                            ;   in Loop: Header=BB109_15 Depth=1
	v_cvt_f32_u32_e32 v2, s41
	s_sub_i32 s4, 0, s41
	s_delay_alu instid0(VALU_DEP_1) | instskip(SKIP_2) | instid1(VALU_DEP_1)
	v_rcp_iflag_f32_e32 v2, v2
	s_waitcnt_depctr 0xfff
	v_mul_f32_e32 v2, 0x4f7ffffe, v2
	v_cvt_u32_f32_e32 v2, v2
	s_delay_alu instid0(VALU_DEP_1) | instskip(NEXT) | instid1(VALU_DEP_1)
	v_mul_lo_u32 v3, s4, v2
	v_mul_hi_u32 v3, v2, v3
	s_delay_alu instid0(VALU_DEP_1) | instskip(NEXT) | instid1(VALU_DEP_1)
	v_add_nc_u32_e32 v2, v2, v3
	v_mul_hi_u32 v2, s21, v2
	s_delay_alu instid0(VALU_DEP_1) | instskip(NEXT) | instid1(VALU_DEP_1)
	v_mul_lo_u32 v2, v2, s41
	v_sub_nc_u32_e32 v2, s21, v2
	s_delay_alu instid0(VALU_DEP_1) | instskip(SKIP_1) | instid1(VALU_DEP_2)
	v_subrev_nc_u32_e32 v3, s41, v2
	v_cmp_le_u32_e32 vcc_lo, s41, v2
	v_cndmask_b32_e32 v2, v2, v3, vcc_lo
	s_delay_alu instid0(VALU_DEP_1) | instskip(SKIP_1) | instid1(VALU_DEP_2)
	v_subrev_nc_u32_e32 v3, s41, v2
	v_cmp_le_u32_e32 vcc_lo, s41, v2
	v_cndmask_b32_e32 v10, v2, v3, vcc_lo
	s_delay_alu instid0(VALU_DEP_1)
	v_dual_mov_b32 v2, v10 :: v_dual_mov_b32 v3, v11
.LBB109_184:                            ;   in Loop: Header=BB109_15 Depth=1
	s_delay_alu instid0(VALU_DEP_1) | instskip(NEXT) | instid1(VALU_DEP_2)
	v_sub_co_u32 v2, vcc_lo, s21, v2
	v_sub_co_ci_u32_e32 v3, vcc_lo, s5, v3, vcc_lo
	s_mov_b32 s4, 0
	s_mov_b32 s5, exec_lo
                                        ; implicit-def: $vgpr27
	s_delay_alu instid0(VALU_DEP_1)
	v_cmpx_gt_u64_e64 v[2:3], v[0:1]
	s_cbranch_execz .LBB109_197
; %bb.185:                              ;   in Loop: Header=BB109_15 Depth=1
	v_mov_b32_e32 v6, v21
	v_dual_mov_b32 v5, v1 :: v_dual_mov_b32 v4, v0
	s_mov_b32 s21, 0
                                        ; implicit-def: $sgpr22
	s_set_inst_prefetch_distance 0x1
	s_branch .LBB109_187
	.p2align	6
.LBB109_186:                            ;   in Loop: Header=BB109_187 Depth=2
	s_or_b32 exec_lo, exec_lo, s4
	s_waitcnt lgkmcnt(0)
	s_barrier
	buffer_gl0_inv
	ds_load_b32 v7, v11 offset:3072
	v_add_co_u32 v4, vcc_lo, v4, s41
	v_add_co_ci_u32_e32 v5, vcc_lo, 0, v5, vcc_lo
	v_add_nc_u32_e32 v6, s79, v6
	s_waitcnt lgkmcnt(0)
	s_barrier
	s_delay_alu instid0(VALU_DEP_2) | instskip(SKIP_2) | instid1(VALU_DEP_1)
	v_cmp_ge_u64_e32 vcc_lo, v[4:5], v[2:3]
	buffer_gl0_inv
	v_cmp_ne_u16_e64 s4, 0, v7
	s_or_b32 s54, vcc_lo, s4
	s_delay_alu instid0(SALU_CYCLE_1) | instskip(NEXT) | instid1(SALU_CYCLE_1)
	s_and_b32 s54, exec_lo, s54
	s_or_b32 s21, s54, s21
	s_and_not1_b32 s22, s22, exec_lo
	s_and_b32 s4, s4, exec_lo
	s_delay_alu instid0(SALU_CYCLE_1)
	s_or_b32 s22, s22, s4
	s_and_not1_b32 exec_lo, exec_lo, s21
	s_cbranch_execz .LBB109_196
.LBB109_187:                            ;   Parent Loop BB109_15 Depth=1
                                        ; =>  This Inner Loop Header: Depth=2
	s_delay_alu instid0(VALU_DEP_1)
	v_cmp_gt_u64_e32 vcc_lo, s[10:11], v[4:5]
	v_mov_b32_e32 v7, 0
	s_and_saveexec_b32 s4, vcc_lo
	s_cbranch_execz .LBB109_189
; %bb.188:                              ;   in Loop: Header=BB109_187 Depth=2
	ds_load_u16 v7, v6
.LBB109_189:                            ;   in Loop: Header=BB109_187 Depth=2
	s_or_b32 exec_lo, exec_lo, s4
	s_and_saveexec_b32 s4, vcc_lo
	s_cbranch_execz .LBB109_186
; %bb.190:                              ;   in Loop: Header=BB109_187 Depth=2
	s_waitcnt lgkmcnt(0)
	v_bfe_i32 v8, v7, 0, 16
	s_delay_alu instid0(VALU_DEP_1) | instskip(NEXT) | instid1(VALU_DEP_1)
	v_add_nc_u32_e32 v8, 0x8000, v8
	v_and_b32_e32 v8, s90, v8
	s_delay_alu instid0(VALU_DEP_1)
	v_cmp_eq_u32_e32 vcc_lo, s89, v8
	s_and_b32 exec_lo, exec_lo, vcc_lo
	s_cbranch_execz .LBB109_186
; %bb.191:                              ;   in Loop: Header=BB109_187 Depth=2
	v_perm_b32 v7, v7, 1, 0x5040100
	ds_store_b32 v11, v7 offset:3072
	s_branch .LBB109_186
.LBB109_192:                            ;   in Loop: Header=BB109_15 Depth=1
                                        ; implicit-def: $sgpr10
                                        ; implicit-def: $sgpr21
                                        ; implicit-def: $sgpr11
	s_branch .LBB109_211
.LBB109_193:                            ;   in Loop: Header=BB109_15 Depth=1
                                        ; implicit-def: $vgpr2_vgpr3
	s_branch .LBB109_136
.LBB109_194:                            ;   in Loop: Header=BB109_15 Depth=1
                                        ; implicit-def: $vgpr2_vgpr3
	s_branch .LBB109_153
.LBB109_195:                            ;   in Loop: Header=BB109_15 Depth=1
	s_mov_b32 s10, -1
	s_mov_b32 s4, 0
                                        ; implicit-def: $sgpr11
                                        ; implicit-def: $vgpr27
	s_mov_b32 s21, s10
	s_cbranch_execnz .LBB109_198
	s_branch .LBB109_211
.LBB109_196:                            ;   in Loop: Header=BB109_15 Depth=1
	s_set_inst_prefetch_distance 0x2
	s_or_b32 exec_lo, exec_lo, s21
	v_lshrrev_b32_e32 v27, 16, v7
	s_and_b32 s4, s22, exec_lo
.LBB109_197:                            ;   in Loop: Header=BB109_15 Depth=1
	s_or_b32 exec_lo, exec_lo, s5
	s_mov_b32 s11, -1
	s_mov_b32 s10, 0
	s_delay_alu instid0(SALU_CYCLE_1)
	s_mov_b32 s21, s10
	s_branch .LBB109_211
.LBB109_198:                            ;   in Loop: Header=BB109_15 Depth=1
	s_mov_b32 s56, s55
	s_delay_alu instid0(SALU_CYCLE_1)
	s_cmp_lg_u64 s[56:57], 0
	s_cbranch_scc0 .LBB109_241
; %bb.199:                              ;   in Loop: Header=BB109_15 Depth=1
	v_cvt_f32_u32_e32 v2, s41
	s_sub_u32 s10, 0, s41
	s_subb_u32 s11, 0, 0
	s_delay_alu instid0(VALU_DEP_1) | instskip(NEXT) | instid1(VALU_DEP_1)
	v_fmac_f32_e64 v2, 0, 0x4f800000
	v_rcp_f32_e32 v2, v2
	s_waitcnt_depctr 0xfff
	v_mul_f32_e32 v2, 0x5f7ffffc, v2
	s_delay_alu instid0(VALU_DEP_1) | instskip(NEXT) | instid1(VALU_DEP_1)
	v_mul_f32_e32 v3, 0x2f800000, v2
	v_trunc_f32_e32 v3, v3
	s_delay_alu instid0(VALU_DEP_1) | instskip(SKIP_1) | instid1(VALU_DEP_2)
	v_fmac_f32_e32 v2, 0xcf800000, v3
	v_cvt_u32_f32_e32 v3, v3
	v_cvt_u32_f32_e32 v2, v2
	s_delay_alu instid0(VALU_DEP_2) | instskip(NEXT) | instid1(VALU_DEP_2)
	v_readfirstlane_b32 s4, v3
	v_readfirstlane_b32 s5, v2
	s_delay_alu instid0(VALU_DEP_2) | instskip(NEXT) | instid1(VALU_DEP_1)
	s_mul_i32 s21, s10, s4
	s_mul_hi_u32 s54, s10, s5
	s_mul_i32 s22, s11, s5
	s_add_i32 s21, s54, s21
	s_mul_i32 s56, s10, s5
	s_add_i32 s21, s21, s22
	s_mul_hi_u32 s54, s5, s56
	s_mul_hi_u32 s60, s4, s56
	s_mul_i32 s22, s4, s56
	s_mul_hi_u32 s56, s5, s21
	s_mul_i32 s5, s5, s21
	s_mul_hi_u32 s61, s4, s21
	s_add_u32 s5, s54, s5
	s_addc_u32 s54, 0, s56
	s_add_u32 s5, s5, s22
	s_mul_i32 s21, s4, s21
	s_addc_u32 s5, s54, s60
	s_addc_u32 s22, s61, 0
	s_add_u32 s5, s5, s21
	s_addc_u32 s21, 0, s22
	v_add_co_u32 v2, s5, v2, s5
	s_delay_alu instid0(VALU_DEP_1) | instskip(SKIP_1) | instid1(VALU_DEP_1)
	s_cmp_lg_u32 s5, 0
	s_addc_u32 s4, s4, s21
	v_readfirstlane_b32 s5, v2
	s_mul_i32 s21, s10, s4
	s_delay_alu instid0(VALU_DEP_1)
	s_mul_hi_u32 s22, s10, s5
	s_mul_i32 s11, s11, s5
	s_add_i32 s21, s22, s21
	s_mul_i32 s10, s10, s5
	s_add_i32 s21, s21, s11
	s_mul_hi_u32 s22, s4, s10
	s_mul_i32 s54, s4, s10
	s_mul_hi_u32 s10, s5, s10
	s_mul_hi_u32 s56, s5, s21
	s_mul_i32 s5, s5, s21
	s_mul_hi_u32 s11, s4, s21
	s_add_u32 s5, s10, s5
	s_addc_u32 s10, 0, s56
	s_add_u32 s5, s5, s54
	s_mul_i32 s21, s4, s21
	s_addc_u32 s5, s10, s22
	s_addc_u32 s10, s11, 0
	s_add_u32 s5, s5, s21
	s_addc_u32 s10, 0, s10
	v_add_co_u32 v2, s5, v2, s5
	s_delay_alu instid0(VALU_DEP_1) | instskip(SKIP_1) | instid1(VALU_DEP_1)
	s_cmp_lg_u32 s5, 0
	s_addc_u32 s4, s4, s10
	v_readfirstlane_b32 s5, v2
	s_mul_i32 s11, s73, s4
	s_mul_hi_u32 s10, s73, s4
	s_mul_hi_u32 s21, s57, s4
	s_mul_i32 s4, s57, s4
	s_mul_hi_u32 s22, s73, s5
	s_mul_hi_u32 s54, s57, s5
	s_mul_i32 s5, s57, s5
	s_add_u32 s11, s22, s11
	s_addc_u32 s10, 0, s10
	s_add_u32 s5, s11, s5
	s_addc_u32 s5, s10, s54
	s_addc_u32 s10, s21, 0
	s_add_u32 s4, s5, s4
	s_addc_u32 s5, 0, s10
	s_mul_hi_u32 s10, s41, s4
	s_mul_i32 s4, s41, s4
	s_mul_i32 s5, s41, s5
	v_sub_co_u32 v2, s4, s73, s4
	s_add_i32 s10, s10, s5
	s_cmp_lg_u32 s4, 0
	s_delay_alu instid0(VALU_DEP_1) | instskip(SKIP_2) | instid1(VALU_DEP_1)
	v_sub_co_u32 v3, s4, v2, s41
	s_subb_u32 s5, s57, s10
	s_cmp_lg_u32 s4, 0
	v_cmp_le_u32_e32 vcc_lo, s41, v3
	v_sub_co_u32 v4, s4, v3, s41
	s_subb_u32 s10, s5, 0
	s_cmp_lg_u32 s4, 0
	v_cndmask_b32_e64 v5, 0, -1, vcc_lo
	s_subb_u32 s4, s10, 0
	s_cmp_eq_u32 s10, 0
	v_mov_b32_e32 v7, s4
	s_cselect_b32 vcc_lo, -1, 0
	s_cmp_eq_u32 s5, 0
	v_cndmask_b32_e32 v5, -1, v5, vcc_lo
	v_cmp_le_u32_e32 vcc_lo, s41, v2
	s_cselect_b32 s4, -1, 0
	v_cndmask_b32_e64 v6, 0, -1, vcc_lo
	s_delay_alu instid0(VALU_DEP_3) | instskip(NEXT) | instid1(VALU_DEP_2)
	v_cmp_ne_u32_e32 vcc_lo, 0, v5
	v_cndmask_b32_e64 v5, -1, v6, s4
	v_cndmask_b32_e32 v6, s10, v7, vcc_lo
	v_cndmask_b32_e32 v4, v3, v4, vcc_lo
	s_delay_alu instid0(VALU_DEP_3) | instskip(NEXT) | instid1(VALU_DEP_3)
	v_cmp_ne_u32_e32 vcc_lo, 0, v5
	v_cndmask_b32_e32 v3, s5, v6, vcc_lo
	s_delay_alu instid0(VALU_DEP_3)
	v_cndmask_b32_e32 v2, v2, v4, vcc_lo
	s_cbranch_execnz .LBB109_201
.LBB109_200:                            ;   in Loop: Header=BB109_15 Depth=1
	v_cvt_f32_u32_e32 v2, s41
	s_sub_i32 s4, 0, s41
	s_delay_alu instid0(VALU_DEP_1) | instskip(SKIP_2) | instid1(VALU_DEP_1)
	v_rcp_iflag_f32_e32 v2, v2
	s_waitcnt_depctr 0xfff
	v_mul_f32_e32 v2, 0x4f7ffffe, v2
	v_cvt_u32_f32_e32 v2, v2
	s_delay_alu instid0(VALU_DEP_1) | instskip(NEXT) | instid1(VALU_DEP_1)
	v_mul_lo_u32 v3, s4, v2
	v_mul_hi_u32 v3, v2, v3
	s_delay_alu instid0(VALU_DEP_1) | instskip(NEXT) | instid1(VALU_DEP_1)
	v_add_nc_u32_e32 v2, v2, v3
	v_mul_hi_u32 v2, s73, v2
	s_delay_alu instid0(VALU_DEP_1) | instskip(NEXT) | instid1(VALU_DEP_1)
	v_mul_lo_u32 v2, v2, s41
	v_sub_nc_u32_e32 v2, s73, v2
	s_delay_alu instid0(VALU_DEP_1) | instskip(SKIP_1) | instid1(VALU_DEP_2)
	v_subrev_nc_u32_e32 v3, s41, v2
	v_cmp_le_u32_e32 vcc_lo, s41, v2
	v_cndmask_b32_e32 v2, v2, v3, vcc_lo
	s_delay_alu instid0(VALU_DEP_1) | instskip(SKIP_1) | instid1(VALU_DEP_2)
	v_subrev_nc_u32_e32 v3, s41, v2
	v_cmp_le_u32_e32 vcc_lo, s41, v2
	v_cndmask_b32_e32 v10, v2, v3, vcc_lo
	s_delay_alu instid0(VALU_DEP_1)
	v_dual_mov_b32 v2, v10 :: v_dual_mov_b32 v3, v11
.LBB109_201:                            ;   in Loop: Header=BB109_15 Depth=1
	s_delay_alu instid0(VALU_DEP_1) | instskip(NEXT) | instid1(VALU_DEP_2)
	v_sub_co_u32 v2, vcc_lo, s73, v2
	v_sub_co_ci_u32_e32 v3, vcc_lo, s57, v3, vcc_lo
	s_mov_b32 s4, 0
	s_mov_b32 s5, exec_lo
                                        ; implicit-def: $vgpr27
	s_delay_alu instid0(VALU_DEP_1)
	v_cmpx_gt_u64_e64 v[2:3], v[0:1]
	s_cbranch_execz .LBB109_210
; %bb.202:                              ;   in Loop: Header=BB109_15 Depth=1
	v_dual_mov_b32 v5, v1 :: v_dual_mov_b32 v4, v0
	s_mov_b32 s10, 0
                                        ; implicit-def: $sgpr11
	s_branch .LBB109_204
.LBB109_203:                            ;   in Loop: Header=BB109_204 Depth=2
	s_or_b32 exec_lo, exec_lo, s4
	s_waitcnt vmcnt(0) lgkmcnt(0)
	s_barrier
	buffer_gl0_inv
	ds_load_b32 v6, v11 offset:3072
	v_add_co_u32 v4, vcc_lo, v4, s41
	v_add_co_ci_u32_e32 v5, vcc_lo, 0, v5, vcc_lo
	s_waitcnt lgkmcnt(0)
	s_barrier
	buffer_gl0_inv
	v_cmp_ge_u64_e32 vcc_lo, v[4:5], v[2:3]
	v_cmp_ne_u16_e64 s4, 0, v6
	s_delay_alu instid0(VALU_DEP_1) | instskip(NEXT) | instid1(SALU_CYCLE_1)
	s_or_b32 s21, vcc_lo, s4
	s_and_b32 s21, exec_lo, s21
	s_delay_alu instid0(SALU_CYCLE_1) | instskip(SKIP_2) | instid1(SALU_CYCLE_1)
	s_or_b32 s10, s21, s10
	s_and_not1_b32 s11, s11, exec_lo
	s_and_b32 s4, s4, exec_lo
	s_or_b32 s11, s11, s4
	s_and_not1_b32 exec_lo, exec_lo, s10
	s_cbranch_execz .LBB109_209
.LBB109_204:                            ;   Parent Loop BB109_15 Depth=1
                                        ; =>  This Inner Loop Header: Depth=2
	s_delay_alu instid0(VALU_DEP_1)
	v_cmp_gt_u64_e32 vcc_lo, s[24:25], v[4:5]
	v_mov_b32_e32 v6, 0
	s_and_saveexec_b32 s21, vcc_lo
	s_cbranch_execz .LBB109_206
; %bb.205:                              ;   in Loop: Header=BB109_204 Depth=2
	v_mul_lo_u32 v8, v5, s42
	v_mul_lo_u32 v9, v4, s43
	v_mad_u64_u32 v[6:7], null, v4, s42, 0
	s_delay_alu instid0(VALU_DEP_1) | instskip(NEXT) | instid1(VALU_DEP_1)
	v_add3_u32 v7, v7, v9, v8
	v_lshlrev_b64 v[6:7], 1, v[6:7]
	s_delay_alu instid0(VALU_DEP_1) | instskip(NEXT) | instid1(VALU_DEP_1)
	v_add_co_u32 v6, s4, s33, v6
	v_add_co_ci_u32_e64 v7, s4, s35, v7, s4
	global_load_u16 v6, v[6:7], off
.LBB109_206:                            ;   in Loop: Header=BB109_204 Depth=2
	s_or_b32 exec_lo, exec_lo, s21
	s_and_saveexec_b32 s4, vcc_lo
	s_cbranch_execz .LBB109_203
; %bb.207:                              ;   in Loop: Header=BB109_204 Depth=2
	s_waitcnt vmcnt(0)
	v_bfe_i32 v7, v6, 0, 16
	s_delay_alu instid0(VALU_DEP_1) | instskip(NEXT) | instid1(VALU_DEP_1)
	v_add_nc_u32_e32 v7, 0x8000, v7
	v_and_b32_e32 v7, s90, v7
	s_delay_alu instid0(VALU_DEP_1)
	v_cmp_eq_u32_e32 vcc_lo, s89, v7
	s_and_b32 exec_lo, exec_lo, vcc_lo
	s_cbranch_execz .LBB109_203
; %bb.208:                              ;   in Loop: Header=BB109_204 Depth=2
	v_perm_b32 v6, v6, 1, 0x5040100
	ds_store_b32 v11, v6 offset:3072
	s_branch .LBB109_203
.LBB109_209:                            ;   in Loop: Header=BB109_15 Depth=1
	s_or_b32 exec_lo, exec_lo, s10
	v_lshrrev_b32_e32 v27, 16, v6
	s_and_b32 s4, s11, exec_lo
.LBB109_210:                            ;   in Loop: Header=BB109_15 Depth=1
	s_or_b32 exec_lo, exec_lo, s5
	s_mov_b32 s21, -1
	s_mov_b32 s10, 0
	s_mov_b32 s11, 0
.LBB109_211:                            ;   in Loop: Header=BB109_15 Depth=1
	s_mov_b32 s5, 0
                                        ; implicit-def: $sgpr54
	s_and_saveexec_b32 s22, s4
	s_cbranch_execz .LBB109_273
; %bb.212:                              ;   in Loop: Header=BB109_15 Depth=1
	s_xor_b32 s4, s23, -1
	s_mov_b32 s54, 1
	s_and_not1_b32 vcc_lo, exec_lo, s4
	s_cbranch_vccnz .LBB109_223
; %bb.213:                              ;   in Loop: Header=BB109_15 Depth=1
	v_cmp_gt_u64_e64 s4, s[52:53], s[8:9]
                                        ; implicit-def: $sgpr54
                                        ; implicit-def: $sgpr5
                                        ; implicit-def: $sgpr23
	s_delay_alu instid0(VALU_DEP_1)
	s_and_b32 vcc_lo, exec_lo, s4
	s_mov_b32 s4, -1
	s_cbranch_vccnz .LBB109_219
; %bb.214:                              ;   in Loop: Header=BB109_15 Depth=1
	ds_load_b64 v[2:3], v11 offset:5120
	s_waitcnt lgkmcnt(0)
	v_cmp_ne_u64_e32 vcc_lo, 0, v[2:3]
	s_cbranch_vccnz .LBB109_218
; %bb.215:                              ;   in Loop: Header=BB109_15 Depth=1
	s_and_saveexec_b32 s4, s2
	s_cbranch_execz .LBB109_217
; %bb.216:                              ;   in Loop: Header=BB109_15 Depth=1
	v_dual_mov_b32 v2, s8 :: v_dual_mov_b32 v3, s9
	ds_store_b64 v11, v[2:3] offset:5128
.LBB109_217:                            ;   in Loop: Header=BB109_15 Depth=1
	s_or_b32 exec_lo, exec_lo, s4
	s_waitcnt lgkmcnt(0)
	s_barrier
	buffer_gl0_inv
.LBB109_218:                            ;   in Loop: Header=BB109_15 Depth=1
	s_lshl_b32 s4, 2, s17
	s_and_b32 s5, s89, s18
	s_or_b32 s23, s90, s16
	s_or_b32 s5, s5, s4
	s_mov_b32 s4, 0
	s_mov_b32 s54, 8
.LBB109_219:                            ;   in Loop: Header=BB109_15 Depth=1
	s_and_not1_b32 vcc_lo, exec_lo, s4
	s_cbranch_vccnz .LBB109_221
; %bb.220:                              ;   in Loop: Header=BB109_15 Depth=1
	s_sub_u32 s52, s52, s8
	s_subb_u32 s53, s53, s9
	s_mov_b32 s4, -1
	s_mov_b32 s54, 0
	s_mov_b32 s5, s89
	;; [unrolled: 1-line block ×3, first 2 shown]
.LBB109_221:                            ;   in Loop: Header=BB109_15 Depth=1
	s_delay_alu instid0(SALU_CYCLE_1)
	s_mov_b32 s90, s23
	s_mov_b32 s89, s5
	s_and_not1_b32 vcc_lo, exec_lo, s4
	s_mov_b32 s60, -1
	s_cbranch_vccz .LBB109_224
.LBB109_222:                            ;   in Loop: Header=BB109_15 Depth=1
                                        ; implicit-def: $sgpr8
                                        ; implicit-def: $sgpr18
                                        ; implicit-def: $sgpr9
	s_branch .LBB109_272
.LBB109_223:                            ;   in Loop: Header=BB109_15 Depth=1
	s_mov_b64 s[52:53], 1
	s_mov_b32 s60, -1
	s_cbranch_execnz .LBB109_222
.LBB109_224:                            ;   in Loop: Header=BB109_15 Depth=1
	s_cmp_eq_u64 s[6:7], 1
	s_mov_b32 s23, -1
	s_cselect_b32 s4, -1, 0
	s_cmp_eq_u64 s[52:53], 1
	s_cselect_b32 s5, -1, 0
	s_delay_alu instid0(SALU_CYCLE_1) | instskip(NEXT) | instid1(SALU_CYCLE_1)
	s_and_b32 s17, s4, s5
	s_and_b32 vcc_lo, exec_lo, s17
	s_cbranch_vccz .LBB109_239
; %bb.225:                              ;   in Loop: Header=BB109_15 Depth=1
	ds_load_b64 v[2:3], v11 offset:5120
	s_waitcnt lgkmcnt(0)
	s_barrier
	buffer_gl0_inv
	v_readfirstlane_b32 s8, v2
	v_readfirstlane_b32 s9, v3
	s_and_saveexec_b32 s4, s3
	s_cbranch_execz .LBB109_227
; %bb.226:                              ;   in Loop: Header=BB109_15 Depth=1
	ds_store_b16 v22, v11
.LBB109_227:                            ;   in Loop: Header=BB109_15 Depth=1
	s_or_b32 exec_lo, exec_lo, s4
	s_or_b32 s89, s89, s16
	s_or_b32 s90, s90, s16
	s_cmp_eq_u64 s[8:9], 0
	s_waitcnt lgkmcnt(0)
	s_barrier
	buffer_gl0_inv
	s_cbranch_scc1 .LBB109_242
; %bb.228:                              ;   in Loop: Header=BB109_15 Depth=1
	s_add_u32 s18, s71, s8
	s_addc_u32 s5, s72, s9
	s_mov_b32 s4, s55
	s_delay_alu instid0(SALU_CYCLE_1)
	s_cmp_lg_u64 s[4:5], 0
	s_cbranch_scc0 .LBB109_278
; %bb.229:                              ;   in Loop: Header=BB109_15 Depth=1
	v_cvt_f32_u32_e32 v2, s41
	s_sub_u32 s54, 0, s41
	s_subb_u32 s56, 0, 0
	s_delay_alu instid0(VALU_DEP_1) | instskip(NEXT) | instid1(VALU_DEP_1)
	v_fmac_f32_e64 v2, 0, 0x4f800000
	v_rcp_f32_e32 v2, v2
	s_waitcnt_depctr 0xfff
	v_mul_f32_e32 v2, 0x5f7ffffc, v2
	s_delay_alu instid0(VALU_DEP_1) | instskip(NEXT) | instid1(VALU_DEP_1)
	v_mul_f32_e32 v3, 0x2f800000, v2
	v_trunc_f32_e32 v3, v3
	s_delay_alu instid0(VALU_DEP_1) | instskip(SKIP_1) | instid1(VALU_DEP_2)
	v_fmac_f32_e32 v2, 0xcf800000, v3
	v_cvt_u32_f32_e32 v3, v3
	v_cvt_u32_f32_e32 v2, v2
	s_delay_alu instid0(VALU_DEP_2) | instskip(NEXT) | instid1(VALU_DEP_2)
	v_readfirstlane_b32 s4, v3
	v_readfirstlane_b32 s23, v2
	s_delay_alu instid0(VALU_DEP_2) | instskip(NEXT) | instid1(VALU_DEP_1)
	s_mul_i32 s60, s54, s4
	s_mul_hi_u32 s62, s54, s23
	s_mul_i32 s61, s56, s23
	s_add_i32 s60, s62, s60
	s_mul_i32 s63, s54, s23
	s_add_i32 s60, s60, s61
	s_mul_hi_u32 s62, s23, s63
	s_mul_hi_u32 s64, s4, s63
	s_mul_i32 s61, s4, s63
	s_mul_hi_u32 s63, s23, s60
	s_mul_i32 s23, s23, s60
	s_mul_hi_u32 s65, s4, s60
	s_add_u32 s23, s62, s23
	s_addc_u32 s62, 0, s63
	s_add_u32 s23, s23, s61
	s_mul_i32 s60, s4, s60
	s_addc_u32 s23, s62, s64
	s_addc_u32 s61, s65, 0
	s_add_u32 s23, s23, s60
	s_addc_u32 s60, 0, s61
	v_add_co_u32 v2, s23, v2, s23
	s_delay_alu instid0(VALU_DEP_1) | instskip(SKIP_1) | instid1(VALU_DEP_1)
	s_cmp_lg_u32 s23, 0
	s_addc_u32 s4, s4, s60
	v_readfirstlane_b32 s23, v2
	s_mul_i32 s60, s54, s4
	s_delay_alu instid0(VALU_DEP_1)
	s_mul_hi_u32 s61, s54, s23
	s_mul_i32 s56, s56, s23
	s_add_i32 s60, s61, s60
	s_mul_i32 s54, s54, s23
	s_add_i32 s60, s60, s56
	s_mul_hi_u32 s61, s4, s54
	s_mul_i32 s62, s4, s54
	s_mul_hi_u32 s54, s23, s54
	s_mul_hi_u32 s63, s23, s60
	s_mul_i32 s23, s23, s60
	s_mul_hi_u32 s56, s4, s60
	s_add_u32 s23, s54, s23
	s_addc_u32 s54, 0, s63
	s_add_u32 s23, s23, s62
	s_mul_i32 s60, s4, s60
	s_addc_u32 s23, s54, s61
	s_addc_u32 s54, s56, 0
	s_add_u32 s23, s23, s60
	s_addc_u32 s54, 0, s54
	v_add_co_u32 v2, s23, v2, s23
	s_delay_alu instid0(VALU_DEP_1) | instskip(SKIP_1) | instid1(VALU_DEP_1)
	s_cmp_lg_u32 s23, 0
	s_addc_u32 s4, s4, s54
	v_readfirstlane_b32 s23, v2
	s_mul_i32 s56, s18, s4
	s_mul_hi_u32 s54, s18, s4
	s_mul_hi_u32 s60, s5, s4
	s_mul_i32 s4, s5, s4
	s_mul_hi_u32 s61, s18, s23
	s_mul_hi_u32 s62, s5, s23
	s_mul_i32 s23, s5, s23
	s_add_u32 s56, s61, s56
	s_addc_u32 s54, 0, s54
	s_add_u32 s23, s56, s23
	s_addc_u32 s23, s54, s62
	s_addc_u32 s54, s60, 0
	s_add_u32 s4, s23, s4
	s_addc_u32 s23, 0, s54
	s_mul_hi_u32 s54, s41, s4
	s_mul_i32 s4, s41, s4
	s_mul_i32 s23, s41, s23
	v_sub_co_u32 v2, s4, s18, s4
	s_add_i32 s54, s54, s23
	s_cmp_lg_u32 s4, 0
	s_delay_alu instid0(VALU_DEP_1) | instskip(SKIP_2) | instid1(VALU_DEP_1)
	v_sub_co_u32 v3, s4, v2, s41
	s_subb_u32 s23, s5, s54
	s_cmp_lg_u32 s4, 0
	v_cmp_le_u32_e32 vcc_lo, s41, v3
	v_sub_co_u32 v4, s4, v3, s41
	s_subb_u32 s54, s23, 0
	s_cmp_lg_u32 s4, 0
	v_cndmask_b32_e64 v5, 0, -1, vcc_lo
	s_subb_u32 s4, s54, 0
	s_cmp_eq_u32 s54, 0
	v_mov_b32_e32 v7, s4
	s_cselect_b32 vcc_lo, -1, 0
	s_cmp_eq_u32 s23, 0
	v_cndmask_b32_e32 v5, -1, v5, vcc_lo
	v_cmp_le_u32_e32 vcc_lo, s41, v2
	s_cselect_b32 s4, -1, 0
	v_cndmask_b32_e64 v6, 0, -1, vcc_lo
	s_delay_alu instid0(VALU_DEP_3) | instskip(NEXT) | instid1(VALU_DEP_2)
	v_cmp_ne_u32_e32 vcc_lo, 0, v5
	v_cndmask_b32_e64 v5, -1, v6, s4
	v_cndmask_b32_e32 v6, s54, v7, vcc_lo
	v_cndmask_b32_e32 v4, v3, v4, vcc_lo
	s_delay_alu instid0(VALU_DEP_3) | instskip(NEXT) | instid1(VALU_DEP_3)
	v_cmp_ne_u32_e32 vcc_lo, 0, v5
	v_cndmask_b32_e32 v3, s23, v6, vcc_lo
	s_delay_alu instid0(VALU_DEP_3)
	v_cndmask_b32_e32 v2, v2, v4, vcc_lo
	s_cbranch_execnz .LBB109_231
.LBB109_230:                            ;   in Loop: Header=BB109_15 Depth=1
	v_cvt_f32_u32_e32 v2, s41
	s_sub_i32 s4, 0, s41
	s_delay_alu instid0(VALU_DEP_1) | instskip(SKIP_2) | instid1(VALU_DEP_1)
	v_rcp_iflag_f32_e32 v2, v2
	s_waitcnt_depctr 0xfff
	v_mul_f32_e32 v2, 0x4f7ffffe, v2
	v_cvt_u32_f32_e32 v2, v2
	s_delay_alu instid0(VALU_DEP_1) | instskip(NEXT) | instid1(VALU_DEP_1)
	v_mul_lo_u32 v3, s4, v2
	v_mul_hi_u32 v3, v2, v3
	s_delay_alu instid0(VALU_DEP_1) | instskip(NEXT) | instid1(VALU_DEP_1)
	v_add_nc_u32_e32 v2, v2, v3
	v_mul_hi_u32 v2, s18, v2
	s_delay_alu instid0(VALU_DEP_1) | instskip(NEXT) | instid1(VALU_DEP_1)
	v_mul_lo_u32 v2, v2, s41
	v_sub_nc_u32_e32 v2, s18, v2
	s_delay_alu instid0(VALU_DEP_1) | instskip(SKIP_1) | instid1(VALU_DEP_2)
	v_subrev_nc_u32_e32 v3, s41, v2
	v_cmp_le_u32_e32 vcc_lo, s41, v2
	v_cndmask_b32_e32 v2, v2, v3, vcc_lo
	s_delay_alu instid0(VALU_DEP_1) | instskip(SKIP_1) | instid1(VALU_DEP_2)
	v_subrev_nc_u32_e32 v3, s41, v2
	v_cmp_le_u32_e32 vcc_lo, s41, v2
	v_cndmask_b32_e32 v10, v2, v3, vcc_lo
	s_delay_alu instid0(VALU_DEP_1)
	v_dual_mov_b32 v2, v10 :: v_dual_mov_b32 v3, v11
.LBB109_231:                            ;   in Loop: Header=BB109_15 Depth=1
	s_delay_alu instid0(VALU_DEP_1) | instskip(NEXT) | instid1(VALU_DEP_2)
	v_sub_co_u32 v2, vcc_lo, s18, v2
	v_sub_co_ci_u32_e32 v3, vcc_lo, s5, v3, vcc_lo
	s_mov_b32 s23, 0
	s_mov_b32 s5, exec_lo
                                        ; implicit-def: $vgpr27
	s_delay_alu instid0(VALU_DEP_1)
	v_cmpx_gt_u64_e64 v[2:3], v[0:1]
	s_cbranch_execz .LBB109_244
; %bb.232:                              ;   in Loop: Header=BB109_15 Depth=1
	v_mov_b32_e32 v6, v21
	v_dual_mov_b32 v5, v1 :: v_dual_mov_b32 v4, v0
	s_mov_b32 s18, 0
                                        ; implicit-def: $sgpr23
	s_set_inst_prefetch_distance 0x1
	s_branch .LBB109_234
	.p2align	6
.LBB109_233:                            ;   in Loop: Header=BB109_234 Depth=2
	s_or_b32 exec_lo, exec_lo, s4
	s_waitcnt lgkmcnt(0)
	s_barrier
	buffer_gl0_inv
	ds_load_b32 v7, v11 offset:3072
	v_add_co_u32 v4, vcc_lo, v4, s41
	v_add_co_ci_u32_e32 v5, vcc_lo, 0, v5, vcc_lo
	v_add_nc_u32_e32 v6, s79, v6
	s_waitcnt lgkmcnt(0)
	s_barrier
	s_delay_alu instid0(VALU_DEP_2) | instskip(SKIP_2) | instid1(VALU_DEP_1)
	v_cmp_ge_u64_e32 vcc_lo, v[4:5], v[2:3]
	buffer_gl0_inv
	v_cmp_ne_u16_e64 s4, 0, v7
	s_or_b32 s54, vcc_lo, s4
	s_delay_alu instid0(SALU_CYCLE_1) | instskip(NEXT) | instid1(SALU_CYCLE_1)
	s_and_b32 s54, exec_lo, s54
	s_or_b32 s18, s54, s18
	s_and_not1_b32 s23, s23, exec_lo
	s_and_b32 s4, s4, exec_lo
	s_delay_alu instid0(SALU_CYCLE_1)
	s_or_b32 s23, s23, s4
	s_and_not1_b32 exec_lo, exec_lo, s18
	s_cbranch_execz .LBB109_243
.LBB109_234:                            ;   Parent Loop BB109_15 Depth=1
                                        ; =>  This Inner Loop Header: Depth=2
	s_delay_alu instid0(VALU_DEP_1)
	v_cmp_gt_u64_e32 vcc_lo, s[8:9], v[4:5]
	v_mov_b32_e32 v7, 0
	s_and_saveexec_b32 s4, vcc_lo
	s_cbranch_execz .LBB109_236
; %bb.235:                              ;   in Loop: Header=BB109_234 Depth=2
	ds_load_u16 v7, v6
.LBB109_236:                            ;   in Loop: Header=BB109_234 Depth=2
	s_or_b32 exec_lo, exec_lo, s4
	s_and_saveexec_b32 s4, vcc_lo
	s_cbranch_execz .LBB109_233
; %bb.237:                              ;   in Loop: Header=BB109_234 Depth=2
	s_waitcnt lgkmcnt(0)
	v_bfe_i32 v8, v7, 0, 16
	s_delay_alu instid0(VALU_DEP_1) | instskip(NEXT) | instid1(VALU_DEP_1)
	v_add_nc_u32_e32 v8, 0x8000, v8
	v_and_b32_e32 v8, s90, v8
	s_delay_alu instid0(VALU_DEP_1)
	v_cmp_eq_u32_e32 vcc_lo, s89, v8
	s_and_b32 exec_lo, exec_lo, vcc_lo
	s_cbranch_execz .LBB109_233
; %bb.238:                              ;   in Loop: Header=BB109_234 Depth=2
	v_perm_b32 v7, v7, 1, 0x5040100
	ds_store_b32 v11, v7 offset:3072
	s_branch .LBB109_233
.LBB109_239:                            ;   in Loop: Header=BB109_15 Depth=1
                                        ; implicit-def: $sgpr8
                                        ; implicit-def: $sgpr18
                                        ; implicit-def: $sgpr9
	s_branch .LBB109_258
.LBB109_240:                            ;   in Loop: Header=BB109_15 Depth=1
                                        ; implicit-def: $vgpr2_vgpr3
	s_branch .LBB109_183
.LBB109_241:                            ;   in Loop: Header=BB109_15 Depth=1
                                        ; implicit-def: $vgpr2_vgpr3
	s_branch .LBB109_200
.LBB109_242:                            ;   in Loop: Header=BB109_15 Depth=1
	s_mov_b32 s8, -1
	s_mov_b32 s23, 0
                                        ; implicit-def: $sgpr9
                                        ; implicit-def: $vgpr27
	s_mov_b32 s18, s8
	s_cbranch_execnz .LBB109_245
	s_branch .LBB109_258
.LBB109_243:                            ;   in Loop: Header=BB109_15 Depth=1
	s_set_inst_prefetch_distance 0x2
	s_or_b32 exec_lo, exec_lo, s18
	v_lshrrev_b32_e32 v27, 16, v7
	s_and_b32 s23, s23, exec_lo
.LBB109_244:                            ;   in Loop: Header=BB109_15 Depth=1
	s_or_b32 exec_lo, exec_lo, s5
	s_mov_b32 s9, -1
	s_mov_b32 s8, 0
	s_delay_alu instid0(SALU_CYCLE_1)
	s_mov_b32 s18, s8
	s_branch .LBB109_258
.LBB109_245:                            ;   in Loop: Header=BB109_15 Depth=1
	s_mov_b32 s56, s55
	s_delay_alu instid0(SALU_CYCLE_1)
	s_cmp_lg_u64 s[56:57], 0
	s_cbranch_scc0 .LBB109_279
; %bb.246:                              ;   in Loop: Header=BB109_15 Depth=1
	v_cvt_f32_u32_e32 v2, s41
	s_sub_u32 s8, 0, s41
	s_subb_u32 s9, 0, 0
	s_delay_alu instid0(VALU_DEP_1) | instskip(NEXT) | instid1(VALU_DEP_1)
	v_fmac_f32_e64 v2, 0, 0x4f800000
	v_rcp_f32_e32 v2, v2
	s_waitcnt_depctr 0xfff
	v_mul_f32_e32 v2, 0x5f7ffffc, v2
	s_delay_alu instid0(VALU_DEP_1) | instskip(NEXT) | instid1(VALU_DEP_1)
	v_mul_f32_e32 v3, 0x2f800000, v2
	v_trunc_f32_e32 v3, v3
	s_delay_alu instid0(VALU_DEP_1) | instskip(SKIP_1) | instid1(VALU_DEP_2)
	v_fmac_f32_e32 v2, 0xcf800000, v3
	v_cvt_u32_f32_e32 v3, v3
	v_cvt_u32_f32_e32 v2, v2
	s_delay_alu instid0(VALU_DEP_2) | instskip(NEXT) | instid1(VALU_DEP_2)
	v_readfirstlane_b32 s4, v3
	v_readfirstlane_b32 s5, v2
	s_delay_alu instid0(VALU_DEP_2) | instskip(NEXT) | instid1(VALU_DEP_1)
	s_mul_i32 s18, s8, s4
	s_mul_hi_u32 s54, s8, s5
	s_mul_i32 s23, s9, s5
	s_add_i32 s18, s54, s18
	s_mul_i32 s56, s8, s5
	s_add_i32 s18, s18, s23
	s_mul_hi_u32 s54, s5, s56
	s_mul_hi_u32 s60, s4, s56
	s_mul_i32 s23, s4, s56
	s_mul_hi_u32 s56, s5, s18
	s_mul_i32 s5, s5, s18
	s_mul_hi_u32 s61, s4, s18
	s_add_u32 s5, s54, s5
	s_addc_u32 s54, 0, s56
	s_add_u32 s5, s5, s23
	s_mul_i32 s18, s4, s18
	s_addc_u32 s5, s54, s60
	s_addc_u32 s23, s61, 0
	s_add_u32 s5, s5, s18
	s_addc_u32 s18, 0, s23
	v_add_co_u32 v2, s5, v2, s5
	s_delay_alu instid0(VALU_DEP_1) | instskip(SKIP_1) | instid1(VALU_DEP_1)
	s_cmp_lg_u32 s5, 0
	s_addc_u32 s4, s4, s18
	v_readfirstlane_b32 s5, v2
	s_mul_i32 s18, s8, s4
	s_delay_alu instid0(VALU_DEP_1)
	s_mul_hi_u32 s23, s8, s5
	s_mul_i32 s9, s9, s5
	s_add_i32 s18, s23, s18
	s_mul_i32 s8, s8, s5
	s_add_i32 s18, s18, s9
	s_mul_hi_u32 s23, s4, s8
	s_mul_i32 s54, s4, s8
	s_mul_hi_u32 s8, s5, s8
	s_mul_hi_u32 s56, s5, s18
	s_mul_i32 s5, s5, s18
	s_mul_hi_u32 s9, s4, s18
	s_add_u32 s5, s8, s5
	s_addc_u32 s8, 0, s56
	s_add_u32 s5, s5, s54
	s_mul_i32 s18, s4, s18
	s_addc_u32 s5, s8, s23
	s_addc_u32 s8, s9, 0
	s_add_u32 s5, s5, s18
	s_addc_u32 s8, 0, s8
	v_add_co_u32 v2, s5, v2, s5
	s_delay_alu instid0(VALU_DEP_1) | instskip(SKIP_1) | instid1(VALU_DEP_1)
	s_cmp_lg_u32 s5, 0
	s_addc_u32 s4, s4, s8
	v_readfirstlane_b32 s5, v2
	s_mul_i32 s9, s73, s4
	s_mul_hi_u32 s8, s73, s4
	s_mul_hi_u32 s18, s57, s4
	s_mul_i32 s4, s57, s4
	s_mul_hi_u32 s23, s73, s5
	s_mul_hi_u32 s54, s57, s5
	s_mul_i32 s5, s57, s5
	s_add_u32 s9, s23, s9
	s_addc_u32 s8, 0, s8
	s_add_u32 s5, s9, s5
	s_addc_u32 s5, s8, s54
	s_addc_u32 s8, s18, 0
	s_add_u32 s4, s5, s4
	s_addc_u32 s5, 0, s8
	s_mul_hi_u32 s8, s41, s4
	s_mul_i32 s4, s41, s4
	s_mul_i32 s5, s41, s5
	v_sub_co_u32 v2, s4, s73, s4
	s_add_i32 s8, s8, s5
	s_cmp_lg_u32 s4, 0
	s_delay_alu instid0(VALU_DEP_1) | instskip(SKIP_2) | instid1(VALU_DEP_1)
	v_sub_co_u32 v3, s4, v2, s41
	s_subb_u32 s5, s57, s8
	s_cmp_lg_u32 s4, 0
	v_cmp_le_u32_e32 vcc_lo, s41, v3
	v_sub_co_u32 v4, s4, v3, s41
	s_subb_u32 s8, s5, 0
	s_cmp_lg_u32 s4, 0
	v_cndmask_b32_e64 v5, 0, -1, vcc_lo
	s_subb_u32 s4, s8, 0
	s_cmp_eq_u32 s8, 0
	v_mov_b32_e32 v7, s4
	s_cselect_b32 vcc_lo, -1, 0
	s_cmp_eq_u32 s5, 0
	v_cndmask_b32_e32 v5, -1, v5, vcc_lo
	v_cmp_le_u32_e32 vcc_lo, s41, v2
	s_cselect_b32 s4, -1, 0
	v_cndmask_b32_e64 v6, 0, -1, vcc_lo
	s_delay_alu instid0(VALU_DEP_3) | instskip(NEXT) | instid1(VALU_DEP_2)
	v_cmp_ne_u32_e32 vcc_lo, 0, v5
	v_cndmask_b32_e64 v5, -1, v6, s4
	v_cndmask_b32_e32 v6, s8, v7, vcc_lo
	v_cndmask_b32_e32 v4, v3, v4, vcc_lo
	s_delay_alu instid0(VALU_DEP_3) | instskip(NEXT) | instid1(VALU_DEP_3)
	v_cmp_ne_u32_e32 vcc_lo, 0, v5
	v_cndmask_b32_e32 v3, s5, v6, vcc_lo
	s_delay_alu instid0(VALU_DEP_3)
	v_cndmask_b32_e32 v2, v2, v4, vcc_lo
	s_cbranch_execnz .LBB109_248
.LBB109_247:                            ;   in Loop: Header=BB109_15 Depth=1
	v_cvt_f32_u32_e32 v2, s41
	s_sub_i32 s4, 0, s41
	s_delay_alu instid0(VALU_DEP_1) | instskip(SKIP_2) | instid1(VALU_DEP_1)
	v_rcp_iflag_f32_e32 v2, v2
	s_waitcnt_depctr 0xfff
	v_mul_f32_e32 v2, 0x4f7ffffe, v2
	v_cvt_u32_f32_e32 v2, v2
	s_delay_alu instid0(VALU_DEP_1) | instskip(NEXT) | instid1(VALU_DEP_1)
	v_mul_lo_u32 v3, s4, v2
	v_mul_hi_u32 v3, v2, v3
	s_delay_alu instid0(VALU_DEP_1) | instskip(NEXT) | instid1(VALU_DEP_1)
	v_add_nc_u32_e32 v2, v2, v3
	v_mul_hi_u32 v2, s73, v2
	s_delay_alu instid0(VALU_DEP_1) | instskip(NEXT) | instid1(VALU_DEP_1)
	v_mul_lo_u32 v2, v2, s41
	v_sub_nc_u32_e32 v2, s73, v2
	s_delay_alu instid0(VALU_DEP_1) | instskip(SKIP_1) | instid1(VALU_DEP_2)
	v_subrev_nc_u32_e32 v3, s41, v2
	v_cmp_le_u32_e32 vcc_lo, s41, v2
	v_cndmask_b32_e32 v2, v2, v3, vcc_lo
	s_delay_alu instid0(VALU_DEP_1) | instskip(SKIP_1) | instid1(VALU_DEP_2)
	v_subrev_nc_u32_e32 v3, s41, v2
	v_cmp_le_u32_e32 vcc_lo, s41, v2
	v_cndmask_b32_e32 v10, v2, v3, vcc_lo
	s_delay_alu instid0(VALU_DEP_1)
	v_dual_mov_b32 v2, v10 :: v_dual_mov_b32 v3, v11
.LBB109_248:                            ;   in Loop: Header=BB109_15 Depth=1
	s_delay_alu instid0(VALU_DEP_1) | instskip(NEXT) | instid1(VALU_DEP_2)
	v_sub_co_u32 v2, vcc_lo, s73, v2
	v_sub_co_ci_u32_e32 v3, vcc_lo, s57, v3, vcc_lo
	s_mov_b32 s23, 0
	s_mov_b32 s5, exec_lo
                                        ; implicit-def: $vgpr27
	s_delay_alu instid0(VALU_DEP_1)
	v_cmpx_gt_u64_e64 v[2:3], v[0:1]
	s_cbranch_execz .LBB109_257
; %bb.249:                              ;   in Loop: Header=BB109_15 Depth=1
	v_dual_mov_b32 v5, v1 :: v_dual_mov_b32 v4, v0
	s_mov_b32 s8, 0
                                        ; implicit-def: $sgpr9
	s_branch .LBB109_251
.LBB109_250:                            ;   in Loop: Header=BB109_251 Depth=2
	s_or_b32 exec_lo, exec_lo, s4
	s_waitcnt vmcnt(0) lgkmcnt(0)
	s_barrier
	buffer_gl0_inv
	ds_load_b32 v6, v11 offset:3072
	v_add_co_u32 v4, vcc_lo, v4, s41
	v_add_co_ci_u32_e32 v5, vcc_lo, 0, v5, vcc_lo
	s_waitcnt lgkmcnt(0)
	s_barrier
	buffer_gl0_inv
	v_cmp_ge_u64_e32 vcc_lo, v[4:5], v[2:3]
	v_cmp_ne_u16_e64 s4, 0, v6
	s_delay_alu instid0(VALU_DEP_1) | instskip(NEXT) | instid1(SALU_CYCLE_1)
	s_or_b32 s18, vcc_lo, s4
	s_and_b32 s18, exec_lo, s18
	s_delay_alu instid0(SALU_CYCLE_1) | instskip(SKIP_2) | instid1(SALU_CYCLE_1)
	s_or_b32 s8, s18, s8
	s_and_not1_b32 s9, s9, exec_lo
	s_and_b32 s4, s4, exec_lo
	s_or_b32 s9, s9, s4
	s_and_not1_b32 exec_lo, exec_lo, s8
	s_cbranch_execz .LBB109_256
.LBB109_251:                            ;   Parent Loop BB109_15 Depth=1
                                        ; =>  This Inner Loop Header: Depth=2
	s_delay_alu instid0(VALU_DEP_1)
	v_cmp_gt_u64_e32 vcc_lo, s[24:25], v[4:5]
	v_mov_b32_e32 v6, 0
	s_and_saveexec_b32 s18, vcc_lo
	s_cbranch_execz .LBB109_253
; %bb.252:                              ;   in Loop: Header=BB109_251 Depth=2
	v_mul_lo_u32 v8, v5, s42
	v_mul_lo_u32 v9, v4, s43
	v_mad_u64_u32 v[6:7], null, v4, s42, 0
	s_delay_alu instid0(VALU_DEP_1) | instskip(NEXT) | instid1(VALU_DEP_1)
	v_add3_u32 v7, v7, v9, v8
	v_lshlrev_b64 v[6:7], 1, v[6:7]
	s_delay_alu instid0(VALU_DEP_1) | instskip(NEXT) | instid1(VALU_DEP_1)
	v_add_co_u32 v6, s4, s33, v6
	v_add_co_ci_u32_e64 v7, s4, s35, v7, s4
	global_load_u16 v6, v[6:7], off
.LBB109_253:                            ;   in Loop: Header=BB109_251 Depth=2
	s_or_b32 exec_lo, exec_lo, s18
	s_and_saveexec_b32 s4, vcc_lo
	s_cbranch_execz .LBB109_250
; %bb.254:                              ;   in Loop: Header=BB109_251 Depth=2
	s_waitcnt vmcnt(0)
	v_bfe_i32 v7, v6, 0, 16
	s_delay_alu instid0(VALU_DEP_1) | instskip(NEXT) | instid1(VALU_DEP_1)
	v_add_nc_u32_e32 v7, 0x8000, v7
	v_and_b32_e32 v7, s90, v7
	s_delay_alu instid0(VALU_DEP_1)
	v_cmp_eq_u32_e32 vcc_lo, s89, v7
	s_and_b32 exec_lo, exec_lo, vcc_lo
	s_cbranch_execz .LBB109_250
; %bb.255:                              ;   in Loop: Header=BB109_251 Depth=2
	v_perm_b32 v6, v6, 1, 0x5040100
	ds_store_b32 v11, v6 offset:3072
	s_branch .LBB109_250
.LBB109_256:                            ;   in Loop: Header=BB109_15 Depth=1
	s_or_b32 exec_lo, exec_lo, s8
	v_lshrrev_b32_e32 v27, 16, v6
	s_and_b32 s23, s9, exec_lo
.LBB109_257:                            ;   in Loop: Header=BB109_15 Depth=1
	s_or_b32 exec_lo, exec_lo, s5
	s_mov_b32 s18, -1
	s_mov_b32 s8, 0
	s_mov_b32 s9, 0
.LBB109_258:                            ;   in Loop: Header=BB109_15 Depth=1
	s_mov_b32 s60, 0
                                        ; implicit-def: $sgpr54
                                        ; implicit-def: $sgpr4_sgpr5
	s_and_saveexec_b32 s56, s23
	s_cbranch_execz .LBB109_271
; %bb.259:                              ;   in Loop: Header=BB109_15 Depth=1
	s_xor_b32 s17, s17, -1
	s_mov_b64 s[4:5], 1
	s_and_not1_b32 vcc_lo, exec_lo, s17
	s_mov_b32 s54, 1
	s_cbranch_vccnz .LBB109_270
; %bb.260:                              ;   in Loop: Header=BB109_15 Depth=1
	v_cmp_gt_u64_e64 s4, s[52:53], s[6:7]
	s_delay_alu instid0(VALU_DEP_1)
	s_and_b32 vcc_lo, exec_lo, s4
	s_cbranch_vccnz .LBB109_266
; %bb.261:                              ;   in Loop: Header=BB109_15 Depth=1
	ds_load_b64 v[2:3], v11 offset:5120
	s_waitcnt lgkmcnt(0)
	v_cmp_ne_u64_e32 vcc_lo, 0, v[2:3]
	s_cbranch_vccnz .LBB109_265
; %bb.262:                              ;   in Loop: Header=BB109_15 Depth=1
	s_and_saveexec_b32 s4, s2
	s_cbranch_execz .LBB109_264
; %bb.263:                              ;   in Loop: Header=BB109_15 Depth=1
	v_dual_mov_b32 v2, s6 :: v_dual_mov_b32 v3, s7
	ds_store_b64 v11, v[2:3] offset:5128
.LBB109_264:                            ;   in Loop: Header=BB109_15 Depth=1
	s_or_b32 exec_lo, exec_lo, s4
	s_waitcnt lgkmcnt(0)
	s_barrier
	buffer_gl0_inv
.LBB109_265:                            ;   in Loop: Header=BB109_15 Depth=1
	s_or_b32 s17, s89, s16
	s_or_b32 s16, s90, s16
	s_mov_b32 s4, 0
	s_mov_b32 s54, 8
	s_branch .LBB109_267
.LBB109_266:                            ;   in Loop: Header=BB109_15 Depth=1
	s_mov_b32 s4, -1
                                        ; implicit-def: $sgpr54
                                        ; implicit-def: $sgpr17
                                        ; implicit-def: $sgpr16
.LBB109_267:                            ;   in Loop: Header=BB109_15 Depth=1
	s_delay_alu instid0(SALU_CYCLE_1)
	s_and_not1_b32 vcc_lo, exec_lo, s4
	s_cbranch_vccnz .LBB109_269
; %bb.268:                              ;   in Loop: Header=BB109_15 Depth=1
	s_sub_u32 s52, s52, s6
	s_subb_u32 s53, s53, s7
	s_mov_b32 s54, 8
	s_mov_b32 s17, s89
	;; [unrolled: 1-line block ×3, first 2 shown]
.LBB109_269:                            ;   in Loop: Header=BB109_15 Depth=1
	s_mov_b64 s[4:5], s[52:53]
	s_mov_b32 s89, s17
	s_mov_b32 s90, s16
.LBB109_270:                            ;   in Loop: Header=BB109_15 Depth=1
	s_mov_b32 s60, exec_lo
.LBB109_271:                            ;   in Loop: Header=BB109_15 Depth=1
	s_or_b32 exec_lo, exec_lo, s56
	s_mov_b64 s[52:53], s[4:5]
.LBB109_272:                            ;   in Loop: Header=BB109_15 Depth=1
	s_and_not1_b32 s4, s10, exec_lo
	s_and_b32 s5, s8, exec_lo
	s_and_not1_b32 s6, s11, exec_lo
	s_or_b32 s10, s4, s5
	s_and_not1_b32 s4, s21, exec_lo
	s_and_b32 s5, s18, exec_lo
	s_and_b32 s7, s9, exec_lo
	s_or_b32 s21, s4, s5
	s_or_b32 s11, s6, s7
	s_and_b32 s5, s60, exec_lo
.LBB109_273:                            ;   in Loop: Header=BB109_15 Depth=1
	s_or_b32 exec_lo, exec_lo, s22
.LBB109_274:                            ;   in Loop: Header=BB109_15 Depth=1
	s_delay_alu instid0(SALU_CYCLE_1)
	s_and_not1_b32 s4, s13, exec_lo
	s_and_b32 s6, s10, exec_lo
	s_and_not1_b32 s7, s12, exec_lo
	s_or_b32 s13, s4, s6
	s_and_not1_b32 s4, s19, exec_lo
	s_and_b32 s6, s21, exec_lo
	s_and_b32 s8, s11, exec_lo
	s_or_b32 s19, s4, s6
	s_or_b32 s12, s7, s8
	s_and_b32 s5, s5, exec_lo
.LBB109_275:                            ;   in Loop: Header=BB109_15 Depth=1
	s_or_b32 exec_lo, exec_lo, s20
	s_and_saveexec_b32 s4, s5
	s_delay_alu instid0(SALU_CYCLE_1)
	s_xor_b32 s4, exec_lo, s4
	s_cbranch_execz .LBB109_13
.LBB109_276:                            ;   in Loop: Header=BB109_15 Depth=1
	s_and_b32 s5, s54, -9
	s_delay_alu instid0(SALU_CYCLE_1)
	s_cmp_eq_u32 s5, 0
	s_cbranch_scc1 .LBB109_11
; %bb.277:                              ;   in Loop: Header=BB109_15 Depth=1
	s_mov_b32 s5, -1
	s_mov_b32 s6, -1
                                        ; implicit-def: $sgpr90
                                        ; implicit-def: $sgpr52_sgpr53
                                        ; implicit-def: $sgpr84
                                        ; implicit-def: $sgpr87
	s_branch .LBB109_12
.LBB109_278:                            ;   in Loop: Header=BB109_15 Depth=1
                                        ; implicit-def: $vgpr2_vgpr3
	s_branch .LBB109_230
.LBB109_279:                            ;   in Loop: Header=BB109_15 Depth=1
                                        ; implicit-def: $vgpr2_vgpr3
	s_branch .LBB109_247
.LBB109_280:
	s_or_b32 exec_lo, exec_lo, s80
	s_xor_b32 s4, s83, -1
	s_xor_b32 s1, s81, -1
	;; [unrolled: 1-line block ×3, first 2 shown]
	s_mov_b32 s2, 0
	s_and_saveexec_b32 s5, s1
	s_delay_alu instid0(SALU_CYCLE_1)
	s_xor_b32 s1, exec_lo, s5
	s_cbranch_execz .LBB109_297
; %bb.281:
	s_and_saveexec_b32 s2, s4
	s_delay_alu instid0(SALU_CYCLE_1)
	s_xor_b32 s2, exec_lo, s2
	s_cbranch_execz .LBB109_295
; %bb.282:
	s_and_saveexec_b32 s4, s3
	s_delay_alu instid0(SALU_CYCLE_1)
	s_xor_b32 s3, exec_lo, s4
; %bb.283:
	v_xor_b32_e32 v27, 0xffff8000, v2
; %bb.284:
	s_or_b32 exec_lo, exec_lo, s3
	s_mul_i32 s3, s46, s45
	s_mul_hi_u32 s4, s46, s44
	s_mul_i32 s5, s46, s44
	s_add_i32 s4, s4, s3
	s_sub_u32 s3, s34, s5
	s_subb_u32 s4, 0, s4
	s_mul_i32 s5, s3, s39
	s_mul_hi_u32 s6, s3, s38
	s_mul_hi_u32 s7, s46, s36
	s_add_i32 s6, s6, s5
	s_mul_i32 s5, s46, s37
	s_mul_i32 s8, s4, s38
	s_add_i32 s5, s7, s5
	s_mul_i32 s4, s46, s36
	s_add_i32 s7, s6, s8
	s_lshl_b64 s[4:5], s[4:5], 1
	s_mul_i32 s6, s3, s38
	s_add_u32 s3, s50, s4
	s_addc_u32 s8, s51, s5
	s_lshl_b64 s[4:5], s[6:7], 1
	v_mov_b32_e32 v2, 0
	s_add_u32 s4, s3, s4
	s_addc_u32 s5, s8, s5
	global_store_b16 v2, v27, s[4:5]
	s_and_saveexec_b32 s3, s0
	s_cbranch_execz .LBB109_294
; %bb.285:
	s_mov_b32 s0, 0
                                        ; implicit-def: $sgpr4
                                        ; implicit-def: $sgpr6
                                        ; implicit-def: $sgpr5
	s_set_inst_prefetch_distance 0x1
	s_branch .LBB109_287
	.p2align	6
.LBB109_286:                            ;   in Loop: Header=BB109_287 Depth=1
	s_or_b32 exec_lo, exec_lo, s7
	s_delay_alu instid0(SALU_CYCLE_1) | instskip(NEXT) | instid1(SALU_CYCLE_1)
	s_and_b32 s7, exec_lo, s6
	s_or_b32 s0, s7, s0
	s_and_not1_b32 s4, s4, exec_lo
	s_and_b32 s7, s5, exec_lo
	s_delay_alu instid0(SALU_CYCLE_1)
	s_or_b32 s4, s4, s7
	s_and_not1_b32 exec_lo, exec_lo, s0
	s_cbranch_execz .LBB109_292
.LBB109_287:                            ; =>This Inner Loop Header: Depth=1
	v_dual_mov_b32 v3, v1 :: v_dual_mov_b32 v2, v0
	s_or_b32 s5, s5, exec_lo
	s_or_b32 s6, s6, exec_lo
	s_delay_alu instid0(VALU_DEP_1) | instskip(NEXT) | instid1(VALU_DEP_2)
	v_mul_lo_u32 v4, v3, s42
	v_mul_lo_u32 v5, v2, s43
	v_mad_u64_u32 v[0:1], null, v2, s42, 0
	s_delay_alu instid0(VALU_DEP_1) | instskip(NEXT) | instid1(VALU_DEP_1)
	v_add3_u32 v1, v1, v5, v4
	v_lshlrev_b64 v[0:1], 1, v[0:1]
	s_delay_alu instid0(VALU_DEP_1) | instskip(NEXT) | instid1(VALU_DEP_2)
	v_add_co_u32 v0, vcc_lo, s33, v0
	v_add_co_ci_u32_e32 v1, vcc_lo, s35, v1, vcc_lo
	global_load_u16 v0, v[0:1], off
	s_waitcnt vmcnt(0)
	v_cmp_ne_u16_e32 vcc_lo, v0, v27
                                        ; implicit-def: $vgpr0_vgpr1
	s_and_saveexec_b32 s7, vcc_lo
	s_cbranch_execz .LBB109_286
; %bb.288:                              ;   in Loop: Header=BB109_287 Depth=1
	v_add_co_u32 v0, vcc_lo, v2, s41
	v_add_co_ci_u32_e32 v1, vcc_lo, 0, v3, vcc_lo
	s_and_not1_b32 s6, s6, exec_lo
	s_and_not1_b32 s5, s5, exec_lo
	s_delay_alu instid0(VALU_DEP_1) | instskip(SKIP_1) | instid1(SALU_CYCLE_1)
	v_cmp_le_u64_e32 vcc_lo, s[24:25], v[0:1]
	s_and_b32 s8, vcc_lo, exec_lo
	s_or_b32 s6, s6, s8
	s_branch .LBB109_286
.LBB109_289:
	v_cvt_f32_u32_e32 v1, s44
	s_sub_i32 s3, 0, s44
	s_delay_alu instid0(VALU_DEP_1) | instskip(SKIP_2) | instid1(VALU_DEP_1)
	v_rcp_iflag_f32_e32 v1, v1
	s_waitcnt_depctr 0xfff
	v_mul_f32_e32 v1, 0x4f7ffffe, v1
	v_cvt_u32_f32_e32 v1, v1
	s_delay_alu instid0(VALU_DEP_1) | instskip(NEXT) | instid1(VALU_DEP_1)
	v_readfirstlane_b32 s2, v1
	s_mul_i32 s3, s3, s2
	s_delay_alu instid0(SALU_CYCLE_1) | instskip(NEXT) | instid1(SALU_CYCLE_1)
	s_mul_hi_u32 s3, s2, s3
	s_add_i32 s2, s2, s3
	s_delay_alu instid0(SALU_CYCLE_1) | instskip(NEXT) | instid1(SALU_CYCLE_1)
	s_mul_hi_u32 s2, s34, s2
	s_mul_i32 s3, s2, s44
	s_add_i32 s4, s2, 1
	s_sub_i32 s3, s34, s3
	s_delay_alu instid0(SALU_CYCLE_1)
	s_sub_i32 s5, s3, s44
	s_cmp_ge_u32 s3, s44
	s_cselect_b32 s2, s4, s2
	s_cselect_b32 s3, s5, s3
	s_add_i32 s4, s2, 1
	s_cmp_ge_u32 s3, s44
	s_cselect_b32 s46, s4, s2
	s_load_b64 s[42:43], s[0:1], 0x4f0
	v_cmp_lt_u64_e64 s2, s[34:35], s[26:27]
	s_delay_alu instid0(VALU_DEP_1)
	s_and_b32 vcc_lo, exec_lo, s2
	s_cbranch_vccnz .LBB109_3
.LBB109_290:
	v_cvt_f32_u32_e32 v1, s26
	s_sub_i32 s3, 0, s26
	s_delay_alu instid0(VALU_DEP_1) | instskip(SKIP_2) | instid1(VALU_DEP_1)
	v_rcp_iflag_f32_e32 v1, v1
	s_waitcnt_depctr 0xfff
	v_mul_f32_e32 v1, 0x4f7ffffe, v1
	v_cvt_u32_f32_e32 v1, v1
	s_delay_alu instid0(VALU_DEP_1) | instskip(NEXT) | instid1(VALU_DEP_1)
	v_readfirstlane_b32 s2, v1
	s_mul_i32 s3, s3, s2
	s_delay_alu instid0(SALU_CYCLE_1) | instskip(NEXT) | instid1(SALU_CYCLE_1)
	s_mul_hi_u32 s3, s2, s3
	s_add_i32 s2, s2, s3
	s_delay_alu instid0(SALU_CYCLE_1) | instskip(NEXT) | instid1(SALU_CYCLE_1)
	s_mul_hi_u32 s2, s34, s2
	s_mul_i32 s3, s2, s26
	s_add_i32 s4, s2, 1
	s_sub_i32 s3, s34, s3
	s_delay_alu instid0(SALU_CYCLE_1)
	s_sub_i32 s5, s3, s26
	s_cmp_ge_u32 s3, s26
	s_cselect_b32 s2, s4, s2
	s_cselect_b32 s3, s5, s3
	s_add_i32 s4, s2, 1
	s_cmp_ge_u32 s3, s26
	s_cselect_b32 s40, s4, s2
	v_cmp_lt_u64_e64 s2, s[34:35], s[14:15]
	s_mov_b64 s[16:17], 0
	s_delay_alu instid0(VALU_DEP_1)
	s_and_b32 vcc_lo, exec_lo, s2
	s_cbranch_vccnz .LBB109_4
.LBB109_291:
	v_cvt_f32_u32_e32 v1, s14
	s_sub_i32 s3, 0, s14
	s_delay_alu instid0(VALU_DEP_1) | instskip(SKIP_2) | instid1(VALU_DEP_1)
	v_rcp_iflag_f32_e32 v1, v1
	s_waitcnt_depctr 0xfff
	v_mul_f32_e32 v1, 0x4f7ffffe, v1
	v_cvt_u32_f32_e32 v1, v1
	s_delay_alu instid0(VALU_DEP_1) | instskip(NEXT) | instid1(VALU_DEP_1)
	v_readfirstlane_b32 s2, v1
	s_mul_i32 s3, s3, s2
	s_delay_alu instid0(SALU_CYCLE_1) | instskip(NEXT) | instid1(SALU_CYCLE_1)
	s_mul_hi_u32 s3, s2, s3
	s_add_i32 s2, s2, s3
	s_delay_alu instid0(SALU_CYCLE_1) | instskip(NEXT) | instid1(SALU_CYCLE_1)
	s_mul_hi_u32 s2, s34, s2
	s_mul_i32 s3, s2, s14
	s_add_i32 s4, s2, 1
	s_sub_i32 s3, s34, s3
	s_delay_alu instid0(SALU_CYCLE_1)
	s_sub_i32 s5, s3, s14
	s_cmp_ge_u32 s3, s14
	s_cselect_b32 s2, s4, s2
	s_cselect_b32 s3, s5, s3
	s_add_i32 s4, s2, 1
	s_cmp_ge_u32 s3, s14
	s_cselect_b32 s16, s4, s2
	v_cmp_eq_u32_e64 s2, 0, v0
	s_delay_alu instid0(VALU_DEP_1)
	s_and_saveexec_b32 s3, s2
	s_cbranch_execnz .LBB109_5
	s_branch .LBB109_6
.LBB109_292:
	s_set_inst_prefetch_distance 0x2
	s_or_b32 exec_lo, exec_lo, s0
	s_and_saveexec_b32 s0, s4
	s_delay_alu instid0(SALU_CYCLE_1)
	s_xor_b32 s0, exec_lo, s0
	s_cbranch_execz .LBB109_294
; %bb.293:
	s_mul_i32 s0, s40, s27
	s_mul_hi_u32 s4, s40, s26
	s_mul_i32 s5, s40, s26
	s_add_i32 s4, s4, s0
	s_sub_u32 s0, s34, s5
	s_subb_u32 s4, 0, s4
	s_mul_i32 s5, s0, s31
	s_mul_hi_u32 s6, s0, s30
	s_mul_hi_u32 s7, s40, s28
	s_add_i32 s6, s6, s5
	s_mul_i32 s5, s40, s29
	s_mul_i32 s8, s4, s30
	s_add_i32 s5, s7, s5
	s_mul_i32 s4, s40, s28
	s_add_i32 s7, s6, s8
	s_lshl_b64 s[4:5], s[4:5], 3
	s_mul_i32 s6, s0, s30
	s_add_u32 s0, s48, s4
	s_addc_u32 s8, s49, s5
	s_lshl_b64 s[4:5], s[6:7], 3
	v_mov_b32_e32 v0, 0
	s_add_u32 s4, s0, s4
	s_addc_u32 s5, s8, s5
	global_store_b64 v0, v[2:3], s[4:5]
.LBB109_294:
	s_or_b32 exec_lo, exec_lo, s3
.LBB109_295:
	s_or_saveexec_b32 s0, s2
	s_mov_b32 s2, 0
	s_xor_b32 exec_lo, exec_lo, s0
	s_cbranch_execnz .LBB109_303
.LBB109_296:
	s_or_b32 exec_lo, exec_lo, s0
	s_delay_alu instid0(SALU_CYCLE_1)
	s_and_b32 s2, s2, exec_lo
.LBB109_297:
	s_and_not1_saveexec_b32 s0, s1
	s_cbranch_execnz .LBB109_301
; %bb.298:
	s_or_b32 exec_lo, exec_lo, s0
	s_and_saveexec_b32 s0, s2
.LBB109_299:
	; divergent unreachable
.LBB109_300:
	s_nop 0
	s_sendmsg sendmsg(MSG_DEALLOC_VGPRS)
	s_endpgm
.LBB109_301:
	s_cbranch_execnz .LBB109_305
; %bb.302:
	s_or_b32 s2, s2, exec_lo
	s_or_b32 exec_lo, exec_lo, s0
	s_and_saveexec_b32 s0, s2
	s_cbranch_execnz .LBB109_299
	s_branch .LBB109_300
.LBB109_303:
	s_cbranch_execnz .LBB109_307
; %bb.304:
	s_mov_b32 s2, exec_lo
	s_branch .LBB109_296
.LBB109_305:
	s_trap 2
	s_sendmsg_rtn_b32 s0, sendmsg(MSG_RTN_GET_DOORBELL)
	s_mov_b32 ttmp2, m0
	s_waitcnt lgkmcnt(0)
	s_and_b32 s0, s0, 0x3ff
	s_delay_alu instid0(SALU_CYCLE_1) | instskip(NEXT) | instid1(SALU_CYCLE_1)
	s_bitset1_b32 s0, 10
	s_mov_b32 m0, s0
	s_sendmsg sendmsg(MSG_INTERRUPT)
	s_mov_b32 m0, ttmp2
.LBB109_306:                            ; =>This Inner Loop Header: Depth=1
	s_sethalt 5
	s_branch .LBB109_306
.LBB109_307:
	s_trap 2
	s_sendmsg_rtn_b32 s0, sendmsg(MSG_RTN_GET_DOORBELL)
	s_mov_b32 ttmp2, m0
	s_waitcnt lgkmcnt(0)
	s_and_b32 s0, s0, 0x3ff
	s_delay_alu instid0(SALU_CYCLE_1) | instskip(NEXT) | instid1(SALU_CYCLE_1)
	s_bitset1_b32 s0, 10
	s_mov_b32 m0, s0
	s_sendmsg sendmsg(MSG_INTERRUPT)
	s_mov_b32 m0, ttmp2
.LBB109_308:                            ; =>This Inner Loop Header: Depth=1
	s_sethalt 5
	s_branch .LBB109_308
	.section	.rodata,"a",@progbits
	.p2align	6, 0x0
	.amdhsa_kernel _ZN2at6native12_GLOBAL__N_112gatherMedianIsmLi2EEEvNS_4cuda6detail10TensorInfoIT_T0_EENS5_IlS7_EENS5_IKS6_S7_EES7_S7_S7_b
		.amdhsa_group_segment_fixed_size 5152
		.amdhsa_private_segment_fixed_size 0
		.amdhsa_kernarg_size 1536
		.amdhsa_user_sgpr_count 13
		.amdhsa_user_sgpr_dispatch_ptr 0
		.amdhsa_user_sgpr_queue_ptr 0
		.amdhsa_user_sgpr_kernarg_segment_ptr 1
		.amdhsa_user_sgpr_dispatch_id 0
		.amdhsa_user_sgpr_private_segment_size 0
		.amdhsa_wavefront_size32 1
		.amdhsa_uses_dynamic_stack 0
		.amdhsa_enable_private_segment 0
		.amdhsa_system_sgpr_workgroup_id_x 1
		.amdhsa_system_sgpr_workgroup_id_y 1
		.amdhsa_system_sgpr_workgroup_id_z 1
		.amdhsa_system_sgpr_workgroup_info 0
		.amdhsa_system_vgpr_workitem_id 0
		.amdhsa_next_free_vgpr 32
		.amdhsa_next_free_sgpr 93
		.amdhsa_reserve_vcc 1
		.amdhsa_float_round_mode_32 0
		.amdhsa_float_round_mode_16_64 0
		.amdhsa_float_denorm_mode_32 3
		.amdhsa_float_denorm_mode_16_64 3
		.amdhsa_dx10_clamp 1
		.amdhsa_ieee_mode 1
		.amdhsa_fp16_overflow 0
		.amdhsa_workgroup_processor_mode 1
		.amdhsa_memory_ordered 1
		.amdhsa_forward_progress 0
		.amdhsa_shared_vgpr_count 0
		.amdhsa_exception_fp_ieee_invalid_op 0
		.amdhsa_exception_fp_denorm_src 0
		.amdhsa_exception_fp_ieee_div_zero 0
		.amdhsa_exception_fp_ieee_overflow 0
		.amdhsa_exception_fp_ieee_underflow 0
		.amdhsa_exception_fp_ieee_inexact 0
		.amdhsa_exception_int_div_zero 0
	.end_amdhsa_kernel
	.section	.text._ZN2at6native12_GLOBAL__N_112gatherMedianIsmLi2EEEvNS_4cuda6detail10TensorInfoIT_T0_EENS5_IlS7_EENS5_IKS6_S7_EES7_S7_S7_b,"axG",@progbits,_ZN2at6native12_GLOBAL__N_112gatherMedianIsmLi2EEEvNS_4cuda6detail10TensorInfoIT_T0_EENS5_IlS7_EENS5_IKS6_S7_EES7_S7_S7_b,comdat
.Lfunc_end109:
	.size	_ZN2at6native12_GLOBAL__N_112gatherMedianIsmLi2EEEvNS_4cuda6detail10TensorInfoIT_T0_EENS5_IlS7_EENS5_IKS6_S7_EES7_S7_S7_b, .Lfunc_end109-_ZN2at6native12_GLOBAL__N_112gatherMedianIsmLi2EEEvNS_4cuda6detail10TensorInfoIT_T0_EENS5_IlS7_EENS5_IKS6_S7_EES7_S7_S7_b
                                        ; -- End function
	.section	.AMDGPU.csdata,"",@progbits
; Kernel info:
; codeLenInByte = 17272
; NumSgprs: 95
; NumVgprs: 32
; ScratchSize: 0
; MemoryBound: 0
; FloatMode: 240
; IeeeMode: 1
; LDSByteSize: 5152 bytes/workgroup (compile time only)
; SGPRBlocks: 11
; VGPRBlocks: 3
; NumSGPRsForWavesPerEU: 95
; NumVGPRsForWavesPerEU: 32
; Occupancy: 16
; WaveLimiterHint : 1
; COMPUTE_PGM_RSRC2:SCRATCH_EN: 0
; COMPUTE_PGM_RSRC2:USER_SGPR: 13
; COMPUTE_PGM_RSRC2:TRAP_HANDLER: 0
; COMPUTE_PGM_RSRC2:TGID_X_EN: 1
; COMPUTE_PGM_RSRC2:TGID_Y_EN: 1
; COMPUTE_PGM_RSRC2:TGID_Z_EN: 1
; COMPUTE_PGM_RSRC2:TIDIG_COMP_CNT: 0
	.section	.text._ZN2at6native12_GLOBAL__N_112gatherMedianIsmLi3EEEvNS_4cuda6detail10TensorInfoIT_T0_EENS5_IlS7_EENS5_IKS6_S7_EES7_S7_S7_b,"axG",@progbits,_ZN2at6native12_GLOBAL__N_112gatherMedianIsmLi3EEEvNS_4cuda6detail10TensorInfoIT_T0_EENS5_IlS7_EENS5_IKS6_S7_EES7_S7_S7_b,comdat
	.globl	_ZN2at6native12_GLOBAL__N_112gatherMedianIsmLi3EEEvNS_4cuda6detail10TensorInfoIT_T0_EENS5_IlS7_EENS5_IKS6_S7_EES7_S7_S7_b ; -- Begin function _ZN2at6native12_GLOBAL__N_112gatherMedianIsmLi3EEEvNS_4cuda6detail10TensorInfoIT_T0_EENS5_IlS7_EENS5_IKS6_S7_EES7_S7_S7_b
	.p2align	8
	.type	_ZN2at6native12_GLOBAL__N_112gatherMedianIsmLi3EEEvNS_4cuda6detail10TensorInfoIT_T0_EENS5_IlS7_EENS5_IKS6_S7_EES7_S7_S7_b,@function
_ZN2at6native12_GLOBAL__N_112gatherMedianIsmLi3EEEvNS_4cuda6detail10TensorInfoIT_T0_EENS5_IlS7_EENS5_IKS6_S7_EES7_S7_S7_b: ; @_ZN2at6native12_GLOBAL__N_112gatherMedianIsmLi3EEEvNS_4cuda6detail10TensorInfoIT_T0_EENS5_IlS7_EENS5_IKS6_S7_EES7_S7_S7_b
; %bb.0:
	s_clause 0x1
	s_load_b64 s[16:17], s[0:1], 0x500
	s_load_b128 s[24:27], s[0:1], 0x4e0
	s_add_u32 s18, s0, 0x500
	s_addc_u32 s19, s1, 0
	s_mov_b32 s35, 0
	s_waitcnt lgkmcnt(0)
	s_mul_i32 s2, s17, s15
	s_delay_alu instid0(SALU_CYCLE_1) | instskip(NEXT) | instid1(SALU_CYCLE_1)
	s_add_i32 s2, s2, s14
	s_mul_i32 s2, s2, s16
	s_delay_alu instid0(SALU_CYCLE_1) | instskip(NEXT) | instid1(SALU_CYCLE_1)
	s_add_i32 s34, s2, s13
	v_cmp_ge_u64_e64 s2, s[34:35], s[26:27]
	s_delay_alu instid0(VALU_DEP_1)
	s_and_b32 vcc_lo, exec_lo, s2
	s_cbranch_vccnz .LBB110_306
; %bb.1:
	s_load_b128 s[36:39], s[0:1], 0x10
	s_mov_b64 s[50:51], 0
	s_mov_b64 s[52:53], 0
	s_waitcnt lgkmcnt(0)
	v_cmp_lt_u64_e64 s2, s[34:35], s[38:39]
	s_delay_alu instid0(VALU_DEP_1)
	s_and_b32 vcc_lo, exec_lo, s2
	s_cbranch_vccnz .LBB110_3
; %bb.2:
	v_cvt_f32_u32_e32 v1, s38
	s_sub_i32 s3, 0, s38
	s_mov_b32 s53, 0
	s_delay_alu instid0(VALU_DEP_1) | instskip(SKIP_2) | instid1(VALU_DEP_1)
	v_rcp_iflag_f32_e32 v1, v1
	s_waitcnt_depctr 0xfff
	v_mul_f32_e32 v1, 0x4f7ffffe, v1
	v_cvt_u32_f32_e32 v1, v1
	s_delay_alu instid0(VALU_DEP_1) | instskip(NEXT) | instid1(VALU_DEP_1)
	v_readfirstlane_b32 s2, v1
	s_mul_i32 s3, s3, s2
	s_delay_alu instid0(SALU_CYCLE_1) | instskip(NEXT) | instid1(SALU_CYCLE_1)
	s_mul_hi_u32 s3, s2, s3
	s_add_i32 s2, s2, s3
	s_delay_alu instid0(SALU_CYCLE_1) | instskip(NEXT) | instid1(SALU_CYCLE_1)
	s_mul_hi_u32 s2, s34, s2
	s_mul_i32 s3, s2, s38
	s_add_i32 s4, s2, 1
	s_sub_i32 s3, s34, s3
	s_delay_alu instid0(SALU_CYCLE_1)
	s_sub_i32 s5, s3, s38
	s_cmp_ge_u32 s3, s38
	s_cselect_b32 s2, s4, s2
	s_cselect_b32 s3, s5, s3
	s_add_i32 s4, s2, 1
	s_cmp_ge_u32 s3, s38
	s_cselect_b32 s52, s4, s2
.LBB110_3:
	s_load_b128 s[28:31], s[0:1], 0x1b0
	v_cmp_lt_u64_e64 s2, s[52:53], s[36:37]
	s_delay_alu instid0(VALU_DEP_1)
	s_and_b32 vcc_lo, exec_lo, s2
	s_cbranch_vccnz .LBB110_5
; %bb.4:
	v_cvt_f32_u32_e32 v1, s36
	s_sub_i32 s3, 0, s36
	s_delay_alu instid0(VALU_DEP_1) | instskip(SKIP_2) | instid1(VALU_DEP_1)
	v_rcp_iflag_f32_e32 v1, v1
	s_waitcnt_depctr 0xfff
	v_mul_f32_e32 v1, 0x4f7ffffe, v1
	v_cvt_u32_f32_e32 v1, v1
	s_delay_alu instid0(VALU_DEP_1) | instskip(NEXT) | instid1(VALU_DEP_1)
	v_readfirstlane_b32 s2, v1
	s_mul_i32 s3, s3, s2
	s_delay_alu instid0(SALU_CYCLE_1) | instskip(NEXT) | instid1(SALU_CYCLE_1)
	s_mul_hi_u32 s3, s2, s3
	s_add_i32 s2, s2, s3
	s_delay_alu instid0(SALU_CYCLE_1) | instskip(NEXT) | instid1(SALU_CYCLE_1)
	s_mul_hi_u32 s2, s52, s2
	s_mul_i32 s3, s2, s36
	s_add_i32 s4, s2, 1
	s_sub_i32 s3, s52, s3
	s_delay_alu instid0(SALU_CYCLE_1)
	s_sub_i32 s5, s3, s36
	s_cmp_ge_u32 s3, s36
	s_cselect_b32 s2, s4, s2
	s_cselect_b32 s3, s5, s3
	s_add_i32 s4, s2, 1
	s_cmp_ge_u32 s3, s36
	s_cselect_b32 s50, s4, s2
.LBB110_5:
	s_waitcnt lgkmcnt(0)
	v_cmp_lt_u64_e64 s2, s[34:35], s[30:31]
	s_mov_b64 s[26:27], 0
	s_mov_b64 s[48:49], 0
	s_delay_alu instid0(VALU_DEP_1)
	s_and_b32 vcc_lo, exec_lo, s2
	s_cbranch_vccnz .LBB110_7
; %bb.6:
	v_cvt_f32_u32_e32 v1, s30
	s_sub_i32 s3, 0, s30
	s_mov_b32 s49, 0
	s_delay_alu instid0(VALU_DEP_1) | instskip(SKIP_2) | instid1(VALU_DEP_1)
	v_rcp_iflag_f32_e32 v1, v1
	s_waitcnt_depctr 0xfff
	v_mul_f32_e32 v1, 0x4f7ffffe, v1
	v_cvt_u32_f32_e32 v1, v1
	s_delay_alu instid0(VALU_DEP_1) | instskip(NEXT) | instid1(VALU_DEP_1)
	v_readfirstlane_b32 s2, v1
	s_mul_i32 s3, s3, s2
	s_delay_alu instid0(SALU_CYCLE_1) | instskip(NEXT) | instid1(SALU_CYCLE_1)
	s_mul_hi_u32 s3, s2, s3
	s_add_i32 s2, s2, s3
	s_delay_alu instid0(SALU_CYCLE_1) | instskip(NEXT) | instid1(SALU_CYCLE_1)
	s_mul_hi_u32 s2, s34, s2
	s_mul_i32 s3, s2, s30
	s_add_i32 s4, s2, 1
	s_sub_i32 s3, s34, s3
	s_delay_alu instid0(SALU_CYCLE_1)
	s_sub_i32 s5, s3, s30
	s_cmp_ge_u32 s3, s30
	s_cselect_b32 s2, s4, s2
	s_cselect_b32 s3, s5, s3
	s_add_i32 s4, s2, 1
	s_cmp_ge_u32 s3, s30
	s_cselect_b32 s48, s4, s2
.LBB110_7:
	s_load_b128 s[4:7], s[0:1], 0x350
	v_cmp_lt_u64_e64 s2, s[48:49], s[28:29]
	s_delay_alu instid0(VALU_DEP_1)
	s_and_b32 vcc_lo, exec_lo, s2
	s_cbranch_vccnz .LBB110_9
; %bb.8:
	v_cvt_f32_u32_e32 v1, s28
	s_sub_i32 s3, 0, s28
	s_delay_alu instid0(VALU_DEP_1) | instskip(SKIP_2) | instid1(VALU_DEP_1)
	v_rcp_iflag_f32_e32 v1, v1
	s_waitcnt_depctr 0xfff
	v_mul_f32_e32 v1, 0x4f7ffffe, v1
	v_cvt_u32_f32_e32 v1, v1
	s_delay_alu instid0(VALU_DEP_1) | instskip(NEXT) | instid1(VALU_DEP_1)
	v_readfirstlane_b32 s2, v1
	s_mul_i32 s3, s3, s2
	s_delay_alu instid0(SALU_CYCLE_1) | instskip(NEXT) | instid1(SALU_CYCLE_1)
	s_mul_hi_u32 s3, s2, s3
	s_add_i32 s2, s2, s3
	s_delay_alu instid0(SALU_CYCLE_1) | instskip(NEXT) | instid1(SALU_CYCLE_1)
	s_mul_hi_u32 s2, s48, s2
	s_mul_i32 s3, s2, s28
	s_add_i32 s8, s2, 1
	s_sub_i32 s3, s48, s3
	s_delay_alu instid0(SALU_CYCLE_1)
	s_sub_i32 s9, s3, s28
	s_cmp_ge_u32 s3, s28
	s_cselect_b32 s2, s8, s2
	s_cselect_b32 s3, s9, s3
	s_add_i32 s8, s2, 1
	s_cmp_ge_u32 s3, s28
	s_cselect_b32 s26, s8, s2
.LBB110_9:
	s_load_b64 s[54:55], s[0:1], 0x4f0
	s_waitcnt lgkmcnt(0)
	v_cmp_lt_u64_e64 s2, s[34:35], s[6:7]
	s_mov_b64 s[14:15], 0
	s_mov_b64 s[20:21], 0
	s_delay_alu instid0(VALU_DEP_1)
	s_and_b32 vcc_lo, exec_lo, s2
	s_cbranch_vccnz .LBB110_11
; %bb.10:
	v_cvt_f32_u32_e32 v1, s6
	s_sub_i32 s3, 0, s6
	s_mov_b32 s21, 0
	s_delay_alu instid0(VALU_DEP_1) | instskip(SKIP_2) | instid1(VALU_DEP_1)
	v_rcp_iflag_f32_e32 v1, v1
	s_waitcnt_depctr 0xfff
	v_mul_f32_e32 v1, 0x4f7ffffe, v1
	v_cvt_u32_f32_e32 v1, v1
	s_delay_alu instid0(VALU_DEP_1) | instskip(NEXT) | instid1(VALU_DEP_1)
	v_readfirstlane_b32 s2, v1
	s_mul_i32 s3, s3, s2
	s_delay_alu instid0(SALU_CYCLE_1) | instskip(NEXT) | instid1(SALU_CYCLE_1)
	s_mul_hi_u32 s3, s2, s3
	s_add_i32 s2, s2, s3
	s_delay_alu instid0(SALU_CYCLE_1) | instskip(NEXT) | instid1(SALU_CYCLE_1)
	s_mul_hi_u32 s2, s34, s2
	s_mul_i32 s3, s2, s6
	s_add_i32 s8, s2, 1
	s_sub_i32 s3, s34, s3
	s_delay_alu instid0(SALU_CYCLE_1)
	s_sub_i32 s9, s3, s6
	s_cmp_ge_u32 s3, s6
	s_cselect_b32 s2, s8, s2
	s_cselect_b32 s3, s9, s3
	s_add_i32 s8, s2, 1
	s_cmp_ge_u32 s3, s6
	s_cselect_b32 s20, s8, s2
.LBB110_11:
	s_delay_alu instid0(SALU_CYCLE_1) | instskip(NEXT) | instid1(VALU_DEP_1)
	v_cmp_lt_u64_e64 s2, s[20:21], s[4:5]
	s_and_b32 vcc_lo, exec_lo, s2
	s_cbranch_vccnz .LBB110_13
; %bb.12:
	v_cvt_f32_u32_e32 v1, s4
	s_sub_i32 s3, 0, s4
	s_delay_alu instid0(VALU_DEP_1) | instskip(SKIP_2) | instid1(VALU_DEP_1)
	v_rcp_iflag_f32_e32 v1, v1
	s_waitcnt_depctr 0xfff
	v_mul_f32_e32 v1, 0x4f7ffffe, v1
	v_cvt_u32_f32_e32 v1, v1
	s_delay_alu instid0(VALU_DEP_1) | instskip(NEXT) | instid1(VALU_DEP_1)
	v_readfirstlane_b32 s2, v1
	s_mul_i32 s3, s3, s2
	s_delay_alu instid0(SALU_CYCLE_1) | instskip(NEXT) | instid1(SALU_CYCLE_1)
	s_mul_hi_u32 s3, s2, s3
	s_add_i32 s2, s2, s3
	s_delay_alu instid0(SALU_CYCLE_1) | instskip(NEXT) | instid1(SALU_CYCLE_1)
	s_mul_hi_u32 s2, s20, s2
	s_mul_i32 s3, s2, s4
	s_add_i32 s8, s2, 1
	s_sub_i32 s3, s20, s3
	s_delay_alu instid0(SALU_CYCLE_1)
	s_sub_i32 s9, s3, s4
	s_cmp_ge_u32 s3, s4
	s_cselect_b32 s2, s8, s2
	s_cselect_b32 s3, s9, s3
	s_add_i32 s8, s2, 1
	s_cmp_ge_u32 s3, s4
	s_cselect_b32 s14, s8, s2
.LBB110_13:
	s_clause 0x1
	s_load_b64 s[22:23], s[0:1], 0x420
	s_load_b128 s[8:11], s[0:1], 0x410
	v_cmp_eq_u32_e64 s2, 0, v0
	s_delay_alu instid0(VALU_DEP_1)
	s_and_saveexec_b32 s3, s2
	s_cbranch_execz .LBB110_15
; %bb.14:
	v_mov_b32_e32 v1, 0
	s_delay_alu instid0(VALU_DEP_1)
	v_mov_b32_e32 v2, v1
	ds_store_b64 v1, v[1:2] offset:5136
.LBB110_15:
	s_or_b32 exec_lo, exec_lo, s3
	v_mov_b32_e32 v1, 0
	s_waitcnt lgkmcnt(0)
	s_barrier
	buffer_gl0_inv
	s_barrier
	buffer_gl0_inv
	ds_load_b64 v[1:2], v1 offset:5136
	s_clause 0x5
	s_load_b32 s3, s[0:1], 0x4f8
	s_load_b64 s[66:67], s[0:1], 0x340
	s_load_b64 s[56:57], s[0:1], 0x280
	s_load_b128 s[40:43], s[0:1], 0x270
	s_load_b64 s[60:61], s[0:1], 0xe0
	s_load_b128 s[44:47], s[0:1], 0xd0
	s_mov_b64 s[64:65], s[24:25]
	s_waitcnt lgkmcnt(0)
	s_bitcmp1_b32 s3, 0
	v_readfirstlane_b32 s58, v1
	v_readfirstlane_b32 s59, v2
	s_cselect_b32 s3, -1, 0
	s_delay_alu instid0(VALU_DEP_1) | instskip(NEXT) | instid1(VALU_DEP_1)
	v_cmp_lt_i64_e64 s12, s[58:59], 1
	s_or_b32 s3, s3, s12
	s_delay_alu instid0(SALU_CYCLE_1)
	s_and_not1_b32 vcc_lo, exec_lo, s3
	s_cbranch_vccnz .LBB110_17
; %bb.16:
	s_not_b64 s[58:59], s[58:59]
	s_delay_alu instid0(SALU_CYCLE_1) | instskip(SKIP_1) | instid1(SALU_CYCLE_1)
	s_add_u32 s58, s58, s24
	s_addc_u32 s59, s59, s25
	s_lshr_b64 s[58:59], s[58:59], 1
	s_delay_alu instid0(SALU_CYCLE_1)
	s_add_u32 s64, s58, 1
	s_addc_u32 s65, s59, 0
.LBB110_17:
	s_clause 0x1
	s_load_b64 s[58:59], s[0:1], 0x1a0
	s_load_b64 s[62:63], s[0:1], 0x0
	s_and_saveexec_b32 s0, s2
	s_cbranch_execz .LBB110_19
; %bb.18:
	v_dual_mov_b32 v1, 0 :: v_dual_mov_b32 v4, s25
	s_delay_alu instid0(VALU_DEP_1)
	v_dual_mov_b32 v3, s24 :: v_dual_mov_b32 v2, v1
	ds_store_b32 v1, v1 offset:5144
	ds_store_b128 v1, v[1:4] offset:5120
.LBB110_19:
	s_or_b32 exec_lo, exec_lo, s0
	s_mul_i32 s0, s20, s7
	s_mul_hi_u32 s1, s20, s6
	s_mul_i32 s3, s20, s6
	s_add_i32 s1, s1, s0
	s_sub_u32 s0, s34, s3
	s_subb_u32 s1, 0, s1
	s_mul_i32 s3, s0, s23
	s_mul_hi_u32 s6, s0, s22
	s_mul_i32 s1, s1, s22
	s_add_i32 s3, s6, s3
	s_mul_hi_u32 s7, s14, s8
	s_add_i32 s1, s3, s1
	s_mul_i32 s3, s14, s5
	s_mul_hi_u32 s5, s14, s4
	s_mul_i32 s4, s14, s4
	s_add_i32 s5, s5, s3
	s_sub_u32 s3, s20, s4
	s_subb_u32 s5, s21, s5
	s_mul_i32 s4, s3, s11
	s_mul_hi_u32 s6, s3, s10
	s_mul_i32 s0, s0, s22
	s_add_i32 s6, s6, s4
	s_mul_i32 s4, s14, s9
	s_mul_i32 s9, s5, s10
	s_add_i32 s5, s7, s4
	s_mul_i32 s4, s14, s8
	s_add_i32 s7, s6, s9
	s_lshl_b64 s[4:5], s[4:5], 1
	s_mul_i32 s6, s3, s10
	s_add_u32 s3, s66, s4
	s_addc_u32 s8, s67, s5
	s_lshl_b64 s[4:5], s[6:7], 1
	v_mad_u64_u32 v[2:3], null, v0, s54, 0
	s_add_u32 s3, s3, s4
	s_addc_u32 s4, s8, s5
	s_lshl_b64 s[0:1], s[0:1], 1
	s_waitcnt lgkmcnt(0)
	s_add_u32 s27, s3, s0
	s_addc_u32 s33, s4, s1
	s_barrier
	buffer_gl0_inv
	s_load_b32 s4, s[18:19], 0xc
	v_mad_u64_u32 v[4:5], null, v0, s55, v[3:4]
	v_mbcnt_lo_u32_b32 v20, -1, 0
	v_cmp_gt_u32_e32 vcc_lo, 32, v0
	v_lshlrev_b32_e32 v21, 1, v0
	v_mov_b32_e32 v11, 0
	v_cmp_lt_u64_e64 s82, 0x600, s[24:25]
	v_cmp_gt_i32_e64 s3, 4, v20
	s_delay_alu instid0(VALU_DEP_4) | instskip(NEXT) | instid1(VALU_DEP_4)
	v_dual_mov_b32 v3, v4 :: v_dual_add_nc_u32 v22, 0xc00, v21
	v_dual_mov_b32 v1, v11 :: v_dual_lshlrev_b32 v14, 2, v0
	s_delay_alu instid0(VALU_DEP_3) | instskip(NEXT) | instid1(VALU_DEP_2)
	s_and_b32 s51, vcc_lo, s3
	v_lshlrev_b64 v[2:3], 1, v[2:3]
	v_cmp_eq_u32_e64 s1, 0, v20
	s_delay_alu instid0(VALU_DEP_3)
	v_cmp_gt_u64_e64 s0, s[24:25], v[0:1]
	v_cmp_gt_u32_e64 s3, 2, v0
	v_mov_b32_e32 v15, v11
	v_lshlrev_b32_e32 v25, 3, v0
	s_waitcnt lgkmcnt(0)
	s_and_b32 s35, s4, 0xffff
	s_bfe_u32 s5, s4, 0xb0005
	s_add_u32 s83, s35, -1
	s_addc_u32 s84, 0, -1
	v_add_co_u32 v12, vcc_lo, s27, v2
	v_lshrrev_b32_e32 v2, 3, v0
	s_add_u32 s85, s83, s24
	s_addc_u32 s69, s84, s25
	s_cmp_lt_u32 s13, s16
	v_add_co_ci_u32_e32 v13, vcc_lo, s33, v3, vcc_lo
	s_cselect_b32 s6, 12, 18
	v_and_b32_e32 v23, 0x7c, v2
	v_lshlrev_b64 v[2:3], v20, -1
	s_add_u32 s70, s18, s6
	s_addc_u32 s71, s19, 0
	s_add_i32 s6, s5, -1
	s_bfe_u32 s86, s35, 0x30005
	s_cmp_gt_u32 s6, 6
	v_not_b32_e32 v24, v2
	s_cselect_b32 s87, -1, 0
	s_and_b32 s88, s5, 0x7f8
	v_cmp_gt_u16_e64 s89, s4, 31
	v_lshl_or_b32 v26, v20, 3, 0xc00
	v_mov_b32_e32 v27, 0
	s_cmp_lg_u32 s86, 0
	s_mov_b32 s67, 0
	s_cselect_b32 s90, -1, 0
	s_lshl_b32 s91, s35, 1
	s_mov_b32 s96, 14
	s_mov_b32 s92, 0
	;; [unrolled: 1-line block ×5, first 2 shown]
                                        ; implicit-def: $sgpr93
                                        ; implicit-def: $sgpr95
                                        ; implicit-def: $sgpr94
                                        ; implicit-def: $sgpr98
                                        ; implicit-def: $sgpr100
                                        ; implicit-def: $sgpr97
	s_branch .LBB110_24
.LBB110_20:                             ;   in Loop: Header=BB110_24 Depth=1
	s_xor_b32 s99, s99, 1
	s_add_i32 s7, s96, -2
	s_cmp_eq_u32 s96, 0
	s_mov_b32 s5, 0
	s_cselect_b32 s6, -1, 0
	s_mov_b32 s96, s7
.LBB110_21:                             ;   in Loop: Header=BB110_24 Depth=1
	s_and_not1_b32 s7, s13, exec_lo
	s_and_b32 s5, s5, exec_lo
	s_and_not1_b32 s19, s19, exec_lo
	s_or_b32 s13, s7, s5
	s_and_not1_b32 s12, s12, exec_lo
	s_or_not1_b32 s15, s6, exec_lo
.LBB110_22:                             ;   in Loop: Header=BB110_24 Depth=1
	s_or_b32 exec_lo, exec_lo, s4
	s_delay_alu instid0(SALU_CYCLE_1)
	s_and_not1_b32 s4, s97, exec_lo
	s_and_b32 s5, s13, exec_lo
	s_and_not1_b32 s6, s98, exec_lo
	s_or_b32 s97, s4, s5
	s_and_not1_b32 s4, s100, exec_lo
	s_and_b32 s5, s19, exec_lo
	s_and_b32 s7, s12, exec_lo
	s_or_b32 s100, s4, s5
	s_or_b32 s98, s6, s7
	s_or_not1_b32 s19, s15, exec_lo
.LBB110_23:                             ;   in Loop: Header=BB110_24 Depth=1
	s_or_b32 exec_lo, exec_lo, s14
	s_delay_alu instid0(SALU_CYCLE_1)
	s_and_b32 s4, exec_lo, s19
	v_mov_b32_e32 v2, s101
	s_or_b32 s92, s4, s92
	s_and_not1_b32 s4, s94, exec_lo
	s_and_b32 s5, s97, exec_lo
	s_and_not1_b32 s6, s93, exec_lo
	s_or_b32 s94, s4, s5
	s_and_not1_b32 s4, s95, exec_lo
	s_and_b32 s5, s100, exec_lo
	s_and_b32 s7, s98, exec_lo
	s_or_b32 s95, s4, s5
	s_or_b32 s93, s6, s7
	s_and_not1_b32 exec_lo, exec_lo, s92
	s_cbranch_execz .LBB110_289
.LBB110_24:                             ; =>This Loop Header: Depth=1
                                        ;     Child Loop BB110_29 Depth 2
                                        ;     Child Loop BB110_47 Depth 2
	;; [unrolled: 1-line block ×16, first 2 shown]
	ds_load_b128 v[2:5], v11 offset:5120
	s_waitcnt lgkmcnt(0)
	v_readfirstlane_b32 s73, v3
	v_readfirstlane_b32 s72, v2
	s_delay_alu instid0(VALU_DEP_1)
	s_cmp_lg_u64 s[72:73], 0
	s_cbranch_scc1 .LBB110_54
; %bb.25:                               ;   in Loop: Header=BB110_24 Depth=1
	s_and_b32 vcc_lo, exec_lo, s82
	s_cbranch_vccz .LBB110_37
; %bb.26:                               ;   in Loop: Header=BB110_24 Depth=1
	v_cmp_gt_u64_e32 vcc_lo, 0x601, v[4:5]
	s_mov_b32 s6, 0
	s_mov_b32 s4, 0
	s_cbranch_vccz .LBB110_38
; %bb.27:                               ;   in Loop: Header=BB110_24 Depth=1
	global_load_u16 v2, v11, s[70:71]
	global_load_u16 v5, v[12:13], off
	s_mov_b32 s7, 0
	s_waitcnt vmcnt(1)
	v_dual_mov_b32 v3, v1 :: v_dual_and_b32 v4, 0xffff, v2
	v_mov_b32_e32 v2, v0
	s_branch .LBB110_29
.LBB110_28:                             ;   in Loop: Header=BB110_29 Depth=2
	s_or_b32 exec_lo, exec_lo, s5
	v_mov_b32_e32 v5, v6
	s_and_not1_b32 exec_lo, exec_lo, s7
	s_cbranch_execz .LBB110_39
.LBB110_29:                             ;   Parent Loop BB110_24 Depth=1
                                        ; =>  This Inner Loop Header: Depth=2
	s_delay_alu instid0(VALU_DEP_1) | instskip(NEXT) | instid1(VALU_DEP_3)
	v_add_co_u32 v2, vcc_lo, v2, v4
	v_add_co_ci_u32_e32 v3, vcc_lo, 0, v3, vcc_lo
	s_waitcnt lgkmcnt(0)
	v_dual_mov_b32 v7, 0 :: v_dual_mov_b32 v6, 0
	s_mov_b32 s5, exec_lo
	s_delay_alu instid0(VALU_DEP_2)
	v_cmp_le_u64_e32 vcc_lo, s[24:25], v[2:3]
	v_cmpx_gt_u64_e64 s[24:25], v[2:3]
	s_cbranch_execz .LBB110_31
; %bb.30:                               ;   in Loop: Header=BB110_29 Depth=2
	v_mul_lo_u32 v6, v3, s54
	v_mul_lo_u32 v10, v2, s55
	v_mad_u64_u32 v[8:9], null, v2, s54, 0
	s_delay_alu instid0(VALU_DEP_1) | instskip(NEXT) | instid1(VALU_DEP_1)
	v_add3_u32 v9, v9, v10, v6
	v_lshlrev_b64 v[8:9], 1, v[8:9]
	s_delay_alu instid0(VALU_DEP_1) | instskip(NEXT) | instid1(VALU_DEP_1)
	v_add_co_u32 v8, s4, s27, v8
	v_add_co_ci_u32_e64 v9, s4, s33, v9, s4
	global_load_u16 v6, v[8:9], off
.LBB110_31:                             ;   in Loop: Header=BB110_29 Depth=2
	s_or_b32 exec_lo, exec_lo, s5
	s_waitcnt vmcnt(0)
	v_bfe_i32 v8, v5, 0, 16
	s_delay_alu instid0(VALU_DEP_1) | instskip(NEXT) | instid1(VALU_DEP_1)
	v_add_nc_u32_e32 v8, 0x8000, v8
	v_and_b32_e32 v8, s102, v8
	s_delay_alu instid0(VALU_DEP_1) | instskip(NEXT) | instid1(VALU_DEP_1)
	v_cmp_eq_u32_e64 s4, s101, v8
	s_cmp_lg_u32 s4, 0
	s_cselect_b32 s5, -1, 0
	s_delay_alu instid0(SALU_CYCLE_1) | instskip(NEXT) | instid1(SALU_CYCLE_1)
	s_and_b32 s5, s1, s5
	s_and_saveexec_b32 s8, s5
	s_cbranch_execz .LBB110_35
; %bb.32:                               ;   in Loop: Header=BB110_29 Depth=2
	s_mov_b32 s11, exec_lo
	s_bcnt1_i32_b32 s9, s4
	v_mbcnt_lo_u32_b32 v7, s11, 0
	s_mov_b32 s10, exec_lo
                                        ; implicit-def: $vgpr8
	s_delay_alu instid0(VALU_DEP_1)
	v_cmpx_eq_u32_e32 0, v7
	s_cbranch_execz .LBB110_34
; %bb.33:                               ;   in Loop: Header=BB110_29 Depth=2
	s_bcnt1_i32_b32 s5, s11
	s_delay_alu instid0(SALU_CYCLE_1) | instskip(NEXT) | instid1(SALU_CYCLE_1)
	s_mul_i32 s5, s9, s5
	v_mov_b32_e32 v8, s5
	ds_add_rtn_u32 v8, v11, v8 offset:5144
.LBB110_34:                             ;   in Loop: Header=BB110_29 Depth=2
	s_or_b32 exec_lo, exec_lo, s10
	s_waitcnt lgkmcnt(0)
	v_readfirstlane_b32 s5, v8
	s_delay_alu instid0(VALU_DEP_1)
	v_mad_u32_u24 v7, s9, v7, s5
.LBB110_35:                             ;   in Loop: Header=BB110_29 Depth=2
	s_or_b32 exec_lo, exec_lo, s8
	ds_bpermute_b32 v7, v11, v7
	s_and_b32 s5, exec_lo, vcc_lo
	s_delay_alu instid0(SALU_CYCLE_1)
	s_or_b32 s7, s5, s7
	s_and_saveexec_b32 s5, s4
	s_cbranch_execz .LBB110_28
; %bb.36:                               ;   in Loop: Header=BB110_29 Depth=2
	v_and_b32_e32 v8, s4, v24
	s_delay_alu instid0(VALU_DEP_1) | instskip(NEXT) | instid1(VALU_DEP_1)
	v_bcnt_u32_b32 v8, v8, 0
	v_lshlrev_b32_e32 v8, 1, v8
	s_waitcnt lgkmcnt(0)
	s_delay_alu instid0(VALU_DEP_1)
	v_lshl_add_u32 v7, v7, 1, v8
	ds_store_b16 v7, v5
	s_branch .LBB110_28
.LBB110_37:                             ;   in Loop: Header=BB110_24 Depth=1
	s_mov_b32 s4, 0
                                        ; implicit-def: $sgpr72_sgpr73
	s_cbranch_execnz .LBB110_42
	s_branch .LBB110_52
.LBB110_38:                             ;   in Loop: Header=BB110_24 Depth=1
	s_mov_b64 s[72:73], 0
	s_and_b32 vcc_lo, exec_lo, s6
	s_cbranch_vccnz .LBB110_42
	s_branch .LBB110_52
.LBB110_39:                             ;   in Loop: Header=BB110_24 Depth=1
	s_or_b32 exec_lo, exec_lo, s7
	s_waitcnt lgkmcnt(0)
	s_barrier
	buffer_gl0_inv
	s_and_saveexec_b32 s4, s2
	s_cbranch_execz .LBB110_41
; %bb.40:                               ;   in Loop: Header=BB110_24 Depth=1
	ds_load_b32 v2, v11 offset:5144
	s_waitcnt lgkmcnt(0)
	v_ashrrev_i32_e32 v3, 31, v2
	ds_store_b64 v11, v[2:3] offset:5120
.LBB110_41:                             ;   in Loop: Header=BB110_24 Depth=1
	s_or_b32 exec_lo, exec_lo, s4
	s_waitcnt lgkmcnt(0)
	s_mov_b32 s4, -1
	s_barrier
	s_mov_b64 s[72:73], 0
	s_and_b32 vcc_lo, exec_lo, s6
	s_cbranch_vccz .LBB110_52
.LBB110_42:                             ;   in Loop: Header=BB110_24 Depth=1
	v_mov_b32_e32 v4, 0
	s_and_saveexec_b32 s4, s0
	s_cbranch_execz .LBB110_44
; %bb.43:                               ;   in Loop: Header=BB110_24 Depth=1
	global_load_u16 v4, v[12:13], off
.LBB110_44:                             ;   in Loop: Header=BB110_24 Depth=1
	s_or_b32 exec_lo, exec_lo, s4
	s_and_saveexec_b32 s5, s0
	s_cbranch_execz .LBB110_49
; %bb.45:                               ;   in Loop: Header=BB110_24 Depth=1
	global_load_u16 v2, v11, s[70:71]
	s_mov_b32 s6, 0
	s_waitcnt vmcnt(0)
	v_dual_mov_b32 v6, v21 :: v_dual_and_b32 v5, 0xffff, v2
	v_dual_mov_b32 v3, v1 :: v_dual_mov_b32 v2, v0
	s_delay_alu instid0(VALU_DEP_2)
	v_lshlrev_b32_e32 v7, 1, v5
	s_set_inst_prefetch_distance 0x1
	s_branch .LBB110_47
	.p2align	6
.LBB110_46:                             ;   in Loop: Header=BB110_47 Depth=2
	s_or_b32 exec_lo, exec_lo, s7
	ds_store_b16 v6, v4
	v_add_nc_u32_e32 v6, v6, v7
	s_waitcnt vmcnt(0)
	v_mov_b32_e32 v4, v8
	s_and_b32 s4, exec_lo, vcc_lo
	s_delay_alu instid0(SALU_CYCLE_1) | instskip(NEXT) | instid1(SALU_CYCLE_1)
	s_or_b32 s6, s4, s6
	s_and_not1_b32 exec_lo, exec_lo, s6
	s_cbranch_execz .LBB110_49
.LBB110_47:                             ;   Parent Loop BB110_24 Depth=1
                                        ; =>  This Inner Loop Header: Depth=2
	s_delay_alu instid0(VALU_DEP_2) | instskip(SKIP_3) | instid1(VALU_DEP_2)
	v_add_co_u32 v2, vcc_lo, v2, v5
	v_add_co_ci_u32_e32 v3, vcc_lo, 0, v3, vcc_lo
	v_mov_b32_e32 v8, 0
	s_mov_b32 s7, exec_lo
	v_cmp_le_u64_e32 vcc_lo, s[24:25], v[2:3]
	v_cmpx_gt_u64_e64 s[24:25], v[2:3]
	s_cbranch_execz .LBB110_46
; %bb.48:                               ;   in Loop: Header=BB110_47 Depth=2
	v_mul_lo_u32 v10, v3, s54
	v_mul_lo_u32 v16, v2, s55
	v_mad_u64_u32 v[8:9], null, v2, s54, 0
	s_delay_alu instid0(VALU_DEP_1) | instskip(NEXT) | instid1(VALU_DEP_1)
	v_add3_u32 v9, v9, v16, v10
	v_lshlrev_b64 v[8:9], 1, v[8:9]
	s_delay_alu instid0(VALU_DEP_1) | instskip(NEXT) | instid1(VALU_DEP_1)
	v_add_co_u32 v8, s4, s27, v8
	v_add_co_ci_u32_e64 v9, s4, s33, v9, s4
	global_load_u16 v8, v[8:9], off
	s_branch .LBB110_46
.LBB110_49:                             ;   in Loop: Header=BB110_24 Depth=1
	s_set_inst_prefetch_distance 0x2
	s_or_b32 exec_lo, exec_lo, s5
	s_waitcnt vmcnt(0) lgkmcnt(0)
	s_barrier
	buffer_gl0_inv
	s_and_saveexec_b32 s4, s2
	s_cbranch_execz .LBB110_51
; %bb.50:                               ;   in Loop: Header=BB110_24 Depth=1
	v_dual_mov_b32 v2, s24 :: v_dual_mov_b32 v3, s25
	ds_store_b64 v11, v[2:3] offset:5120
.LBB110_51:                             ;   in Loop: Header=BB110_24 Depth=1
	s_or_b32 exec_lo, exec_lo, s4
	s_mov_b32 s4, -1
	s_waitcnt lgkmcnt(0)
	s_barrier
                                        ; implicit-def: $sgpr72_sgpr73
.LBB110_52:                             ;   in Loop: Header=BB110_24 Depth=1
	s_and_b32 vcc_lo, exec_lo, s4
	s_cbranch_vccz .LBB110_54
; %bb.53:                               ;   in Loop: Header=BB110_24 Depth=1
	buffer_gl0_inv
	ds_load_b64 v[2:3], v11 offset:5120
	s_waitcnt lgkmcnt(0)
	v_readfirstlane_b32 s72, v2
.LBB110_54:                             ;   in Loop: Header=BB110_24 Depth=1
	s_delay_alu instid0(VALU_DEP_1)
	s_cmp_lt_i32 s72, 1
	s_cbranch_scc0 .LBB110_69
; %bb.55:                               ;   in Loop: Header=BB110_24 Depth=1
	global_load_u16 v28, v11, s[70:71]
	s_mov_b32 s5, s25
	s_waitcnt vmcnt(0)
	v_readfirstlane_b32 s4, v28
	s_delay_alu instid0(VALU_DEP_1)
	s_and_b32 s6, 0xffff, s4
	s_mov_b32 s4, s67
	s_lshl_b32 s66, s6, 2
	s_cmp_lg_u64 s[4:5], 0
	s_cbranch_scc0 .LBB110_89
; %bb.56:                               ;   in Loop: Header=BB110_24 Depth=1
	v_cvt_f32_u32_e32 v2, s66
	s_sub_u32 s6, 0, s66
	s_subb_u32 s7, 0, 0
	s_delay_alu instid0(VALU_DEP_1) | instskip(NEXT) | instid1(VALU_DEP_1)
	v_fmac_f32_e64 v2, 0, 0x4f800000
	v_rcp_f32_e32 v2, v2
	s_waitcnt_depctr 0xfff
	v_mul_f32_e32 v2, 0x5f7ffffc, v2
	s_delay_alu instid0(VALU_DEP_1) | instskip(NEXT) | instid1(VALU_DEP_1)
	v_mul_f32_e32 v3, 0x2f800000, v2
	v_trunc_f32_e32 v3, v3
	s_delay_alu instid0(VALU_DEP_1) | instskip(SKIP_1) | instid1(VALU_DEP_2)
	v_fmac_f32_e32 v2, 0xcf800000, v3
	v_cvt_u32_f32_e32 v3, v3
	v_cvt_u32_f32_e32 v2, v2
	s_delay_alu instid0(VALU_DEP_2) | instskip(NEXT) | instid1(VALU_DEP_2)
	v_readfirstlane_b32 s4, v3
	v_readfirstlane_b32 s5, v2
	s_delay_alu instid0(VALU_DEP_2) | instskip(NEXT) | instid1(VALU_DEP_1)
	s_mul_i32 s8, s6, s4
	s_mul_hi_u32 s10, s6, s5
	s_mul_i32 s9, s7, s5
	s_add_i32 s8, s10, s8
	s_mul_i32 s11, s6, s5
	s_add_i32 s8, s8, s9
	s_mul_hi_u32 s10, s5, s11
	s_mul_hi_u32 s12, s4, s11
	s_mul_i32 s9, s4, s11
	s_mul_hi_u32 s11, s5, s8
	s_mul_i32 s5, s5, s8
	s_mul_hi_u32 s13, s4, s8
	s_add_u32 s5, s10, s5
	s_addc_u32 s10, 0, s11
	s_add_u32 s5, s5, s9
	s_mul_i32 s8, s4, s8
	s_addc_u32 s5, s10, s12
	s_addc_u32 s9, s13, 0
	s_add_u32 s5, s5, s8
	s_addc_u32 s8, 0, s9
	v_add_co_u32 v2, s5, v2, s5
	s_delay_alu instid0(VALU_DEP_1) | instskip(SKIP_1) | instid1(VALU_DEP_1)
	s_cmp_lg_u32 s5, 0
	s_addc_u32 s4, s4, s8
	v_readfirstlane_b32 s5, v2
	s_mul_i32 s8, s6, s4
	s_delay_alu instid0(VALU_DEP_1)
	s_mul_hi_u32 s9, s6, s5
	s_mul_i32 s7, s7, s5
	s_add_i32 s8, s9, s8
	s_mul_i32 s6, s6, s5
	s_add_i32 s8, s8, s7
	s_mul_hi_u32 s9, s4, s6
	s_mul_i32 s10, s4, s6
	s_mul_hi_u32 s6, s5, s6
	s_mul_hi_u32 s11, s5, s8
	s_mul_i32 s5, s5, s8
	s_mul_hi_u32 s7, s4, s8
	s_add_u32 s5, s6, s5
	s_addc_u32 s6, 0, s11
	s_add_u32 s5, s5, s10
	s_mul_i32 s8, s4, s8
	s_addc_u32 s5, s6, s9
	s_addc_u32 s6, s7, 0
	s_add_u32 s5, s5, s8
	s_addc_u32 s6, 0, s6
	v_add_co_u32 v2, s5, v2, s5
	s_delay_alu instid0(VALU_DEP_1) | instskip(SKIP_1) | instid1(VALU_DEP_1)
	s_cmp_lg_u32 s5, 0
	s_addc_u32 s4, s4, s6
	v_readfirstlane_b32 s5, v2
	s_mul_i32 s7, s24, s4
	s_mul_hi_u32 s6, s24, s4
	s_mul_hi_u32 s8, s25, s4
	s_mul_i32 s4, s25, s4
	s_mul_hi_u32 s9, s24, s5
	s_mul_hi_u32 s10, s25, s5
	s_mul_i32 s5, s25, s5
	s_add_u32 s7, s9, s7
	s_addc_u32 s6, 0, s6
	s_add_u32 s5, s7, s5
	s_addc_u32 s5, s6, s10
	s_addc_u32 s6, s8, 0
	s_add_u32 s4, s5, s4
	s_addc_u32 s5, 0, s6
	s_mul_hi_u32 s6, s66, s4
	s_mul_i32 s4, s66, s4
	s_mul_i32 s5, s66, s5
	v_sub_co_u32 v2, s4, s24, s4
	s_add_i32 s6, s6, s5
	s_cmp_lg_u32 s4, 0
	s_delay_alu instid0(VALU_DEP_1) | instskip(SKIP_2) | instid1(VALU_DEP_1)
	v_sub_co_u32 v3, s4, v2, s66
	s_subb_u32 s5, s25, s6
	s_cmp_lg_u32 s4, 0
	v_cmp_le_u32_e32 vcc_lo, s66, v3
	v_sub_co_u32 v4, s4, v3, s66
	s_subb_u32 s6, s5, 0
	s_cmp_lg_u32 s4, 0
	v_cndmask_b32_e64 v5, 0, -1, vcc_lo
	s_subb_u32 s4, s6, 0
	s_cmp_eq_u32 s6, 0
	v_mov_b32_e32 v7, s4
	s_cselect_b32 vcc_lo, -1, 0
	s_cmp_eq_u32 s5, 0
	v_cndmask_b32_e32 v5, -1, v5, vcc_lo
	v_cmp_le_u32_e32 vcc_lo, s66, v2
	s_cselect_b32 s4, -1, 0
	v_cndmask_b32_e64 v6, 0, -1, vcc_lo
	s_delay_alu instid0(VALU_DEP_3) | instskip(NEXT) | instid1(VALU_DEP_2)
	v_cmp_ne_u32_e32 vcc_lo, 0, v5
	v_cndmask_b32_e64 v5, -1, v6, s4
	v_cndmask_b32_e32 v6, s6, v7, vcc_lo
	v_cndmask_b32_e32 v4, v3, v4, vcc_lo
	s_delay_alu instid0(VALU_DEP_3) | instskip(NEXT) | instid1(VALU_DEP_3)
	v_cmp_ne_u32_e32 vcc_lo, 0, v5
	v_cndmask_b32_e32 v3, s5, v6, vcc_lo
	s_delay_alu instid0(VALU_DEP_3)
	v_cndmask_b32_e32 v2, v2, v4, vcc_lo
	s_cbranch_execnz .LBB110_58
.LBB110_57:                             ;   in Loop: Header=BB110_24 Depth=1
	v_cvt_f32_u32_e32 v2, s66
	s_sub_i32 s4, 0, s66
	s_delay_alu instid0(VALU_DEP_1) | instskip(SKIP_2) | instid1(VALU_DEP_1)
	v_rcp_iflag_f32_e32 v2, v2
	s_waitcnt_depctr 0xfff
	v_mul_f32_e32 v2, 0x4f7ffffe, v2
	v_cvt_u32_f32_e32 v2, v2
	s_delay_alu instid0(VALU_DEP_1) | instskip(NEXT) | instid1(VALU_DEP_1)
	v_mul_lo_u32 v3, s4, v2
	v_mul_hi_u32 v3, v2, v3
	s_delay_alu instid0(VALU_DEP_1) | instskip(NEXT) | instid1(VALU_DEP_1)
	v_add_nc_u32_e32 v2, v2, v3
	v_mul_hi_u32 v2, s24, v2
	s_delay_alu instid0(VALU_DEP_1) | instskip(NEXT) | instid1(VALU_DEP_1)
	v_mul_lo_u32 v2, v2, s66
	v_sub_nc_u32_e32 v2, s24, v2
	s_delay_alu instid0(VALU_DEP_1) | instskip(SKIP_1) | instid1(VALU_DEP_2)
	v_subrev_nc_u32_e32 v3, s66, v2
	v_cmp_le_u32_e32 vcc_lo, s66, v2
	v_cndmask_b32_e32 v2, v2, v3, vcc_lo
	s_delay_alu instid0(VALU_DEP_1) | instskip(SKIP_1) | instid1(VALU_DEP_2)
	v_subrev_nc_u32_e32 v3, s66, v2
	v_cmp_le_u32_e32 vcc_lo, s66, v2
	v_cndmask_b32_e32 v10, v2, v3, vcc_lo
	s_delay_alu instid0(VALU_DEP_1)
	v_dual_mov_b32 v2, v10 :: v_dual_mov_b32 v3, v11
.LBB110_58:                             ;   in Loop: Header=BB110_24 Depth=1
	s_delay_alu instid0(VALU_DEP_1) | instskip(NEXT) | instid1(VALU_DEP_2)
	v_sub_co_u32 v16, vcc_lo, s24, v2
	v_sub_co_ci_u32_e32 v17, vcc_lo, s25, v3, vcc_lo
	v_mov_b32_e32 v2, 0
	v_mov_b32_e32 v3, 0
	s_mov_b64 s[22:23], 0
	s_mov_b32 s68, exec_lo
	s_delay_alu instid0(VALU_DEP_1)
	v_dual_mov_b32 v5, v3 :: v_dual_mov_b32 v4, v2
	v_dual_mov_b32 v7, v3 :: v_dual_mov_b32 v6, v2
	;; [unrolled: 1-line block ×3, first 2 shown]
	v_cmpx_gt_u64_e64 v[16:17], v[14:15]
	s_cbranch_execz .LBB110_62
; %bb.59:                               ;   in Loop: Header=BB110_24 Depth=1
	v_dual_mov_b32 v19, v15 :: v_dual_mov_b32 v18, v14
	s_and_b32 s80, s96, 0xfe
	s_mov_b32 s73, 0
	s_mov_b64 s[74:75], 0
	s_mov_b64 s[76:77], 0
	;; [unrolled: 1-line block ×3, first 2 shown]
.LBB110_60:                             ;   Parent Loop BB110_24 Depth=1
                                        ; =>  This Inner Loop Header: Depth=2
	v_mul_lo_u32 v4, v19, s54
	v_mul_lo_u32 v5, v18, s55
	v_mad_u64_u32 v[2:3], null, v18, s54, 0
	s_lshl_b64 s[4:5], s[54:55], 1
	s_delay_alu instid0(VALU_DEP_1) | instskip(NEXT) | instid1(VALU_DEP_1)
	v_add3_u32 v3, v3, v5, v4
	v_lshlrev_b64 v[2:3], 1, v[2:3]
	s_delay_alu instid0(VALU_DEP_1) | instskip(NEXT) | instid1(VALU_DEP_2)
	v_add_co_u32 v2, vcc_lo, s27, v2
	v_add_co_ci_u32_e32 v3, vcc_lo, s33, v3, vcc_lo
	s_delay_alu instid0(VALU_DEP_2) | instskip(NEXT) | instid1(VALU_DEP_2)
	v_add_co_u32 v4, vcc_lo, v2, s4
	v_add_co_ci_u32_e32 v5, vcc_lo, s5, v3, vcc_lo
	global_load_i16 v6, v[2:3], off
	v_add_co_u32 v2, vcc_lo, v4, s4
	v_add_co_ci_u32_e32 v3, vcc_lo, s5, v5, vcc_lo
	global_load_i16 v4, v[4:5], off
	global_load_i16 v5, v[2:3], off
	v_add_co_u32 v2, vcc_lo, v2, s4
	v_add_co_ci_u32_e32 v3, vcc_lo, s5, v3, vcc_lo
	v_add_co_u32 v18, vcc_lo, v18, s66
	v_add_co_ci_u32_e32 v19, vcc_lo, 0, v19, vcc_lo
	global_load_i16 v2, v[2:3], off
	v_cmp_ge_u64_e32 vcc_lo, v[18:19], v[16:17]
	s_waitcnt vmcnt(3)
	v_add_nc_u32_e32 v3, 0x8000, v6
	s_delay_alu instid0(VALU_DEP_1)
	v_and_b32_e32 v6, s102, v3
	s_waitcnt vmcnt(2)
	v_add_nc_u32_e32 v4, 0x8000, v4
	v_bfe_u32 v3, v3, s80, 2
	s_waitcnt vmcnt(1)
	v_add_nc_u32_e32 v5, 0x8000, v5
	v_cmp_eq_u32_e64 s4, s101, v6
	v_and_b32_e32 v6, s102, v4
	v_bfe_u32 v4, v4, s80, 2
	v_cmp_eq_u32_e64 s5, 0, v3
	v_cmp_eq_u32_e64 s6, 1, v3
	;; [unrolled: 1-line block ×4, first 2 shown]
	s_waitcnt vmcnt(0)
	v_add_nc_u32_e32 v2, 0x8000, v2
	v_and_b32_e32 v3, s102, v5
	v_cmp_eq_u32_e64 s9, s101, v6
	v_bfe_u32 v5, v5, s80, 2
	v_cmp_eq_u32_e64 s10, 0, v4
	s_and_b32 s5, s4, s5
	v_cmp_eq_u32_e64 s13, s101, v3
	v_cndmask_b32_e64 v6, 0, 1, s5
	v_and_b32_e32 v3, s102, v2
	v_bfe_u32 v2, v2, s80, 2
	v_cmp_eq_u32_e64 s14, 0, v5
	s_and_b32 s10, s9, s10
	v_cmp_eq_u32_e64 s5, 1, v4
	v_cmp_eq_u32_e64 s11, 2, v4
	;; [unrolled: 1-line block ×3, first 2 shown]
	v_cmp_ne_u32_e64 s15, 0, v6
	v_cndmask_b32_e64 v4, 0, 1, s10
	v_cmp_eq_u32_e64 s18, s101, v3
	v_cmp_eq_u32_e64 s19, 0, v2
	s_and_b32 s14, s13, s14
	s_bcnt1_i32_b32 s81, s15
	v_cmp_ne_u32_e64 s15, 0, v4
	v_cndmask_b32_e64 v3, 0, 1, s14
	s_and_b32 s19, s18, s19
	v_cmp_eq_u32_e64 s14, 1, v2
	v_cmp_eq_u32_e64 s20, 2, v2
	;; [unrolled: 1-line block ×3, first 2 shown]
	v_cndmask_b32_e64 v2, 0, 1, s19
	s_bcnt1_i32_b32 s19, s15
	v_cmp_ne_u32_e64 s15, 0, v3
	s_add_i32 s81, s19, s81
	v_cmp_eq_u32_e64 s10, 1, v5
	v_cmp_ne_u32_e64 s19, 0, v2
	v_cmp_eq_u32_e64 s16, 2, v5
	s_bcnt1_i32_b32 s15, s15
	v_cmp_eq_u32_e64 s17, 3, v5
	s_add_i32 s15, s81, s15
	s_bcnt1_i32_b32 s19, s19
	s_delay_alu instid0(SALU_CYCLE_1) | instskip(NEXT) | instid1(SALU_CYCLE_1)
	s_add_i32 s15, s15, s19
	s_add_u32 s78, s78, s15
	s_addc_u32 s79, s79, 0
	s_and_b32 s6, s4, s6
	s_and_b32 s5, s9, s5
	v_cndmask_b32_e64 v2, 0, 1, s6
	v_cndmask_b32_e64 v3, 0, 1, s5
	s_and_b32 s5, s13, s10
	s_delay_alu instid0(SALU_CYCLE_1) | instskip(SKIP_1) | instid1(VALU_DEP_2)
	v_cndmask_b32_e64 v4, 0, 1, s5
	s_and_b32 s5, s18, s14
	v_cmp_ne_u32_e64 s6, 0, v3
	v_cndmask_b32_e64 v5, 0, 1, s5
	v_cmp_ne_u32_e64 s5, 0, v2
	v_cmp_ne_u32_e64 s10, 0, v4
	s_delay_alu instid0(VALU_DEP_4) | instskip(NEXT) | instid1(VALU_DEP_3)
	s_bcnt1_i32_b32 s6, s6
	v_cmp_ne_u32_e64 s14, 0, v5
	s_delay_alu instid0(VALU_DEP_3) | instskip(NEXT) | instid1(VALU_DEP_2)
	s_bcnt1_i32_b32 s5, s5
	s_bcnt1_i32_b32 s10, s10
	s_add_i32 s5, s6, s5
	s_delay_alu instid0(VALU_DEP_1) | instskip(SKIP_1) | instid1(SALU_CYCLE_1)
	s_bcnt1_i32_b32 s14, s14
	s_add_i32 s5, s5, s10
	s_add_i32 s5, s5, s14
	s_delay_alu instid0(SALU_CYCLE_1) | instskip(SKIP_2) | instid1(SALU_CYCLE_1)
	s_add_u32 s76, s76, s5
	s_addc_u32 s77, s77, 0
	s_and_b32 s5, s4, s7
	v_cndmask_b32_e64 v2, 0, 1, s5
	s_and_b32 s5, s9, s11
	s_delay_alu instid0(SALU_CYCLE_1) | instskip(SKIP_1) | instid1(SALU_CYCLE_1)
	v_cndmask_b32_e64 v3, 0, 1, s5
	s_and_b32 s5, s13, s16
	v_cndmask_b32_e64 v4, 0, 1, s5
	s_and_b32 s5, s18, s20
	s_delay_alu instid0(VALU_DEP_2) | instskip(SKIP_3) | instid1(VALU_DEP_4)
	v_cmp_ne_u32_e64 s6, 0, v3
	v_cndmask_b32_e64 v5, 0, 1, s5
	v_cmp_ne_u32_e64 s5, 0, v2
	v_cmp_ne_u32_e64 s7, 0, v4
	s_bcnt1_i32_b32 s6, s6
	s_delay_alu instid0(VALU_DEP_3) | instskip(NEXT) | instid1(VALU_DEP_3)
	v_cmp_ne_u32_e64 s10, 0, v5
	s_bcnt1_i32_b32 s5, s5
	s_delay_alu instid0(VALU_DEP_2) | instskip(SKIP_1) | instid1(VALU_DEP_1)
	s_bcnt1_i32_b32 s7, s7
	s_add_i32 s5, s6, s5
	s_bcnt1_i32_b32 s10, s10
	s_add_i32 s5, s5, s7
	s_delay_alu instid0(SALU_CYCLE_1) | instskip(NEXT) | instid1(SALU_CYCLE_1)
	s_add_i32 s5, s5, s10
	s_add_u32 s74, s74, s5
	s_addc_u32 s75, s75, 0
	s_and_b32 s4, s4, s8
	v_mov_b32_e32 v6, s74
	v_cndmask_b32_e64 v2, 0, 1, s4
	s_and_b32 s4, s9, s12
	v_mov_b32_e32 v7, s75
	v_cndmask_b32_e64 v3, 0, 1, s4
	s_and_b32 s4, s13, s17
	s_delay_alu instid0(SALU_CYCLE_1) | instskip(SKIP_1) | instid1(VALU_DEP_2)
	v_cndmask_b32_e64 v4, 0, 1, s4
	s_and_b32 s4, s18, s21
	v_cmp_ne_u32_e64 s5, 0, v3
	v_cndmask_b32_e64 v5, 0, 1, s4
	v_cmp_ne_u32_e64 s4, 0, v2
	v_cmp_ne_u32_e64 s6, 0, v4
	v_mov_b32_e32 v2, s78
	s_bcnt1_i32_b32 s5, s5
	v_cmp_ne_u32_e64 s7, 0, v5
	s_bcnt1_i32_b32 s4, s4
	s_bcnt1_i32_b32 s6, s6
	s_add_i32 s4, s5, s4
	v_mov_b32_e32 v4, s76
	s_bcnt1_i32_b32 s5, s7
	s_add_i32 s4, s4, s6
	v_mov_b32_e32 v3, s79
	s_add_i32 s4, s4, s5
	v_mov_b32_e32 v5, s77
	s_add_u32 s22, s22, s4
	s_addc_u32 s23, s23, 0
	s_delay_alu instid0(SALU_CYCLE_1) | instskip(SKIP_1) | instid1(SALU_CYCLE_1)
	v_dual_mov_b32 v8, s22 :: v_dual_mov_b32 v9, s23
	s_or_b32 s73, vcc_lo, s73
	s_and_not1_b32 exec_lo, exec_lo, s73
	s_cbranch_execnz .LBB110_60
; %bb.61:                               ;   in Loop: Header=BB110_24 Depth=1
	s_or_b32 exec_lo, exec_lo, s73
.LBB110_62:                             ;   in Loop: Header=BB110_24 Depth=1
	s_delay_alu instid0(SALU_CYCLE_1) | instskip(SKIP_3) | instid1(VALU_DEP_2)
	s_or_b32 exec_lo, exec_lo, s68
	v_add_co_u32 v16, vcc_lo, v16, v0
	v_add_co_ci_u32_e32 v17, vcc_lo, 0, v17, vcc_lo
	v_dual_mov_b32 v19, 0 :: v_dual_and_b32 v10, 0xffff, v28
	v_cmp_gt_u64_e32 vcc_lo, s[24:25], v[16:17]
	s_and_saveexec_b32 s5, vcc_lo
	s_cbranch_execz .LBB110_64
; %bb.63:                               ;   in Loop: Header=BB110_24 Depth=1
	v_mul_lo_u32 v28, v17, s54
	v_mul_lo_u32 v29, v16, s55
	v_mad_u64_u32 v[18:19], null, v16, s54, 0
	s_delay_alu instid0(VALU_DEP_1) | instskip(NEXT) | instid1(VALU_DEP_1)
	v_add3_u32 v19, v19, v29, v28
	v_lshlrev_b64 v[18:19], 1, v[18:19]
	s_delay_alu instid0(VALU_DEP_1) | instskip(NEXT) | instid1(VALU_DEP_1)
	v_add_co_u32 v18, s4, s27, v18
	v_add_co_ci_u32_e64 v19, s4, s33, v19, s4
	global_load_u16 v19, v[18:19], off
.LBB110_64:                             ;   in Loop: Header=BB110_24 Depth=1
	s_or_b32 exec_lo, exec_lo, s5
	s_and_saveexec_b32 s8, vcc_lo
	s_cbranch_execz .LBB110_71
; %bb.65:                               ;   in Loop: Header=BB110_24 Depth=1
	s_and_b32 s10, s96, 0xfe
	s_mov_b32 s9, 0
	s_branch .LBB110_67
.LBB110_66:                             ;   in Loop: Header=BB110_67 Depth=2
	s_or_b32 exec_lo, exec_lo, s5
	s_waitcnt vmcnt(0)
	v_bfe_i32 v19, v19, 0, 16
	s_and_b32 s6, exec_lo, vcc_lo
	s_delay_alu instid0(SALU_CYCLE_1) | instskip(NEXT) | instid1(VALU_DEP_1)
	s_or_b32 s9, s6, s9
	v_add_nc_u32_e32 v19, 0x8000, v19
	s_delay_alu instid0(VALU_DEP_1) | instskip(SKIP_1) | instid1(VALU_DEP_2)
	v_and_b32_e32 v28, s102, v19
	v_bfe_u32 v19, v19, s10, 2
	v_cmp_eq_u32_e64 s4, s101, v28
	s_delay_alu instid0(VALU_DEP_2) | instskip(SKIP_2) | instid1(VALU_DEP_3)
	v_cmp_eq_u32_e64 s5, 0, v19
	v_cmp_eq_u32_e32 vcc_lo, 1, v19
	v_cmp_eq_u32_e64 s6, 2, v19
	s_and_b32 s5, s4, s5
	s_delay_alu instid0(SALU_CYCLE_1) | instskip(SKIP_4) | instid1(SALU_CYCLE_1)
	v_cndmask_b32_e64 v28, 0, 1, s5
	s_and_b32 s5, s4, vcc_lo
	v_cmp_eq_u32_e32 vcc_lo, 3, v19
	v_cndmask_b32_e64 v29, 0, 1, s5
	s_and_b32 s5, s4, s6
	v_cndmask_b32_e64 v30, 0, 1, s5
	v_cmp_ne_u32_e64 s5, 0, v28
	s_delay_alu instid0(VALU_DEP_3) | instskip(SKIP_1) | instid1(SALU_CYCLE_1)
	v_cmp_ne_u32_e64 s6, 0, v29
	s_and_b32 s4, s4, vcc_lo
	v_cndmask_b32_e64 v19, 0, 1, s4
	s_delay_alu instid0(VALU_DEP_3)
	s_bcnt1_i32_b32 s4, s5
	v_cmp_ne_u32_e64 s7, 0, v30
	v_add_co_u32 v2, vcc_lo, v2, s4
	s_bcnt1_i32_b32 s5, s6
	v_add_co_ci_u32_e32 v3, vcc_lo, 0, v3, vcc_lo
	v_add_co_u32 v4, vcc_lo, v4, s5
	v_add_co_ci_u32_e32 v5, vcc_lo, 0, v5, vcc_lo
	s_bcnt1_i32_b32 s6, s7
	v_cmp_ne_u32_e32 vcc_lo, 0, v19
	v_mov_b32_e32 v19, v18
	v_add_co_u32 v6, s4, v6, s6
	s_delay_alu instid0(VALU_DEP_1) | instskip(SKIP_1) | instid1(SALU_CYCLE_1)
	v_add_co_ci_u32_e64 v7, s4, 0, v7, s4
	s_bcnt1_i32_b32 s4, vcc_lo
	v_add_co_u32 v8, vcc_lo, v8, s4
	v_add_co_ci_u32_e32 v9, vcc_lo, 0, v9, vcc_lo
	s_and_not1_b32 exec_lo, exec_lo, s9
	s_cbranch_execz .LBB110_70
.LBB110_67:                             ;   Parent Loop BB110_24 Depth=1
                                        ; =>  This Inner Loop Header: Depth=2
	v_add_co_u32 v16, vcc_lo, v16, v10
	v_add_co_ci_u32_e32 v17, vcc_lo, 0, v17, vcc_lo
	v_mov_b32_e32 v18, 0
	s_mov_b32 s5, exec_lo
	s_delay_alu instid0(VALU_DEP_2)
	v_cmp_le_u64_e32 vcc_lo, s[24:25], v[16:17]
	v_cmpx_gt_u64_e64 s[24:25], v[16:17]
	s_cbranch_execz .LBB110_66
; %bb.68:                               ;   in Loop: Header=BB110_67 Depth=2
	v_mul_lo_u32 v18, v17, s54
	v_mul_lo_u32 v30, v16, s55
	v_mad_u64_u32 v[28:29], null, v16, s54, 0
	s_delay_alu instid0(VALU_DEP_1) | instskip(NEXT) | instid1(VALU_DEP_1)
	v_add3_u32 v29, v29, v30, v18
	v_lshlrev_b64 v[28:29], 1, v[28:29]
	s_delay_alu instid0(VALU_DEP_1) | instskip(NEXT) | instid1(VALU_DEP_1)
	v_add_co_u32 v28, s4, s27, v28
	v_add_co_ci_u32_e64 v29, s4, s33, v29, s4
	global_load_u16 v18, v[28:29], off
	s_branch .LBB110_66
.LBB110_69:                             ;   in Loop: Header=BB110_24 Depth=1
                                        ; implicit-def: $vgpr8_vgpr9
                                        ; implicit-def: $vgpr4_vgpr5
	s_cbranch_execnz .LBB110_72
	s_branch .LBB110_81
.LBB110_70:                             ;   in Loop: Header=BB110_24 Depth=1
	s_or_b32 exec_lo, exec_lo, s9
.LBB110_71:                             ;   in Loop: Header=BB110_24 Depth=1
	s_delay_alu instid0(SALU_CYCLE_1)
	s_or_b32 exec_lo, exec_lo, s8
	s_branch .LBB110_81
.LBB110_72:                             ;   in Loop: Header=BB110_24 Depth=1
	global_load_u16 v8, v11, s[70:71]
	s_mov_b64 s[74:75], 0
	s_mov_b32 s73, exec_lo
	s_waitcnt vmcnt(0)
	v_readfirstlane_b32 s4, v8
	v_and_b32_e32 v18, 0xffff, v8
	s_delay_alu instid0(VALU_DEP_2) | instskip(NEXT) | instid1(SALU_CYCLE_1)
	s_and_b32 s4, 0xffff, s4
	s_lshl_b32 s68, s4, 2
	s_delay_alu instid0(SALU_CYCLE_1) | instskip(SKIP_1) | instid1(VALU_DEP_1)
	v_cvt_f32_u32_e32 v2, s68
	s_sub_i32 s5, 0, s68
	v_rcp_iflag_f32_e32 v2, v2
	s_waitcnt_depctr 0xfff
	v_mul_f32_e32 v2, 0x4f7ffffe, v2
	s_delay_alu instid0(VALU_DEP_1) | instskip(NEXT) | instid1(VALU_DEP_1)
	v_cvt_u32_f32_e32 v2, v2
	v_readfirstlane_b32 s4, v2
	v_mov_b32_e32 v2, 0
	v_mov_b32_e32 v3, 0
	s_delay_alu instid0(VALU_DEP_3) | instskip(NEXT) | instid1(VALU_DEP_1)
	s_mul_i32 s5, s5, s4
	v_dual_mov_b32 v5, v3 :: v_dual_mov_b32 v4, v2
	s_mul_hi_u32 s5, s4, s5
	v_dual_mov_b32 v7, v3 :: v_dual_mov_b32 v6, v2
	s_add_i32 s4, s4, s5
	v_dual_mov_b32 v9, v3 :: v_dual_mov_b32 v8, v2
	s_mul_hi_u32 s4, s72, s4
	s_delay_alu instid0(SALU_CYCLE_1) | instskip(NEXT) | instid1(SALU_CYCLE_1)
	s_mul_i32 s4, s4, s68
	s_sub_i32 s4, s72, s4
	s_delay_alu instid0(SALU_CYCLE_1) | instskip(SKIP_2) | instid1(SALU_CYCLE_1)
	s_sub_i32 s5, s4, s68
	s_cmp_ge_u32 s4, s68
	s_cselect_b32 s4, s5, s4
	s_sub_i32 s5, s4, s68
	s_cmp_ge_u32 s4, s68
	s_cselect_b32 s4, s5, s4
	s_delay_alu instid0(SALU_CYCLE_1) | instskip(NEXT) | instid1(SALU_CYCLE_1)
	s_sub_i32 s66, s72, s4
	v_cmpx_gt_u32_e64 s66, v14
	s_cbranch_execz .LBB110_76
; %bb.73:                               ;   in Loop: Header=BB110_24 Depth=1
	v_dual_mov_b32 v19, v25 :: v_dual_lshlrev_b32 v10, 3, v18
	v_dual_mov_b32 v17, v15 :: v_dual_mov_b32 v16, v14
	s_and_b32 s103, s96, 0xfe
	s_mov_b32 s104, 0
	s_mov_b64 s[76:77], 0
	s_mov_b64 s[78:79], 0
	;; [unrolled: 1-line block ×3, first 2 shown]
.LBB110_74:                             ;   Parent Loop BB110_24 Depth=1
                                        ; =>  This Inner Loop Header: Depth=2
	ds_load_b64 v[2:3], v19
	v_add_co_u32 v16, vcc_lo, v16, s68
	v_add_co_ci_u32_e32 v17, vcc_lo, 0, v17, vcc_lo
	s_delay_alu instid0(VALU_DEP_1)
	v_cmp_le_u64_e32 vcc_lo, s[66:67], v[16:17]
	s_waitcnt lgkmcnt(0)
	v_bfe_i32 v4, v2, 0, 16
	v_ashrrev_i32_e32 v2, 16, v2
	v_bfe_i32 v5, v3, 0, 16
	v_ashrrev_i32_e32 v3, 16, v3
	s_delay_alu instid0(VALU_DEP_4) | instskip(NEXT) | instid1(VALU_DEP_4)
	v_add_nc_u32_e32 v4, 0x8000, v4
	v_add_nc_u32_e32 v2, 0x8000, v2
	s_delay_alu instid0(VALU_DEP_4) | instskip(NEXT) | instid1(VALU_DEP_4)
	v_add_nc_u32_e32 v5, 0x8000, v5
	v_add_nc_u32_e32 v3, 0x8000, v3
	s_delay_alu instid0(VALU_DEP_4)
	v_and_b32_e32 v6, s102, v4
	v_bfe_u32 v4, v4, s103, 2
	v_and_b32_e32 v7, s102, v2
	v_bfe_u32 v2, v2, s103, 2
	;; [unrolled: 2-line block ×3, first 2 shown]
	v_cmp_eq_u32_e64 s4, s101, v6
	v_cmp_eq_u32_e64 s8, 0, v4
	v_and_b32_e32 v9, s102, v3
	v_bfe_u32 v3, v3, s103, 2
	v_cmp_eq_u32_e64 s5, s101, v7
	v_cmp_eq_u32_e64 s9, 0, v2
	;; [unrolled: 1-line block ×4, first 2 shown]
	s_and_b32 s8, s4, s8
	v_cmp_eq_u32_e64 s7, s101, v9
	v_cmp_eq_u32_e64 s11, 0, v3
	;; [unrolled: 1-line block ×5, first 2 shown]
	v_cndmask_b32_e64 v2, 0, 1, s8
	s_and_b32 s8, s5, s9
	v_cmp_eq_u32_e64 s15, 1, v3
	v_cmp_eq_u32_e64 s19, 2, v3
	v_cmp_eq_u32_e64 s23, 3, v3
	v_cndmask_b32_e64 v3, 0, 1, s8
	s_and_b32 s8, s6, s10
	v_cmp_eq_u32_e64 s12, 1, v4
	v_cmp_eq_u32_e64 s16, 2, v4
	v_cmp_eq_u32_e64 s20, 3, v4
	;; [unrolled: 5-line block ×3, first 2 shown]
	v_cndmask_b32_e64 v5, 0, 1, s8
	v_cmp_ne_u32_e64 s8, 0, v2
	v_cmp_ne_u32_e64 s9, 0, v3
	;; [unrolled: 1-line block ×3, first 2 shown]
	s_delay_alu instid0(VALU_DEP_4) | instskip(NEXT) | instid1(VALU_DEP_4)
	v_cmp_ne_u32_e64 s11, 0, v5
	s_bcnt1_i32_b32 s8, s8
	s_delay_alu instid0(VALU_DEP_3) | instskip(NEXT) | instid1(VALU_DEP_2)
	s_bcnt1_i32_b32 s9, s9
	s_bcnt1_i32_b32 s10, s10
	s_add_i32 s8, s9, s8
	s_bcnt1_i32_b32 s11, s11
	s_add_i32 s8, s8, s10
	s_delay_alu instid0(SALU_CYCLE_1) | instskip(NEXT) | instid1(SALU_CYCLE_1)
	s_add_i32 s8, s8, s11
	s_add_u32 s80, s80, s8
	s_addc_u32 s81, s81, 0
	s_and_b32 s8, s4, s12
	v_add_nc_u32_e32 v19, v19, v10
	v_cndmask_b32_e64 v2, 0, 1, s8
	s_and_b32 s8, s5, s13
	s_delay_alu instid0(SALU_CYCLE_1) | instskip(SKIP_1) | instid1(SALU_CYCLE_1)
	v_cndmask_b32_e64 v3, 0, 1, s8
	s_and_b32 s8, s6, s14
	v_cndmask_b32_e64 v4, 0, 1, s8
	s_and_b32 s8, s7, s15
	s_delay_alu instid0(VALU_DEP_2) | instskip(SKIP_3) | instid1(VALU_DEP_4)
	v_cmp_ne_u32_e64 s9, 0, v3
	v_cndmask_b32_e64 v5, 0, 1, s8
	v_cmp_ne_u32_e64 s8, 0, v2
	v_cmp_ne_u32_e64 s10, 0, v4
	s_bcnt1_i32_b32 s9, s9
	s_delay_alu instid0(VALU_DEP_3) | instskip(NEXT) | instid1(VALU_DEP_3)
	v_cmp_ne_u32_e64 s11, 0, v5
	s_bcnt1_i32_b32 s8, s8
	s_delay_alu instid0(VALU_DEP_2) | instskip(SKIP_1) | instid1(VALU_DEP_1)
	s_bcnt1_i32_b32 s10, s10
	s_add_i32 s8, s9, s8
	s_bcnt1_i32_b32 s11, s11
	s_add_i32 s8, s8, s10
	s_delay_alu instid0(SALU_CYCLE_1) | instskip(NEXT) | instid1(SALU_CYCLE_1)
	s_add_i32 s8, s8, s11
	s_add_u32 s78, s78, s8
	s_addc_u32 s79, s79, 0
	s_and_b32 s8, s4, s16
	s_delay_alu instid0(SALU_CYCLE_1) | instskip(SKIP_1) | instid1(SALU_CYCLE_1)
	v_cndmask_b32_e64 v2, 0, 1, s8
	s_and_b32 s8, s5, s17
	v_cndmask_b32_e64 v3, 0, 1, s8
	s_and_b32 s8, s6, s18
	s_delay_alu instid0(SALU_CYCLE_1) | instskip(SKIP_1) | instid1(VALU_DEP_2)
	v_cndmask_b32_e64 v4, 0, 1, s8
	s_and_b32 s8, s7, s19
	v_cmp_ne_u32_e64 s9, 0, v3
	v_cndmask_b32_e64 v5, 0, 1, s8
	v_cmp_ne_u32_e64 s8, 0, v2
	v_cmp_ne_u32_e64 s10, 0, v4
	s_delay_alu instid0(VALU_DEP_4) | instskip(NEXT) | instid1(VALU_DEP_3)
	s_bcnt1_i32_b32 s9, s9
	v_cmp_ne_u32_e64 s11, 0, v5
	s_delay_alu instid0(VALU_DEP_3) | instskip(NEXT) | instid1(VALU_DEP_2)
	s_bcnt1_i32_b32 s8, s8
	s_bcnt1_i32_b32 s10, s10
	s_add_i32 s8, s9, s8
	s_delay_alu instid0(VALU_DEP_1) | instskip(SKIP_1) | instid1(SALU_CYCLE_1)
	s_bcnt1_i32_b32 s11, s11
	s_add_i32 s8, s8, s10
	s_add_i32 s8, s8, s11
	s_delay_alu instid0(SALU_CYCLE_1)
	s_add_u32 s76, s76, s8
	s_addc_u32 s77, s77, 0
	s_and_b32 s4, s4, s20
	v_mov_b32_e32 v6, s76
	v_cndmask_b32_e64 v2, 0, 1, s4
	s_and_b32 s4, s5, s21
	v_mov_b32_e32 v7, s77
	v_cndmask_b32_e64 v3, 0, 1, s4
	s_and_b32 s4, s6, s22
	s_delay_alu instid0(SALU_CYCLE_1) | instskip(SKIP_1) | instid1(VALU_DEP_2)
	v_cndmask_b32_e64 v4, 0, 1, s4
	s_and_b32 s4, s7, s23
	v_cmp_ne_u32_e64 s5, 0, v3
	v_cndmask_b32_e64 v5, 0, 1, s4
	v_cmp_ne_u32_e64 s4, 0, v2
	v_mov_b32_e32 v2, s80
	v_cmp_ne_u32_e64 s6, 0, v4
	s_bcnt1_i32_b32 s5, s5
	v_cmp_ne_u32_e64 s7, 0, v5
	s_bcnt1_i32_b32 s4, s4
	v_mov_b32_e32 v4, s78
	s_bcnt1_i32_b32 s6, s6
	s_add_i32 s4, s5, s4
	s_bcnt1_i32_b32 s5, s7
	s_add_i32 s4, s4, s6
	v_mov_b32_e32 v3, s81
	s_add_i32 s4, s4, s5
	v_mov_b32_e32 v5, s79
	s_add_u32 s74, s74, s4
	s_addc_u32 s75, s75, 0
	s_delay_alu instid0(SALU_CYCLE_1) | instskip(SKIP_1) | instid1(SALU_CYCLE_1)
	v_dual_mov_b32 v8, s74 :: v_dual_mov_b32 v9, s75
	s_or_b32 s104, vcc_lo, s104
	s_and_not1_b32 exec_lo, exec_lo, s104
	s_cbranch_execnz .LBB110_74
; %bb.75:                               ;   in Loop: Header=BB110_24 Depth=1
	s_or_b32 exec_lo, exec_lo, s104
.LBB110_76:                             ;   in Loop: Header=BB110_24 Depth=1
	s_delay_alu instid0(SALU_CYCLE_1) | instskip(SKIP_2) | instid1(VALU_DEP_1)
	s_or_b32 exec_lo, exec_lo, s73
	v_add_nc_u32_e32 v10, s66, v0
	s_mov_b32 s9, exec_lo
	v_cmpx_gt_u32_e64 s72, v10
	s_cbranch_execz .LBB110_80
; %bb.77:                               ;   in Loop: Header=BB110_24 Depth=1
	v_dual_mov_b32 v17, v11 :: v_dual_lshlrev_b32 v28, 1, v18
	v_dual_mov_b32 v16, v10 :: v_dual_lshlrev_b32 v19, 1, v10
	s_mov_b32 s11, 0
	s_and_b32 s10, s72, 0x7fffffff
	s_and_b32 s13, s96, 0xfe
	s_mov_b32 s12, s11
.LBB110_78:                             ;   Parent Loop BB110_24 Depth=1
                                        ; =>  This Inner Loop Header: Depth=2
	ds_load_i16 v10, v19
	v_add_co_u32 v16, vcc_lo, v16, v18
	v_add_co_ci_u32_e32 v17, vcc_lo, 0, v17, vcc_lo
	v_add_nc_u32_e32 v19, v19, v28
	s_delay_alu instid0(VALU_DEP_2) | instskip(SKIP_2) | instid1(VALU_DEP_1)
	v_cmp_le_u64_e32 vcc_lo, s[10:11], v[16:17]
	s_waitcnt lgkmcnt(0)
	v_add_nc_u32_e32 v10, 0x8000, v10
	v_and_b32_e32 v29, s102, v10
	v_bfe_u32 v10, v10, s13, 2
	s_delay_alu instid0(VALU_DEP_2) | instskip(NEXT) | instid1(VALU_DEP_2)
	v_cmp_eq_u32_e64 s4, s101, v29
	v_cmp_eq_u32_e64 s5, 0, v10
	;; [unrolled: 1-line block ×5, first 2 shown]
	s_delay_alu instid0(VALU_DEP_4) | instskip(NEXT) | instid1(SALU_CYCLE_1)
	s_and_b32 s5, s4, s5
	v_cndmask_b32_e64 v10, 0, 1, s5
	s_and_b32 s5, s4, s6
	s_delay_alu instid0(SALU_CYCLE_1)
	v_cndmask_b32_e64 v29, 0, 1, s5
	s_and_b32 s5, s4, s7
	s_and_b32 s4, s4, s8
	v_cndmask_b32_e64 v30, 0, 1, s5
	v_cndmask_b32_e64 v31, 0, 1, s4
	v_cmp_ne_u32_e64 s4, 0, v10
	v_cmp_ne_u32_e64 s5, 0, v29
	s_delay_alu instid0(VALU_DEP_4) | instskip(NEXT) | instid1(VALU_DEP_4)
	v_cmp_ne_u32_e64 s6, 0, v30
	v_cmp_ne_u32_e64 s7, 0, v31
	s_delay_alu instid0(VALU_DEP_4) | instskip(NEXT) | instid1(VALU_DEP_3)
	s_bcnt1_i32_b32 s4, s4
	s_bcnt1_i32_b32 s5, s5
	v_add_co_u32 v2, s4, v2, s4
	s_delay_alu instid0(VALU_DEP_1)
	v_add_co_ci_u32_e64 v3, s4, 0, v3, s4
	v_add_co_u32 v4, s4, v4, s5
	s_bcnt1_i32_b32 s6, s6
	v_add_co_ci_u32_e64 v5, s4, 0, v5, s4
	v_add_co_u32 v6, s4, v6, s6
	s_bcnt1_i32_b32 s7, s7
	v_add_co_ci_u32_e64 v7, s4, 0, v7, s4
	v_add_co_u32 v8, s4, v8, s7
	s_delay_alu instid0(VALU_DEP_1) | instskip(SKIP_1) | instid1(SALU_CYCLE_1)
	v_add_co_ci_u32_e64 v9, s4, 0, v9, s4
	s_or_b32 s12, vcc_lo, s12
	s_and_not1_b32 exec_lo, exec_lo, s12
	s_cbranch_execnz .LBB110_78
; %bb.79:                               ;   in Loop: Header=BB110_24 Depth=1
	s_or_b32 exec_lo, exec_lo, s12
.LBB110_80:                             ;   in Loop: Header=BB110_24 Depth=1
	s_delay_alu instid0(SALU_CYCLE_1)
	s_or_b32 exec_lo, exec_lo, s9
.LBB110_81:                             ;   in Loop: Header=BB110_24 Depth=1
	s_lshl_b32 s4, s99, 7
	s_and_saveexec_b32 s5, s1
	s_cbranch_execz .LBB110_83
; %bb.82:                               ;   in Loop: Header=BB110_24 Depth=1
	v_or_b32_e32 v10, s4, v23
	s_delay_alu instid0(VALU_DEP_1)
	v_lshlrev_b32_e32 v10, 3, v10
	ds_store_b128 v10, v[2:5] offset:3072
	ds_store_b128 v10, v[6:9] offset:3088
.LBB110_83:                             ;   in Loop: Header=BB110_24 Depth=1
	s_or_b32 exec_lo, exec_lo, s5
	s_waitcnt vmcnt(0) lgkmcnt(0)
	s_barrier
	buffer_gl0_inv
	s_and_saveexec_b32 s5, s51
	s_cbranch_execz .LBB110_94
; %bb.84:                               ;   in Loop: Header=BB110_24 Depth=1
	v_mov_b32_e32 v2, 0
	v_mov_b32_e32 v3, 0
	s_and_not1_b32 vcc_lo, exec_lo, s89
	s_cbranch_vccnz .LBB110_93
; %bb.85:                               ;   in Loop: Header=BB110_24 Depth=1
	v_mov_b32_e32 v2, 0
	v_mov_b32_e32 v3, 0
	s_and_not1_b32 vcc_lo, exec_lo, s87
	s_cbranch_vccnz .LBB110_90
; %bb.86:                               ;   in Loop: Header=BB110_24 Depth=1
	v_lshl_add_u32 v4, s99, 10, v26
	s_mov_b32 s6, 0
	s_set_inst_prefetch_distance 0x1
	.p2align	6
.LBB110_87:                             ;   Parent Loop BB110_24 Depth=1
                                        ; =>  This Inner Loop Header: Depth=2
	ds_load_2addr_b64 v[5:8], v4 offset1:4
	ds_load_2addr_b64 v[16:19], v4 offset0:8 offset1:12
	ds_load_2addr_b64 v[28:31], v4 offset0:16 offset1:20
	s_add_i32 s6, s6, 8
	s_delay_alu instid0(SALU_CYCLE_1) | instskip(SKIP_3) | instid1(VALU_DEP_2)
	s_cmp_eq_u32 s88, s6
	s_waitcnt lgkmcnt(2)
	v_add_co_u32 v2, vcc_lo, v5, v2
	v_add_co_ci_u32_e32 v3, vcc_lo, v6, v3, vcc_lo
	v_add_co_u32 v2, vcc_lo, v7, v2
	s_delay_alu instid0(VALU_DEP_2)
	v_add_co_ci_u32_e32 v3, vcc_lo, v8, v3, vcc_lo
	ds_load_2addr_b64 v[5:8], v4 offset0:24 offset1:28
	s_waitcnt lgkmcnt(2)
	v_add_co_u32 v2, vcc_lo, v16, v2
	v_add_co_ci_u32_e32 v3, vcc_lo, v17, v3, vcc_lo
	v_add_nc_u32_e32 v4, 0x100, v4
	s_delay_alu instid0(VALU_DEP_3) | instskip(NEXT) | instid1(VALU_DEP_3)
	v_add_co_u32 v2, vcc_lo, v18, v2
	v_add_co_ci_u32_e32 v3, vcc_lo, v19, v3, vcc_lo
	s_waitcnt lgkmcnt(1)
	s_delay_alu instid0(VALU_DEP_2) | instskip(NEXT) | instid1(VALU_DEP_2)
	v_add_co_u32 v2, vcc_lo, v28, v2
	v_add_co_ci_u32_e32 v3, vcc_lo, v29, v3, vcc_lo
	s_delay_alu instid0(VALU_DEP_2) | instskip(NEXT) | instid1(VALU_DEP_2)
	v_add_co_u32 v2, vcc_lo, v30, v2
	v_add_co_ci_u32_e32 v3, vcc_lo, v31, v3, vcc_lo
	s_waitcnt lgkmcnt(0)
	s_delay_alu instid0(VALU_DEP_2) | instskip(NEXT) | instid1(VALU_DEP_2)
	v_add_co_u32 v2, vcc_lo, v5, v2
	v_add_co_ci_u32_e32 v3, vcc_lo, v6, v3, vcc_lo
	s_delay_alu instid0(VALU_DEP_2) | instskip(NEXT) | instid1(VALU_DEP_2)
	v_add_co_u32 v2, vcc_lo, v7, v2
	v_add_co_ci_u32_e32 v3, vcc_lo, v8, v3, vcc_lo
	s_cbranch_scc0 .LBB110_87
; %bb.88:                               ;   in Loop: Header=BB110_24 Depth=1
	s_set_inst_prefetch_distance 0x2
	s_mov_b32 s6, s88
	s_and_not1_b32 vcc_lo, exec_lo, s90
	s_cbranch_vccz .LBB110_91
	s_branch .LBB110_93
.LBB110_89:                             ;   in Loop: Header=BB110_24 Depth=1
                                        ; implicit-def: $vgpr2_vgpr3
	s_branch .LBB110_57
.LBB110_90:                             ;   in Loop: Header=BB110_24 Depth=1
	s_mov_b32 s6, 0
	s_and_not1_b32 vcc_lo, exec_lo, s90
	s_cbranch_vccnz .LBB110_93
.LBB110_91:                             ;   in Loop: Header=BB110_24 Depth=1
	s_lshl_b32 s7, s99, 10
	s_lshl_b32 s6, s6, 5
	s_delay_alu instid0(SALU_CYCLE_1)
	v_add3_u32 v4, s7, s6, v26
	s_mov_b32 s6, s86
.LBB110_92:                             ;   Parent Loop BB110_24 Depth=1
                                        ; =>  This Inner Loop Header: Depth=2
	ds_load_b64 v[5:6], v4
	v_add_nc_u32_e32 v4, 32, v4
	s_add_i32 s6, s6, -1
	s_delay_alu instid0(SALU_CYCLE_1)
	s_cmp_lg_u32 s6, 0
	s_waitcnt lgkmcnt(0)
	v_add_co_u32 v2, vcc_lo, v5, v2
	v_add_co_ci_u32_e32 v3, vcc_lo, v6, v3, vcc_lo
	s_cbranch_scc1 .LBB110_92
.LBB110_93:                             ;   in Loop: Header=BB110_24 Depth=1
	v_add_lshl_u32 v4, s4, v20, 3
	ds_store_b64 v4, v[2:3] offset:3072
.LBB110_94:                             ;   in Loop: Header=BB110_24 Depth=1
	s_or_b32 exec_lo, exec_lo, s5
	s_lshl_b32 s4, s4, 3
	s_waitcnt lgkmcnt(0)
	v_mov_b32_e32 v6, s4
	s_barrier
	buffer_gl0_inv
	s_and_b32 s17, s96, 0xfe
	s_mov_b32 s19, -1
	ds_load_b128 v[2:5], v6 offset:3072
	ds_load_b128 v[6:9], v6 offset:3088
	s_lshl_b32 s16, 3, s17
	s_delay_alu instid0(SALU_CYCLE_1)
	s_not_b32 s18, s16
	s_waitcnt lgkmcnt(1)
	v_readfirstlane_b32 s13, v3
	v_readfirstlane_b32 s12, v2
	;; [unrolled: 1-line block ×4, first 2 shown]
	s_waitcnt lgkmcnt(0)
	v_readfirstlane_b32 s8, v6
	v_readfirstlane_b32 s9, v7
	s_cmp_eq_u64 s[12:13], 1
	v_readfirstlane_b32 s6, v8
	s_cselect_b32 s4, -1, 0
	s_cmp_eq_u64 s[64:65], 1
	v_readfirstlane_b32 s7, v9
	s_cselect_b32 s5, -1, 0
	s_delay_alu instid0(SALU_CYCLE_1) | instskip(NEXT) | instid1(SALU_CYCLE_1)
	s_and_b32 s20, s4, s5
	s_and_b32 vcc_lo, exec_lo, s20
	s_cbranch_vccz .LBB110_109
; %bb.95:                               ;   in Loop: Header=BB110_24 Depth=1
	ds_load_b64 v[2:3], v11 offset:5120
	s_waitcnt lgkmcnt(0)
	s_barrier
	buffer_gl0_inv
	v_readfirstlane_b32 s14, v2
	v_readfirstlane_b32 s15, v3
	s_and_saveexec_b32 s4, s3
	s_cbranch_execz .LBB110_97
; %bb.96:                               ;   in Loop: Header=BB110_24 Depth=1
	ds_store_b16 v22, v11
.LBB110_97:                             ;   in Loop: Header=BB110_24 Depth=1
	s_or_b32 exec_lo, exec_lo, s4
	s_and_b32 s101, s101, s18
	s_or_b32 s102, s102, s16
	s_cmp_eq_u64 s[14:15], 0
	s_waitcnt lgkmcnt(0)
	s_barrier
	buffer_gl0_inv
	s_cbranch_scc1 .LBB110_110
; %bb.98:                               ;   in Loop: Header=BB110_24 Depth=1
	s_add_u32 s21, s83, s14
	s_addc_u32 s5, s84, s15
	s_mov_b32 s4, s67
	s_delay_alu instid0(SALU_CYCLE_1)
	s_cmp_lg_u64 s[4:5], 0
	s_cbranch_scc0 .LBB110_155
; %bb.99:                               ;   in Loop: Header=BB110_24 Depth=1
	v_cvt_f32_u32_e32 v2, s35
	s_sub_u32 s23, 0, s35
	s_subb_u32 s66, 0, 0
	s_delay_alu instid0(VALU_DEP_1) | instskip(NEXT) | instid1(VALU_DEP_1)
	v_fmac_f32_e64 v2, 0, 0x4f800000
	v_rcp_f32_e32 v2, v2
	s_waitcnt_depctr 0xfff
	v_mul_f32_e32 v2, 0x5f7ffffc, v2
	s_delay_alu instid0(VALU_DEP_1) | instskip(NEXT) | instid1(VALU_DEP_1)
	v_mul_f32_e32 v3, 0x2f800000, v2
	v_trunc_f32_e32 v3, v3
	s_delay_alu instid0(VALU_DEP_1) | instskip(SKIP_1) | instid1(VALU_DEP_2)
	v_fmac_f32_e32 v2, 0xcf800000, v3
	v_cvt_u32_f32_e32 v3, v3
	v_cvt_u32_f32_e32 v2, v2
	s_delay_alu instid0(VALU_DEP_2) | instskip(NEXT) | instid1(VALU_DEP_2)
	v_readfirstlane_b32 s4, v3
	v_readfirstlane_b32 s22, v2
	s_delay_alu instid0(VALU_DEP_2) | instskip(NEXT) | instid1(VALU_DEP_1)
	s_mul_i32 s68, s23, s4
	s_mul_hi_u32 s73, s23, s22
	s_mul_i32 s72, s66, s22
	s_add_i32 s68, s73, s68
	s_mul_i32 s74, s23, s22
	s_add_i32 s68, s68, s72
	s_mul_hi_u32 s73, s22, s74
	s_mul_hi_u32 s75, s4, s74
	s_mul_i32 s72, s4, s74
	s_mul_hi_u32 s74, s22, s68
	s_mul_i32 s22, s22, s68
	s_mul_hi_u32 s76, s4, s68
	s_add_u32 s22, s73, s22
	s_addc_u32 s73, 0, s74
	s_add_u32 s22, s22, s72
	s_mul_i32 s68, s4, s68
	s_addc_u32 s22, s73, s75
	s_addc_u32 s72, s76, 0
	s_add_u32 s22, s22, s68
	s_addc_u32 s68, 0, s72
	v_add_co_u32 v2, s22, v2, s22
	s_delay_alu instid0(VALU_DEP_1) | instskip(SKIP_1) | instid1(VALU_DEP_1)
	s_cmp_lg_u32 s22, 0
	s_addc_u32 s4, s4, s68
	v_readfirstlane_b32 s22, v2
	s_mul_i32 s68, s23, s4
	s_delay_alu instid0(VALU_DEP_1)
	s_mul_hi_u32 s72, s23, s22
	s_mul_i32 s66, s66, s22
	s_add_i32 s68, s72, s68
	s_mul_i32 s23, s23, s22
	s_add_i32 s68, s68, s66
	s_mul_hi_u32 s72, s4, s23
	s_mul_i32 s73, s4, s23
	s_mul_hi_u32 s23, s22, s23
	s_mul_hi_u32 s74, s22, s68
	s_mul_i32 s22, s22, s68
	s_mul_hi_u32 s66, s4, s68
	s_add_u32 s22, s23, s22
	s_addc_u32 s23, 0, s74
	s_add_u32 s22, s22, s73
	s_mul_i32 s68, s4, s68
	s_addc_u32 s22, s23, s72
	s_addc_u32 s23, s66, 0
	s_add_u32 s22, s22, s68
	s_addc_u32 s23, 0, s23
	v_add_co_u32 v2, s22, v2, s22
	s_delay_alu instid0(VALU_DEP_1) | instskip(SKIP_1) | instid1(VALU_DEP_1)
	s_cmp_lg_u32 s22, 0
	s_addc_u32 s4, s4, s23
	v_readfirstlane_b32 s22, v2
	s_mul_i32 s66, s21, s4
	s_mul_hi_u32 s23, s21, s4
	s_mul_hi_u32 s68, s5, s4
	s_mul_i32 s4, s5, s4
	s_mul_hi_u32 s72, s21, s22
	s_mul_hi_u32 s73, s5, s22
	s_mul_i32 s22, s5, s22
	s_add_u32 s66, s72, s66
	s_addc_u32 s23, 0, s23
	s_add_u32 s22, s66, s22
	s_addc_u32 s22, s23, s73
	s_addc_u32 s23, s68, 0
	s_add_u32 s4, s22, s4
	s_addc_u32 s22, 0, s23
	s_mul_hi_u32 s23, s35, s4
	s_mul_i32 s4, s35, s4
	s_mul_i32 s22, s35, s22
	v_sub_co_u32 v2, s4, s21, s4
	s_add_i32 s23, s23, s22
	s_cmp_lg_u32 s4, 0
	s_delay_alu instid0(VALU_DEP_1) | instskip(SKIP_2) | instid1(VALU_DEP_1)
	v_sub_co_u32 v3, s4, v2, s35
	s_subb_u32 s22, s5, s23
	s_cmp_lg_u32 s4, 0
	v_cmp_le_u32_e32 vcc_lo, s35, v3
	v_sub_co_u32 v4, s4, v3, s35
	s_subb_u32 s23, s22, 0
	s_cmp_lg_u32 s4, 0
	v_cndmask_b32_e64 v5, 0, -1, vcc_lo
	s_subb_u32 s4, s23, 0
	s_cmp_eq_u32 s23, 0
	v_mov_b32_e32 v7, s4
	s_cselect_b32 vcc_lo, -1, 0
	s_cmp_eq_u32 s22, 0
	v_cndmask_b32_e32 v5, -1, v5, vcc_lo
	v_cmp_le_u32_e32 vcc_lo, s35, v2
	s_cselect_b32 s4, -1, 0
	v_cndmask_b32_e64 v6, 0, -1, vcc_lo
	s_delay_alu instid0(VALU_DEP_3) | instskip(NEXT) | instid1(VALU_DEP_2)
	v_cmp_ne_u32_e32 vcc_lo, 0, v5
	v_cndmask_b32_e64 v5, -1, v6, s4
	v_cndmask_b32_e32 v6, s23, v7, vcc_lo
	v_cndmask_b32_e32 v4, v3, v4, vcc_lo
	s_delay_alu instid0(VALU_DEP_3) | instskip(NEXT) | instid1(VALU_DEP_3)
	v_cmp_ne_u32_e32 vcc_lo, 0, v5
	v_cndmask_b32_e32 v3, s22, v6, vcc_lo
	s_delay_alu instid0(VALU_DEP_3)
	v_cndmask_b32_e32 v2, v2, v4, vcc_lo
	s_cbranch_execnz .LBB110_101
.LBB110_100:                            ;   in Loop: Header=BB110_24 Depth=1
	v_cvt_f32_u32_e32 v2, s35
	s_sub_i32 s4, 0, s35
	s_delay_alu instid0(VALU_DEP_1) | instskip(SKIP_2) | instid1(VALU_DEP_1)
	v_rcp_iflag_f32_e32 v2, v2
	s_waitcnt_depctr 0xfff
	v_mul_f32_e32 v2, 0x4f7ffffe, v2
	v_cvt_u32_f32_e32 v2, v2
	s_delay_alu instid0(VALU_DEP_1) | instskip(NEXT) | instid1(VALU_DEP_1)
	v_mul_lo_u32 v3, s4, v2
	v_mul_hi_u32 v3, v2, v3
	s_delay_alu instid0(VALU_DEP_1) | instskip(NEXT) | instid1(VALU_DEP_1)
	v_add_nc_u32_e32 v2, v2, v3
	v_mul_hi_u32 v2, s21, v2
	s_delay_alu instid0(VALU_DEP_1) | instskip(NEXT) | instid1(VALU_DEP_1)
	v_mul_lo_u32 v2, v2, s35
	v_sub_nc_u32_e32 v2, s21, v2
	s_delay_alu instid0(VALU_DEP_1) | instskip(SKIP_1) | instid1(VALU_DEP_2)
	v_subrev_nc_u32_e32 v3, s35, v2
	v_cmp_le_u32_e32 vcc_lo, s35, v2
	v_cndmask_b32_e32 v2, v2, v3, vcc_lo
	s_delay_alu instid0(VALU_DEP_1) | instskip(SKIP_1) | instid1(VALU_DEP_2)
	v_subrev_nc_u32_e32 v3, s35, v2
	v_cmp_le_u32_e32 vcc_lo, s35, v2
	v_cndmask_b32_e32 v10, v2, v3, vcc_lo
	s_delay_alu instid0(VALU_DEP_1)
	v_dual_mov_b32 v2, v10 :: v_dual_mov_b32 v3, v11
.LBB110_101:                            ;   in Loop: Header=BB110_24 Depth=1
	s_delay_alu instid0(VALU_DEP_1) | instskip(NEXT) | instid1(VALU_DEP_2)
	v_sub_co_u32 v2, vcc_lo, s21, v2
	v_sub_co_ci_u32_e32 v3, vcc_lo, s5, v3, vcc_lo
	s_mov_b32 s4, 0
	s_mov_b32 s5, exec_lo
                                        ; implicit-def: $vgpr27
	s_delay_alu instid0(VALU_DEP_1)
	v_cmpx_gt_u64_e64 v[2:3], v[0:1]
	s_cbranch_execz .LBB110_112
; %bb.102:                              ;   in Loop: Header=BB110_24 Depth=1
	v_mov_b32_e32 v6, v21
	v_dual_mov_b32 v5, v1 :: v_dual_mov_b32 v4, v0
	s_mov_b32 s21, 0
                                        ; implicit-def: $sgpr22
	s_set_inst_prefetch_distance 0x1
	s_branch .LBB110_104
	.p2align	6
.LBB110_103:                            ;   in Loop: Header=BB110_104 Depth=2
	s_or_b32 exec_lo, exec_lo, s4
	s_waitcnt lgkmcnt(0)
	s_barrier
	buffer_gl0_inv
	ds_load_b32 v7, v11 offset:3072
	v_add_co_u32 v4, vcc_lo, v4, s35
	v_add_co_ci_u32_e32 v5, vcc_lo, 0, v5, vcc_lo
	v_add_nc_u32_e32 v6, s91, v6
	s_waitcnt lgkmcnt(0)
	s_barrier
	s_delay_alu instid0(VALU_DEP_2) | instskip(SKIP_2) | instid1(VALU_DEP_1)
	v_cmp_ge_u64_e32 vcc_lo, v[4:5], v[2:3]
	buffer_gl0_inv
	v_cmp_ne_u16_e64 s4, 0, v7
	s_or_b32 s23, vcc_lo, s4
	s_delay_alu instid0(SALU_CYCLE_1) | instskip(NEXT) | instid1(SALU_CYCLE_1)
	s_and_b32 s23, exec_lo, s23
	s_or_b32 s21, s23, s21
	s_and_not1_b32 s22, s22, exec_lo
	s_and_b32 s4, s4, exec_lo
	s_delay_alu instid0(SALU_CYCLE_1)
	s_or_b32 s22, s22, s4
	s_and_not1_b32 exec_lo, exec_lo, s21
	s_cbranch_execz .LBB110_111
.LBB110_104:                            ;   Parent Loop BB110_24 Depth=1
                                        ; =>  This Inner Loop Header: Depth=2
	s_delay_alu instid0(VALU_DEP_1)
	v_cmp_gt_u64_e32 vcc_lo, s[14:15], v[4:5]
	v_mov_b32_e32 v7, 0
	s_and_saveexec_b32 s4, vcc_lo
	s_cbranch_execz .LBB110_106
; %bb.105:                              ;   in Loop: Header=BB110_104 Depth=2
	ds_load_u16 v7, v6
.LBB110_106:                            ;   in Loop: Header=BB110_104 Depth=2
	s_or_b32 exec_lo, exec_lo, s4
	s_and_saveexec_b32 s4, vcc_lo
	s_cbranch_execz .LBB110_103
; %bb.107:                              ;   in Loop: Header=BB110_104 Depth=2
	s_waitcnt lgkmcnt(0)
	v_bfe_i32 v8, v7, 0, 16
	s_delay_alu instid0(VALU_DEP_1) | instskip(NEXT) | instid1(VALU_DEP_1)
	v_add_nc_u32_e32 v8, 0x8000, v8
	v_and_b32_e32 v8, s102, v8
	s_delay_alu instid0(VALU_DEP_1)
	v_cmp_eq_u32_e32 vcc_lo, s101, v8
	s_and_b32 exec_lo, exec_lo, vcc_lo
	s_cbranch_execz .LBB110_103
; %bb.108:                              ;   in Loop: Header=BB110_104 Depth=2
	v_perm_b32 v7, v7, 1, 0x5040100
	ds_store_b32 v11, v7 offset:3072
	s_branch .LBB110_103
.LBB110_109:                            ;   in Loop: Header=BB110_24 Depth=1
	s_mov_b32 s4, -1
                                        ; implicit-def: $sgpr5
                                        ; implicit-def: $sgpr15
                                        ; implicit-def: $sgpr14
	s_branch .LBB110_126
.LBB110_110:                            ;   in Loop: Header=BB110_24 Depth=1
	s_mov_b32 s5, -1
	s_mov_b32 s4, 0
                                        ; implicit-def: $sgpr14
                                        ; implicit-def: $vgpr27
	s_mov_b32 s15, s5
	s_cbranch_execnz .LBB110_113
	s_branch .LBB110_126
.LBB110_111:                            ;   in Loop: Header=BB110_24 Depth=1
	s_set_inst_prefetch_distance 0x2
	s_or_b32 exec_lo, exec_lo, s21
	v_lshrrev_b32_e32 v27, 16, v7
	s_and_b32 s4, s22, exec_lo
.LBB110_112:                            ;   in Loop: Header=BB110_24 Depth=1
	s_or_b32 exec_lo, exec_lo, s5
	s_mov_b32 s14, -1
	s_mov_b32 s5, 0
	s_delay_alu instid0(SALU_CYCLE_1)
	s_mov_b32 s15, s5
	s_branch .LBB110_126
.LBB110_113:                            ;   in Loop: Header=BB110_24 Depth=1
	s_mov_b32 s68, s67
	s_delay_alu instid0(SALU_CYCLE_1)
	s_cmp_lg_u64 s[68:69], 0
	s_cbranch_scc0 .LBB110_156
; %bb.114:                              ;   in Loop: Header=BB110_24 Depth=1
	v_cvt_f32_u32_e32 v2, s35
	s_sub_u32 s14, 0, s35
	s_subb_u32 s15, 0, 0
	s_delay_alu instid0(VALU_DEP_1) | instskip(NEXT) | instid1(VALU_DEP_1)
	v_fmac_f32_e64 v2, 0, 0x4f800000
	v_rcp_f32_e32 v2, v2
	s_waitcnt_depctr 0xfff
	v_mul_f32_e32 v2, 0x5f7ffffc, v2
	s_delay_alu instid0(VALU_DEP_1) | instskip(NEXT) | instid1(VALU_DEP_1)
	v_mul_f32_e32 v3, 0x2f800000, v2
	v_trunc_f32_e32 v3, v3
	s_delay_alu instid0(VALU_DEP_1) | instskip(SKIP_1) | instid1(VALU_DEP_2)
	v_fmac_f32_e32 v2, 0xcf800000, v3
	v_cvt_u32_f32_e32 v3, v3
	v_cvt_u32_f32_e32 v2, v2
	s_delay_alu instid0(VALU_DEP_2) | instskip(NEXT) | instid1(VALU_DEP_2)
	v_readfirstlane_b32 s4, v3
	v_readfirstlane_b32 s5, v2
	s_delay_alu instid0(VALU_DEP_2) | instskip(NEXT) | instid1(VALU_DEP_1)
	s_mul_i32 s21, s14, s4
	s_mul_hi_u32 s23, s14, s5
	s_mul_i32 s22, s15, s5
	s_add_i32 s21, s23, s21
	s_mul_i32 s66, s14, s5
	s_add_i32 s21, s21, s22
	s_mul_hi_u32 s23, s5, s66
	s_mul_hi_u32 s68, s4, s66
	s_mul_i32 s22, s4, s66
	s_mul_hi_u32 s66, s5, s21
	s_mul_i32 s5, s5, s21
	s_mul_hi_u32 s72, s4, s21
	s_add_u32 s5, s23, s5
	s_addc_u32 s23, 0, s66
	s_add_u32 s5, s5, s22
	s_mul_i32 s21, s4, s21
	s_addc_u32 s5, s23, s68
	s_addc_u32 s22, s72, 0
	s_add_u32 s5, s5, s21
	s_addc_u32 s21, 0, s22
	v_add_co_u32 v2, s5, v2, s5
	s_delay_alu instid0(VALU_DEP_1) | instskip(SKIP_1) | instid1(VALU_DEP_1)
	s_cmp_lg_u32 s5, 0
	s_addc_u32 s4, s4, s21
	v_readfirstlane_b32 s5, v2
	s_mul_i32 s21, s14, s4
	s_delay_alu instid0(VALU_DEP_1)
	s_mul_hi_u32 s22, s14, s5
	s_mul_i32 s15, s15, s5
	s_add_i32 s21, s22, s21
	s_mul_i32 s14, s14, s5
	s_add_i32 s21, s21, s15
	s_mul_hi_u32 s22, s4, s14
	s_mul_i32 s23, s4, s14
	s_mul_hi_u32 s14, s5, s14
	s_mul_hi_u32 s66, s5, s21
	s_mul_i32 s5, s5, s21
	s_mul_hi_u32 s15, s4, s21
	s_add_u32 s5, s14, s5
	s_addc_u32 s14, 0, s66
	s_add_u32 s5, s5, s23
	s_mul_i32 s21, s4, s21
	s_addc_u32 s5, s14, s22
	s_addc_u32 s14, s15, 0
	s_add_u32 s5, s5, s21
	s_addc_u32 s14, 0, s14
	v_add_co_u32 v2, s5, v2, s5
	s_delay_alu instid0(VALU_DEP_1) | instskip(SKIP_1) | instid1(VALU_DEP_1)
	s_cmp_lg_u32 s5, 0
	s_addc_u32 s4, s4, s14
	v_readfirstlane_b32 s5, v2
	s_mul_i32 s15, s85, s4
	s_mul_hi_u32 s14, s85, s4
	s_mul_hi_u32 s21, s69, s4
	s_mul_i32 s4, s69, s4
	s_mul_hi_u32 s22, s85, s5
	s_mul_hi_u32 s23, s69, s5
	s_mul_i32 s5, s69, s5
	s_add_u32 s15, s22, s15
	s_addc_u32 s14, 0, s14
	s_add_u32 s5, s15, s5
	s_addc_u32 s5, s14, s23
	s_addc_u32 s14, s21, 0
	s_add_u32 s4, s5, s4
	s_addc_u32 s5, 0, s14
	s_mul_hi_u32 s14, s35, s4
	s_mul_i32 s4, s35, s4
	s_mul_i32 s5, s35, s5
	v_sub_co_u32 v2, s4, s85, s4
	s_add_i32 s14, s14, s5
	s_cmp_lg_u32 s4, 0
	s_delay_alu instid0(VALU_DEP_1) | instskip(SKIP_2) | instid1(VALU_DEP_1)
	v_sub_co_u32 v3, s4, v2, s35
	s_subb_u32 s5, s69, s14
	s_cmp_lg_u32 s4, 0
	v_cmp_le_u32_e32 vcc_lo, s35, v3
	v_sub_co_u32 v4, s4, v3, s35
	s_subb_u32 s14, s5, 0
	s_cmp_lg_u32 s4, 0
	v_cndmask_b32_e64 v5, 0, -1, vcc_lo
	s_subb_u32 s4, s14, 0
	s_cmp_eq_u32 s14, 0
	v_mov_b32_e32 v7, s4
	s_cselect_b32 vcc_lo, -1, 0
	s_cmp_eq_u32 s5, 0
	v_cndmask_b32_e32 v5, -1, v5, vcc_lo
	v_cmp_le_u32_e32 vcc_lo, s35, v2
	s_cselect_b32 s4, -1, 0
	v_cndmask_b32_e64 v6, 0, -1, vcc_lo
	s_delay_alu instid0(VALU_DEP_3) | instskip(NEXT) | instid1(VALU_DEP_2)
	v_cmp_ne_u32_e32 vcc_lo, 0, v5
	v_cndmask_b32_e64 v5, -1, v6, s4
	v_cndmask_b32_e32 v6, s14, v7, vcc_lo
	v_cndmask_b32_e32 v4, v3, v4, vcc_lo
	s_delay_alu instid0(VALU_DEP_3) | instskip(NEXT) | instid1(VALU_DEP_3)
	v_cmp_ne_u32_e32 vcc_lo, 0, v5
	v_cndmask_b32_e32 v3, s5, v6, vcc_lo
	s_delay_alu instid0(VALU_DEP_3)
	v_cndmask_b32_e32 v2, v2, v4, vcc_lo
	s_cbranch_execnz .LBB110_116
.LBB110_115:                            ;   in Loop: Header=BB110_24 Depth=1
	v_cvt_f32_u32_e32 v2, s35
	s_sub_i32 s4, 0, s35
	s_delay_alu instid0(VALU_DEP_1) | instskip(SKIP_2) | instid1(VALU_DEP_1)
	v_rcp_iflag_f32_e32 v2, v2
	s_waitcnt_depctr 0xfff
	v_mul_f32_e32 v2, 0x4f7ffffe, v2
	v_cvt_u32_f32_e32 v2, v2
	s_delay_alu instid0(VALU_DEP_1) | instskip(NEXT) | instid1(VALU_DEP_1)
	v_mul_lo_u32 v3, s4, v2
	v_mul_hi_u32 v3, v2, v3
	s_delay_alu instid0(VALU_DEP_1) | instskip(NEXT) | instid1(VALU_DEP_1)
	v_add_nc_u32_e32 v2, v2, v3
	v_mul_hi_u32 v2, s85, v2
	s_delay_alu instid0(VALU_DEP_1) | instskip(NEXT) | instid1(VALU_DEP_1)
	v_mul_lo_u32 v2, v2, s35
	v_sub_nc_u32_e32 v2, s85, v2
	s_delay_alu instid0(VALU_DEP_1) | instskip(SKIP_1) | instid1(VALU_DEP_2)
	v_subrev_nc_u32_e32 v3, s35, v2
	v_cmp_le_u32_e32 vcc_lo, s35, v2
	v_cndmask_b32_e32 v2, v2, v3, vcc_lo
	s_delay_alu instid0(VALU_DEP_1) | instskip(SKIP_1) | instid1(VALU_DEP_2)
	v_subrev_nc_u32_e32 v3, s35, v2
	v_cmp_le_u32_e32 vcc_lo, s35, v2
	v_cndmask_b32_e32 v10, v2, v3, vcc_lo
	s_delay_alu instid0(VALU_DEP_1)
	v_dual_mov_b32 v2, v10 :: v_dual_mov_b32 v3, v11
.LBB110_116:                            ;   in Loop: Header=BB110_24 Depth=1
	s_delay_alu instid0(VALU_DEP_1) | instskip(NEXT) | instid1(VALU_DEP_2)
	v_sub_co_u32 v2, vcc_lo, s85, v2
	v_sub_co_ci_u32_e32 v3, vcc_lo, s69, v3, vcc_lo
	s_mov_b32 s4, 0
	s_mov_b32 s5, exec_lo
                                        ; implicit-def: $vgpr27
	s_delay_alu instid0(VALU_DEP_1)
	v_cmpx_gt_u64_e64 v[2:3], v[0:1]
	s_cbranch_execz .LBB110_125
; %bb.117:                              ;   in Loop: Header=BB110_24 Depth=1
	v_dual_mov_b32 v5, v1 :: v_dual_mov_b32 v4, v0
	s_mov_b32 s14, 0
                                        ; implicit-def: $sgpr15
	s_branch .LBB110_119
.LBB110_118:                            ;   in Loop: Header=BB110_119 Depth=2
	s_or_b32 exec_lo, exec_lo, s4
	s_waitcnt vmcnt(0) lgkmcnt(0)
	s_barrier
	buffer_gl0_inv
	ds_load_b32 v6, v11 offset:3072
	v_add_co_u32 v4, vcc_lo, v4, s35
	v_add_co_ci_u32_e32 v5, vcc_lo, 0, v5, vcc_lo
	s_waitcnt lgkmcnt(0)
	s_barrier
	buffer_gl0_inv
	v_cmp_ge_u64_e32 vcc_lo, v[4:5], v[2:3]
	v_cmp_ne_u16_e64 s4, 0, v6
	s_delay_alu instid0(VALU_DEP_1) | instskip(NEXT) | instid1(SALU_CYCLE_1)
	s_or_b32 s21, vcc_lo, s4
	s_and_b32 s21, exec_lo, s21
	s_delay_alu instid0(SALU_CYCLE_1) | instskip(SKIP_2) | instid1(SALU_CYCLE_1)
	s_or_b32 s14, s21, s14
	s_and_not1_b32 s15, s15, exec_lo
	s_and_b32 s4, s4, exec_lo
	s_or_b32 s15, s15, s4
	s_and_not1_b32 exec_lo, exec_lo, s14
	s_cbranch_execz .LBB110_124
.LBB110_119:                            ;   Parent Loop BB110_24 Depth=1
                                        ; =>  This Inner Loop Header: Depth=2
	s_delay_alu instid0(VALU_DEP_1)
	v_cmp_gt_u64_e32 vcc_lo, s[24:25], v[4:5]
	v_mov_b32_e32 v6, 0
	s_and_saveexec_b32 s21, vcc_lo
	s_cbranch_execz .LBB110_121
; %bb.120:                              ;   in Loop: Header=BB110_119 Depth=2
	v_mul_lo_u32 v8, v5, s54
	v_mul_lo_u32 v9, v4, s55
	v_mad_u64_u32 v[6:7], null, v4, s54, 0
	s_delay_alu instid0(VALU_DEP_1) | instskip(NEXT) | instid1(VALU_DEP_1)
	v_add3_u32 v7, v7, v9, v8
	v_lshlrev_b64 v[6:7], 1, v[6:7]
	s_delay_alu instid0(VALU_DEP_1) | instskip(NEXT) | instid1(VALU_DEP_1)
	v_add_co_u32 v6, s4, s27, v6
	v_add_co_ci_u32_e64 v7, s4, s33, v7, s4
	global_load_u16 v6, v[6:7], off
.LBB110_121:                            ;   in Loop: Header=BB110_119 Depth=2
	s_or_b32 exec_lo, exec_lo, s21
	s_and_saveexec_b32 s4, vcc_lo
	s_cbranch_execz .LBB110_118
; %bb.122:                              ;   in Loop: Header=BB110_119 Depth=2
	s_waitcnt vmcnt(0)
	v_bfe_i32 v7, v6, 0, 16
	s_delay_alu instid0(VALU_DEP_1) | instskip(NEXT) | instid1(VALU_DEP_1)
	v_add_nc_u32_e32 v7, 0x8000, v7
	v_and_b32_e32 v7, s102, v7
	s_delay_alu instid0(VALU_DEP_1)
	v_cmp_eq_u32_e32 vcc_lo, s101, v7
	s_and_b32 exec_lo, exec_lo, vcc_lo
	s_cbranch_execz .LBB110_118
; %bb.123:                              ;   in Loop: Header=BB110_119 Depth=2
	v_perm_b32 v6, v6, 1, 0x5040100
	ds_store_b32 v11, v6 offset:3072
	s_branch .LBB110_118
.LBB110_124:                            ;   in Loop: Header=BB110_24 Depth=1
	s_or_b32 exec_lo, exec_lo, s14
	v_lshrrev_b32_e32 v27, 16, v6
	s_and_b32 s4, s15, exec_lo
.LBB110_125:                            ;   in Loop: Header=BB110_24 Depth=1
	s_or_b32 exec_lo, exec_lo, s5
	s_mov_b32 s15, -1
	s_mov_b32 s5, 0
	s_mov_b32 s14, 0
.LBB110_126:                            ;   in Loop: Header=BB110_24 Depth=1
	s_and_not1_b32 s21, s97, exec_lo
	s_and_b32 s5, s5, exec_lo
	s_and_b32 s15, s15, exec_lo
	s_or_b32 s97, s21, s5
	s_and_not1_b32 s5, s100, exec_lo
	s_and_not1_b32 s21, s98, exec_lo
	s_and_b32 s14, s14, exec_lo
	s_or_b32 s100, s5, s15
	s_or_b32 s98, s21, s14
	s_and_saveexec_b32 s14, s4
	s_cbranch_execz .LBB110_23
; %bb.127:                              ;   in Loop: Header=BB110_24 Depth=1
	s_xor_b32 s4, s20, -1
	s_mov_b32 s66, 1
	s_and_not1_b32 vcc_lo, exec_lo, s4
	s_cbranch_vccnz .LBB110_138
; %bb.128:                              ;   in Loop: Header=BB110_24 Depth=1
	v_cmp_gt_u64_e64 s4, s[64:65], s[12:13]
                                        ; implicit-def: $sgpr66
                                        ; implicit-def: $sgpr5
                                        ; implicit-def: $sgpr15
	s_delay_alu instid0(VALU_DEP_1)
	s_and_b32 vcc_lo, exec_lo, s4
	s_mov_b32 s4, -1
	s_cbranch_vccnz .LBB110_134
; %bb.129:                              ;   in Loop: Header=BB110_24 Depth=1
	ds_load_b64 v[2:3], v11 offset:5120
	s_waitcnt lgkmcnt(0)
	v_cmp_ne_u64_e32 vcc_lo, 0, v[2:3]
	s_cbranch_vccnz .LBB110_133
; %bb.130:                              ;   in Loop: Header=BB110_24 Depth=1
	s_and_saveexec_b32 s4, s2
	s_cbranch_execz .LBB110_132
; %bb.131:                              ;   in Loop: Header=BB110_24 Depth=1
	v_dual_mov_b32 v2, s12 :: v_dual_mov_b32 v3, s13
	ds_store_b64 v11, v[2:3] offset:5128
.LBB110_132:                            ;   in Loop: Header=BB110_24 Depth=1
	s_or_b32 exec_lo, exec_lo, s4
	s_waitcnt lgkmcnt(0)
	s_barrier
	buffer_gl0_inv
.LBB110_133:                            ;   in Loop: Header=BB110_24 Depth=1
	s_and_b32 s5, s101, s18
	s_or_b32 s15, s102, s16
	s_mov_b32 s4, 0
	s_mov_b32 s66, 8
.LBB110_134:                            ;   in Loop: Header=BB110_24 Depth=1
	s_and_not1_b32 vcc_lo, exec_lo, s4
	s_cbranch_vccnz .LBB110_136
; %bb.135:                              ;   in Loop: Header=BB110_24 Depth=1
	s_sub_u32 s64, s64, s12
	s_subb_u32 s65, s65, s13
	s_mov_b32 s4, -1
	s_mov_b32 s66, 0
	s_mov_b32 s5, s101
	;; [unrolled: 1-line block ×3, first 2 shown]
.LBB110_136:                            ;   in Loop: Header=BB110_24 Depth=1
	s_delay_alu instid0(SALU_CYCLE_1)
	s_mov_b32 s102, s15
	s_mov_b32 s101, s5
	s_and_b32 vcc_lo, exec_lo, s4
	s_mov_b32 s15, -1
	s_cbranch_vccnz .LBB110_139
.LBB110_137:                            ;   in Loop: Header=BB110_24 Depth=1
	s_mov_b32 s5, -1
                                        ; implicit-def: $sgpr12
                                        ; implicit-def: $sgpr19
                                        ; implicit-def: $sgpr13
	s_delay_alu instid0(SALU_CYCLE_1) | instskip(NEXT) | instid1(SALU_CYCLE_1)
	s_and_saveexec_b32 s4, s5
	s_xor_b32 s4, exec_lo, s4
	s_cbranch_execz .LBB110_22
	s_branch .LBB110_285
.LBB110_138:                            ;   in Loop: Header=BB110_24 Depth=1
	s_mov_b64 s[64:65], 1
	s_mov_b32 s15, -1
	s_branch .LBB110_137
.LBB110_139:                            ;   in Loop: Header=BB110_24 Depth=1
	s_cmp_eq_u64 s[10:11], 1
	s_cselect_b32 s4, -1, 0
	s_cmp_eq_u64 s[64:65], 1
	s_cselect_b32 s5, -1, 0
	s_delay_alu instid0(SALU_CYCLE_1)
	s_and_b32 s21, s4, s5
	s_mov_b32 s4, -1
	s_and_b32 vcc_lo, exec_lo, s21
	s_cbranch_vccz .LBB110_154
; %bb.140:                              ;   in Loop: Header=BB110_24 Depth=1
	ds_load_b64 v[2:3], v11 offset:5120
	s_waitcnt lgkmcnt(0)
	s_barrier
	buffer_gl0_inv
	v_readfirstlane_b32 s12, v2
	v_readfirstlane_b32 s13, v3
	s_and_saveexec_b32 s4, s3
	s_cbranch_execz .LBB110_142
; %bb.141:                              ;   in Loop: Header=BB110_24 Depth=1
	ds_store_b16 v22, v11
.LBB110_142:                            ;   in Loop: Header=BB110_24 Depth=1
	s_or_b32 exec_lo, exec_lo, s4
	s_lshl_b32 s4, 1, s17
	s_and_b32 s5, s101, s18
	s_or_b32 s102, s102, s16
	s_or_b32 s101, s5, s4
	s_cmp_eq_u64 s[12:13], 0
	s_waitcnt lgkmcnt(0)
	s_barrier
	buffer_gl0_inv
	s_cbranch_scc1 .LBB110_157
; %bb.143:                              ;   in Loop: Header=BB110_24 Depth=1
	s_add_u32 s19, s83, s12
	s_addc_u32 s5, s84, s13
	s_mov_b32 s4, s67
	s_delay_alu instid0(SALU_CYCLE_1)
	s_cmp_lg_u64 s[4:5], 0
	s_cbranch_scc0 .LBB110_202
; %bb.144:                              ;   in Loop: Header=BB110_24 Depth=1
	v_cvt_f32_u32_e32 v2, s35
	s_sub_u32 s22, 0, s35
	s_subb_u32 s23, 0, 0
	s_delay_alu instid0(VALU_DEP_1) | instskip(NEXT) | instid1(VALU_DEP_1)
	v_fmac_f32_e64 v2, 0, 0x4f800000
	v_rcp_f32_e32 v2, v2
	s_waitcnt_depctr 0xfff
	v_mul_f32_e32 v2, 0x5f7ffffc, v2
	s_delay_alu instid0(VALU_DEP_1) | instskip(NEXT) | instid1(VALU_DEP_1)
	v_mul_f32_e32 v3, 0x2f800000, v2
	v_trunc_f32_e32 v3, v3
	s_delay_alu instid0(VALU_DEP_1) | instskip(SKIP_1) | instid1(VALU_DEP_2)
	v_fmac_f32_e32 v2, 0xcf800000, v3
	v_cvt_u32_f32_e32 v3, v3
	v_cvt_u32_f32_e32 v2, v2
	s_delay_alu instid0(VALU_DEP_2) | instskip(NEXT) | instid1(VALU_DEP_2)
	v_readfirstlane_b32 s4, v3
	v_readfirstlane_b32 s20, v2
	s_delay_alu instid0(VALU_DEP_2) | instskip(NEXT) | instid1(VALU_DEP_1)
	s_mul_i32 s66, s22, s4
	s_mul_hi_u32 s72, s22, s20
	s_mul_i32 s68, s23, s20
	s_add_i32 s66, s72, s66
	s_mul_i32 s73, s22, s20
	s_add_i32 s66, s66, s68
	s_mul_hi_u32 s72, s20, s73
	s_mul_hi_u32 s74, s4, s73
	s_mul_i32 s68, s4, s73
	s_mul_hi_u32 s73, s20, s66
	s_mul_i32 s20, s20, s66
	s_mul_hi_u32 s75, s4, s66
	s_add_u32 s20, s72, s20
	s_addc_u32 s72, 0, s73
	s_add_u32 s20, s20, s68
	s_mul_i32 s66, s4, s66
	s_addc_u32 s20, s72, s74
	s_addc_u32 s68, s75, 0
	s_add_u32 s20, s20, s66
	s_addc_u32 s66, 0, s68
	v_add_co_u32 v2, s20, v2, s20
	s_delay_alu instid0(VALU_DEP_1) | instskip(SKIP_1) | instid1(VALU_DEP_1)
	s_cmp_lg_u32 s20, 0
	s_addc_u32 s4, s4, s66
	v_readfirstlane_b32 s20, v2
	s_mul_i32 s66, s22, s4
	s_delay_alu instid0(VALU_DEP_1)
	s_mul_hi_u32 s68, s22, s20
	s_mul_i32 s23, s23, s20
	s_add_i32 s66, s68, s66
	s_mul_i32 s22, s22, s20
	s_add_i32 s66, s66, s23
	s_mul_hi_u32 s68, s4, s22
	s_mul_i32 s72, s4, s22
	s_mul_hi_u32 s22, s20, s22
	s_mul_hi_u32 s73, s20, s66
	s_mul_i32 s20, s20, s66
	s_mul_hi_u32 s23, s4, s66
	s_add_u32 s20, s22, s20
	s_addc_u32 s22, 0, s73
	s_add_u32 s20, s20, s72
	s_mul_i32 s66, s4, s66
	s_addc_u32 s20, s22, s68
	s_addc_u32 s22, s23, 0
	s_add_u32 s20, s20, s66
	s_addc_u32 s22, 0, s22
	v_add_co_u32 v2, s20, v2, s20
	s_delay_alu instid0(VALU_DEP_1) | instskip(SKIP_1) | instid1(VALU_DEP_1)
	s_cmp_lg_u32 s20, 0
	s_addc_u32 s4, s4, s22
	v_readfirstlane_b32 s20, v2
	s_mul_i32 s23, s19, s4
	s_mul_hi_u32 s22, s19, s4
	s_mul_hi_u32 s66, s5, s4
	s_mul_i32 s4, s5, s4
	s_mul_hi_u32 s68, s19, s20
	s_mul_hi_u32 s72, s5, s20
	s_mul_i32 s20, s5, s20
	s_add_u32 s23, s68, s23
	s_addc_u32 s22, 0, s22
	s_add_u32 s20, s23, s20
	s_addc_u32 s20, s22, s72
	s_addc_u32 s22, s66, 0
	s_add_u32 s4, s20, s4
	s_addc_u32 s20, 0, s22
	s_mul_hi_u32 s22, s35, s4
	s_mul_i32 s4, s35, s4
	s_mul_i32 s20, s35, s20
	v_sub_co_u32 v2, s4, s19, s4
	s_add_i32 s22, s22, s20
	s_cmp_lg_u32 s4, 0
	s_delay_alu instid0(VALU_DEP_1) | instskip(SKIP_2) | instid1(VALU_DEP_1)
	v_sub_co_u32 v3, s4, v2, s35
	s_subb_u32 s20, s5, s22
	s_cmp_lg_u32 s4, 0
	v_cmp_le_u32_e32 vcc_lo, s35, v3
	v_sub_co_u32 v4, s4, v3, s35
	s_subb_u32 s22, s20, 0
	s_cmp_lg_u32 s4, 0
	v_cndmask_b32_e64 v5, 0, -1, vcc_lo
	s_subb_u32 s4, s22, 0
	s_cmp_eq_u32 s22, 0
	v_mov_b32_e32 v7, s4
	s_cselect_b32 vcc_lo, -1, 0
	s_cmp_eq_u32 s20, 0
	v_cndmask_b32_e32 v5, -1, v5, vcc_lo
	v_cmp_le_u32_e32 vcc_lo, s35, v2
	s_cselect_b32 s4, -1, 0
	v_cndmask_b32_e64 v6, 0, -1, vcc_lo
	s_delay_alu instid0(VALU_DEP_3) | instskip(NEXT) | instid1(VALU_DEP_2)
	v_cmp_ne_u32_e32 vcc_lo, 0, v5
	v_cndmask_b32_e64 v5, -1, v6, s4
	v_cndmask_b32_e32 v6, s22, v7, vcc_lo
	v_cndmask_b32_e32 v4, v3, v4, vcc_lo
	s_delay_alu instid0(VALU_DEP_3) | instskip(NEXT) | instid1(VALU_DEP_3)
	v_cmp_ne_u32_e32 vcc_lo, 0, v5
	v_cndmask_b32_e32 v3, s20, v6, vcc_lo
	s_delay_alu instid0(VALU_DEP_3)
	v_cndmask_b32_e32 v2, v2, v4, vcc_lo
	s_cbranch_execnz .LBB110_146
.LBB110_145:                            ;   in Loop: Header=BB110_24 Depth=1
	v_cvt_f32_u32_e32 v2, s35
	s_sub_i32 s4, 0, s35
	s_delay_alu instid0(VALU_DEP_1) | instskip(SKIP_2) | instid1(VALU_DEP_1)
	v_rcp_iflag_f32_e32 v2, v2
	s_waitcnt_depctr 0xfff
	v_mul_f32_e32 v2, 0x4f7ffffe, v2
	v_cvt_u32_f32_e32 v2, v2
	s_delay_alu instid0(VALU_DEP_1) | instskip(NEXT) | instid1(VALU_DEP_1)
	v_mul_lo_u32 v3, s4, v2
	v_mul_hi_u32 v3, v2, v3
	s_delay_alu instid0(VALU_DEP_1) | instskip(NEXT) | instid1(VALU_DEP_1)
	v_add_nc_u32_e32 v2, v2, v3
	v_mul_hi_u32 v2, s19, v2
	s_delay_alu instid0(VALU_DEP_1) | instskip(NEXT) | instid1(VALU_DEP_1)
	v_mul_lo_u32 v2, v2, s35
	v_sub_nc_u32_e32 v2, s19, v2
	s_delay_alu instid0(VALU_DEP_1) | instskip(SKIP_1) | instid1(VALU_DEP_2)
	v_subrev_nc_u32_e32 v3, s35, v2
	v_cmp_le_u32_e32 vcc_lo, s35, v2
	v_cndmask_b32_e32 v2, v2, v3, vcc_lo
	s_delay_alu instid0(VALU_DEP_1) | instskip(SKIP_1) | instid1(VALU_DEP_2)
	v_subrev_nc_u32_e32 v3, s35, v2
	v_cmp_le_u32_e32 vcc_lo, s35, v2
	v_cndmask_b32_e32 v10, v2, v3, vcc_lo
	s_delay_alu instid0(VALU_DEP_1)
	v_dual_mov_b32 v2, v10 :: v_dual_mov_b32 v3, v11
.LBB110_146:                            ;   in Loop: Header=BB110_24 Depth=1
	s_delay_alu instid0(VALU_DEP_1) | instskip(NEXT) | instid1(VALU_DEP_2)
	v_sub_co_u32 v2, vcc_lo, s19, v2
	v_sub_co_ci_u32_e32 v3, vcc_lo, s5, v3, vcc_lo
	s_mov_b32 s4, 0
	s_mov_b32 s5, exec_lo
                                        ; implicit-def: $vgpr27
	s_delay_alu instid0(VALU_DEP_1)
	v_cmpx_gt_u64_e64 v[2:3], v[0:1]
	s_cbranch_execz .LBB110_159
; %bb.147:                              ;   in Loop: Header=BB110_24 Depth=1
	v_mov_b32_e32 v6, v21
	v_dual_mov_b32 v5, v1 :: v_dual_mov_b32 v4, v0
	s_mov_b32 s19, 0
                                        ; implicit-def: $sgpr20
	s_set_inst_prefetch_distance 0x1
	s_branch .LBB110_149
	.p2align	6
.LBB110_148:                            ;   in Loop: Header=BB110_149 Depth=2
	s_or_b32 exec_lo, exec_lo, s4
	s_waitcnt lgkmcnt(0)
	s_barrier
	buffer_gl0_inv
	ds_load_b32 v7, v11 offset:3072
	v_add_co_u32 v4, vcc_lo, v4, s35
	v_add_co_ci_u32_e32 v5, vcc_lo, 0, v5, vcc_lo
	v_add_nc_u32_e32 v6, s91, v6
	s_waitcnt lgkmcnt(0)
	s_barrier
	s_delay_alu instid0(VALU_DEP_2) | instskip(SKIP_2) | instid1(VALU_DEP_1)
	v_cmp_ge_u64_e32 vcc_lo, v[4:5], v[2:3]
	buffer_gl0_inv
	v_cmp_ne_u16_e64 s4, 0, v7
	s_or_b32 s22, vcc_lo, s4
	s_delay_alu instid0(SALU_CYCLE_1) | instskip(NEXT) | instid1(SALU_CYCLE_1)
	s_and_b32 s22, exec_lo, s22
	s_or_b32 s19, s22, s19
	s_and_not1_b32 s20, s20, exec_lo
	s_and_b32 s4, s4, exec_lo
	s_delay_alu instid0(SALU_CYCLE_1)
	s_or_b32 s20, s20, s4
	s_and_not1_b32 exec_lo, exec_lo, s19
	s_cbranch_execz .LBB110_158
.LBB110_149:                            ;   Parent Loop BB110_24 Depth=1
                                        ; =>  This Inner Loop Header: Depth=2
	s_delay_alu instid0(VALU_DEP_1)
	v_cmp_gt_u64_e32 vcc_lo, s[12:13], v[4:5]
	v_mov_b32_e32 v7, 0
	s_and_saveexec_b32 s4, vcc_lo
	s_cbranch_execz .LBB110_151
; %bb.150:                              ;   in Loop: Header=BB110_149 Depth=2
	ds_load_u16 v7, v6
.LBB110_151:                            ;   in Loop: Header=BB110_149 Depth=2
	s_or_b32 exec_lo, exec_lo, s4
	s_and_saveexec_b32 s4, vcc_lo
	s_cbranch_execz .LBB110_148
; %bb.152:                              ;   in Loop: Header=BB110_149 Depth=2
	s_waitcnt lgkmcnt(0)
	v_bfe_i32 v8, v7, 0, 16
	s_delay_alu instid0(VALU_DEP_1) | instskip(NEXT) | instid1(VALU_DEP_1)
	v_add_nc_u32_e32 v8, 0x8000, v8
	v_and_b32_e32 v8, s102, v8
	s_delay_alu instid0(VALU_DEP_1)
	v_cmp_eq_u32_e32 vcc_lo, s101, v8
	s_and_b32 exec_lo, exec_lo, vcc_lo
	s_cbranch_execz .LBB110_148
; %bb.153:                              ;   in Loop: Header=BB110_149 Depth=2
	v_perm_b32 v7, v7, 1, 0x5040100
	ds_store_b32 v11, v7 offset:3072
	s_branch .LBB110_148
.LBB110_154:                            ;   in Loop: Header=BB110_24 Depth=1
                                        ; implicit-def: $sgpr13
                                        ; implicit-def: $sgpr19
                                        ; implicit-def: $sgpr12
	s_branch .LBB110_173
.LBB110_155:                            ;   in Loop: Header=BB110_24 Depth=1
                                        ; implicit-def: $vgpr2_vgpr3
	s_branch .LBB110_100
.LBB110_156:                            ;   in Loop: Header=BB110_24 Depth=1
                                        ; implicit-def: $vgpr2_vgpr3
	s_branch .LBB110_115
.LBB110_157:                            ;   in Loop: Header=BB110_24 Depth=1
	s_mov_b32 s13, -1
	s_mov_b32 s4, 0
                                        ; implicit-def: $sgpr12
                                        ; implicit-def: $vgpr27
	s_mov_b32 s19, s13
	s_cbranch_execnz .LBB110_160
	s_branch .LBB110_173
.LBB110_158:                            ;   in Loop: Header=BB110_24 Depth=1
	s_set_inst_prefetch_distance 0x2
	s_or_b32 exec_lo, exec_lo, s19
	v_lshrrev_b32_e32 v27, 16, v7
	s_and_b32 s4, s20, exec_lo
.LBB110_159:                            ;   in Loop: Header=BB110_24 Depth=1
	s_or_b32 exec_lo, exec_lo, s5
	s_mov_b32 s12, -1
	s_mov_b32 s13, 0
	s_delay_alu instid0(SALU_CYCLE_1)
	s_mov_b32 s19, s13
	s_branch .LBB110_173
.LBB110_160:                            ;   in Loop: Header=BB110_24 Depth=1
	s_mov_b32 s68, s67
	s_delay_alu instid0(SALU_CYCLE_1)
	s_cmp_lg_u64 s[68:69], 0
	s_cbranch_scc0 .LBB110_203
; %bb.161:                              ;   in Loop: Header=BB110_24 Depth=1
	v_cvt_f32_u32_e32 v2, s35
	s_sub_u32 s12, 0, s35
	s_subb_u32 s13, 0, 0
	s_delay_alu instid0(VALU_DEP_1) | instskip(NEXT) | instid1(VALU_DEP_1)
	v_fmac_f32_e64 v2, 0, 0x4f800000
	v_rcp_f32_e32 v2, v2
	s_waitcnt_depctr 0xfff
	v_mul_f32_e32 v2, 0x5f7ffffc, v2
	s_delay_alu instid0(VALU_DEP_1) | instskip(NEXT) | instid1(VALU_DEP_1)
	v_mul_f32_e32 v3, 0x2f800000, v2
	v_trunc_f32_e32 v3, v3
	s_delay_alu instid0(VALU_DEP_1) | instskip(SKIP_1) | instid1(VALU_DEP_2)
	v_fmac_f32_e32 v2, 0xcf800000, v3
	v_cvt_u32_f32_e32 v3, v3
	v_cvt_u32_f32_e32 v2, v2
	s_delay_alu instid0(VALU_DEP_2) | instskip(NEXT) | instid1(VALU_DEP_2)
	v_readfirstlane_b32 s4, v3
	v_readfirstlane_b32 s5, v2
	s_delay_alu instid0(VALU_DEP_2) | instskip(NEXT) | instid1(VALU_DEP_1)
	s_mul_i32 s19, s12, s4
	s_mul_hi_u32 s22, s12, s5
	s_mul_i32 s20, s13, s5
	s_add_i32 s19, s22, s19
	s_mul_i32 s23, s12, s5
	s_add_i32 s19, s19, s20
	s_mul_hi_u32 s22, s5, s23
	s_mul_hi_u32 s66, s4, s23
	s_mul_i32 s20, s4, s23
	s_mul_hi_u32 s23, s5, s19
	s_mul_i32 s5, s5, s19
	s_mul_hi_u32 s68, s4, s19
	s_add_u32 s5, s22, s5
	s_addc_u32 s22, 0, s23
	s_add_u32 s5, s5, s20
	s_mul_i32 s19, s4, s19
	s_addc_u32 s5, s22, s66
	s_addc_u32 s20, s68, 0
	s_add_u32 s5, s5, s19
	s_addc_u32 s19, 0, s20
	v_add_co_u32 v2, s5, v2, s5
	s_delay_alu instid0(VALU_DEP_1) | instskip(SKIP_1) | instid1(VALU_DEP_1)
	s_cmp_lg_u32 s5, 0
	s_addc_u32 s4, s4, s19
	v_readfirstlane_b32 s5, v2
	s_mul_i32 s19, s12, s4
	s_delay_alu instid0(VALU_DEP_1)
	s_mul_hi_u32 s20, s12, s5
	s_mul_i32 s13, s13, s5
	s_add_i32 s19, s20, s19
	s_mul_i32 s12, s12, s5
	s_add_i32 s19, s19, s13
	s_mul_hi_u32 s20, s4, s12
	s_mul_i32 s22, s4, s12
	s_mul_hi_u32 s12, s5, s12
	s_mul_hi_u32 s23, s5, s19
	s_mul_i32 s5, s5, s19
	s_mul_hi_u32 s13, s4, s19
	s_add_u32 s5, s12, s5
	s_addc_u32 s12, 0, s23
	s_add_u32 s5, s5, s22
	s_mul_i32 s19, s4, s19
	s_addc_u32 s5, s12, s20
	s_addc_u32 s12, s13, 0
	s_add_u32 s5, s5, s19
	s_addc_u32 s12, 0, s12
	v_add_co_u32 v2, s5, v2, s5
	s_delay_alu instid0(VALU_DEP_1) | instskip(SKIP_1) | instid1(VALU_DEP_1)
	s_cmp_lg_u32 s5, 0
	s_addc_u32 s4, s4, s12
	v_readfirstlane_b32 s5, v2
	s_mul_i32 s13, s85, s4
	s_mul_hi_u32 s12, s85, s4
	s_mul_hi_u32 s19, s69, s4
	s_mul_i32 s4, s69, s4
	s_mul_hi_u32 s20, s85, s5
	s_mul_hi_u32 s22, s69, s5
	s_mul_i32 s5, s69, s5
	s_add_u32 s13, s20, s13
	s_addc_u32 s12, 0, s12
	s_add_u32 s5, s13, s5
	s_addc_u32 s5, s12, s22
	s_addc_u32 s12, s19, 0
	s_add_u32 s4, s5, s4
	s_addc_u32 s5, 0, s12
	s_mul_hi_u32 s12, s35, s4
	s_mul_i32 s4, s35, s4
	s_mul_i32 s5, s35, s5
	v_sub_co_u32 v2, s4, s85, s4
	s_add_i32 s12, s12, s5
	s_cmp_lg_u32 s4, 0
	s_delay_alu instid0(VALU_DEP_1) | instskip(SKIP_2) | instid1(VALU_DEP_1)
	v_sub_co_u32 v3, s4, v2, s35
	s_subb_u32 s5, s69, s12
	s_cmp_lg_u32 s4, 0
	v_cmp_le_u32_e32 vcc_lo, s35, v3
	v_sub_co_u32 v4, s4, v3, s35
	s_subb_u32 s12, s5, 0
	s_cmp_lg_u32 s4, 0
	v_cndmask_b32_e64 v5, 0, -1, vcc_lo
	s_subb_u32 s4, s12, 0
	s_cmp_eq_u32 s12, 0
	v_mov_b32_e32 v7, s4
	s_cselect_b32 vcc_lo, -1, 0
	s_cmp_eq_u32 s5, 0
	v_cndmask_b32_e32 v5, -1, v5, vcc_lo
	v_cmp_le_u32_e32 vcc_lo, s35, v2
	s_cselect_b32 s4, -1, 0
	v_cndmask_b32_e64 v6, 0, -1, vcc_lo
	s_delay_alu instid0(VALU_DEP_3) | instskip(NEXT) | instid1(VALU_DEP_2)
	v_cmp_ne_u32_e32 vcc_lo, 0, v5
	v_cndmask_b32_e64 v5, -1, v6, s4
	v_cndmask_b32_e32 v6, s12, v7, vcc_lo
	v_cndmask_b32_e32 v4, v3, v4, vcc_lo
	s_delay_alu instid0(VALU_DEP_3) | instskip(NEXT) | instid1(VALU_DEP_3)
	v_cmp_ne_u32_e32 vcc_lo, 0, v5
	v_cndmask_b32_e32 v3, s5, v6, vcc_lo
	s_delay_alu instid0(VALU_DEP_3)
	v_cndmask_b32_e32 v2, v2, v4, vcc_lo
	s_cbranch_execnz .LBB110_163
.LBB110_162:                            ;   in Loop: Header=BB110_24 Depth=1
	v_cvt_f32_u32_e32 v2, s35
	s_sub_i32 s4, 0, s35
	s_delay_alu instid0(VALU_DEP_1) | instskip(SKIP_2) | instid1(VALU_DEP_1)
	v_rcp_iflag_f32_e32 v2, v2
	s_waitcnt_depctr 0xfff
	v_mul_f32_e32 v2, 0x4f7ffffe, v2
	v_cvt_u32_f32_e32 v2, v2
	s_delay_alu instid0(VALU_DEP_1) | instskip(NEXT) | instid1(VALU_DEP_1)
	v_mul_lo_u32 v3, s4, v2
	v_mul_hi_u32 v3, v2, v3
	s_delay_alu instid0(VALU_DEP_1) | instskip(NEXT) | instid1(VALU_DEP_1)
	v_add_nc_u32_e32 v2, v2, v3
	v_mul_hi_u32 v2, s85, v2
	s_delay_alu instid0(VALU_DEP_1) | instskip(NEXT) | instid1(VALU_DEP_1)
	v_mul_lo_u32 v2, v2, s35
	v_sub_nc_u32_e32 v2, s85, v2
	s_delay_alu instid0(VALU_DEP_1) | instskip(SKIP_1) | instid1(VALU_DEP_2)
	v_subrev_nc_u32_e32 v3, s35, v2
	v_cmp_le_u32_e32 vcc_lo, s35, v2
	v_cndmask_b32_e32 v2, v2, v3, vcc_lo
	s_delay_alu instid0(VALU_DEP_1) | instskip(SKIP_1) | instid1(VALU_DEP_2)
	v_subrev_nc_u32_e32 v3, s35, v2
	v_cmp_le_u32_e32 vcc_lo, s35, v2
	v_cndmask_b32_e32 v10, v2, v3, vcc_lo
	s_delay_alu instid0(VALU_DEP_1)
	v_dual_mov_b32 v2, v10 :: v_dual_mov_b32 v3, v11
.LBB110_163:                            ;   in Loop: Header=BB110_24 Depth=1
	s_delay_alu instid0(VALU_DEP_1) | instskip(NEXT) | instid1(VALU_DEP_2)
	v_sub_co_u32 v2, vcc_lo, s85, v2
	v_sub_co_ci_u32_e32 v3, vcc_lo, s69, v3, vcc_lo
	s_mov_b32 s4, 0
	s_mov_b32 s5, exec_lo
                                        ; implicit-def: $vgpr27
	s_delay_alu instid0(VALU_DEP_1)
	v_cmpx_gt_u64_e64 v[2:3], v[0:1]
	s_cbranch_execz .LBB110_172
; %bb.164:                              ;   in Loop: Header=BB110_24 Depth=1
	v_dual_mov_b32 v5, v1 :: v_dual_mov_b32 v4, v0
	s_mov_b32 s12, 0
                                        ; implicit-def: $sgpr13
	s_branch .LBB110_166
.LBB110_165:                            ;   in Loop: Header=BB110_166 Depth=2
	s_or_b32 exec_lo, exec_lo, s4
	s_waitcnt vmcnt(0) lgkmcnt(0)
	s_barrier
	buffer_gl0_inv
	ds_load_b32 v6, v11 offset:3072
	v_add_co_u32 v4, vcc_lo, v4, s35
	v_add_co_ci_u32_e32 v5, vcc_lo, 0, v5, vcc_lo
	s_waitcnt lgkmcnt(0)
	s_barrier
	buffer_gl0_inv
	v_cmp_ge_u64_e32 vcc_lo, v[4:5], v[2:3]
	v_cmp_ne_u16_e64 s4, 0, v6
	s_delay_alu instid0(VALU_DEP_1) | instskip(NEXT) | instid1(SALU_CYCLE_1)
	s_or_b32 s19, vcc_lo, s4
	s_and_b32 s19, exec_lo, s19
	s_delay_alu instid0(SALU_CYCLE_1) | instskip(SKIP_2) | instid1(SALU_CYCLE_1)
	s_or_b32 s12, s19, s12
	s_and_not1_b32 s13, s13, exec_lo
	s_and_b32 s4, s4, exec_lo
	s_or_b32 s13, s13, s4
	s_and_not1_b32 exec_lo, exec_lo, s12
	s_cbranch_execz .LBB110_171
.LBB110_166:                            ;   Parent Loop BB110_24 Depth=1
                                        ; =>  This Inner Loop Header: Depth=2
	s_delay_alu instid0(VALU_DEP_1)
	v_cmp_gt_u64_e32 vcc_lo, s[24:25], v[4:5]
	v_mov_b32_e32 v6, 0
	s_and_saveexec_b32 s19, vcc_lo
	s_cbranch_execz .LBB110_168
; %bb.167:                              ;   in Loop: Header=BB110_166 Depth=2
	v_mul_lo_u32 v8, v5, s54
	v_mul_lo_u32 v9, v4, s55
	v_mad_u64_u32 v[6:7], null, v4, s54, 0
	s_delay_alu instid0(VALU_DEP_1) | instskip(NEXT) | instid1(VALU_DEP_1)
	v_add3_u32 v7, v7, v9, v8
	v_lshlrev_b64 v[6:7], 1, v[6:7]
	s_delay_alu instid0(VALU_DEP_1) | instskip(NEXT) | instid1(VALU_DEP_1)
	v_add_co_u32 v6, s4, s27, v6
	v_add_co_ci_u32_e64 v7, s4, s33, v7, s4
	global_load_u16 v6, v[6:7], off
.LBB110_168:                            ;   in Loop: Header=BB110_166 Depth=2
	s_or_b32 exec_lo, exec_lo, s19
	s_and_saveexec_b32 s4, vcc_lo
	s_cbranch_execz .LBB110_165
; %bb.169:                              ;   in Loop: Header=BB110_166 Depth=2
	s_waitcnt vmcnt(0)
	v_bfe_i32 v7, v6, 0, 16
	s_delay_alu instid0(VALU_DEP_1) | instskip(NEXT) | instid1(VALU_DEP_1)
	v_add_nc_u32_e32 v7, 0x8000, v7
	v_and_b32_e32 v7, s102, v7
	s_delay_alu instid0(VALU_DEP_1)
	v_cmp_eq_u32_e32 vcc_lo, s101, v7
	s_and_b32 exec_lo, exec_lo, vcc_lo
	s_cbranch_execz .LBB110_165
; %bb.170:                              ;   in Loop: Header=BB110_166 Depth=2
	v_perm_b32 v6, v6, 1, 0x5040100
	ds_store_b32 v11, v6 offset:3072
	s_branch .LBB110_165
.LBB110_171:                            ;   in Loop: Header=BB110_24 Depth=1
	s_or_b32 exec_lo, exec_lo, s12
	v_lshrrev_b32_e32 v27, 16, v6
	s_and_b32 s4, s13, exec_lo
.LBB110_172:                            ;   in Loop: Header=BB110_24 Depth=1
	s_or_b32 exec_lo, exec_lo, s5
	s_mov_b32 s19, -1
	s_mov_b32 s13, 0
	s_mov_b32 s12, 0
.LBB110_173:                            ;   in Loop: Header=BB110_24 Depth=1
	s_mov_b32 s5, 0
                                        ; implicit-def: $sgpr66
	s_and_saveexec_b32 s20, s4
	s_cbranch_execz .LBB110_284
; %bb.174:                              ;   in Loop: Header=BB110_24 Depth=1
	s_xor_b32 s4, s21, -1
	s_mov_b32 s66, 1
	s_and_not1_b32 vcc_lo, exec_lo, s4
	s_cbranch_vccnz .LBB110_185
; %bb.175:                              ;   in Loop: Header=BB110_24 Depth=1
	v_cmp_gt_u64_e64 s4, s[64:65], s[10:11]
                                        ; implicit-def: $sgpr66
                                        ; implicit-def: $sgpr5
                                        ; implicit-def: $sgpr21
	s_delay_alu instid0(VALU_DEP_1)
	s_and_b32 vcc_lo, exec_lo, s4
	s_mov_b32 s4, -1
	s_cbranch_vccnz .LBB110_181
; %bb.176:                              ;   in Loop: Header=BB110_24 Depth=1
	ds_load_b64 v[2:3], v11 offset:5120
	s_waitcnt lgkmcnt(0)
	v_cmp_ne_u64_e32 vcc_lo, 0, v[2:3]
	s_cbranch_vccnz .LBB110_180
; %bb.177:                              ;   in Loop: Header=BB110_24 Depth=1
	s_and_saveexec_b32 s4, s2
	s_cbranch_execz .LBB110_179
; %bb.178:                              ;   in Loop: Header=BB110_24 Depth=1
	v_dual_mov_b32 v2, s10 :: v_dual_mov_b32 v3, s11
	ds_store_b64 v11, v[2:3] offset:5128
.LBB110_179:                            ;   in Loop: Header=BB110_24 Depth=1
	s_or_b32 exec_lo, exec_lo, s4
	s_waitcnt lgkmcnt(0)
	s_barrier
	buffer_gl0_inv
.LBB110_180:                            ;   in Loop: Header=BB110_24 Depth=1
	s_lshl_b32 s4, 1, s17
	s_and_b32 s5, s101, s18
	s_or_b32 s21, s102, s16
	s_or_b32 s5, s5, s4
	s_mov_b32 s4, 0
	s_mov_b32 s66, 8
.LBB110_181:                            ;   in Loop: Header=BB110_24 Depth=1
	s_and_not1_b32 vcc_lo, exec_lo, s4
	s_cbranch_vccnz .LBB110_183
; %bb.182:                              ;   in Loop: Header=BB110_24 Depth=1
	s_sub_u32 s64, s64, s10
	s_subb_u32 s65, s65, s11
	s_mov_b32 s4, -1
	s_mov_b32 s66, 0
	s_mov_b32 s5, s101
	;; [unrolled: 1-line block ×3, first 2 shown]
.LBB110_183:                            ;   in Loop: Header=BB110_24 Depth=1
	s_delay_alu instid0(SALU_CYCLE_1)
	s_mov_b32 s102, s21
	s_mov_b32 s101, s5
	s_and_not1_b32 vcc_lo, exec_lo, s4
	s_mov_b32 s5, -1
	s_cbranch_vccz .LBB110_186
.LBB110_184:                            ;   in Loop: Header=BB110_24 Depth=1
                                        ; implicit-def: $sgpr11
                                        ; implicit-def: $sgpr21
                                        ; implicit-def: $sgpr10
	s_branch .LBB110_283
.LBB110_185:                            ;   in Loop: Header=BB110_24 Depth=1
	s_mov_b64 s[64:65], 1
	s_mov_b32 s5, -1
	s_cbranch_execnz .LBB110_184
.LBB110_186:                            ;   in Loop: Header=BB110_24 Depth=1
	s_cmp_eq_u64 s[8:9], 1
	s_cselect_b32 s4, -1, 0
	s_cmp_eq_u64 s[64:65], 1
	s_cselect_b32 s5, -1, 0
	s_delay_alu instid0(SALU_CYCLE_1)
	s_and_b32 s23, s4, s5
	s_mov_b32 s4, -1
	s_and_b32 vcc_lo, exec_lo, s23
	s_cbranch_vccz .LBB110_201
; %bb.187:                              ;   in Loop: Header=BB110_24 Depth=1
	ds_load_b64 v[2:3], v11 offset:5120
	s_waitcnt lgkmcnt(0)
	s_barrier
	buffer_gl0_inv
	v_readfirstlane_b32 s10, v2
	v_readfirstlane_b32 s11, v3
	s_and_saveexec_b32 s4, s3
	s_cbranch_execz .LBB110_189
; %bb.188:                              ;   in Loop: Header=BB110_24 Depth=1
	ds_store_b16 v22, v11
.LBB110_189:                            ;   in Loop: Header=BB110_24 Depth=1
	s_or_b32 exec_lo, exec_lo, s4
	s_lshl_b32 s4, 2, s17
	s_and_b32 s5, s101, s18
	s_or_b32 s102, s102, s16
	s_or_b32 s101, s5, s4
	s_cmp_eq_u64 s[10:11], 0
	s_waitcnt lgkmcnt(0)
	s_barrier
	buffer_gl0_inv
	s_cbranch_scc1 .LBB110_204
; %bb.190:                              ;   in Loop: Header=BB110_24 Depth=1
	s_add_u32 s21, s83, s10
	s_addc_u32 s5, s84, s11
	s_mov_b32 s4, s67
	s_delay_alu instid0(SALU_CYCLE_1)
	s_cmp_lg_u64 s[4:5], 0
	s_cbranch_scc0 .LBB110_249
; %bb.191:                              ;   in Loop: Header=BB110_24 Depth=1
	v_cvt_f32_u32_e32 v2, s35
	s_sub_u32 s66, 0, s35
	s_subb_u32 s68, 0, 0
	s_delay_alu instid0(VALU_DEP_1) | instskip(NEXT) | instid1(VALU_DEP_1)
	v_fmac_f32_e64 v2, 0, 0x4f800000
	v_rcp_f32_e32 v2, v2
	s_waitcnt_depctr 0xfff
	v_mul_f32_e32 v2, 0x5f7ffffc, v2
	s_delay_alu instid0(VALU_DEP_1) | instskip(NEXT) | instid1(VALU_DEP_1)
	v_mul_f32_e32 v3, 0x2f800000, v2
	v_trunc_f32_e32 v3, v3
	s_delay_alu instid0(VALU_DEP_1) | instskip(SKIP_1) | instid1(VALU_DEP_2)
	v_fmac_f32_e32 v2, 0xcf800000, v3
	v_cvt_u32_f32_e32 v3, v3
	v_cvt_u32_f32_e32 v2, v2
	s_delay_alu instid0(VALU_DEP_2) | instskip(NEXT) | instid1(VALU_DEP_2)
	v_readfirstlane_b32 s4, v3
	v_readfirstlane_b32 s22, v2
	s_delay_alu instid0(VALU_DEP_2) | instskip(NEXT) | instid1(VALU_DEP_1)
	s_mul_i32 s72, s66, s4
	s_mul_hi_u32 s74, s66, s22
	s_mul_i32 s73, s68, s22
	s_add_i32 s72, s74, s72
	s_mul_i32 s75, s66, s22
	s_add_i32 s72, s72, s73
	s_mul_hi_u32 s74, s22, s75
	s_mul_hi_u32 s76, s4, s75
	s_mul_i32 s73, s4, s75
	s_mul_hi_u32 s75, s22, s72
	s_mul_i32 s22, s22, s72
	s_mul_hi_u32 s77, s4, s72
	s_add_u32 s22, s74, s22
	s_addc_u32 s74, 0, s75
	s_add_u32 s22, s22, s73
	s_mul_i32 s72, s4, s72
	s_addc_u32 s22, s74, s76
	s_addc_u32 s73, s77, 0
	s_add_u32 s22, s22, s72
	s_addc_u32 s72, 0, s73
	v_add_co_u32 v2, s22, v2, s22
	s_delay_alu instid0(VALU_DEP_1) | instskip(SKIP_1) | instid1(VALU_DEP_1)
	s_cmp_lg_u32 s22, 0
	s_addc_u32 s4, s4, s72
	v_readfirstlane_b32 s22, v2
	s_mul_i32 s72, s66, s4
	s_delay_alu instid0(VALU_DEP_1)
	s_mul_hi_u32 s73, s66, s22
	s_mul_i32 s68, s68, s22
	s_add_i32 s72, s73, s72
	s_mul_i32 s66, s66, s22
	s_add_i32 s72, s72, s68
	s_mul_hi_u32 s73, s4, s66
	s_mul_i32 s74, s4, s66
	s_mul_hi_u32 s66, s22, s66
	s_mul_hi_u32 s75, s22, s72
	s_mul_i32 s22, s22, s72
	s_mul_hi_u32 s68, s4, s72
	s_add_u32 s22, s66, s22
	s_addc_u32 s66, 0, s75
	s_add_u32 s22, s22, s74
	s_mul_i32 s72, s4, s72
	s_addc_u32 s22, s66, s73
	s_addc_u32 s66, s68, 0
	s_add_u32 s22, s22, s72
	s_addc_u32 s66, 0, s66
	v_add_co_u32 v2, s22, v2, s22
	s_delay_alu instid0(VALU_DEP_1) | instskip(SKIP_1) | instid1(VALU_DEP_1)
	s_cmp_lg_u32 s22, 0
	s_addc_u32 s4, s4, s66
	v_readfirstlane_b32 s22, v2
	s_mul_i32 s68, s21, s4
	s_mul_hi_u32 s66, s21, s4
	s_mul_hi_u32 s72, s5, s4
	s_mul_i32 s4, s5, s4
	s_mul_hi_u32 s73, s21, s22
	s_mul_hi_u32 s74, s5, s22
	s_mul_i32 s22, s5, s22
	s_add_u32 s68, s73, s68
	s_addc_u32 s66, 0, s66
	s_add_u32 s22, s68, s22
	s_addc_u32 s22, s66, s74
	s_addc_u32 s66, s72, 0
	s_add_u32 s4, s22, s4
	s_addc_u32 s22, 0, s66
	s_mul_hi_u32 s66, s35, s4
	s_mul_i32 s4, s35, s4
	s_mul_i32 s22, s35, s22
	v_sub_co_u32 v2, s4, s21, s4
	s_add_i32 s66, s66, s22
	s_cmp_lg_u32 s4, 0
	s_delay_alu instid0(VALU_DEP_1) | instskip(SKIP_2) | instid1(VALU_DEP_1)
	v_sub_co_u32 v3, s4, v2, s35
	s_subb_u32 s22, s5, s66
	s_cmp_lg_u32 s4, 0
	v_cmp_le_u32_e32 vcc_lo, s35, v3
	v_sub_co_u32 v4, s4, v3, s35
	s_subb_u32 s66, s22, 0
	s_cmp_lg_u32 s4, 0
	v_cndmask_b32_e64 v5, 0, -1, vcc_lo
	s_subb_u32 s4, s66, 0
	s_cmp_eq_u32 s66, 0
	v_mov_b32_e32 v7, s4
	s_cselect_b32 vcc_lo, -1, 0
	s_cmp_eq_u32 s22, 0
	v_cndmask_b32_e32 v5, -1, v5, vcc_lo
	v_cmp_le_u32_e32 vcc_lo, s35, v2
	s_cselect_b32 s4, -1, 0
	v_cndmask_b32_e64 v6, 0, -1, vcc_lo
	s_delay_alu instid0(VALU_DEP_3) | instskip(NEXT) | instid1(VALU_DEP_2)
	v_cmp_ne_u32_e32 vcc_lo, 0, v5
	v_cndmask_b32_e64 v5, -1, v6, s4
	v_cndmask_b32_e32 v6, s66, v7, vcc_lo
	v_cndmask_b32_e32 v4, v3, v4, vcc_lo
	s_delay_alu instid0(VALU_DEP_3) | instskip(NEXT) | instid1(VALU_DEP_3)
	v_cmp_ne_u32_e32 vcc_lo, 0, v5
	v_cndmask_b32_e32 v3, s22, v6, vcc_lo
	s_delay_alu instid0(VALU_DEP_3)
	v_cndmask_b32_e32 v2, v2, v4, vcc_lo
	s_cbranch_execnz .LBB110_193
.LBB110_192:                            ;   in Loop: Header=BB110_24 Depth=1
	v_cvt_f32_u32_e32 v2, s35
	s_sub_i32 s4, 0, s35
	s_delay_alu instid0(VALU_DEP_1) | instskip(SKIP_2) | instid1(VALU_DEP_1)
	v_rcp_iflag_f32_e32 v2, v2
	s_waitcnt_depctr 0xfff
	v_mul_f32_e32 v2, 0x4f7ffffe, v2
	v_cvt_u32_f32_e32 v2, v2
	s_delay_alu instid0(VALU_DEP_1) | instskip(NEXT) | instid1(VALU_DEP_1)
	v_mul_lo_u32 v3, s4, v2
	v_mul_hi_u32 v3, v2, v3
	s_delay_alu instid0(VALU_DEP_1) | instskip(NEXT) | instid1(VALU_DEP_1)
	v_add_nc_u32_e32 v2, v2, v3
	v_mul_hi_u32 v2, s21, v2
	s_delay_alu instid0(VALU_DEP_1) | instskip(NEXT) | instid1(VALU_DEP_1)
	v_mul_lo_u32 v2, v2, s35
	v_sub_nc_u32_e32 v2, s21, v2
	s_delay_alu instid0(VALU_DEP_1) | instskip(SKIP_1) | instid1(VALU_DEP_2)
	v_subrev_nc_u32_e32 v3, s35, v2
	v_cmp_le_u32_e32 vcc_lo, s35, v2
	v_cndmask_b32_e32 v2, v2, v3, vcc_lo
	s_delay_alu instid0(VALU_DEP_1) | instskip(SKIP_1) | instid1(VALU_DEP_2)
	v_subrev_nc_u32_e32 v3, s35, v2
	v_cmp_le_u32_e32 vcc_lo, s35, v2
	v_cndmask_b32_e32 v10, v2, v3, vcc_lo
	s_delay_alu instid0(VALU_DEP_1)
	v_dual_mov_b32 v2, v10 :: v_dual_mov_b32 v3, v11
.LBB110_193:                            ;   in Loop: Header=BB110_24 Depth=1
	s_delay_alu instid0(VALU_DEP_1) | instskip(NEXT) | instid1(VALU_DEP_2)
	v_sub_co_u32 v2, vcc_lo, s21, v2
	v_sub_co_ci_u32_e32 v3, vcc_lo, s5, v3, vcc_lo
	s_mov_b32 s4, 0
	s_mov_b32 s5, exec_lo
                                        ; implicit-def: $vgpr27
	s_delay_alu instid0(VALU_DEP_1)
	v_cmpx_gt_u64_e64 v[2:3], v[0:1]
	s_cbranch_execz .LBB110_206
; %bb.194:                              ;   in Loop: Header=BB110_24 Depth=1
	v_mov_b32_e32 v6, v21
	v_dual_mov_b32 v5, v1 :: v_dual_mov_b32 v4, v0
	s_mov_b32 s21, 0
                                        ; implicit-def: $sgpr22
	s_set_inst_prefetch_distance 0x1
	s_branch .LBB110_196
	.p2align	6
.LBB110_195:                            ;   in Loop: Header=BB110_196 Depth=2
	s_or_b32 exec_lo, exec_lo, s4
	s_waitcnt lgkmcnt(0)
	s_barrier
	buffer_gl0_inv
	ds_load_b32 v7, v11 offset:3072
	v_add_co_u32 v4, vcc_lo, v4, s35
	v_add_co_ci_u32_e32 v5, vcc_lo, 0, v5, vcc_lo
	v_add_nc_u32_e32 v6, s91, v6
	s_waitcnt lgkmcnt(0)
	s_barrier
	s_delay_alu instid0(VALU_DEP_2) | instskip(SKIP_2) | instid1(VALU_DEP_1)
	v_cmp_ge_u64_e32 vcc_lo, v[4:5], v[2:3]
	buffer_gl0_inv
	v_cmp_ne_u16_e64 s4, 0, v7
	s_or_b32 s66, vcc_lo, s4
	s_delay_alu instid0(SALU_CYCLE_1) | instskip(NEXT) | instid1(SALU_CYCLE_1)
	s_and_b32 s66, exec_lo, s66
	s_or_b32 s21, s66, s21
	s_and_not1_b32 s22, s22, exec_lo
	s_and_b32 s4, s4, exec_lo
	s_delay_alu instid0(SALU_CYCLE_1)
	s_or_b32 s22, s22, s4
	s_and_not1_b32 exec_lo, exec_lo, s21
	s_cbranch_execz .LBB110_205
.LBB110_196:                            ;   Parent Loop BB110_24 Depth=1
                                        ; =>  This Inner Loop Header: Depth=2
	s_delay_alu instid0(VALU_DEP_1)
	v_cmp_gt_u64_e32 vcc_lo, s[10:11], v[4:5]
	v_mov_b32_e32 v7, 0
	s_and_saveexec_b32 s4, vcc_lo
	s_cbranch_execz .LBB110_198
; %bb.197:                              ;   in Loop: Header=BB110_196 Depth=2
	ds_load_u16 v7, v6
.LBB110_198:                            ;   in Loop: Header=BB110_196 Depth=2
	s_or_b32 exec_lo, exec_lo, s4
	s_and_saveexec_b32 s4, vcc_lo
	s_cbranch_execz .LBB110_195
; %bb.199:                              ;   in Loop: Header=BB110_196 Depth=2
	s_waitcnt lgkmcnt(0)
	v_bfe_i32 v8, v7, 0, 16
	s_delay_alu instid0(VALU_DEP_1) | instskip(NEXT) | instid1(VALU_DEP_1)
	v_add_nc_u32_e32 v8, 0x8000, v8
	v_and_b32_e32 v8, s102, v8
	s_delay_alu instid0(VALU_DEP_1)
	v_cmp_eq_u32_e32 vcc_lo, s101, v8
	s_and_b32 exec_lo, exec_lo, vcc_lo
	s_cbranch_execz .LBB110_195
; %bb.200:                              ;   in Loop: Header=BB110_196 Depth=2
	v_perm_b32 v7, v7, 1, 0x5040100
	ds_store_b32 v11, v7 offset:3072
	s_branch .LBB110_195
.LBB110_201:                            ;   in Loop: Header=BB110_24 Depth=1
                                        ; implicit-def: $sgpr10
                                        ; implicit-def: $sgpr21
                                        ; implicit-def: $sgpr11
	s_branch .LBB110_220
.LBB110_202:                            ;   in Loop: Header=BB110_24 Depth=1
                                        ; implicit-def: $vgpr2_vgpr3
	s_branch .LBB110_145
.LBB110_203:                            ;   in Loop: Header=BB110_24 Depth=1
                                        ; implicit-def: $vgpr2_vgpr3
	s_branch .LBB110_162
.LBB110_204:                            ;   in Loop: Header=BB110_24 Depth=1
	s_mov_b32 s10, -1
	s_mov_b32 s4, 0
                                        ; implicit-def: $sgpr11
                                        ; implicit-def: $vgpr27
	s_mov_b32 s21, s10
	s_cbranch_execnz .LBB110_207
	s_branch .LBB110_220
.LBB110_205:                            ;   in Loop: Header=BB110_24 Depth=1
	s_set_inst_prefetch_distance 0x2
	s_or_b32 exec_lo, exec_lo, s21
	v_lshrrev_b32_e32 v27, 16, v7
	s_and_b32 s4, s22, exec_lo
.LBB110_206:                            ;   in Loop: Header=BB110_24 Depth=1
	s_or_b32 exec_lo, exec_lo, s5
	s_mov_b32 s11, -1
	s_mov_b32 s10, 0
	s_delay_alu instid0(SALU_CYCLE_1)
	s_mov_b32 s21, s10
	s_branch .LBB110_220
.LBB110_207:                            ;   in Loop: Header=BB110_24 Depth=1
	s_mov_b32 s68, s67
	s_delay_alu instid0(SALU_CYCLE_1)
	s_cmp_lg_u64 s[68:69], 0
	s_cbranch_scc0 .LBB110_250
; %bb.208:                              ;   in Loop: Header=BB110_24 Depth=1
	v_cvt_f32_u32_e32 v2, s35
	s_sub_u32 s10, 0, s35
	s_subb_u32 s11, 0, 0
	s_delay_alu instid0(VALU_DEP_1) | instskip(NEXT) | instid1(VALU_DEP_1)
	v_fmac_f32_e64 v2, 0, 0x4f800000
	v_rcp_f32_e32 v2, v2
	s_waitcnt_depctr 0xfff
	v_mul_f32_e32 v2, 0x5f7ffffc, v2
	s_delay_alu instid0(VALU_DEP_1) | instskip(NEXT) | instid1(VALU_DEP_1)
	v_mul_f32_e32 v3, 0x2f800000, v2
	v_trunc_f32_e32 v3, v3
	s_delay_alu instid0(VALU_DEP_1) | instskip(SKIP_1) | instid1(VALU_DEP_2)
	v_fmac_f32_e32 v2, 0xcf800000, v3
	v_cvt_u32_f32_e32 v3, v3
	v_cvt_u32_f32_e32 v2, v2
	s_delay_alu instid0(VALU_DEP_2) | instskip(NEXT) | instid1(VALU_DEP_2)
	v_readfirstlane_b32 s4, v3
	v_readfirstlane_b32 s5, v2
	s_delay_alu instid0(VALU_DEP_2) | instskip(NEXT) | instid1(VALU_DEP_1)
	s_mul_i32 s21, s10, s4
	s_mul_hi_u32 s66, s10, s5
	s_mul_i32 s22, s11, s5
	s_add_i32 s21, s66, s21
	s_mul_i32 s68, s10, s5
	s_add_i32 s21, s21, s22
	s_mul_hi_u32 s66, s5, s68
	s_mul_hi_u32 s72, s4, s68
	s_mul_i32 s22, s4, s68
	s_mul_hi_u32 s68, s5, s21
	s_mul_i32 s5, s5, s21
	s_mul_hi_u32 s73, s4, s21
	s_add_u32 s5, s66, s5
	s_addc_u32 s66, 0, s68
	s_add_u32 s5, s5, s22
	s_mul_i32 s21, s4, s21
	s_addc_u32 s5, s66, s72
	s_addc_u32 s22, s73, 0
	s_add_u32 s5, s5, s21
	s_addc_u32 s21, 0, s22
	v_add_co_u32 v2, s5, v2, s5
	s_delay_alu instid0(VALU_DEP_1) | instskip(SKIP_1) | instid1(VALU_DEP_1)
	s_cmp_lg_u32 s5, 0
	s_addc_u32 s4, s4, s21
	v_readfirstlane_b32 s5, v2
	s_mul_i32 s21, s10, s4
	s_delay_alu instid0(VALU_DEP_1)
	s_mul_hi_u32 s22, s10, s5
	s_mul_i32 s11, s11, s5
	s_add_i32 s21, s22, s21
	s_mul_i32 s10, s10, s5
	s_add_i32 s21, s21, s11
	s_mul_hi_u32 s22, s4, s10
	s_mul_i32 s66, s4, s10
	s_mul_hi_u32 s10, s5, s10
	s_mul_hi_u32 s68, s5, s21
	s_mul_i32 s5, s5, s21
	s_mul_hi_u32 s11, s4, s21
	s_add_u32 s5, s10, s5
	s_addc_u32 s10, 0, s68
	s_add_u32 s5, s5, s66
	s_mul_i32 s21, s4, s21
	s_addc_u32 s5, s10, s22
	s_addc_u32 s10, s11, 0
	s_add_u32 s5, s5, s21
	s_addc_u32 s10, 0, s10
	v_add_co_u32 v2, s5, v2, s5
	s_delay_alu instid0(VALU_DEP_1) | instskip(SKIP_1) | instid1(VALU_DEP_1)
	s_cmp_lg_u32 s5, 0
	s_addc_u32 s4, s4, s10
	v_readfirstlane_b32 s5, v2
	s_mul_i32 s11, s85, s4
	s_mul_hi_u32 s10, s85, s4
	s_mul_hi_u32 s21, s69, s4
	s_mul_i32 s4, s69, s4
	s_mul_hi_u32 s22, s85, s5
	s_mul_hi_u32 s66, s69, s5
	s_mul_i32 s5, s69, s5
	s_add_u32 s11, s22, s11
	s_addc_u32 s10, 0, s10
	s_add_u32 s5, s11, s5
	s_addc_u32 s5, s10, s66
	s_addc_u32 s10, s21, 0
	s_add_u32 s4, s5, s4
	s_addc_u32 s5, 0, s10
	s_mul_hi_u32 s10, s35, s4
	s_mul_i32 s4, s35, s4
	s_mul_i32 s5, s35, s5
	v_sub_co_u32 v2, s4, s85, s4
	s_add_i32 s10, s10, s5
	s_cmp_lg_u32 s4, 0
	s_delay_alu instid0(VALU_DEP_1) | instskip(SKIP_2) | instid1(VALU_DEP_1)
	v_sub_co_u32 v3, s4, v2, s35
	s_subb_u32 s5, s69, s10
	s_cmp_lg_u32 s4, 0
	v_cmp_le_u32_e32 vcc_lo, s35, v3
	v_sub_co_u32 v4, s4, v3, s35
	s_subb_u32 s10, s5, 0
	s_cmp_lg_u32 s4, 0
	v_cndmask_b32_e64 v5, 0, -1, vcc_lo
	s_subb_u32 s4, s10, 0
	s_cmp_eq_u32 s10, 0
	v_mov_b32_e32 v7, s4
	s_cselect_b32 vcc_lo, -1, 0
	s_cmp_eq_u32 s5, 0
	v_cndmask_b32_e32 v5, -1, v5, vcc_lo
	v_cmp_le_u32_e32 vcc_lo, s35, v2
	s_cselect_b32 s4, -1, 0
	v_cndmask_b32_e64 v6, 0, -1, vcc_lo
	s_delay_alu instid0(VALU_DEP_3) | instskip(NEXT) | instid1(VALU_DEP_2)
	v_cmp_ne_u32_e32 vcc_lo, 0, v5
	v_cndmask_b32_e64 v5, -1, v6, s4
	v_cndmask_b32_e32 v6, s10, v7, vcc_lo
	v_cndmask_b32_e32 v4, v3, v4, vcc_lo
	s_delay_alu instid0(VALU_DEP_3) | instskip(NEXT) | instid1(VALU_DEP_3)
	v_cmp_ne_u32_e32 vcc_lo, 0, v5
	v_cndmask_b32_e32 v3, s5, v6, vcc_lo
	s_delay_alu instid0(VALU_DEP_3)
	v_cndmask_b32_e32 v2, v2, v4, vcc_lo
	s_cbranch_execnz .LBB110_210
.LBB110_209:                            ;   in Loop: Header=BB110_24 Depth=1
	v_cvt_f32_u32_e32 v2, s35
	s_sub_i32 s4, 0, s35
	s_delay_alu instid0(VALU_DEP_1) | instskip(SKIP_2) | instid1(VALU_DEP_1)
	v_rcp_iflag_f32_e32 v2, v2
	s_waitcnt_depctr 0xfff
	v_mul_f32_e32 v2, 0x4f7ffffe, v2
	v_cvt_u32_f32_e32 v2, v2
	s_delay_alu instid0(VALU_DEP_1) | instskip(NEXT) | instid1(VALU_DEP_1)
	v_mul_lo_u32 v3, s4, v2
	v_mul_hi_u32 v3, v2, v3
	s_delay_alu instid0(VALU_DEP_1) | instskip(NEXT) | instid1(VALU_DEP_1)
	v_add_nc_u32_e32 v2, v2, v3
	v_mul_hi_u32 v2, s85, v2
	s_delay_alu instid0(VALU_DEP_1) | instskip(NEXT) | instid1(VALU_DEP_1)
	v_mul_lo_u32 v2, v2, s35
	v_sub_nc_u32_e32 v2, s85, v2
	s_delay_alu instid0(VALU_DEP_1) | instskip(SKIP_1) | instid1(VALU_DEP_2)
	v_subrev_nc_u32_e32 v3, s35, v2
	v_cmp_le_u32_e32 vcc_lo, s35, v2
	v_cndmask_b32_e32 v2, v2, v3, vcc_lo
	s_delay_alu instid0(VALU_DEP_1) | instskip(SKIP_1) | instid1(VALU_DEP_2)
	v_subrev_nc_u32_e32 v3, s35, v2
	v_cmp_le_u32_e32 vcc_lo, s35, v2
	v_cndmask_b32_e32 v10, v2, v3, vcc_lo
	s_delay_alu instid0(VALU_DEP_1)
	v_dual_mov_b32 v2, v10 :: v_dual_mov_b32 v3, v11
.LBB110_210:                            ;   in Loop: Header=BB110_24 Depth=1
	s_delay_alu instid0(VALU_DEP_1) | instskip(NEXT) | instid1(VALU_DEP_2)
	v_sub_co_u32 v2, vcc_lo, s85, v2
	v_sub_co_ci_u32_e32 v3, vcc_lo, s69, v3, vcc_lo
	s_mov_b32 s4, 0
	s_mov_b32 s5, exec_lo
                                        ; implicit-def: $vgpr27
	s_delay_alu instid0(VALU_DEP_1)
	v_cmpx_gt_u64_e64 v[2:3], v[0:1]
	s_cbranch_execz .LBB110_219
; %bb.211:                              ;   in Loop: Header=BB110_24 Depth=1
	v_dual_mov_b32 v5, v1 :: v_dual_mov_b32 v4, v0
	s_mov_b32 s10, 0
                                        ; implicit-def: $sgpr11
	s_branch .LBB110_213
.LBB110_212:                            ;   in Loop: Header=BB110_213 Depth=2
	s_or_b32 exec_lo, exec_lo, s4
	s_waitcnt vmcnt(0) lgkmcnt(0)
	s_barrier
	buffer_gl0_inv
	ds_load_b32 v6, v11 offset:3072
	v_add_co_u32 v4, vcc_lo, v4, s35
	v_add_co_ci_u32_e32 v5, vcc_lo, 0, v5, vcc_lo
	s_waitcnt lgkmcnt(0)
	s_barrier
	buffer_gl0_inv
	v_cmp_ge_u64_e32 vcc_lo, v[4:5], v[2:3]
	v_cmp_ne_u16_e64 s4, 0, v6
	s_delay_alu instid0(VALU_DEP_1) | instskip(NEXT) | instid1(SALU_CYCLE_1)
	s_or_b32 s21, vcc_lo, s4
	s_and_b32 s21, exec_lo, s21
	s_delay_alu instid0(SALU_CYCLE_1) | instskip(SKIP_2) | instid1(SALU_CYCLE_1)
	s_or_b32 s10, s21, s10
	s_and_not1_b32 s11, s11, exec_lo
	s_and_b32 s4, s4, exec_lo
	s_or_b32 s11, s11, s4
	s_and_not1_b32 exec_lo, exec_lo, s10
	s_cbranch_execz .LBB110_218
.LBB110_213:                            ;   Parent Loop BB110_24 Depth=1
                                        ; =>  This Inner Loop Header: Depth=2
	s_delay_alu instid0(VALU_DEP_1)
	v_cmp_gt_u64_e32 vcc_lo, s[24:25], v[4:5]
	v_mov_b32_e32 v6, 0
	s_and_saveexec_b32 s21, vcc_lo
	s_cbranch_execz .LBB110_215
; %bb.214:                              ;   in Loop: Header=BB110_213 Depth=2
	v_mul_lo_u32 v8, v5, s54
	v_mul_lo_u32 v9, v4, s55
	v_mad_u64_u32 v[6:7], null, v4, s54, 0
	s_delay_alu instid0(VALU_DEP_1) | instskip(NEXT) | instid1(VALU_DEP_1)
	v_add3_u32 v7, v7, v9, v8
	v_lshlrev_b64 v[6:7], 1, v[6:7]
	s_delay_alu instid0(VALU_DEP_1) | instskip(NEXT) | instid1(VALU_DEP_1)
	v_add_co_u32 v6, s4, s27, v6
	v_add_co_ci_u32_e64 v7, s4, s33, v7, s4
	global_load_u16 v6, v[6:7], off
.LBB110_215:                            ;   in Loop: Header=BB110_213 Depth=2
	s_or_b32 exec_lo, exec_lo, s21
	s_and_saveexec_b32 s4, vcc_lo
	s_cbranch_execz .LBB110_212
; %bb.216:                              ;   in Loop: Header=BB110_213 Depth=2
	s_waitcnt vmcnt(0)
	v_bfe_i32 v7, v6, 0, 16
	s_delay_alu instid0(VALU_DEP_1) | instskip(NEXT) | instid1(VALU_DEP_1)
	v_add_nc_u32_e32 v7, 0x8000, v7
	v_and_b32_e32 v7, s102, v7
	s_delay_alu instid0(VALU_DEP_1)
	v_cmp_eq_u32_e32 vcc_lo, s101, v7
	s_and_b32 exec_lo, exec_lo, vcc_lo
	s_cbranch_execz .LBB110_212
; %bb.217:                              ;   in Loop: Header=BB110_213 Depth=2
	v_perm_b32 v6, v6, 1, 0x5040100
	ds_store_b32 v11, v6 offset:3072
	s_branch .LBB110_212
.LBB110_218:                            ;   in Loop: Header=BB110_24 Depth=1
	s_or_b32 exec_lo, exec_lo, s10
	v_lshrrev_b32_e32 v27, 16, v6
	s_and_b32 s4, s11, exec_lo
.LBB110_219:                            ;   in Loop: Header=BB110_24 Depth=1
	s_or_b32 exec_lo, exec_lo, s5
	s_mov_b32 s21, -1
	s_mov_b32 s10, 0
	s_mov_b32 s11, 0
.LBB110_220:                            ;   in Loop: Header=BB110_24 Depth=1
	s_mov_b32 s5, 0
                                        ; implicit-def: $sgpr66
	s_and_saveexec_b32 s22, s4
	s_cbranch_execz .LBB110_282
; %bb.221:                              ;   in Loop: Header=BB110_24 Depth=1
	s_xor_b32 s4, s23, -1
	s_mov_b32 s66, 1
	s_and_not1_b32 vcc_lo, exec_lo, s4
	s_cbranch_vccnz .LBB110_232
; %bb.222:                              ;   in Loop: Header=BB110_24 Depth=1
	v_cmp_gt_u64_e64 s4, s[64:65], s[8:9]
                                        ; implicit-def: $sgpr66
                                        ; implicit-def: $sgpr5
                                        ; implicit-def: $sgpr23
	s_delay_alu instid0(VALU_DEP_1)
	s_and_b32 vcc_lo, exec_lo, s4
	s_mov_b32 s4, -1
	s_cbranch_vccnz .LBB110_228
; %bb.223:                              ;   in Loop: Header=BB110_24 Depth=1
	ds_load_b64 v[2:3], v11 offset:5120
	s_waitcnt lgkmcnt(0)
	v_cmp_ne_u64_e32 vcc_lo, 0, v[2:3]
	s_cbranch_vccnz .LBB110_227
; %bb.224:                              ;   in Loop: Header=BB110_24 Depth=1
	s_and_saveexec_b32 s4, s2
	s_cbranch_execz .LBB110_226
; %bb.225:                              ;   in Loop: Header=BB110_24 Depth=1
	v_dual_mov_b32 v2, s8 :: v_dual_mov_b32 v3, s9
	ds_store_b64 v11, v[2:3] offset:5128
.LBB110_226:                            ;   in Loop: Header=BB110_24 Depth=1
	s_or_b32 exec_lo, exec_lo, s4
	s_waitcnt lgkmcnt(0)
	s_barrier
	buffer_gl0_inv
.LBB110_227:                            ;   in Loop: Header=BB110_24 Depth=1
	s_lshl_b32 s4, 2, s17
	s_and_b32 s5, s101, s18
	s_or_b32 s23, s102, s16
	s_or_b32 s5, s5, s4
	s_mov_b32 s4, 0
	s_mov_b32 s66, 8
.LBB110_228:                            ;   in Loop: Header=BB110_24 Depth=1
	s_and_not1_b32 vcc_lo, exec_lo, s4
	s_cbranch_vccnz .LBB110_230
; %bb.229:                              ;   in Loop: Header=BB110_24 Depth=1
	s_sub_u32 s64, s64, s8
	s_subb_u32 s65, s65, s9
	s_mov_b32 s4, -1
	s_mov_b32 s66, 0
	s_mov_b32 s5, s101
	;; [unrolled: 1-line block ×3, first 2 shown]
.LBB110_230:                            ;   in Loop: Header=BB110_24 Depth=1
	s_delay_alu instid0(SALU_CYCLE_1)
	s_mov_b32 s102, s23
	s_mov_b32 s101, s5
	s_and_not1_b32 vcc_lo, exec_lo, s4
	s_mov_b32 s72, -1
	s_cbranch_vccz .LBB110_233
.LBB110_231:                            ;   in Loop: Header=BB110_24 Depth=1
                                        ; implicit-def: $sgpr8
                                        ; implicit-def: $sgpr18
                                        ; implicit-def: $sgpr9
	s_branch .LBB110_281
.LBB110_232:                            ;   in Loop: Header=BB110_24 Depth=1
	s_mov_b64 s[64:65], 1
	s_mov_b32 s72, -1
	s_cbranch_execnz .LBB110_231
.LBB110_233:                            ;   in Loop: Header=BB110_24 Depth=1
	s_cmp_eq_u64 s[6:7], 1
	s_mov_b32 s23, -1
	s_cselect_b32 s4, -1, 0
	s_cmp_eq_u64 s[64:65], 1
	s_cselect_b32 s5, -1, 0
	s_delay_alu instid0(SALU_CYCLE_1) | instskip(NEXT) | instid1(SALU_CYCLE_1)
	s_and_b32 s17, s4, s5
	s_and_b32 vcc_lo, exec_lo, s17
	s_cbranch_vccz .LBB110_248
; %bb.234:                              ;   in Loop: Header=BB110_24 Depth=1
	ds_load_b64 v[2:3], v11 offset:5120
	s_waitcnt lgkmcnt(0)
	s_barrier
	buffer_gl0_inv
	v_readfirstlane_b32 s8, v2
	v_readfirstlane_b32 s9, v3
	s_and_saveexec_b32 s4, s3
	s_cbranch_execz .LBB110_236
; %bb.235:                              ;   in Loop: Header=BB110_24 Depth=1
	ds_store_b16 v22, v11
.LBB110_236:                            ;   in Loop: Header=BB110_24 Depth=1
	s_or_b32 exec_lo, exec_lo, s4
	s_or_b32 s101, s101, s16
	s_or_b32 s102, s102, s16
	s_cmp_eq_u64 s[8:9], 0
	s_waitcnt lgkmcnt(0)
	s_barrier
	buffer_gl0_inv
	s_cbranch_scc1 .LBB110_251
; %bb.237:                              ;   in Loop: Header=BB110_24 Depth=1
	s_add_u32 s18, s83, s8
	s_addc_u32 s5, s84, s9
	s_mov_b32 s4, s67
	s_delay_alu instid0(SALU_CYCLE_1)
	s_cmp_lg_u64 s[4:5], 0
	s_cbranch_scc0 .LBB110_287
; %bb.238:                              ;   in Loop: Header=BB110_24 Depth=1
	v_cvt_f32_u32_e32 v2, s35
	s_sub_u32 s66, 0, s35
	s_subb_u32 s68, 0, 0
	s_delay_alu instid0(VALU_DEP_1) | instskip(NEXT) | instid1(VALU_DEP_1)
	v_fmac_f32_e64 v2, 0, 0x4f800000
	v_rcp_f32_e32 v2, v2
	s_waitcnt_depctr 0xfff
	v_mul_f32_e32 v2, 0x5f7ffffc, v2
	s_delay_alu instid0(VALU_DEP_1) | instskip(NEXT) | instid1(VALU_DEP_1)
	v_mul_f32_e32 v3, 0x2f800000, v2
	v_trunc_f32_e32 v3, v3
	s_delay_alu instid0(VALU_DEP_1) | instskip(SKIP_1) | instid1(VALU_DEP_2)
	v_fmac_f32_e32 v2, 0xcf800000, v3
	v_cvt_u32_f32_e32 v3, v3
	v_cvt_u32_f32_e32 v2, v2
	s_delay_alu instid0(VALU_DEP_2) | instskip(NEXT) | instid1(VALU_DEP_2)
	v_readfirstlane_b32 s4, v3
	v_readfirstlane_b32 s23, v2
	s_delay_alu instid0(VALU_DEP_2) | instskip(NEXT) | instid1(VALU_DEP_1)
	s_mul_i32 s72, s66, s4
	s_mul_hi_u32 s74, s66, s23
	s_mul_i32 s73, s68, s23
	s_add_i32 s72, s74, s72
	s_mul_i32 s75, s66, s23
	s_add_i32 s72, s72, s73
	s_mul_hi_u32 s74, s23, s75
	s_mul_hi_u32 s76, s4, s75
	s_mul_i32 s73, s4, s75
	s_mul_hi_u32 s75, s23, s72
	s_mul_i32 s23, s23, s72
	s_mul_hi_u32 s77, s4, s72
	s_add_u32 s23, s74, s23
	s_addc_u32 s74, 0, s75
	s_add_u32 s23, s23, s73
	s_mul_i32 s72, s4, s72
	s_addc_u32 s23, s74, s76
	s_addc_u32 s73, s77, 0
	s_add_u32 s23, s23, s72
	s_addc_u32 s72, 0, s73
	v_add_co_u32 v2, s23, v2, s23
	s_delay_alu instid0(VALU_DEP_1) | instskip(SKIP_1) | instid1(VALU_DEP_1)
	s_cmp_lg_u32 s23, 0
	s_addc_u32 s4, s4, s72
	v_readfirstlane_b32 s23, v2
	s_mul_i32 s72, s66, s4
	s_delay_alu instid0(VALU_DEP_1)
	s_mul_hi_u32 s73, s66, s23
	s_mul_i32 s68, s68, s23
	s_add_i32 s72, s73, s72
	s_mul_i32 s66, s66, s23
	s_add_i32 s72, s72, s68
	s_mul_hi_u32 s73, s4, s66
	s_mul_i32 s74, s4, s66
	s_mul_hi_u32 s66, s23, s66
	s_mul_hi_u32 s75, s23, s72
	s_mul_i32 s23, s23, s72
	s_mul_hi_u32 s68, s4, s72
	s_add_u32 s23, s66, s23
	s_addc_u32 s66, 0, s75
	s_add_u32 s23, s23, s74
	s_mul_i32 s72, s4, s72
	s_addc_u32 s23, s66, s73
	s_addc_u32 s66, s68, 0
	s_add_u32 s23, s23, s72
	s_addc_u32 s66, 0, s66
	v_add_co_u32 v2, s23, v2, s23
	s_delay_alu instid0(VALU_DEP_1) | instskip(SKIP_1) | instid1(VALU_DEP_1)
	s_cmp_lg_u32 s23, 0
	s_addc_u32 s4, s4, s66
	v_readfirstlane_b32 s23, v2
	s_mul_i32 s68, s18, s4
	s_mul_hi_u32 s66, s18, s4
	s_mul_hi_u32 s72, s5, s4
	s_mul_i32 s4, s5, s4
	s_mul_hi_u32 s73, s18, s23
	s_mul_hi_u32 s74, s5, s23
	s_mul_i32 s23, s5, s23
	s_add_u32 s68, s73, s68
	s_addc_u32 s66, 0, s66
	s_add_u32 s23, s68, s23
	s_addc_u32 s23, s66, s74
	s_addc_u32 s66, s72, 0
	s_add_u32 s4, s23, s4
	s_addc_u32 s23, 0, s66
	s_mul_hi_u32 s66, s35, s4
	s_mul_i32 s4, s35, s4
	s_mul_i32 s23, s35, s23
	v_sub_co_u32 v2, s4, s18, s4
	s_add_i32 s66, s66, s23
	s_cmp_lg_u32 s4, 0
	s_delay_alu instid0(VALU_DEP_1) | instskip(SKIP_2) | instid1(VALU_DEP_1)
	v_sub_co_u32 v3, s4, v2, s35
	s_subb_u32 s23, s5, s66
	s_cmp_lg_u32 s4, 0
	v_cmp_le_u32_e32 vcc_lo, s35, v3
	v_sub_co_u32 v4, s4, v3, s35
	s_subb_u32 s66, s23, 0
	s_cmp_lg_u32 s4, 0
	v_cndmask_b32_e64 v5, 0, -1, vcc_lo
	s_subb_u32 s4, s66, 0
	s_cmp_eq_u32 s66, 0
	v_mov_b32_e32 v7, s4
	s_cselect_b32 vcc_lo, -1, 0
	s_cmp_eq_u32 s23, 0
	v_cndmask_b32_e32 v5, -1, v5, vcc_lo
	v_cmp_le_u32_e32 vcc_lo, s35, v2
	s_cselect_b32 s4, -1, 0
	v_cndmask_b32_e64 v6, 0, -1, vcc_lo
	s_delay_alu instid0(VALU_DEP_3) | instskip(NEXT) | instid1(VALU_DEP_2)
	v_cmp_ne_u32_e32 vcc_lo, 0, v5
	v_cndmask_b32_e64 v5, -1, v6, s4
	v_cndmask_b32_e32 v6, s66, v7, vcc_lo
	v_cndmask_b32_e32 v4, v3, v4, vcc_lo
	s_delay_alu instid0(VALU_DEP_3) | instskip(NEXT) | instid1(VALU_DEP_3)
	v_cmp_ne_u32_e32 vcc_lo, 0, v5
	v_cndmask_b32_e32 v3, s23, v6, vcc_lo
	s_delay_alu instid0(VALU_DEP_3)
	v_cndmask_b32_e32 v2, v2, v4, vcc_lo
	s_cbranch_execnz .LBB110_240
.LBB110_239:                            ;   in Loop: Header=BB110_24 Depth=1
	v_cvt_f32_u32_e32 v2, s35
	s_sub_i32 s4, 0, s35
	s_delay_alu instid0(VALU_DEP_1) | instskip(SKIP_2) | instid1(VALU_DEP_1)
	v_rcp_iflag_f32_e32 v2, v2
	s_waitcnt_depctr 0xfff
	v_mul_f32_e32 v2, 0x4f7ffffe, v2
	v_cvt_u32_f32_e32 v2, v2
	s_delay_alu instid0(VALU_DEP_1) | instskip(NEXT) | instid1(VALU_DEP_1)
	v_mul_lo_u32 v3, s4, v2
	v_mul_hi_u32 v3, v2, v3
	s_delay_alu instid0(VALU_DEP_1) | instskip(NEXT) | instid1(VALU_DEP_1)
	v_add_nc_u32_e32 v2, v2, v3
	v_mul_hi_u32 v2, s18, v2
	s_delay_alu instid0(VALU_DEP_1) | instskip(NEXT) | instid1(VALU_DEP_1)
	v_mul_lo_u32 v2, v2, s35
	v_sub_nc_u32_e32 v2, s18, v2
	s_delay_alu instid0(VALU_DEP_1) | instskip(SKIP_1) | instid1(VALU_DEP_2)
	v_subrev_nc_u32_e32 v3, s35, v2
	v_cmp_le_u32_e32 vcc_lo, s35, v2
	v_cndmask_b32_e32 v2, v2, v3, vcc_lo
	s_delay_alu instid0(VALU_DEP_1) | instskip(SKIP_1) | instid1(VALU_DEP_2)
	v_subrev_nc_u32_e32 v3, s35, v2
	v_cmp_le_u32_e32 vcc_lo, s35, v2
	v_cndmask_b32_e32 v10, v2, v3, vcc_lo
	s_delay_alu instid0(VALU_DEP_1)
	v_dual_mov_b32 v2, v10 :: v_dual_mov_b32 v3, v11
.LBB110_240:                            ;   in Loop: Header=BB110_24 Depth=1
	s_delay_alu instid0(VALU_DEP_1) | instskip(NEXT) | instid1(VALU_DEP_2)
	v_sub_co_u32 v2, vcc_lo, s18, v2
	v_sub_co_ci_u32_e32 v3, vcc_lo, s5, v3, vcc_lo
	s_mov_b32 s23, 0
	s_mov_b32 s5, exec_lo
                                        ; implicit-def: $vgpr27
	s_delay_alu instid0(VALU_DEP_1)
	v_cmpx_gt_u64_e64 v[2:3], v[0:1]
	s_cbranch_execz .LBB110_253
; %bb.241:                              ;   in Loop: Header=BB110_24 Depth=1
	v_mov_b32_e32 v6, v21
	v_dual_mov_b32 v5, v1 :: v_dual_mov_b32 v4, v0
	s_mov_b32 s18, 0
                                        ; implicit-def: $sgpr23
	s_set_inst_prefetch_distance 0x1
	s_branch .LBB110_243
	.p2align	6
.LBB110_242:                            ;   in Loop: Header=BB110_243 Depth=2
	s_or_b32 exec_lo, exec_lo, s4
	s_waitcnt lgkmcnt(0)
	s_barrier
	buffer_gl0_inv
	ds_load_b32 v7, v11 offset:3072
	v_add_co_u32 v4, vcc_lo, v4, s35
	v_add_co_ci_u32_e32 v5, vcc_lo, 0, v5, vcc_lo
	v_add_nc_u32_e32 v6, s91, v6
	s_waitcnt lgkmcnt(0)
	s_barrier
	s_delay_alu instid0(VALU_DEP_2) | instskip(SKIP_2) | instid1(VALU_DEP_1)
	v_cmp_ge_u64_e32 vcc_lo, v[4:5], v[2:3]
	buffer_gl0_inv
	v_cmp_ne_u16_e64 s4, 0, v7
	s_or_b32 s66, vcc_lo, s4
	s_delay_alu instid0(SALU_CYCLE_1) | instskip(NEXT) | instid1(SALU_CYCLE_1)
	s_and_b32 s66, exec_lo, s66
	s_or_b32 s18, s66, s18
	s_and_not1_b32 s23, s23, exec_lo
	s_and_b32 s4, s4, exec_lo
	s_delay_alu instid0(SALU_CYCLE_1)
	s_or_b32 s23, s23, s4
	s_and_not1_b32 exec_lo, exec_lo, s18
	s_cbranch_execz .LBB110_252
.LBB110_243:                            ;   Parent Loop BB110_24 Depth=1
                                        ; =>  This Inner Loop Header: Depth=2
	s_delay_alu instid0(VALU_DEP_1)
	v_cmp_gt_u64_e32 vcc_lo, s[8:9], v[4:5]
	v_mov_b32_e32 v7, 0
	s_and_saveexec_b32 s4, vcc_lo
	s_cbranch_execz .LBB110_245
; %bb.244:                              ;   in Loop: Header=BB110_243 Depth=2
	ds_load_u16 v7, v6
.LBB110_245:                            ;   in Loop: Header=BB110_243 Depth=2
	s_or_b32 exec_lo, exec_lo, s4
	s_and_saveexec_b32 s4, vcc_lo
	s_cbranch_execz .LBB110_242
; %bb.246:                              ;   in Loop: Header=BB110_243 Depth=2
	s_waitcnt lgkmcnt(0)
	v_bfe_i32 v8, v7, 0, 16
	s_delay_alu instid0(VALU_DEP_1) | instskip(NEXT) | instid1(VALU_DEP_1)
	v_add_nc_u32_e32 v8, 0x8000, v8
	v_and_b32_e32 v8, s102, v8
	s_delay_alu instid0(VALU_DEP_1)
	v_cmp_eq_u32_e32 vcc_lo, s101, v8
	s_and_b32 exec_lo, exec_lo, vcc_lo
	s_cbranch_execz .LBB110_242
; %bb.247:                              ;   in Loop: Header=BB110_243 Depth=2
	v_perm_b32 v7, v7, 1, 0x5040100
	ds_store_b32 v11, v7 offset:3072
	s_branch .LBB110_242
.LBB110_248:                            ;   in Loop: Header=BB110_24 Depth=1
                                        ; implicit-def: $sgpr8
                                        ; implicit-def: $sgpr18
                                        ; implicit-def: $sgpr9
	s_branch .LBB110_267
.LBB110_249:                            ;   in Loop: Header=BB110_24 Depth=1
                                        ; implicit-def: $vgpr2_vgpr3
	s_branch .LBB110_192
.LBB110_250:                            ;   in Loop: Header=BB110_24 Depth=1
                                        ; implicit-def: $vgpr2_vgpr3
	s_branch .LBB110_209
.LBB110_251:                            ;   in Loop: Header=BB110_24 Depth=1
	s_mov_b32 s8, -1
	s_mov_b32 s23, 0
                                        ; implicit-def: $sgpr9
                                        ; implicit-def: $vgpr27
	s_mov_b32 s18, s8
	s_cbranch_execnz .LBB110_254
	s_branch .LBB110_267
.LBB110_252:                            ;   in Loop: Header=BB110_24 Depth=1
	s_set_inst_prefetch_distance 0x2
	s_or_b32 exec_lo, exec_lo, s18
	v_lshrrev_b32_e32 v27, 16, v7
	s_and_b32 s23, s23, exec_lo
.LBB110_253:                            ;   in Loop: Header=BB110_24 Depth=1
	s_or_b32 exec_lo, exec_lo, s5
	s_mov_b32 s9, -1
	s_mov_b32 s8, 0
	s_delay_alu instid0(SALU_CYCLE_1)
	s_mov_b32 s18, s8
	s_branch .LBB110_267
.LBB110_254:                            ;   in Loop: Header=BB110_24 Depth=1
	s_mov_b32 s68, s67
	s_delay_alu instid0(SALU_CYCLE_1)
	s_cmp_lg_u64 s[68:69], 0
	s_cbranch_scc0 .LBB110_288
; %bb.255:                              ;   in Loop: Header=BB110_24 Depth=1
	v_cvt_f32_u32_e32 v2, s35
	s_sub_u32 s8, 0, s35
	s_subb_u32 s9, 0, 0
	s_delay_alu instid0(VALU_DEP_1) | instskip(NEXT) | instid1(VALU_DEP_1)
	v_fmac_f32_e64 v2, 0, 0x4f800000
	v_rcp_f32_e32 v2, v2
	s_waitcnt_depctr 0xfff
	v_mul_f32_e32 v2, 0x5f7ffffc, v2
	s_delay_alu instid0(VALU_DEP_1) | instskip(NEXT) | instid1(VALU_DEP_1)
	v_mul_f32_e32 v3, 0x2f800000, v2
	v_trunc_f32_e32 v3, v3
	s_delay_alu instid0(VALU_DEP_1) | instskip(SKIP_1) | instid1(VALU_DEP_2)
	v_fmac_f32_e32 v2, 0xcf800000, v3
	v_cvt_u32_f32_e32 v3, v3
	v_cvt_u32_f32_e32 v2, v2
	s_delay_alu instid0(VALU_DEP_2) | instskip(NEXT) | instid1(VALU_DEP_2)
	v_readfirstlane_b32 s4, v3
	v_readfirstlane_b32 s5, v2
	s_delay_alu instid0(VALU_DEP_2) | instskip(NEXT) | instid1(VALU_DEP_1)
	s_mul_i32 s18, s8, s4
	s_mul_hi_u32 s66, s8, s5
	s_mul_i32 s23, s9, s5
	s_add_i32 s18, s66, s18
	s_mul_i32 s68, s8, s5
	s_add_i32 s18, s18, s23
	s_mul_hi_u32 s66, s5, s68
	s_mul_hi_u32 s72, s4, s68
	s_mul_i32 s23, s4, s68
	s_mul_hi_u32 s68, s5, s18
	s_mul_i32 s5, s5, s18
	s_mul_hi_u32 s73, s4, s18
	s_add_u32 s5, s66, s5
	s_addc_u32 s66, 0, s68
	s_add_u32 s5, s5, s23
	s_mul_i32 s18, s4, s18
	s_addc_u32 s5, s66, s72
	s_addc_u32 s23, s73, 0
	s_add_u32 s5, s5, s18
	s_addc_u32 s18, 0, s23
	v_add_co_u32 v2, s5, v2, s5
	s_delay_alu instid0(VALU_DEP_1) | instskip(SKIP_1) | instid1(VALU_DEP_1)
	s_cmp_lg_u32 s5, 0
	s_addc_u32 s4, s4, s18
	v_readfirstlane_b32 s5, v2
	s_mul_i32 s18, s8, s4
	s_delay_alu instid0(VALU_DEP_1)
	s_mul_hi_u32 s23, s8, s5
	s_mul_i32 s9, s9, s5
	s_add_i32 s18, s23, s18
	s_mul_i32 s8, s8, s5
	s_add_i32 s18, s18, s9
	s_mul_hi_u32 s23, s4, s8
	s_mul_i32 s66, s4, s8
	s_mul_hi_u32 s8, s5, s8
	s_mul_hi_u32 s68, s5, s18
	s_mul_i32 s5, s5, s18
	s_mul_hi_u32 s9, s4, s18
	s_add_u32 s5, s8, s5
	s_addc_u32 s8, 0, s68
	s_add_u32 s5, s5, s66
	s_mul_i32 s18, s4, s18
	s_addc_u32 s5, s8, s23
	s_addc_u32 s8, s9, 0
	s_add_u32 s5, s5, s18
	s_addc_u32 s8, 0, s8
	v_add_co_u32 v2, s5, v2, s5
	s_delay_alu instid0(VALU_DEP_1) | instskip(SKIP_1) | instid1(VALU_DEP_1)
	s_cmp_lg_u32 s5, 0
	s_addc_u32 s4, s4, s8
	v_readfirstlane_b32 s5, v2
	s_mul_i32 s9, s85, s4
	s_mul_hi_u32 s8, s85, s4
	s_mul_hi_u32 s18, s69, s4
	s_mul_i32 s4, s69, s4
	s_mul_hi_u32 s23, s85, s5
	s_mul_hi_u32 s66, s69, s5
	s_mul_i32 s5, s69, s5
	s_add_u32 s9, s23, s9
	s_addc_u32 s8, 0, s8
	s_add_u32 s5, s9, s5
	s_addc_u32 s5, s8, s66
	s_addc_u32 s8, s18, 0
	s_add_u32 s4, s5, s4
	s_addc_u32 s5, 0, s8
	s_mul_hi_u32 s8, s35, s4
	s_mul_i32 s4, s35, s4
	s_mul_i32 s5, s35, s5
	v_sub_co_u32 v2, s4, s85, s4
	s_add_i32 s8, s8, s5
	s_cmp_lg_u32 s4, 0
	s_delay_alu instid0(VALU_DEP_1) | instskip(SKIP_2) | instid1(VALU_DEP_1)
	v_sub_co_u32 v3, s4, v2, s35
	s_subb_u32 s5, s69, s8
	s_cmp_lg_u32 s4, 0
	v_cmp_le_u32_e32 vcc_lo, s35, v3
	v_sub_co_u32 v4, s4, v3, s35
	s_subb_u32 s8, s5, 0
	s_cmp_lg_u32 s4, 0
	v_cndmask_b32_e64 v5, 0, -1, vcc_lo
	s_subb_u32 s4, s8, 0
	s_cmp_eq_u32 s8, 0
	v_mov_b32_e32 v7, s4
	s_cselect_b32 vcc_lo, -1, 0
	s_cmp_eq_u32 s5, 0
	v_cndmask_b32_e32 v5, -1, v5, vcc_lo
	v_cmp_le_u32_e32 vcc_lo, s35, v2
	s_cselect_b32 s4, -1, 0
	v_cndmask_b32_e64 v6, 0, -1, vcc_lo
	s_delay_alu instid0(VALU_DEP_3) | instskip(NEXT) | instid1(VALU_DEP_2)
	v_cmp_ne_u32_e32 vcc_lo, 0, v5
	v_cndmask_b32_e64 v5, -1, v6, s4
	v_cndmask_b32_e32 v6, s8, v7, vcc_lo
	v_cndmask_b32_e32 v4, v3, v4, vcc_lo
	s_delay_alu instid0(VALU_DEP_3) | instskip(NEXT) | instid1(VALU_DEP_3)
	v_cmp_ne_u32_e32 vcc_lo, 0, v5
	v_cndmask_b32_e32 v3, s5, v6, vcc_lo
	s_delay_alu instid0(VALU_DEP_3)
	v_cndmask_b32_e32 v2, v2, v4, vcc_lo
	s_cbranch_execnz .LBB110_257
.LBB110_256:                            ;   in Loop: Header=BB110_24 Depth=1
	v_cvt_f32_u32_e32 v2, s35
	s_sub_i32 s4, 0, s35
	s_delay_alu instid0(VALU_DEP_1) | instskip(SKIP_2) | instid1(VALU_DEP_1)
	v_rcp_iflag_f32_e32 v2, v2
	s_waitcnt_depctr 0xfff
	v_mul_f32_e32 v2, 0x4f7ffffe, v2
	v_cvt_u32_f32_e32 v2, v2
	s_delay_alu instid0(VALU_DEP_1) | instskip(NEXT) | instid1(VALU_DEP_1)
	v_mul_lo_u32 v3, s4, v2
	v_mul_hi_u32 v3, v2, v3
	s_delay_alu instid0(VALU_DEP_1) | instskip(NEXT) | instid1(VALU_DEP_1)
	v_add_nc_u32_e32 v2, v2, v3
	v_mul_hi_u32 v2, s85, v2
	s_delay_alu instid0(VALU_DEP_1) | instskip(NEXT) | instid1(VALU_DEP_1)
	v_mul_lo_u32 v2, v2, s35
	v_sub_nc_u32_e32 v2, s85, v2
	s_delay_alu instid0(VALU_DEP_1) | instskip(SKIP_1) | instid1(VALU_DEP_2)
	v_subrev_nc_u32_e32 v3, s35, v2
	v_cmp_le_u32_e32 vcc_lo, s35, v2
	v_cndmask_b32_e32 v2, v2, v3, vcc_lo
	s_delay_alu instid0(VALU_DEP_1) | instskip(SKIP_1) | instid1(VALU_DEP_2)
	v_subrev_nc_u32_e32 v3, s35, v2
	v_cmp_le_u32_e32 vcc_lo, s35, v2
	v_cndmask_b32_e32 v10, v2, v3, vcc_lo
	s_delay_alu instid0(VALU_DEP_1)
	v_dual_mov_b32 v2, v10 :: v_dual_mov_b32 v3, v11
.LBB110_257:                            ;   in Loop: Header=BB110_24 Depth=1
	s_delay_alu instid0(VALU_DEP_1) | instskip(NEXT) | instid1(VALU_DEP_2)
	v_sub_co_u32 v2, vcc_lo, s85, v2
	v_sub_co_ci_u32_e32 v3, vcc_lo, s69, v3, vcc_lo
	s_mov_b32 s23, 0
	s_mov_b32 s5, exec_lo
                                        ; implicit-def: $vgpr27
	s_delay_alu instid0(VALU_DEP_1)
	v_cmpx_gt_u64_e64 v[2:3], v[0:1]
	s_cbranch_execz .LBB110_266
; %bb.258:                              ;   in Loop: Header=BB110_24 Depth=1
	v_dual_mov_b32 v5, v1 :: v_dual_mov_b32 v4, v0
	s_mov_b32 s8, 0
                                        ; implicit-def: $sgpr9
	s_branch .LBB110_260
.LBB110_259:                            ;   in Loop: Header=BB110_260 Depth=2
	s_or_b32 exec_lo, exec_lo, s4
	s_waitcnt vmcnt(0) lgkmcnt(0)
	s_barrier
	buffer_gl0_inv
	ds_load_b32 v6, v11 offset:3072
	v_add_co_u32 v4, vcc_lo, v4, s35
	v_add_co_ci_u32_e32 v5, vcc_lo, 0, v5, vcc_lo
	s_waitcnt lgkmcnt(0)
	s_barrier
	buffer_gl0_inv
	v_cmp_ge_u64_e32 vcc_lo, v[4:5], v[2:3]
	v_cmp_ne_u16_e64 s4, 0, v6
	s_delay_alu instid0(VALU_DEP_1) | instskip(NEXT) | instid1(SALU_CYCLE_1)
	s_or_b32 s18, vcc_lo, s4
	s_and_b32 s18, exec_lo, s18
	s_delay_alu instid0(SALU_CYCLE_1) | instskip(SKIP_2) | instid1(SALU_CYCLE_1)
	s_or_b32 s8, s18, s8
	s_and_not1_b32 s9, s9, exec_lo
	s_and_b32 s4, s4, exec_lo
	s_or_b32 s9, s9, s4
	s_and_not1_b32 exec_lo, exec_lo, s8
	s_cbranch_execz .LBB110_265
.LBB110_260:                            ;   Parent Loop BB110_24 Depth=1
                                        ; =>  This Inner Loop Header: Depth=2
	s_delay_alu instid0(VALU_DEP_1)
	v_cmp_gt_u64_e32 vcc_lo, s[24:25], v[4:5]
	v_mov_b32_e32 v6, 0
	s_and_saveexec_b32 s18, vcc_lo
	s_cbranch_execz .LBB110_262
; %bb.261:                              ;   in Loop: Header=BB110_260 Depth=2
	v_mul_lo_u32 v8, v5, s54
	v_mul_lo_u32 v9, v4, s55
	v_mad_u64_u32 v[6:7], null, v4, s54, 0
	s_delay_alu instid0(VALU_DEP_1) | instskip(NEXT) | instid1(VALU_DEP_1)
	v_add3_u32 v7, v7, v9, v8
	v_lshlrev_b64 v[6:7], 1, v[6:7]
	s_delay_alu instid0(VALU_DEP_1) | instskip(NEXT) | instid1(VALU_DEP_1)
	v_add_co_u32 v6, s4, s27, v6
	v_add_co_ci_u32_e64 v7, s4, s33, v7, s4
	global_load_u16 v6, v[6:7], off
.LBB110_262:                            ;   in Loop: Header=BB110_260 Depth=2
	s_or_b32 exec_lo, exec_lo, s18
	s_and_saveexec_b32 s4, vcc_lo
	s_cbranch_execz .LBB110_259
; %bb.263:                              ;   in Loop: Header=BB110_260 Depth=2
	s_waitcnt vmcnt(0)
	v_bfe_i32 v7, v6, 0, 16
	s_delay_alu instid0(VALU_DEP_1) | instskip(NEXT) | instid1(VALU_DEP_1)
	v_add_nc_u32_e32 v7, 0x8000, v7
	v_and_b32_e32 v7, s102, v7
	s_delay_alu instid0(VALU_DEP_1)
	v_cmp_eq_u32_e32 vcc_lo, s101, v7
	s_and_b32 exec_lo, exec_lo, vcc_lo
	s_cbranch_execz .LBB110_259
; %bb.264:                              ;   in Loop: Header=BB110_260 Depth=2
	v_perm_b32 v6, v6, 1, 0x5040100
	ds_store_b32 v11, v6 offset:3072
	s_branch .LBB110_259
.LBB110_265:                            ;   in Loop: Header=BB110_24 Depth=1
	s_or_b32 exec_lo, exec_lo, s8
	v_lshrrev_b32_e32 v27, 16, v6
	s_and_b32 s23, s9, exec_lo
.LBB110_266:                            ;   in Loop: Header=BB110_24 Depth=1
	s_or_b32 exec_lo, exec_lo, s5
	s_mov_b32 s18, -1
	s_mov_b32 s8, 0
	s_mov_b32 s9, 0
.LBB110_267:                            ;   in Loop: Header=BB110_24 Depth=1
	s_mov_b32 s72, 0
                                        ; implicit-def: $sgpr66
                                        ; implicit-def: $sgpr4_sgpr5
	s_and_saveexec_b32 s68, s23
	s_cbranch_execz .LBB110_280
; %bb.268:                              ;   in Loop: Header=BB110_24 Depth=1
	s_xor_b32 s17, s17, -1
	s_mov_b64 s[4:5], 1
	s_and_not1_b32 vcc_lo, exec_lo, s17
	s_mov_b32 s66, 1
	s_cbranch_vccnz .LBB110_279
; %bb.269:                              ;   in Loop: Header=BB110_24 Depth=1
	v_cmp_gt_u64_e64 s4, s[64:65], s[6:7]
	s_delay_alu instid0(VALU_DEP_1)
	s_and_b32 vcc_lo, exec_lo, s4
	s_cbranch_vccnz .LBB110_275
; %bb.270:                              ;   in Loop: Header=BB110_24 Depth=1
	ds_load_b64 v[2:3], v11 offset:5120
	s_waitcnt lgkmcnt(0)
	v_cmp_ne_u64_e32 vcc_lo, 0, v[2:3]
	s_cbranch_vccnz .LBB110_274
; %bb.271:                              ;   in Loop: Header=BB110_24 Depth=1
	s_and_saveexec_b32 s4, s2
	s_cbranch_execz .LBB110_273
; %bb.272:                              ;   in Loop: Header=BB110_24 Depth=1
	v_dual_mov_b32 v2, s6 :: v_dual_mov_b32 v3, s7
	ds_store_b64 v11, v[2:3] offset:5128
.LBB110_273:                            ;   in Loop: Header=BB110_24 Depth=1
	s_or_b32 exec_lo, exec_lo, s4
	s_waitcnt lgkmcnt(0)
	s_barrier
	buffer_gl0_inv
.LBB110_274:                            ;   in Loop: Header=BB110_24 Depth=1
	s_or_b32 s17, s101, s16
	s_or_b32 s16, s102, s16
	s_mov_b32 s4, 0
	s_mov_b32 s66, 8
	s_branch .LBB110_276
.LBB110_275:                            ;   in Loop: Header=BB110_24 Depth=1
	s_mov_b32 s4, -1
                                        ; implicit-def: $sgpr66
                                        ; implicit-def: $sgpr17
                                        ; implicit-def: $sgpr16
.LBB110_276:                            ;   in Loop: Header=BB110_24 Depth=1
	s_delay_alu instid0(SALU_CYCLE_1)
	s_and_not1_b32 vcc_lo, exec_lo, s4
	s_cbranch_vccnz .LBB110_278
; %bb.277:                              ;   in Loop: Header=BB110_24 Depth=1
	s_sub_u32 s64, s64, s6
	s_subb_u32 s65, s65, s7
	s_mov_b32 s66, 8
	s_mov_b32 s17, s101
	;; [unrolled: 1-line block ×3, first 2 shown]
.LBB110_278:                            ;   in Loop: Header=BB110_24 Depth=1
	s_mov_b64 s[4:5], s[64:65]
	s_mov_b32 s101, s17
	s_mov_b32 s102, s16
.LBB110_279:                            ;   in Loop: Header=BB110_24 Depth=1
	s_mov_b32 s72, exec_lo
.LBB110_280:                            ;   in Loop: Header=BB110_24 Depth=1
	s_or_b32 exec_lo, exec_lo, s68
	s_mov_b64 s[64:65], s[4:5]
.LBB110_281:                            ;   in Loop: Header=BB110_24 Depth=1
	s_and_not1_b32 s4, s10, exec_lo
	s_and_b32 s5, s8, exec_lo
	s_and_not1_b32 s6, s11, exec_lo
	s_or_b32 s10, s4, s5
	s_and_not1_b32 s4, s21, exec_lo
	s_and_b32 s5, s18, exec_lo
	s_and_b32 s7, s9, exec_lo
	s_or_b32 s21, s4, s5
	s_or_b32 s11, s6, s7
	s_and_b32 s5, s72, exec_lo
.LBB110_282:                            ;   in Loop: Header=BB110_24 Depth=1
	s_or_b32 exec_lo, exec_lo, s22
.LBB110_283:                            ;   in Loop: Header=BB110_24 Depth=1
	s_delay_alu instid0(SALU_CYCLE_1)
	s_and_not1_b32 s4, s13, exec_lo
	s_and_b32 s6, s10, exec_lo
	s_and_not1_b32 s7, s12, exec_lo
	s_or_b32 s13, s4, s6
	s_and_not1_b32 s4, s19, exec_lo
	s_and_b32 s6, s21, exec_lo
	s_and_b32 s8, s11, exec_lo
	s_or_b32 s19, s4, s6
	s_or_b32 s12, s7, s8
	s_and_b32 s5, s5, exec_lo
.LBB110_284:                            ;   in Loop: Header=BB110_24 Depth=1
	s_or_b32 exec_lo, exec_lo, s20
	s_and_saveexec_b32 s4, s5
	s_delay_alu instid0(SALU_CYCLE_1)
	s_xor_b32 s4, exec_lo, s4
	s_cbranch_execz .LBB110_22
.LBB110_285:                            ;   in Loop: Header=BB110_24 Depth=1
	s_and_b32 s5, s66, -9
	s_delay_alu instid0(SALU_CYCLE_1)
	s_cmp_eq_u32 s5, 0
	s_cbranch_scc1 .LBB110_20
; %bb.286:                              ;   in Loop: Header=BB110_24 Depth=1
	s_mov_b32 s5, -1
	s_mov_b32 s6, -1
                                        ; implicit-def: $sgpr102
                                        ; implicit-def: $sgpr64_sgpr65
                                        ; implicit-def: $sgpr96
                                        ; implicit-def: $sgpr99
	s_branch .LBB110_21
.LBB110_287:                            ;   in Loop: Header=BB110_24 Depth=1
                                        ; implicit-def: $vgpr2_vgpr3
	s_branch .LBB110_239
.LBB110_288:                            ;   in Loop: Header=BB110_24 Depth=1
                                        ; implicit-def: $vgpr2_vgpr3
	s_branch .LBB110_256
.LBB110_289:
	s_or_b32 exec_lo, exec_lo, s92
	s_xor_b32 s4, s95, -1
	s_xor_b32 s1, s93, -1
	;; [unrolled: 1-line block ×3, first 2 shown]
	s_mov_b32 s2, 0
	s_and_saveexec_b32 s5, s1
	s_delay_alu instid0(SALU_CYCLE_1)
	s_xor_b32 s1, exec_lo, s5
	s_cbranch_execz .LBB110_303
; %bb.290:
	s_and_saveexec_b32 s2, s4
	s_delay_alu instid0(SALU_CYCLE_1)
	s_xor_b32 s2, exec_lo, s2
	s_cbranch_execz .LBB110_301
; %bb.291:
	s_and_saveexec_b32 s4, s3
	s_delay_alu instid0(SALU_CYCLE_1)
	s_xor_b32 s3, exec_lo, s4
; %bb.292:
	v_xor_b32_e32 v27, 0xffff8000, v2
; %bb.293:
	s_or_b32 exec_lo, exec_lo, s3
	s_mul_i32 s3, s50, s37
	s_mul_hi_u32 s4, s50, s36
	s_mul_i32 s5, s50, s36
	s_add_i32 s4, s4, s3
	s_sub_u32 s3, s52, s5
	s_subb_u32 s4, s53, s4
	s_mul_i32 s5, s3, s47
	s_mul_hi_u32 s6, s3, s46
	s_mul_i32 s4, s4, s46
	s_add_i32 s5, s6, s5
	s_mul_i32 s6, s50, s45
	s_mul_hi_u32 s7, s50, s44
	s_add_i32 s5, s5, s4
	s_mul_i32 s4, s3, s46
	s_add_i32 s7, s7, s6
	s_mul_i32 s3, s52, s39
	s_mul_hi_u32 s6, s52, s38
	s_mul_i32 s8, s52, s38
	s_add_i32 s3, s6, s3
	s_sub_u32 s8, s34, s8
	s_subb_u32 s3, 0, s3
	s_mul_i32 s9, s8, s61
	s_mul_hi_u32 s10, s8, s60
	s_mul_i32 s6, s50, s44
	s_add_i32 s9, s10, s9
	s_mul_i32 s3, s3, s60
	s_lshl_b64 s[6:7], s[6:7], 1
	s_add_i32 s9, s9, s3
	s_add_u32 s3, s62, s6
	s_addc_u32 s6, s63, s7
	s_lshl_b64 s[4:5], s[4:5], 1
	s_mul_i32 s8, s8, s60
	s_add_u32 s3, s3, s4
	s_addc_u32 s6, s6, s5
	s_lshl_b64 s[4:5], s[8:9], 1
	v_mov_b32_e32 v2, 0
	s_add_u32 s4, s3, s4
	s_addc_u32 s5, s6, s5
	global_store_b16 v2, v27, s[4:5]
	s_and_saveexec_b32 s3, s0
	s_cbranch_execz .LBB110_300
; %bb.294:
	s_mov_b32 s0, 0
                                        ; implicit-def: $sgpr4
                                        ; implicit-def: $sgpr6
                                        ; implicit-def: $sgpr5
	s_set_inst_prefetch_distance 0x1
	s_branch .LBB110_296
	.p2align	6
.LBB110_295:                            ;   in Loop: Header=BB110_296 Depth=1
	s_or_b32 exec_lo, exec_lo, s7
	s_delay_alu instid0(SALU_CYCLE_1) | instskip(NEXT) | instid1(SALU_CYCLE_1)
	s_and_b32 s7, exec_lo, s6
	s_or_b32 s0, s7, s0
	s_and_not1_b32 s4, s4, exec_lo
	s_and_b32 s7, s5, exec_lo
	s_delay_alu instid0(SALU_CYCLE_1)
	s_or_b32 s4, s4, s7
	s_and_not1_b32 exec_lo, exec_lo, s0
	s_cbranch_execz .LBB110_298
.LBB110_296:                            ; =>This Inner Loop Header: Depth=1
	v_dual_mov_b32 v3, v1 :: v_dual_mov_b32 v2, v0
	s_or_b32 s5, s5, exec_lo
	s_or_b32 s6, s6, exec_lo
	s_delay_alu instid0(VALU_DEP_1) | instskip(NEXT) | instid1(VALU_DEP_2)
	v_mul_lo_u32 v4, v3, s54
	v_mul_lo_u32 v5, v2, s55
	v_mad_u64_u32 v[0:1], null, v2, s54, 0
	s_delay_alu instid0(VALU_DEP_1) | instskip(NEXT) | instid1(VALU_DEP_1)
	v_add3_u32 v1, v1, v5, v4
	v_lshlrev_b64 v[0:1], 1, v[0:1]
	s_delay_alu instid0(VALU_DEP_1) | instskip(NEXT) | instid1(VALU_DEP_2)
	v_add_co_u32 v0, vcc_lo, s27, v0
	v_add_co_ci_u32_e32 v1, vcc_lo, s33, v1, vcc_lo
	global_load_u16 v0, v[0:1], off
	s_waitcnt vmcnt(0)
	v_cmp_ne_u16_e32 vcc_lo, v0, v27
                                        ; implicit-def: $vgpr0_vgpr1
	s_and_saveexec_b32 s7, vcc_lo
	s_cbranch_execz .LBB110_295
; %bb.297:                              ;   in Loop: Header=BB110_296 Depth=1
	v_add_co_u32 v0, vcc_lo, v2, s35
	v_add_co_ci_u32_e32 v1, vcc_lo, 0, v3, vcc_lo
	s_and_not1_b32 s6, s6, exec_lo
	s_and_not1_b32 s5, s5, exec_lo
	s_delay_alu instid0(VALU_DEP_1) | instskip(SKIP_1) | instid1(SALU_CYCLE_1)
	v_cmp_le_u64_e32 vcc_lo, s[24:25], v[0:1]
	s_and_b32 s8, vcc_lo, exec_lo
	s_or_b32 s6, s6, s8
	s_branch .LBB110_295
.LBB110_298:
	s_set_inst_prefetch_distance 0x2
	s_or_b32 exec_lo, exec_lo, s0
	s_and_saveexec_b32 s0, s4
	s_delay_alu instid0(SALU_CYCLE_1)
	s_xor_b32 s0, exec_lo, s0
	s_cbranch_execz .LBB110_300
; %bb.299:
	s_mul_i32 s0, s26, s29
	s_mul_hi_u32 s4, s26, s28
	s_mul_i32 s5, s26, s28
	s_add_i32 s4, s4, s0
	s_sub_u32 s0, s48, s5
	s_subb_u32 s4, s49, s4
	s_mul_i32 s5, s0, s43
	s_mul_hi_u32 s6, s0, s42
	s_mul_i32 s4, s4, s42
	s_add_i32 s5, s6, s5
	s_mul_i32 s6, s26, s41
	s_mul_hi_u32 s7, s26, s40
	s_add_i32 s5, s5, s4
	s_mul_i32 s4, s0, s42
	s_add_i32 s7, s7, s6
	s_mul_i32 s0, s48, s31
	s_mul_hi_u32 s6, s48, s30
	s_mul_i32 s8, s48, s30
	s_add_i32 s0, s6, s0
	s_sub_u32 s8, s34, s8
	s_subb_u32 s0, 0, s0
	s_mul_i32 s9, s8, s57
	s_mul_hi_u32 s10, s8, s56
	s_mul_i32 s6, s26, s40
	s_add_i32 s9, s10, s9
	s_mul_i32 s0, s0, s56
	s_lshl_b64 s[6:7], s[6:7], 3
	s_add_i32 s9, s9, s0
	s_add_u32 s0, s58, s6
	s_addc_u32 s6, s59, s7
	s_lshl_b64 s[4:5], s[4:5], 3
	s_mul_i32 s8, s8, s56
	s_add_u32 s0, s0, s4
	s_addc_u32 s6, s6, s5
	s_lshl_b64 s[4:5], s[8:9], 3
	v_mov_b32_e32 v0, 0
	s_add_u32 s4, s0, s4
	s_addc_u32 s5, s6, s5
	global_store_b64 v0, v[2:3], s[4:5]
.LBB110_300:
	s_or_b32 exec_lo, exec_lo, s3
.LBB110_301:
	s_or_saveexec_b32 s0, s2
	s_mov_b32 s2, 0
	s_xor_b32 exec_lo, exec_lo, s0
	s_cbranch_execnz .LBB110_309
.LBB110_302:
	s_or_b32 exec_lo, exec_lo, s0
	s_delay_alu instid0(SALU_CYCLE_1)
	s_and_b32 s2, s2, exec_lo
.LBB110_303:
	s_and_not1_saveexec_b32 s0, s1
	s_cbranch_execnz .LBB110_307
; %bb.304:
	s_or_b32 exec_lo, exec_lo, s0
	s_and_saveexec_b32 s0, s2
.LBB110_305:
	; divergent unreachable
.LBB110_306:
	s_nop 0
	s_sendmsg sendmsg(MSG_DEALLOC_VGPRS)
	s_endpgm
.LBB110_307:
	s_cbranch_execnz .LBB110_311
; %bb.308:
	s_or_b32 s2, s2, exec_lo
	s_or_b32 exec_lo, exec_lo, s0
	s_and_saveexec_b32 s0, s2
	s_cbranch_execnz .LBB110_305
	s_branch .LBB110_306
.LBB110_309:
	s_cbranch_execnz .LBB110_313
; %bb.310:
	s_mov_b32 s2, exec_lo
	s_branch .LBB110_302
.LBB110_311:
	s_trap 2
	s_sendmsg_rtn_b32 s0, sendmsg(MSG_RTN_GET_DOORBELL)
	s_mov_b32 ttmp2, m0
	s_waitcnt lgkmcnt(0)
	s_and_b32 s0, s0, 0x3ff
	s_delay_alu instid0(SALU_CYCLE_1) | instskip(NEXT) | instid1(SALU_CYCLE_1)
	s_bitset1_b32 s0, 10
	s_mov_b32 m0, s0
	s_sendmsg sendmsg(MSG_INTERRUPT)
	s_mov_b32 m0, ttmp2
.LBB110_312:                            ; =>This Inner Loop Header: Depth=1
	s_sethalt 5
	s_branch .LBB110_312
.LBB110_313:
	s_trap 2
	s_sendmsg_rtn_b32 s0, sendmsg(MSG_RTN_GET_DOORBELL)
	s_mov_b32 ttmp2, m0
	s_waitcnt lgkmcnt(0)
	s_and_b32 s0, s0, 0x3ff
	s_delay_alu instid0(SALU_CYCLE_1) | instskip(NEXT) | instid1(SALU_CYCLE_1)
	s_bitset1_b32 s0, 10
	s_mov_b32 m0, s0
	s_sendmsg sendmsg(MSG_INTERRUPT)
	s_mov_b32 m0, ttmp2
.LBB110_314:                            ; =>This Inner Loop Header: Depth=1
	s_sethalt 5
	s_branch .LBB110_314
	.section	.rodata,"a",@progbits
	.p2align	6, 0x0
	.amdhsa_kernel _ZN2at6native12_GLOBAL__N_112gatherMedianIsmLi3EEEvNS_4cuda6detail10TensorInfoIT_T0_EENS5_IlS7_EENS5_IKS6_S7_EES7_S7_S7_b
		.amdhsa_group_segment_fixed_size 5152
		.amdhsa_private_segment_fixed_size 0
		.amdhsa_kernarg_size 1536
		.amdhsa_user_sgpr_count 13
		.amdhsa_user_sgpr_dispatch_ptr 0
		.amdhsa_user_sgpr_queue_ptr 0
		.amdhsa_user_sgpr_kernarg_segment_ptr 1
		.amdhsa_user_sgpr_dispatch_id 0
		.amdhsa_user_sgpr_private_segment_size 0
		.amdhsa_wavefront_size32 1
		.amdhsa_uses_dynamic_stack 0
		.amdhsa_enable_private_segment 0
		.amdhsa_system_sgpr_workgroup_id_x 1
		.amdhsa_system_sgpr_workgroup_id_y 1
		.amdhsa_system_sgpr_workgroup_id_z 1
		.amdhsa_system_sgpr_workgroup_info 0
		.amdhsa_system_vgpr_workitem_id 0
		.amdhsa_next_free_vgpr 32
		.amdhsa_next_free_sgpr 105
		.amdhsa_reserve_vcc 1
		.amdhsa_float_round_mode_32 0
		.amdhsa_float_round_mode_16_64 0
		.amdhsa_float_denorm_mode_32 3
		.amdhsa_float_denorm_mode_16_64 3
		.amdhsa_dx10_clamp 1
		.amdhsa_ieee_mode 1
		.amdhsa_fp16_overflow 0
		.amdhsa_workgroup_processor_mode 1
		.amdhsa_memory_ordered 1
		.amdhsa_forward_progress 0
		.amdhsa_shared_vgpr_count 0
		.amdhsa_exception_fp_ieee_invalid_op 0
		.amdhsa_exception_fp_denorm_src 0
		.amdhsa_exception_fp_ieee_div_zero 0
		.amdhsa_exception_fp_ieee_overflow 0
		.amdhsa_exception_fp_ieee_underflow 0
		.amdhsa_exception_fp_ieee_inexact 0
		.amdhsa_exception_int_div_zero 0
	.end_amdhsa_kernel
	.section	.text._ZN2at6native12_GLOBAL__N_112gatherMedianIsmLi3EEEvNS_4cuda6detail10TensorInfoIT_T0_EENS5_IlS7_EENS5_IKS6_S7_EES7_S7_S7_b,"axG",@progbits,_ZN2at6native12_GLOBAL__N_112gatherMedianIsmLi3EEEvNS_4cuda6detail10TensorInfoIT_T0_EENS5_IlS7_EENS5_IKS6_S7_EES7_S7_S7_b,comdat
.Lfunc_end110:
	.size	_ZN2at6native12_GLOBAL__N_112gatherMedianIsmLi3EEEvNS_4cuda6detail10TensorInfoIT_T0_EENS5_IlS7_EENS5_IKS6_S7_EES7_S7_S7_b, .Lfunc_end110-_ZN2at6native12_GLOBAL__N_112gatherMedianIsmLi3EEEvNS_4cuda6detail10TensorInfoIT_T0_EENS5_IlS7_EENS5_IKS6_S7_EES7_S7_S7_b
                                        ; -- End function
	.section	.AMDGPU.csdata,"",@progbits
; Kernel info:
; codeLenInByte = 17820
; NumSgprs: 107
; NumVgprs: 32
; ScratchSize: 0
; MemoryBound: 0
; FloatMode: 240
; IeeeMode: 1
; LDSByteSize: 5152 bytes/workgroup (compile time only)
; SGPRBlocks: 13
; VGPRBlocks: 3
; NumSGPRsForWavesPerEU: 107
; NumVGPRsForWavesPerEU: 32
; Occupancy: 16
; WaveLimiterHint : 1
; COMPUTE_PGM_RSRC2:SCRATCH_EN: 0
; COMPUTE_PGM_RSRC2:USER_SGPR: 13
; COMPUTE_PGM_RSRC2:TRAP_HANDLER: 0
; COMPUTE_PGM_RSRC2:TGID_X_EN: 1
; COMPUTE_PGM_RSRC2:TGID_Y_EN: 1
; COMPUTE_PGM_RSRC2:TGID_Z_EN: 1
; COMPUTE_PGM_RSRC2:TIDIG_COMP_CNT: 0
	.section	.text._ZN2at6native12_GLOBAL__N_112gatherMedianIsmLin1EEEvNS_4cuda6detail10TensorInfoIT_T0_EENS5_IlS7_EENS5_IKS6_S7_EES7_S7_S7_b,"axG",@progbits,_ZN2at6native12_GLOBAL__N_112gatherMedianIsmLin1EEEvNS_4cuda6detail10TensorInfoIT_T0_EENS5_IlS7_EENS5_IKS6_S7_EES7_S7_S7_b,comdat
	.globl	_ZN2at6native12_GLOBAL__N_112gatherMedianIsmLin1EEEvNS_4cuda6detail10TensorInfoIT_T0_EENS5_IlS7_EENS5_IKS6_S7_EES7_S7_S7_b ; -- Begin function _ZN2at6native12_GLOBAL__N_112gatherMedianIsmLin1EEEvNS_4cuda6detail10TensorInfoIT_T0_EENS5_IlS7_EENS5_IKS6_S7_EES7_S7_S7_b
	.p2align	8
	.type	_ZN2at6native12_GLOBAL__N_112gatherMedianIsmLin1EEEvNS_4cuda6detail10TensorInfoIT_T0_EENS5_IlS7_EENS5_IKS6_S7_EES7_S7_S7_b,@function
_ZN2at6native12_GLOBAL__N_112gatherMedianIsmLin1EEEvNS_4cuda6detail10TensorInfoIT_T0_EENS5_IlS7_EENS5_IKS6_S7_EES7_S7_S7_b: ; @_ZN2at6native12_GLOBAL__N_112gatherMedianIsmLin1EEEvNS_4cuda6detail10TensorInfoIT_T0_EENS5_IlS7_EENS5_IKS6_S7_EES7_S7_S7_b
; %bb.0:
	s_clause 0x1
	s_load_b64 s[4:5], s[0:1], 0x500
	s_load_b128 s[24:27], s[0:1], 0x4e0
	s_add_u32 s6, s0, 0x500
	s_addc_u32 s7, s1, 0
	s_mov_b32 s3, 0
	s_waitcnt lgkmcnt(0)
	s_mul_i32 s2, s5, s15
	s_delay_alu instid0(SALU_CYCLE_1) | instskip(NEXT) | instid1(SALU_CYCLE_1)
	s_add_i32 s2, s2, s14
	s_mul_i32 s2, s2, s4
	s_delay_alu instid0(SALU_CYCLE_1) | instskip(NEXT) | instid1(SALU_CYCLE_1)
	s_add_i32 s2, s2, s13
	v_cmp_ge_u64_e64 s5, s[2:3], s[26:27]
	s_delay_alu instid0(VALU_DEP_1)
	s_and_b32 vcc_lo, exec_lo, s5
	s_cbranch_vccnz .LBB111_319
; %bb.1:
	s_clause 0x1
	s_load_b32 s5, s[0:1], 0x198
	s_load_b64 s[28:29], s[0:1], 0x4f0
	s_mov_b64 s[26:27], 0
	s_mov_b64 s[34:35], s[2:3]
	s_waitcnt lgkmcnt(0)
	s_cmp_lt_i32 s5, 2
	s_cbranch_scc1 .LBB111_9
; %bb.2:
	s_mov_b32 s8, 0
	s_add_i32 s10, s5, -1
	s_mov_b32 s11, s8
	s_add_i32 s5, s5, 1
	s_lshl_b64 s[10:11], s[10:11], 3
	s_mov_b64 s[14:15], s[2:3]
	s_add_u32 s9, s10, s0
	s_addc_u32 s11, s11, s1
	s_add_u32 s10, s9, 8
	s_addc_u32 s11, s11, 0
.LBB111_3:                              ; =>This Inner Loop Header: Depth=1
	s_load_b64 s[16:17], s[10:11], 0x0
                                        ; implicit-def: $sgpr34_sgpr35
	s_waitcnt lgkmcnt(0)
	s_or_b64 s[18:19], s[14:15], s[16:17]
	s_delay_alu instid0(SALU_CYCLE_1) | instskip(NEXT) | instid1(SALU_CYCLE_1)
	s_mov_b32 s9, s19
	s_cmp_lg_u64 s[8:9], 0
	s_mov_b32 s9, -1
	s_cbranch_scc0 .LBB111_5
; %bb.4:                                ;   in Loop: Header=BB111_3 Depth=1
	v_cvt_f32_u32_e32 v1, s16
	v_cvt_f32_u32_e32 v2, s17
	s_sub_u32 s18, 0, s16
	s_subb_u32 s19, 0, s17
	s_waitcnt_depctr 0xfff
	v_fmac_f32_e32 v1, 0x4f800000, v2
	s_delay_alu instid0(VALU_DEP_1) | instskip(SKIP_2) | instid1(VALU_DEP_1)
	v_rcp_f32_e32 v1, v1
	s_waitcnt_depctr 0xfff
	v_mul_f32_e32 v1, 0x5f7ffffc, v1
	v_mul_f32_e32 v2, 0x2f800000, v1
	s_delay_alu instid0(VALU_DEP_1) | instskip(NEXT) | instid1(VALU_DEP_1)
	v_trunc_f32_e32 v2, v2
	v_fmac_f32_e32 v1, 0xcf800000, v2
	v_cvt_u32_f32_e32 v2, v2
	s_delay_alu instid0(VALU_DEP_2) | instskip(NEXT) | instid1(VALU_DEP_2)
	v_cvt_u32_f32_e32 v1, v1
	v_readfirstlane_b32 s9, v2
	s_delay_alu instid0(VALU_DEP_2) | instskip(NEXT) | instid1(VALU_DEP_2)
	v_readfirstlane_b32 s12, v1
	s_mul_i32 s20, s18, s9
	s_delay_alu instid0(VALU_DEP_1)
	s_mul_hi_u32 s22, s18, s12
	s_mul_i32 s21, s19, s12
	s_add_i32 s20, s22, s20
	s_mul_i32 s23, s18, s12
	s_add_i32 s20, s20, s21
	s_mul_hi_u32 s22, s12, s23
	s_mul_hi_u32 s30, s9, s23
	s_mul_i32 s21, s9, s23
	s_mul_hi_u32 s23, s12, s20
	s_mul_i32 s12, s12, s20
	s_mul_hi_u32 s31, s9, s20
	s_add_u32 s12, s22, s12
	s_addc_u32 s22, 0, s23
	s_add_u32 s12, s12, s21
	s_mul_i32 s20, s9, s20
	s_addc_u32 s12, s22, s30
	s_addc_u32 s21, s31, 0
	s_add_u32 s12, s12, s20
	s_addc_u32 s20, 0, s21
	v_add_co_u32 v1, s12, v1, s12
	s_delay_alu instid0(VALU_DEP_1) | instskip(SKIP_1) | instid1(VALU_DEP_1)
	s_cmp_lg_u32 s12, 0
	s_addc_u32 s9, s9, s20
	v_readfirstlane_b32 s12, v1
	s_mul_i32 s20, s18, s9
	s_delay_alu instid0(VALU_DEP_1)
	s_mul_hi_u32 s21, s18, s12
	s_mul_i32 s19, s19, s12
	s_add_i32 s20, s21, s20
	s_mul_i32 s18, s18, s12
	s_add_i32 s20, s20, s19
	s_mul_hi_u32 s21, s9, s18
	s_mul_i32 s22, s9, s18
	s_mul_hi_u32 s18, s12, s18
	s_mul_hi_u32 s23, s12, s20
	s_mul_i32 s12, s12, s20
	s_mul_hi_u32 s19, s9, s20
	s_add_u32 s12, s18, s12
	s_addc_u32 s18, 0, s23
	s_add_u32 s12, s12, s22
	s_mul_i32 s20, s9, s20
	s_addc_u32 s12, s18, s21
	s_addc_u32 s18, s19, 0
	s_add_u32 s12, s12, s20
	s_addc_u32 s18, 0, s18
	v_add_co_u32 v1, s12, v1, s12
	s_delay_alu instid0(VALU_DEP_1) | instskip(SKIP_1) | instid1(VALU_DEP_1)
	s_cmp_lg_u32 s12, 0
	s_addc_u32 s9, s9, s18
	v_readfirstlane_b32 s12, v1
	s_mul_i32 s19, s14, s9
	s_mul_hi_u32 s18, s14, s9
	s_mul_hi_u32 s20, s15, s9
	s_mul_i32 s9, s15, s9
	s_mul_hi_u32 s21, s14, s12
	s_mul_hi_u32 s22, s15, s12
	s_mul_i32 s12, s15, s12
	s_add_u32 s19, s21, s19
	s_addc_u32 s18, 0, s18
	s_add_u32 s12, s19, s12
	s_addc_u32 s12, s18, s22
	s_addc_u32 s18, s20, 0
	s_add_u32 s12, s12, s9
	s_addc_u32 s18, 0, s18
	s_mul_hi_u32 s9, s16, s12
	s_mul_i32 s20, s16, s18
	s_mul_i32 s21, s16, s12
	s_add_i32 s9, s9, s20
	v_sub_co_u32 v1, s20, s14, s21
	s_mul_i32 s19, s17, s12
	s_delay_alu instid0(SALU_CYCLE_1) | instskip(NEXT) | instid1(VALU_DEP_1)
	s_add_i32 s9, s9, s19
	v_sub_co_u32 v2, s21, v1, s16
	s_sub_i32 s19, s15, s9
	s_cmp_lg_u32 s20, 0
	s_subb_u32 s19, s19, s17
	s_cmp_lg_u32 s21, 0
	v_readfirstlane_b32 s21, v2
	s_subb_u32 s19, s19, 0
	s_delay_alu instid0(SALU_CYCLE_1) | instskip(SKIP_1) | instid1(VALU_DEP_1)
	s_cmp_ge_u32 s19, s17
	s_cselect_b32 s22, -1, 0
	s_cmp_ge_u32 s21, s16
	s_cselect_b32 s21, -1, 0
	s_cmp_eq_u32 s19, s17
	s_cselect_b32 s19, s21, s22
	s_add_u32 s21, s12, 1
	s_addc_u32 s22, s18, 0
	s_add_u32 s23, s12, 2
	s_addc_u32 s30, s18, 0
	s_cmp_lg_u32 s19, 0
	s_cselect_b32 s19, s23, s21
	s_cselect_b32 s21, s30, s22
	s_cmp_lg_u32 s20, 0
	v_readfirstlane_b32 s20, v1
	s_subb_u32 s9, s15, s9
	s_delay_alu instid0(SALU_CYCLE_1) | instskip(SKIP_1) | instid1(VALU_DEP_1)
	s_cmp_ge_u32 s9, s17
	s_cselect_b32 s22, -1, 0
	s_cmp_ge_u32 s20, s16
	s_cselect_b32 s20, -1, 0
	s_cmp_eq_u32 s9, s17
	s_cselect_b32 s9, s20, s22
	s_delay_alu instid0(SALU_CYCLE_1)
	s_cmp_lg_u32 s9, 0
	s_mov_b32 s9, 0
	s_cselect_b32 s35, s21, s18
	s_cselect_b32 s34, s19, s12
.LBB111_5:                              ;   in Loop: Header=BB111_3 Depth=1
	s_and_not1_b32 vcc_lo, exec_lo, s9
	s_cbranch_vccnz .LBB111_7
; %bb.6:                                ;   in Loop: Header=BB111_3 Depth=1
	v_cvt_f32_u32_e32 v1, s16
	s_sub_i32 s12, 0, s16
	s_mov_b32 s35, s8
	s_waitcnt_depctr 0xfff
	v_rcp_iflag_f32_e32 v1, v1
	s_waitcnt_depctr 0xfff
	v_mul_f32_e32 v1, 0x4f7ffffe, v1
	s_delay_alu instid0(VALU_DEP_1) | instskip(NEXT) | instid1(VALU_DEP_1)
	v_cvt_u32_f32_e32 v1, v1
	v_readfirstlane_b32 s9, v1
	s_delay_alu instid0(VALU_DEP_1) | instskip(NEXT) | instid1(SALU_CYCLE_1)
	s_mul_i32 s12, s12, s9
	s_mul_hi_u32 s12, s9, s12
	s_delay_alu instid0(SALU_CYCLE_1) | instskip(NEXT) | instid1(SALU_CYCLE_1)
	s_add_i32 s9, s9, s12
	s_mul_hi_u32 s9, s14, s9
	s_delay_alu instid0(SALU_CYCLE_1) | instskip(SKIP_2) | instid1(SALU_CYCLE_1)
	s_mul_i32 s12, s9, s16
	s_add_i32 s18, s9, 1
	s_sub_i32 s12, s14, s12
	s_sub_i32 s19, s12, s16
	s_cmp_ge_u32 s12, s16
	s_cselect_b32 s9, s18, s9
	s_cselect_b32 s12, s19, s12
	s_add_i32 s18, s9, 1
	s_cmp_ge_u32 s12, s16
	s_cselect_b32 s34, s18, s9
.LBB111_7:                              ;   in Loop: Header=BB111_3 Depth=1
	s_load_b64 s[18:19], s[10:11], 0xc8
	s_mul_i32 s9, s34, s17
	s_mul_hi_u32 s12, s34, s16
	s_mul_i32 s17, s35, s16
	s_add_i32 s9, s12, s9
	s_mul_i32 s12, s34, s16
	s_add_i32 s9, s9, s17
	s_sub_u32 s12, s14, s12
	s_subb_u32 s9, s15, s9
	s_waitcnt lgkmcnt(0)
	s_mul_i32 s9, s18, s9
	s_mul_hi_u32 s14, s18, s12
	s_mul_i32 s15, s19, s12
	s_add_i32 s9, s14, s9
	s_mul_i32 s12, s18, s12
	s_add_i32 s9, s9, s15
	s_add_u32 s26, s12, s26
	s_addc_u32 s27, s9, s27
	s_add_i32 s5, s5, -1
	s_add_u32 s10, s10, -8
	s_addc_u32 s11, s11, -1
	s_cmp_gt_u32 s5, 2
	s_cbranch_scc0 .LBB111_9
; %bb.8:                                ;   in Loop: Header=BB111_3 Depth=1
	s_mov_b64 s[14:15], s[34:35]
	s_branch .LBB111_3
.LBB111_9:
	s_clause 0x1
	s_load_b32 s5, s[0:1], 0x338
	s_load_b64 s[36:37], s[0:1], 0xd0
	s_add_u32 s8, s0, 0x1a0
	s_addc_u32 s9, s1, 0
	s_mov_b64 s[30:31], 0
	s_mov_b64 s[38:39], s[2:3]
	s_waitcnt lgkmcnt(0)
	s_cmp_lt_i32 s5, 2
	s_cbranch_scc1 .LBB111_17
; %bb.10:
	s_mov_b32 s10, 0
	s_add_i32 s14, s5, -1
	s_mov_b32 s15, s10
	s_add_i32 s5, s5, 1
	s_lshl_b64 s[14:15], s[14:15], 3
	s_mov_b64 s[16:17], s[2:3]
	s_add_u32 s11, s14, s8
	s_addc_u32 s12, s15, s9
	s_add_u32 s14, s11, 8
	s_addc_u32 s15, s12, 0
.LBB111_11:                             ; =>This Inner Loop Header: Depth=1
	s_load_b64 s[18:19], s[14:15], 0x0
                                        ; implicit-def: $sgpr38_sgpr39
	s_waitcnt lgkmcnt(0)
	s_or_b64 s[20:21], s[16:17], s[18:19]
	s_delay_alu instid0(SALU_CYCLE_1) | instskip(NEXT) | instid1(SALU_CYCLE_1)
	s_mov_b32 s11, s21
	s_cmp_lg_u64 s[10:11], 0
	s_mov_b32 s11, -1
	s_cbranch_scc0 .LBB111_13
; %bb.12:                               ;   in Loop: Header=BB111_11 Depth=1
	v_cvt_f32_u32_e32 v1, s18
	v_cvt_f32_u32_e32 v2, s19
	s_sub_u32 s20, 0, s18
	s_subb_u32 s21, 0, s19
	s_waitcnt_depctr 0xfff
	v_fmac_f32_e32 v1, 0x4f800000, v2
	s_delay_alu instid0(VALU_DEP_1) | instskip(SKIP_2) | instid1(VALU_DEP_1)
	v_rcp_f32_e32 v1, v1
	s_waitcnt_depctr 0xfff
	v_mul_f32_e32 v1, 0x5f7ffffc, v1
	v_mul_f32_e32 v2, 0x2f800000, v1
	s_delay_alu instid0(VALU_DEP_1) | instskip(NEXT) | instid1(VALU_DEP_1)
	v_trunc_f32_e32 v2, v2
	v_fmac_f32_e32 v1, 0xcf800000, v2
	v_cvt_u32_f32_e32 v2, v2
	s_delay_alu instid0(VALU_DEP_2) | instskip(NEXT) | instid1(VALU_DEP_2)
	v_cvt_u32_f32_e32 v1, v1
	v_readfirstlane_b32 s11, v2
	s_delay_alu instid0(VALU_DEP_2) | instskip(NEXT) | instid1(VALU_DEP_2)
	v_readfirstlane_b32 s12, v1
	s_mul_i32 s22, s20, s11
	s_delay_alu instid0(VALU_DEP_1)
	s_mul_hi_u32 s33, s20, s12
	s_mul_i32 s23, s21, s12
	s_add_i32 s22, s33, s22
	s_mul_i32 s38, s20, s12
	s_add_i32 s22, s22, s23
	s_mul_hi_u32 s33, s12, s38
	s_mul_hi_u32 s39, s11, s38
	s_mul_i32 s23, s11, s38
	s_mul_hi_u32 s38, s12, s22
	s_mul_i32 s12, s12, s22
	s_mul_hi_u32 s40, s11, s22
	s_add_u32 s12, s33, s12
	s_addc_u32 s33, 0, s38
	s_add_u32 s12, s12, s23
	s_mul_i32 s22, s11, s22
	s_addc_u32 s12, s33, s39
	s_addc_u32 s23, s40, 0
	s_add_u32 s12, s12, s22
	s_addc_u32 s22, 0, s23
	v_add_co_u32 v1, s12, v1, s12
	s_delay_alu instid0(VALU_DEP_1) | instskip(SKIP_1) | instid1(VALU_DEP_1)
	s_cmp_lg_u32 s12, 0
	s_addc_u32 s11, s11, s22
	v_readfirstlane_b32 s12, v1
	s_mul_i32 s22, s20, s11
	s_delay_alu instid0(VALU_DEP_1)
	s_mul_hi_u32 s23, s20, s12
	s_mul_i32 s21, s21, s12
	s_add_i32 s22, s23, s22
	s_mul_i32 s20, s20, s12
	s_add_i32 s22, s22, s21
	s_mul_hi_u32 s23, s11, s20
	s_mul_i32 s33, s11, s20
	s_mul_hi_u32 s20, s12, s20
	s_mul_hi_u32 s38, s12, s22
	s_mul_i32 s12, s12, s22
	s_mul_hi_u32 s21, s11, s22
	s_add_u32 s12, s20, s12
	s_addc_u32 s20, 0, s38
	s_add_u32 s12, s12, s33
	s_mul_i32 s22, s11, s22
	s_addc_u32 s12, s20, s23
	s_addc_u32 s20, s21, 0
	s_add_u32 s12, s12, s22
	s_addc_u32 s20, 0, s20
	v_add_co_u32 v1, s12, v1, s12
	s_delay_alu instid0(VALU_DEP_1) | instskip(SKIP_1) | instid1(VALU_DEP_1)
	s_cmp_lg_u32 s12, 0
	s_addc_u32 s11, s11, s20
	v_readfirstlane_b32 s12, v1
	s_mul_i32 s21, s16, s11
	s_mul_hi_u32 s20, s16, s11
	s_mul_hi_u32 s22, s17, s11
	s_mul_i32 s11, s17, s11
	s_mul_hi_u32 s23, s16, s12
	s_mul_hi_u32 s33, s17, s12
	s_mul_i32 s12, s17, s12
	s_add_u32 s21, s23, s21
	s_addc_u32 s20, 0, s20
	s_add_u32 s12, s21, s12
	s_addc_u32 s12, s20, s33
	s_addc_u32 s20, s22, 0
	s_add_u32 s12, s12, s11
	s_addc_u32 s20, 0, s20
	s_mul_hi_u32 s11, s18, s12
	s_mul_i32 s22, s18, s20
	s_mul_i32 s23, s18, s12
	s_add_i32 s11, s11, s22
	v_sub_co_u32 v1, s22, s16, s23
	s_mul_i32 s21, s19, s12
	s_delay_alu instid0(SALU_CYCLE_1) | instskip(NEXT) | instid1(VALU_DEP_1)
	s_add_i32 s11, s11, s21
	v_sub_co_u32 v2, s23, v1, s18
	s_sub_i32 s21, s17, s11
	s_cmp_lg_u32 s22, 0
	s_subb_u32 s21, s21, s19
	s_cmp_lg_u32 s23, 0
	v_readfirstlane_b32 s23, v2
	s_subb_u32 s21, s21, 0
	s_delay_alu instid0(SALU_CYCLE_1) | instskip(SKIP_1) | instid1(VALU_DEP_1)
	s_cmp_ge_u32 s21, s19
	s_cselect_b32 s33, -1, 0
	s_cmp_ge_u32 s23, s18
	s_cselect_b32 s23, -1, 0
	s_cmp_eq_u32 s21, s19
	s_cselect_b32 s21, s23, s33
	s_add_u32 s23, s12, 1
	s_addc_u32 s33, s20, 0
	s_add_u32 s38, s12, 2
	s_addc_u32 s39, s20, 0
	s_cmp_lg_u32 s21, 0
	s_cselect_b32 s21, s38, s23
	s_cselect_b32 s23, s39, s33
	s_cmp_lg_u32 s22, 0
	v_readfirstlane_b32 s22, v1
	s_subb_u32 s11, s17, s11
	s_delay_alu instid0(SALU_CYCLE_1) | instskip(SKIP_1) | instid1(VALU_DEP_1)
	s_cmp_ge_u32 s11, s19
	s_cselect_b32 s33, -1, 0
	s_cmp_ge_u32 s22, s18
	s_cselect_b32 s22, -1, 0
	s_cmp_eq_u32 s11, s19
	s_cselect_b32 s11, s22, s33
	s_delay_alu instid0(SALU_CYCLE_1)
	s_cmp_lg_u32 s11, 0
	s_mov_b32 s11, 0
	s_cselect_b32 s39, s23, s20
	s_cselect_b32 s38, s21, s12
.LBB111_13:                             ;   in Loop: Header=BB111_11 Depth=1
	s_and_not1_b32 vcc_lo, exec_lo, s11
	s_cbranch_vccnz .LBB111_15
; %bb.14:                               ;   in Loop: Header=BB111_11 Depth=1
	v_cvt_f32_u32_e32 v1, s18
	s_sub_i32 s12, 0, s18
	s_mov_b32 s39, s10
	s_waitcnt_depctr 0xfff
	v_rcp_iflag_f32_e32 v1, v1
	s_waitcnt_depctr 0xfff
	v_mul_f32_e32 v1, 0x4f7ffffe, v1
	s_delay_alu instid0(VALU_DEP_1) | instskip(NEXT) | instid1(VALU_DEP_1)
	v_cvt_u32_f32_e32 v1, v1
	v_readfirstlane_b32 s11, v1
	s_delay_alu instid0(VALU_DEP_1) | instskip(NEXT) | instid1(SALU_CYCLE_1)
	s_mul_i32 s12, s12, s11
	s_mul_hi_u32 s12, s11, s12
	s_delay_alu instid0(SALU_CYCLE_1) | instskip(NEXT) | instid1(SALU_CYCLE_1)
	s_add_i32 s11, s11, s12
	s_mul_hi_u32 s11, s16, s11
	s_delay_alu instid0(SALU_CYCLE_1) | instskip(SKIP_2) | instid1(SALU_CYCLE_1)
	s_mul_i32 s12, s11, s18
	s_add_i32 s20, s11, 1
	s_sub_i32 s12, s16, s12
	s_sub_i32 s21, s12, s18
	s_cmp_ge_u32 s12, s18
	s_cselect_b32 s11, s20, s11
	s_cselect_b32 s12, s21, s12
	s_add_i32 s20, s11, 1
	s_cmp_ge_u32 s12, s18
	s_cselect_b32 s38, s20, s11
.LBB111_15:                             ;   in Loop: Header=BB111_11 Depth=1
	s_load_b64 s[20:21], s[14:15], 0xc8
	s_mul_i32 s11, s38, s19
	s_mul_hi_u32 s12, s38, s18
	s_mul_i32 s19, s39, s18
	s_add_i32 s11, s12, s11
	s_mul_i32 s12, s38, s18
	s_add_i32 s11, s11, s19
	s_sub_u32 s12, s16, s12
	s_subb_u32 s11, s17, s11
	s_waitcnt lgkmcnt(0)
	s_mul_i32 s11, s20, s11
	s_mul_hi_u32 s16, s20, s12
	s_mul_i32 s17, s21, s12
	s_add_i32 s11, s16, s11
	s_mul_i32 s12, s20, s12
	s_add_i32 s11, s11, s17
	s_add_u32 s30, s12, s30
	s_addc_u32 s31, s11, s31
	s_add_i32 s5, s5, -1
	s_add_u32 s14, s14, -8
	s_addc_u32 s15, s15, -1
	s_cmp_gt_u32 s5, 2
	s_cbranch_scc0 .LBB111_17
; %bb.16:                               ;   in Loop: Header=BB111_11 Depth=1
	s_mov_b64 s[16:17], s[38:39]
	s_branch .LBB111_11
.LBB111_17:
	s_clause 0x1
	s_load_b32 s5, s[0:1], 0x4d8
	s_load_b64 s[40:41], s[8:9], 0xd0
	s_add_u32 s11, s0, 0x340
	s_addc_u32 s12, s1, 0
	s_mov_b64 s[8:9], 0
	s_waitcnt lgkmcnt(0)
	s_cmp_lt_i32 s5, 2
	s_cbranch_scc1 .LBB111_25
; %bb.18:
	s_mov_b32 s10, 0
	s_add_i32 s8, s5, -1
	s_mov_b32 s9, s10
	s_add_i32 s5, s5, 1
	s_lshl_b64 s[8:9], s[8:9], 3
	s_delay_alu instid0(SALU_CYCLE_1)
	s_add_u32 s8, s8, s11
	s_addc_u32 s9, s9, s12
	s_add_u32 s14, s8, 8
	s_addc_u32 s15, s9, 0
	s_mov_b64 s[8:9], 0
.LBB111_19:                             ; =>This Inner Loop Header: Depth=1
	s_load_b64 s[16:17], s[14:15], 0x0
	s_waitcnt lgkmcnt(0)
	s_or_b64 s[18:19], s[2:3], s[16:17]
	s_delay_alu instid0(SALU_CYCLE_1) | instskip(NEXT) | instid1(SALU_CYCLE_1)
	s_mov_b32 s11, s19
                                        ; implicit-def: $sgpr18_sgpr19
	s_cmp_lg_u64 s[10:11], 0
	s_mov_b32 s11, -1
	s_cbranch_scc0 .LBB111_21
; %bb.20:                               ;   in Loop: Header=BB111_19 Depth=1
	v_cvt_f32_u32_e32 v1, s16
	v_cvt_f32_u32_e32 v2, s17
	s_sub_u32 s18, 0, s16
	s_subb_u32 s19, 0, s17
	s_waitcnt_depctr 0xfff
	v_fmac_f32_e32 v1, 0x4f800000, v2
	s_delay_alu instid0(VALU_DEP_1) | instskip(SKIP_2) | instid1(VALU_DEP_1)
	v_rcp_f32_e32 v1, v1
	s_waitcnt_depctr 0xfff
	v_mul_f32_e32 v1, 0x5f7ffffc, v1
	v_mul_f32_e32 v2, 0x2f800000, v1
	s_delay_alu instid0(VALU_DEP_1) | instskip(NEXT) | instid1(VALU_DEP_1)
	v_trunc_f32_e32 v2, v2
	v_fmac_f32_e32 v1, 0xcf800000, v2
	v_cvt_u32_f32_e32 v2, v2
	s_delay_alu instid0(VALU_DEP_2) | instskip(NEXT) | instid1(VALU_DEP_2)
	v_cvt_u32_f32_e32 v1, v1
	v_readfirstlane_b32 s11, v2
	s_delay_alu instid0(VALU_DEP_2) | instskip(NEXT) | instid1(VALU_DEP_2)
	v_readfirstlane_b32 s12, v1
	s_mul_i32 s20, s18, s11
	s_delay_alu instid0(VALU_DEP_1)
	s_mul_hi_u32 s22, s18, s12
	s_mul_i32 s21, s19, s12
	s_add_i32 s20, s22, s20
	s_mul_i32 s23, s18, s12
	s_add_i32 s20, s20, s21
	s_mul_hi_u32 s22, s12, s23
	s_mul_hi_u32 s33, s11, s23
	s_mul_i32 s21, s11, s23
	s_mul_hi_u32 s23, s12, s20
	s_mul_i32 s12, s12, s20
	s_mul_hi_u32 s42, s11, s20
	s_add_u32 s12, s22, s12
	s_addc_u32 s22, 0, s23
	s_add_u32 s12, s12, s21
	s_mul_i32 s20, s11, s20
	s_addc_u32 s12, s22, s33
	s_addc_u32 s21, s42, 0
	s_add_u32 s12, s12, s20
	s_addc_u32 s20, 0, s21
	v_add_co_u32 v1, s12, v1, s12
	s_delay_alu instid0(VALU_DEP_1) | instskip(SKIP_1) | instid1(VALU_DEP_1)
	s_cmp_lg_u32 s12, 0
	s_addc_u32 s11, s11, s20
	v_readfirstlane_b32 s12, v1
	s_mul_i32 s20, s18, s11
	s_delay_alu instid0(VALU_DEP_1)
	s_mul_hi_u32 s21, s18, s12
	s_mul_i32 s19, s19, s12
	s_add_i32 s20, s21, s20
	s_mul_i32 s18, s18, s12
	s_add_i32 s20, s20, s19
	s_mul_hi_u32 s21, s11, s18
	s_mul_i32 s22, s11, s18
	s_mul_hi_u32 s18, s12, s18
	s_mul_hi_u32 s23, s12, s20
	s_mul_i32 s12, s12, s20
	s_mul_hi_u32 s19, s11, s20
	s_add_u32 s12, s18, s12
	s_addc_u32 s18, 0, s23
	s_add_u32 s12, s12, s22
	s_mul_i32 s20, s11, s20
	s_addc_u32 s12, s18, s21
	s_addc_u32 s18, s19, 0
	s_add_u32 s12, s12, s20
	s_addc_u32 s18, 0, s18
	v_add_co_u32 v1, s12, v1, s12
	s_delay_alu instid0(VALU_DEP_1) | instskip(SKIP_1) | instid1(VALU_DEP_1)
	s_cmp_lg_u32 s12, 0
	s_addc_u32 s11, s11, s18
	v_readfirstlane_b32 s12, v1
	s_mul_i32 s19, s2, s11
	s_mul_hi_u32 s18, s2, s11
	s_mul_hi_u32 s20, s3, s11
	s_mul_i32 s11, s3, s11
	s_mul_hi_u32 s21, s2, s12
	s_mul_hi_u32 s22, s3, s12
	s_mul_i32 s12, s3, s12
	s_add_u32 s19, s21, s19
	s_addc_u32 s18, 0, s18
	s_add_u32 s12, s19, s12
	s_addc_u32 s12, s18, s22
	s_addc_u32 s18, s20, 0
	s_add_u32 s12, s12, s11
	s_addc_u32 s18, 0, s18
	s_mul_hi_u32 s11, s16, s12
	s_mul_i32 s20, s16, s18
	s_mul_i32 s21, s16, s12
	s_add_i32 s11, s11, s20
	v_sub_co_u32 v1, s20, s2, s21
	s_mul_i32 s19, s17, s12
	s_delay_alu instid0(SALU_CYCLE_1) | instskip(NEXT) | instid1(VALU_DEP_1)
	s_add_i32 s11, s11, s19
	v_sub_co_u32 v2, s21, v1, s16
	s_sub_i32 s19, s3, s11
	s_cmp_lg_u32 s20, 0
	s_subb_u32 s19, s19, s17
	s_cmp_lg_u32 s21, 0
	v_readfirstlane_b32 s21, v2
	s_subb_u32 s19, s19, 0
	s_delay_alu instid0(SALU_CYCLE_1) | instskip(SKIP_1) | instid1(VALU_DEP_1)
	s_cmp_ge_u32 s19, s17
	s_cselect_b32 s22, -1, 0
	s_cmp_ge_u32 s21, s16
	s_cselect_b32 s21, -1, 0
	s_cmp_eq_u32 s19, s17
	s_cselect_b32 s19, s21, s22
	s_add_u32 s21, s12, 1
	s_addc_u32 s22, s18, 0
	s_add_u32 s23, s12, 2
	s_addc_u32 s33, s18, 0
	s_cmp_lg_u32 s19, 0
	s_cselect_b32 s21, s23, s21
	s_cselect_b32 s19, s33, s22
	s_cmp_lg_u32 s20, 0
	v_readfirstlane_b32 s20, v1
	s_subb_u32 s11, s3, s11
	s_delay_alu instid0(SALU_CYCLE_1) | instskip(SKIP_1) | instid1(VALU_DEP_1)
	s_cmp_ge_u32 s11, s17
	s_cselect_b32 s22, -1, 0
	s_cmp_ge_u32 s20, s16
	s_cselect_b32 s20, -1, 0
	s_cmp_eq_u32 s11, s17
	s_cselect_b32 s11, s20, s22
	s_delay_alu instid0(SALU_CYCLE_1)
	s_cmp_lg_u32 s11, 0
	s_mov_b32 s11, 0
	s_cselect_b32 s19, s19, s18
	s_cselect_b32 s18, s21, s12
.LBB111_21:                             ;   in Loop: Header=BB111_19 Depth=1
	s_and_not1_b32 vcc_lo, exec_lo, s11
	s_cbranch_vccnz .LBB111_23
; %bb.22:                               ;   in Loop: Header=BB111_19 Depth=1
	v_cvt_f32_u32_e32 v1, s16
	s_sub_i32 s12, 0, s16
	s_waitcnt_depctr 0xfff
	v_rcp_iflag_f32_e32 v1, v1
	s_waitcnt_depctr 0xfff
	v_mul_f32_e32 v1, 0x4f7ffffe, v1
	s_delay_alu instid0(VALU_DEP_1) | instskip(NEXT) | instid1(VALU_DEP_1)
	v_cvt_u32_f32_e32 v1, v1
	v_readfirstlane_b32 s11, v1
	s_delay_alu instid0(VALU_DEP_1) | instskip(NEXT) | instid1(SALU_CYCLE_1)
	s_mul_i32 s12, s12, s11
	s_mul_hi_u32 s12, s11, s12
	s_delay_alu instid0(SALU_CYCLE_1) | instskip(NEXT) | instid1(SALU_CYCLE_1)
	s_add_i32 s11, s11, s12
	s_mul_hi_u32 s11, s2, s11
	s_delay_alu instid0(SALU_CYCLE_1) | instskip(SKIP_2) | instid1(SALU_CYCLE_1)
	s_mul_i32 s12, s11, s16
	s_add_i32 s18, s11, 1
	s_sub_i32 s12, s2, s12
	s_sub_i32 s19, s12, s16
	s_cmp_ge_u32 s12, s16
	s_cselect_b32 s11, s18, s11
	s_cselect_b32 s12, s19, s12
	s_add_i32 s18, s11, 1
	s_cmp_ge_u32 s12, s16
	s_mov_b32 s19, s10
	s_cselect_b32 s18, s18, s11
.LBB111_23:                             ;   in Loop: Header=BB111_19 Depth=1
	s_load_b64 s[20:21], s[14:15], 0xc8
	s_mul_i32 s11, s18, s17
	s_mul_hi_u32 s12, s18, s16
	s_mul_i32 s17, s19, s16
	s_add_i32 s11, s12, s11
	s_mul_i32 s12, s18, s16
	s_add_i32 s11, s11, s17
	s_sub_u32 s2, s2, s12
	s_subb_u32 s3, s3, s11
	s_waitcnt lgkmcnt(0)
	s_mul_i32 s3, s20, s3
	s_mul_hi_u32 s11, s20, s2
	s_mul_i32 s12, s21, s2
	s_add_i32 s3, s11, s3
	s_mul_i32 s2, s20, s2
	s_add_i32 s3, s3, s12
	s_add_u32 s8, s2, s8
	s_addc_u32 s9, s3, s9
	s_add_i32 s5, s5, -1
	s_add_u32 s14, s14, -8
	s_addc_u32 s15, s15, -1
	s_cmp_gt_u32 s5, 2
	s_cbranch_scc0 .LBB111_26
; %bb.24:                               ;   in Loop: Header=BB111_19 Depth=1
	s_mov_b64 s[2:3], s[18:19]
	s_branch .LBB111_19
.LBB111_25:
	s_mov_b64 s[18:19], s[2:3]
.LBB111_26:
	v_cmp_eq_u32_e64 s2, 0, v0
	s_delay_alu instid0(VALU_DEP_1)
	s_and_saveexec_b32 s3, s2
	s_cbranch_execz .LBB111_28
; %bb.27:
	v_mov_b32_e32 v1, 0
	s_delay_alu instid0(VALU_DEP_1)
	v_mov_b32_e32 v2, v1
	ds_store_b64 v1, v[1:2] offset:5136
.LBB111_28:
	s_or_b32 exec_lo, exec_lo, s3
	v_mov_b32_e32 v1, 0
	s_waitcnt lgkmcnt(0)
	s_barrier
	buffer_gl0_inv
	s_barrier
	buffer_gl0_inv
	ds_load_b64 v[1:2], v1 offset:5136
	s_clause 0x2
	s_load_b32 s3, s[0:1], 0x4f8
	s_load_b64 s[14:15], s[0:1], 0x410
	s_load_b64 s[10:11], s[0:1], 0x340
	s_mov_b64 s[46:47], s[24:25]
	s_waitcnt lgkmcnt(0)
	v_readfirstlane_b32 s16, v1
	v_readfirstlane_b32 s17, v2
	s_bitcmp1_b32 s3, 0
	s_cselect_b32 s3, -1, 0
	s_delay_alu instid0(VALU_DEP_1) | instskip(NEXT) | instid1(VALU_DEP_1)
	v_cmp_lt_i64_e64 s5, s[16:17], 1
	s_or_b32 s3, s3, s5
	s_delay_alu instid0(SALU_CYCLE_1)
	s_and_not1_b32 vcc_lo, exec_lo, s3
	s_cbranch_vccnz .LBB111_30
; %bb.29:
	s_not_b64 s[16:17], s[16:17]
	s_delay_alu instid0(SALU_CYCLE_1) | instskip(SKIP_1) | instid1(SALU_CYCLE_1)
	s_add_u32 s16, s16, s24
	s_addc_u32 s17, s17, s25
	s_lshr_b64 s[16:17], s[16:17], 1
	s_delay_alu instid0(SALU_CYCLE_1)
	s_add_u32 s46, s16, 1
	s_addc_u32 s47, s17, 0
.LBB111_30:
	s_clause 0x1
	s_load_b64 s[44:45], s[0:1], 0x0
	s_load_b64 s[42:43], s[0:1], 0x1a0
	s_and_saveexec_b32 s0, s2
	s_cbranch_execz .LBB111_32
; %bb.31:
	v_dual_mov_b32 v1, 0 :: v_dual_mov_b32 v4, s25
	s_delay_alu instid0(VALU_DEP_1)
	v_dual_mov_b32 v3, s24 :: v_dual_mov_b32 v2, v1
	ds_store_b32 v1, v1 offset:5144
	ds_store_b128 v1, v[1:4] offset:5120
.LBB111_32:
	s_or_b32 exec_lo, exec_lo, s0
	v_mad_u64_u32 v[2:3], null, v0, s28, 0
	s_waitcnt lgkmcnt(0)
	s_barrier
	buffer_gl0_inv
	s_load_b32 s5, s[6:7], 0xc
	s_mul_i32 s0, s14, s19
	s_mul_hi_u32 s1, s14, s18
	v_mad_u64_u32 v[4:5], null, v0, s29, v[3:4]
	s_mul_i32 s3, s15, s18
	s_add_i32 s0, s1, s0
	v_mbcnt_lo_u32_b32 v38, -1, 0
	s_add_i32 s1, s0, s3
	s_mul_i32 s0, s14, s18
	s_lshl_b64 s[48:49], s[8:9], 1
	s_delay_alu instid0(VALU_DEP_2)
	v_dual_mov_b32 v3, v4 :: v_dual_lshlrev_b32 v42, 3, v0
	s_lshl_b64 s[14:15], s[0:1], 1
	v_cmp_gt_u32_e32 vcc_lo, 32, v0
	s_add_u32 s8, s10, s14
	v_cmp_gt_i32_e64 s3, 4, v38
	v_or_b32_e32 v12, 6, v42
	v_or_b32_e32 v24, 4, v42
	v_lshrrev_b32_e32 v6, 3, v0
	v_or_b32_e32 v25, 2, v42
	s_addc_u32 s9, s11, s15
	s_add_u32 s74, s8, s48
	v_mad_u64_u32 v[18:19], null, s28, v12, s[8:9]
	v_mad_u64_u32 v[20:21], null, s28, v24, s[8:9]
	s_addc_u32 s75, s9, s49
	s_waitcnt lgkmcnt(0)
	s_and_b32 s33, s5, 0xffff
	s_and_b32 s76, vcc_lo, s3
	s_bfe_u32 s12, s5, 0xb0005
	v_mad_u64_u32 v[22:23], null, s28, v25, s[8:9]
	v_and_b32_e32 v41, 0x7c, v6
	v_lshlrev_b64 v[6:7], v38, -1
	s_add_u32 s78, s33, -1
	s_addc_u32 s79, 0, -1
	s_add_u32 s80, s78, s24
	s_addc_u32 s55, s79, s25
	s_delay_alu instid0(VALU_DEP_3)
	v_mov_b32_e32 v8, v23
	s_cmp_lt_u32 s13, s4
	v_lshlrev_b32_e32 v39, 1, v0
	v_not_b32_e32 v43, v6
	v_dual_mov_b32 v6, v19 :: v_dual_mov_b32 v7, v21
	s_cselect_b32 s4, 12, 18
	v_lshlrev_b64 v[4:5], 1, v[2:3]
	s_add_u32 s56, s6, s4
	s_addc_u32 s57, s7, 0
	s_add_i32 s4, s12, -1
	s_bfe_u32 s81, s33, 0x30005
	v_mad_u64_u32 v[9:10], null, s29, v12, v[6:7]
	s_cmp_gt_u32 s4, 6
	v_dual_mov_b32 v11, 0 :: v_dual_add_nc_u32 v40, 0xc00, v39
	s_cselect_b32 s82, -1, 0
	s_and_b32 s83, s12, 0x7f8
	s_cmp_lg_u32 s81, 0
	v_lshlrev_b64 v[2:3], 3, v[2:3]
	s_cselect_b32 s85, -1, 0
	s_add_u32 s4, s14, s48
	v_mad_u64_u32 v[12:13], null, s29, v24, v[7:8]
	v_cmp_gt_u16_e64 s84, s5, 31
	s_addc_u32 s5, s15, s49
	v_add_co_u32 v14, vcc_lo, s74, v4
	v_mad_u64_u32 v[6:7], null, s29, v25, v[8:9]
	s_add_u32 s58, s10, s4
	s_addc_u32 s59, s11, s5
	s_lshl_b64 s[60:61], s[28:29], 1
	s_lshl_b64 s[62:63], s[28:29], 3
	s_lshl_b32 s86, s33, 1
	v_dual_mov_b32 v1, v11 :: v_dual_lshlrev_b32 v16, 2, v0
	v_add_co_ci_u32_e32 v15, vcc_lo, s75, v5, vcc_lo
	s_add_u32 s4, s10, s48
	v_add_co_u32 v24, vcc_lo, s8, v2
	s_addc_u32 s5, s11, s49
	s_add_u32 s6, s4, s14
	v_add_co_ci_u32_e32 v25, vcc_lo, s9, v3, vcc_lo
	v_mov_b32_e32 v21, v12
	s_addc_u32 s8, s5, s15
	v_add_co_u32 v12, vcc_lo, s6, v4
	v_cmp_gt_u64_e64 s0, s[24:25], v[0:1]
	v_cmp_lt_u64_e64 s77, 0x600, s[24:25]
	s_mul_i32 s4, s29, s33
	s_mul_hi_u32 s7, s28, s33
	v_cmp_eq_u32_e64 s1, 0, v38
	v_cmp_gt_u32_e64 s3, 2, v0
	v_mov_b32_e32 v17, v11
	v_mov_b32_e32 v19, v9
	;; [unrolled: 1-line block ×3, first 2 shown]
	v_lshl_or_b32 v44, v38, 3, 0xc00
	v_add_co_ci_u32_e32 v13, vcc_lo, s8, v5, vcc_lo
	v_mov_b32_e32 v45, 0
	s_add_i32 s5, s7, s4
	s_mul_i32 s4, s28, s33
	s_mov_b32 s53, 0
	s_lshl_b64 s[50:51], s[4:5], 1
	s_mov_b32 s91, 14
	s_mov_b32 s87, 0
	;; [unrolled: 1-line block ×5, first 2 shown]
                                        ; implicit-def: $sgpr88
                                        ; implicit-def: $sgpr90
                                        ; implicit-def: $sgpr89
                                        ; implicit-def: $sgpr93
                                        ; implicit-def: $sgpr95
                                        ; implicit-def: $sgpr92
	s_branch .LBB111_37
.LBB111_33:                             ;   in Loop: Header=BB111_37 Depth=1
	s_xor_b32 s94, s94, 1
	s_add_i32 s7, s91, -2
	s_cmp_eq_u32 s91, 0
	s_mov_b32 s5, 0
	s_cselect_b32 s6, -1, 0
	s_mov_b32 s91, s7
.LBB111_34:                             ;   in Loop: Header=BB111_37 Depth=1
	s_and_not1_b32 s7, s13, exec_lo
	s_and_b32 s5, s5, exec_lo
	s_and_not1_b32 s19, s19, exec_lo
	s_or_b32 s13, s7, s5
	s_and_not1_b32 s12, s12, exec_lo
	s_or_not1_b32 s15, s6, exec_lo
.LBB111_35:                             ;   in Loop: Header=BB111_37 Depth=1
	s_or_b32 exec_lo, exec_lo, s4
	s_delay_alu instid0(SALU_CYCLE_1)
	s_and_not1_b32 s4, s92, exec_lo
	s_and_b32 s5, s13, exec_lo
	s_and_not1_b32 s6, s93, exec_lo
	s_or_b32 s92, s4, s5
	s_and_not1_b32 s4, s95, exec_lo
	s_and_b32 s5, s19, exec_lo
	s_and_b32 s7, s12, exec_lo
	s_or_b32 s95, s4, s5
	s_or_b32 s93, s6, s7
	s_or_not1_b32 s19, s15, exec_lo
.LBB111_36:                             ;   in Loop: Header=BB111_37 Depth=1
	s_or_b32 exec_lo, exec_lo, s14
	s_delay_alu instid0(SALU_CYCLE_1)
	s_and_b32 s4, exec_lo, s19
	v_mov_b32_e32 v2, s96
	s_or_b32 s87, s4, s87
	s_and_not1_b32 s4, s89, exec_lo
	s_and_b32 s5, s92, exec_lo
	s_and_not1_b32 s6, s88, exec_lo
	s_or_b32 s89, s4, s5
	s_and_not1_b32 s4, s90, exec_lo
	s_and_b32 s5, s95, exec_lo
	s_and_b32 s7, s93, exec_lo
	s_or_b32 s90, s4, s5
	s_or_b32 s88, s6, s7
	s_and_not1_b32 exec_lo, exec_lo, s87
	s_cbranch_execz .LBB111_302
.LBB111_37:                             ; =>This Loop Header: Depth=1
                                        ;     Child Loop BB111_42 Depth 2
                                        ;     Child Loop BB111_60 Depth 2
	;; [unrolled: 1-line block ×16, first 2 shown]
	ds_load_b128 v[2:5], v11 offset:5120
	s_waitcnt lgkmcnt(0)
	v_readfirstlane_b32 s65, v3
	v_readfirstlane_b32 s64, v2
	s_delay_alu instid0(VALU_DEP_1)
	s_cmp_lg_u64 s[64:65], 0
	s_cbranch_scc1 .LBB111_67
; %bb.38:                               ;   in Loop: Header=BB111_37 Depth=1
	s_and_b32 vcc_lo, exec_lo, s77
	s_cbranch_vccz .LBB111_50
; %bb.39:                               ;   in Loop: Header=BB111_37 Depth=1
	v_cmp_gt_u64_e32 vcc_lo, 0x601, v[4:5]
	s_mov_b32 s6, 0
	s_mov_b32 s4, 0
	s_cbranch_vccz .LBB111_51
; %bb.40:                               ;   in Loop: Header=BB111_37 Depth=1
	global_load_u16 v6, v11, s[56:57]
	global_load_u16 v7, v[14:15], off
	s_mov_b32 s8, 0
	s_waitcnt vmcnt(1)
	v_readfirstlane_b32 s4, v6
	v_and_b32_e32 v6, 0xffff, v6
	s_delay_alu instid0(VALU_DEP_2) | instskip(NEXT) | instid1(SALU_CYCLE_1)
	s_and_b32 s4, 0xffff, s4
	v_add_nc_u32_e32 v8, s4, v0
	s_mul_i32 s5, s61, s4
	s_mul_hi_u32 s7, s60, s4
	s_mul_i32 s9, s60, s4
	s_add_i32 s7, s7, s5
	v_mad_u64_u32 v[2:3], null, s60, v8, s[58:59]
	s_delay_alu instid0(VALU_DEP_1) | instskip(NEXT) | instid1(VALU_DEP_1)
	v_mad_u64_u32 v[4:5], null, s61, v8, v[3:4]
	v_mov_b32_e32 v3, v4
	v_dual_mov_b32 v5, v1 :: v_dual_mov_b32 v4, v0
	s_branch .LBB111_42
.LBB111_41:                             ;   in Loop: Header=BB111_42 Depth=2
	s_or_b32 exec_lo, exec_lo, s5
	v_add_co_u32 v2, vcc_lo, v2, s9
	v_add_co_ci_u32_e32 v3, vcc_lo, s7, v3, vcc_lo
	v_mov_b32_e32 v7, v8
	s_and_not1_b32 exec_lo, exec_lo, s8
	s_cbranch_execz .LBB111_52
.LBB111_42:                             ;   Parent Loop BB111_37 Depth=1
                                        ; =>  This Inner Loop Header: Depth=2
	s_delay_alu instid0(VALU_DEP_1) | instskip(NEXT) | instid1(VALU_DEP_2)
	v_add_co_u32 v4, vcc_lo, v4, v6
	v_add_co_ci_u32_e32 v5, vcc_lo, 0, v5, vcc_lo
	s_waitcnt lgkmcnt(0)
	v_dual_mov_b32 v9, 0 :: v_dual_mov_b32 v8, 0
	s_mov_b32 s5, exec_lo
	s_delay_alu instid0(VALU_DEP_2)
	v_cmp_le_u64_e32 vcc_lo, s[24:25], v[4:5]
	v_cmpx_gt_u64_e64 s[24:25], v[4:5]
	s_cbranch_execz .LBB111_44
; %bb.43:                               ;   in Loop: Header=BB111_42 Depth=2
	global_load_u16 v8, v[2:3], off
.LBB111_44:                             ;   in Loop: Header=BB111_42 Depth=2
	s_or_b32 exec_lo, exec_lo, s5
	s_waitcnt vmcnt(0)
	v_bfe_i32 v10, v7, 0, 16
	s_delay_alu instid0(VALU_DEP_1) | instskip(NEXT) | instid1(VALU_DEP_1)
	v_add_nc_u32_e32 v10, 0x8000, v10
	v_and_b32_e32 v10, s97, v10
	s_delay_alu instid0(VALU_DEP_1) | instskip(NEXT) | instid1(VALU_DEP_1)
	v_cmp_eq_u32_e64 s4, s96, v10
	s_cmp_lg_u32 s4, 0
	s_cselect_b32 s5, -1, 0
	s_delay_alu instid0(SALU_CYCLE_1) | instskip(NEXT) | instid1(SALU_CYCLE_1)
	s_and_b32 s5, s1, s5
	s_and_saveexec_b32 s10, s5
	s_cbranch_execz .LBB111_48
; %bb.45:                               ;   in Loop: Header=BB111_42 Depth=2
	s_mov_b32 s13, exec_lo
	s_bcnt1_i32_b32 s11, s4
	v_mbcnt_lo_u32_b32 v9, s13, 0
	s_mov_b32 s12, exec_lo
                                        ; implicit-def: $vgpr10
	s_delay_alu instid0(VALU_DEP_1)
	v_cmpx_eq_u32_e32 0, v9
	s_cbranch_execz .LBB111_47
; %bb.46:                               ;   in Loop: Header=BB111_42 Depth=2
	s_bcnt1_i32_b32 s5, s13
	s_delay_alu instid0(SALU_CYCLE_1) | instskip(NEXT) | instid1(SALU_CYCLE_1)
	s_mul_i32 s5, s11, s5
	v_mov_b32_e32 v10, s5
	ds_add_rtn_u32 v10, v11, v10 offset:5144
.LBB111_47:                             ;   in Loop: Header=BB111_42 Depth=2
	s_or_b32 exec_lo, exec_lo, s12
	s_waitcnt lgkmcnt(0)
	v_readfirstlane_b32 s5, v10
	s_delay_alu instid0(VALU_DEP_1)
	v_mad_u32_u24 v9, s11, v9, s5
.LBB111_48:                             ;   in Loop: Header=BB111_42 Depth=2
	s_or_b32 exec_lo, exec_lo, s10
	ds_bpermute_b32 v9, v11, v9
	s_and_b32 s5, exec_lo, vcc_lo
	s_delay_alu instid0(SALU_CYCLE_1)
	s_or_b32 s8, s5, s8
	s_and_saveexec_b32 s5, s4
	s_cbranch_execz .LBB111_41
; %bb.49:                               ;   in Loop: Header=BB111_42 Depth=2
	v_and_b32_e32 v10, s4, v43
	s_delay_alu instid0(VALU_DEP_1) | instskip(NEXT) | instid1(VALU_DEP_1)
	v_bcnt_u32_b32 v10, v10, 0
	v_lshlrev_b32_e32 v10, 1, v10
	s_waitcnt lgkmcnt(0)
	s_delay_alu instid0(VALU_DEP_1)
	v_lshl_add_u32 v9, v9, 1, v10
	ds_store_b16 v9, v7
	s_branch .LBB111_41
.LBB111_50:                             ;   in Loop: Header=BB111_37 Depth=1
	s_mov_b32 s4, 0
                                        ; implicit-def: $sgpr64_sgpr65
	s_cbranch_execnz .LBB111_55
	s_branch .LBB111_65
.LBB111_51:                             ;   in Loop: Header=BB111_37 Depth=1
	s_mov_b64 s[64:65], 0
	s_and_b32 vcc_lo, exec_lo, s6
	s_cbranch_vccnz .LBB111_55
	s_branch .LBB111_65
.LBB111_52:                             ;   in Loop: Header=BB111_37 Depth=1
	s_or_b32 exec_lo, exec_lo, s8
	s_waitcnt lgkmcnt(0)
	s_barrier
	buffer_gl0_inv
	s_and_saveexec_b32 s4, s2
	s_cbranch_execz .LBB111_54
; %bb.53:                               ;   in Loop: Header=BB111_37 Depth=1
	ds_load_b32 v2, v11 offset:5144
	s_waitcnt lgkmcnt(0)
	v_ashrrev_i32_e32 v3, 31, v2
	ds_store_b64 v11, v[2:3] offset:5120
.LBB111_54:                             ;   in Loop: Header=BB111_37 Depth=1
	s_or_b32 exec_lo, exec_lo, s4
	s_waitcnt lgkmcnt(0)
	s_mov_b32 s4, -1
	s_barrier
	s_mov_b64 s[64:65], 0
	s_and_b32 vcc_lo, exec_lo, s6
	s_cbranch_vccz .LBB111_65
.LBB111_55:                             ;   in Loop: Header=BB111_37 Depth=1
	v_mov_b32_e32 v6, 0
	s_and_saveexec_b32 s4, s0
	s_cbranch_execz .LBB111_57
; %bb.56:                               ;   in Loop: Header=BB111_37 Depth=1
	global_load_u16 v6, v[14:15], off
.LBB111_57:                             ;   in Loop: Header=BB111_37 Depth=1
	s_or_b32 exec_lo, exec_lo, s4
	s_and_saveexec_b32 s5, s0
	s_cbranch_execz .LBB111_62
; %bb.58:                               ;   in Loop: Header=BB111_37 Depth=1
	global_load_u16 v8, v11, s[56:57]
	s_mov_b32 s9, 0
	s_waitcnt vmcnt(0)
	v_readfirstlane_b32 s4, v8
	v_and_b32_e32 v8, 0xffff, v8
	s_delay_alu instid0(VALU_DEP_2) | instskip(NEXT) | instid1(SALU_CYCLE_1)
	s_and_b32 s4, 0xffff, s4
	v_add_nc_u32_e32 v7, s4, v0
	s_mul_i32 s7, s61, s4
	s_mul_hi_u32 s8, s60, s4
	s_lshl_b32 s6, s4, 1
	s_add_i32 s7, s8, s7
	v_mad_u64_u32 v[2:3], null, s60, v7, s[58:59]
	s_mul_i32 s8, s60, s4
	s_delay_alu instid0(VALU_DEP_1) | instskip(SKIP_1) | instid1(VALU_DEP_2)
	v_mad_u64_u32 v[4:5], null, s61, v7, v[3:4]
	v_mov_b32_e32 v7, v39
	v_mov_b32_e32 v3, v4
	v_dual_mov_b32 v5, v1 :: v_dual_mov_b32 v4, v0
	s_branch .LBB111_60
	.p2align	6
.LBB111_59:                             ;   in Loop: Header=BB111_60 Depth=2
	s_or_b32 exec_lo, exec_lo, s10
	s_delay_alu instid0(SALU_CYCLE_1)
	s_and_b32 s4, exec_lo, vcc_lo
	v_add_co_u32 v2, vcc_lo, v2, s8
	ds_store_b16 v7, v6
	s_waitcnt vmcnt(0)
	v_dual_mov_b32 v6, v9 :: v_dual_add_nc_u32 v7, s6, v7
	v_add_co_ci_u32_e32 v3, vcc_lo, s7, v3, vcc_lo
	s_or_b32 s9, s4, s9
	s_delay_alu instid0(SALU_CYCLE_1)
	s_and_not1_b32 exec_lo, exec_lo, s9
	s_cbranch_execz .LBB111_62
.LBB111_60:                             ;   Parent Loop BB111_37 Depth=1
                                        ; =>  This Inner Loop Header: Depth=2
	s_delay_alu instid0(VALU_DEP_1) | instskip(NEXT) | instid1(VALU_DEP_2)
	v_add_co_u32 v4, vcc_lo, v4, v8
	v_add_co_ci_u32_e32 v5, vcc_lo, 0, v5, vcc_lo
	v_mov_b32_e32 v9, 0
	s_mov_b32 s10, exec_lo
	s_delay_alu instid0(VALU_DEP_2)
	v_cmp_le_u64_e32 vcc_lo, s[24:25], v[4:5]
	v_cmpx_gt_u64_e64 s[24:25], v[4:5]
	s_cbranch_execz .LBB111_59
; %bb.61:                               ;   in Loop: Header=BB111_60 Depth=2
	global_load_u16 v9, v[2:3], off
	s_branch .LBB111_59
.LBB111_62:                             ;   in Loop: Header=BB111_37 Depth=1
	s_or_b32 exec_lo, exec_lo, s5
	s_waitcnt vmcnt(0) lgkmcnt(0)
	s_barrier
	buffer_gl0_inv
	s_and_saveexec_b32 s4, s2
	s_cbranch_execz .LBB111_64
; %bb.63:                               ;   in Loop: Header=BB111_37 Depth=1
	v_dual_mov_b32 v2, s24 :: v_dual_mov_b32 v3, s25
	ds_store_b64 v11, v[2:3] offset:5120
.LBB111_64:                             ;   in Loop: Header=BB111_37 Depth=1
	s_or_b32 exec_lo, exec_lo, s4
	s_mov_b32 s4, -1
	s_waitcnt lgkmcnt(0)
	s_barrier
                                        ; implicit-def: $sgpr64_sgpr65
.LBB111_65:                             ;   in Loop: Header=BB111_37 Depth=1
	s_and_b32 vcc_lo, exec_lo, s4
	s_cbranch_vccz .LBB111_67
; %bb.66:                               ;   in Loop: Header=BB111_37 Depth=1
	buffer_gl0_inv
	ds_load_b64 v[2:3], v11 offset:5120
	s_waitcnt lgkmcnt(0)
	v_readfirstlane_b32 s64, v2
.LBB111_67:                             ;   in Loop: Header=BB111_37 Depth=1
	s_delay_alu instid0(VALU_DEP_1)
	s_cmp_lt_i32 s64, 1
	s_cbranch_scc0 .LBB111_82
; %bb.68:                               ;   in Loop: Header=BB111_37 Depth=1
	global_load_u16 v2, v11, s[56:57]
	s_mov_b32 s5, s25
	s_waitcnt vmcnt(0)
	v_readfirstlane_b32 s4, v2
	s_delay_alu instid0(VALU_DEP_1)
	s_and_b32 s52, s4, 0xffff
	s_mov_b32 s4, s53
	s_lshl_b32 s54, s52, 2
	s_cmp_lg_u64 s[4:5], 0
	s_cbranch_scc0 .LBB111_102
; %bb.69:                               ;   in Loop: Header=BB111_37 Depth=1
	v_cvt_f32_u32_e32 v2, s54
	s_sub_u32 s6, 0, s54
	s_subb_u32 s7, 0, 0
	s_delay_alu instid0(VALU_DEP_1) | instskip(NEXT) | instid1(VALU_DEP_1)
	v_fmac_f32_e64 v2, 0, 0x4f800000
	v_rcp_f32_e32 v2, v2
	s_waitcnt_depctr 0xfff
	v_mul_f32_e32 v2, 0x5f7ffffc, v2
	s_delay_alu instid0(VALU_DEP_1) | instskip(NEXT) | instid1(VALU_DEP_1)
	v_mul_f32_e32 v3, 0x2f800000, v2
	v_trunc_f32_e32 v3, v3
	s_delay_alu instid0(VALU_DEP_1) | instskip(SKIP_1) | instid1(VALU_DEP_2)
	v_fmac_f32_e32 v2, 0xcf800000, v3
	v_cvt_u32_f32_e32 v3, v3
	v_cvt_u32_f32_e32 v2, v2
	s_delay_alu instid0(VALU_DEP_2) | instskip(NEXT) | instid1(VALU_DEP_2)
	v_readfirstlane_b32 s4, v3
	v_readfirstlane_b32 s5, v2
	s_delay_alu instid0(VALU_DEP_2) | instskip(NEXT) | instid1(VALU_DEP_1)
	s_mul_i32 s8, s6, s4
	s_mul_hi_u32 s10, s6, s5
	s_mul_i32 s9, s7, s5
	s_add_i32 s8, s10, s8
	s_mul_i32 s11, s6, s5
	s_add_i32 s8, s8, s9
	s_mul_hi_u32 s10, s5, s11
	s_mul_hi_u32 s12, s4, s11
	s_mul_i32 s9, s4, s11
	s_mul_hi_u32 s11, s5, s8
	s_mul_i32 s5, s5, s8
	s_mul_hi_u32 s13, s4, s8
	s_add_u32 s5, s10, s5
	s_addc_u32 s10, 0, s11
	s_add_u32 s5, s5, s9
	s_mul_i32 s8, s4, s8
	s_addc_u32 s5, s10, s12
	s_addc_u32 s9, s13, 0
	s_add_u32 s5, s5, s8
	s_addc_u32 s8, 0, s9
	v_add_co_u32 v2, s5, v2, s5
	s_delay_alu instid0(VALU_DEP_1) | instskip(SKIP_1) | instid1(VALU_DEP_1)
	s_cmp_lg_u32 s5, 0
	s_addc_u32 s4, s4, s8
	v_readfirstlane_b32 s5, v2
	s_mul_i32 s8, s6, s4
	s_delay_alu instid0(VALU_DEP_1)
	s_mul_hi_u32 s9, s6, s5
	s_mul_i32 s7, s7, s5
	s_add_i32 s8, s9, s8
	s_mul_i32 s6, s6, s5
	s_add_i32 s8, s8, s7
	s_mul_hi_u32 s9, s4, s6
	s_mul_i32 s10, s4, s6
	s_mul_hi_u32 s6, s5, s6
	s_mul_hi_u32 s11, s5, s8
	s_mul_i32 s5, s5, s8
	s_mul_hi_u32 s7, s4, s8
	s_add_u32 s5, s6, s5
	s_addc_u32 s6, 0, s11
	s_add_u32 s5, s5, s10
	s_mul_i32 s8, s4, s8
	s_addc_u32 s5, s6, s9
	s_addc_u32 s6, s7, 0
	s_add_u32 s5, s5, s8
	s_addc_u32 s6, 0, s6
	v_add_co_u32 v2, s5, v2, s5
	s_delay_alu instid0(VALU_DEP_1) | instskip(SKIP_1) | instid1(VALU_DEP_1)
	s_cmp_lg_u32 s5, 0
	s_addc_u32 s4, s4, s6
	v_readfirstlane_b32 s5, v2
	s_mul_i32 s7, s24, s4
	s_mul_hi_u32 s6, s24, s4
	s_mul_hi_u32 s8, s25, s4
	s_mul_i32 s4, s25, s4
	s_mul_hi_u32 s9, s24, s5
	s_mul_hi_u32 s10, s25, s5
	s_mul_i32 s5, s25, s5
	s_add_u32 s7, s9, s7
	s_addc_u32 s6, 0, s6
	s_add_u32 s5, s7, s5
	s_addc_u32 s5, s6, s10
	s_addc_u32 s6, s8, 0
	s_add_u32 s4, s5, s4
	s_addc_u32 s5, 0, s6
	s_mul_hi_u32 s6, s54, s4
	s_mul_i32 s4, s54, s4
	s_mul_i32 s5, s54, s5
	v_sub_co_u32 v2, s4, s24, s4
	s_add_i32 s6, s6, s5
	s_cmp_lg_u32 s4, 0
	s_delay_alu instid0(VALU_DEP_1) | instskip(SKIP_2) | instid1(VALU_DEP_1)
	v_sub_co_u32 v3, s4, v2, s54
	s_subb_u32 s5, s25, s6
	s_cmp_lg_u32 s4, 0
	v_cmp_le_u32_e32 vcc_lo, s54, v3
	v_sub_co_u32 v4, s4, v3, s54
	s_subb_u32 s6, s5, 0
	s_cmp_lg_u32 s4, 0
	v_cndmask_b32_e64 v5, 0, -1, vcc_lo
	s_subb_u32 s4, s6, 0
	s_cmp_eq_u32 s6, 0
	v_mov_b32_e32 v7, s4
	s_cselect_b32 vcc_lo, -1, 0
	s_cmp_eq_u32 s5, 0
	v_cndmask_b32_e32 v5, -1, v5, vcc_lo
	v_cmp_le_u32_e32 vcc_lo, s54, v2
	s_cselect_b32 s4, -1, 0
	v_cndmask_b32_e64 v6, 0, -1, vcc_lo
	s_delay_alu instid0(VALU_DEP_3) | instskip(NEXT) | instid1(VALU_DEP_2)
	v_cmp_ne_u32_e32 vcc_lo, 0, v5
	v_cndmask_b32_e64 v5, -1, v6, s4
	v_cndmask_b32_e32 v6, s6, v7, vcc_lo
	v_cndmask_b32_e32 v4, v3, v4, vcc_lo
	s_delay_alu instid0(VALU_DEP_3) | instskip(NEXT) | instid1(VALU_DEP_3)
	v_cmp_ne_u32_e32 vcc_lo, 0, v5
	v_cndmask_b32_e32 v3, s5, v6, vcc_lo
	s_delay_alu instid0(VALU_DEP_3)
	v_cndmask_b32_e32 v2, v2, v4, vcc_lo
	s_cbranch_execnz .LBB111_71
.LBB111_70:                             ;   in Loop: Header=BB111_37 Depth=1
	v_cvt_f32_u32_e32 v2, s54
	s_sub_i32 s4, 0, s54
	s_delay_alu instid0(VALU_DEP_1) | instskip(SKIP_2) | instid1(VALU_DEP_1)
	v_rcp_iflag_f32_e32 v2, v2
	s_waitcnt_depctr 0xfff
	v_mul_f32_e32 v2, 0x4f7ffffe, v2
	v_cvt_u32_f32_e32 v2, v2
	s_delay_alu instid0(VALU_DEP_1) | instskip(NEXT) | instid1(VALU_DEP_1)
	v_mul_lo_u32 v3, s4, v2
	v_mul_hi_u32 v3, v2, v3
	s_delay_alu instid0(VALU_DEP_1) | instskip(NEXT) | instid1(VALU_DEP_1)
	v_add_nc_u32_e32 v2, v2, v3
	v_mul_hi_u32 v2, s24, v2
	s_delay_alu instid0(VALU_DEP_1) | instskip(NEXT) | instid1(VALU_DEP_1)
	v_mul_lo_u32 v2, v2, s54
	v_sub_nc_u32_e32 v2, s24, v2
	s_delay_alu instid0(VALU_DEP_1) | instskip(SKIP_1) | instid1(VALU_DEP_2)
	v_subrev_nc_u32_e32 v3, s54, v2
	v_cmp_le_u32_e32 vcc_lo, s54, v2
	v_cndmask_b32_e32 v2, v2, v3, vcc_lo
	s_delay_alu instid0(VALU_DEP_1) | instskip(SKIP_1) | instid1(VALU_DEP_2)
	v_subrev_nc_u32_e32 v3, s54, v2
	v_cmp_le_u32_e32 vcc_lo, s54, v2
	v_cndmask_b32_e32 v10, v2, v3, vcc_lo
	s_delay_alu instid0(VALU_DEP_1)
	v_dual_mov_b32 v2, v10 :: v_dual_mov_b32 v3, v11
.LBB111_71:                             ;   in Loop: Header=BB111_37 Depth=1
	s_delay_alu instid0(VALU_DEP_1) | instskip(NEXT) | instid1(VALU_DEP_2)
	v_sub_co_u32 v26, vcc_lo, s24, v2
	v_sub_co_ci_u32_e32 v27, vcc_lo, s25, v3, vcc_lo
	v_mov_b32_e32 v2, 0
	v_mov_b32_e32 v3, 0
	s_mov_b64 s[66:67], 0
	s_mov_b32 s65, exec_lo
	s_delay_alu instid0(VALU_DEP_1)
	v_dual_mov_b32 v5, v3 :: v_dual_mov_b32 v4, v2
	v_dual_mov_b32 v7, v3 :: v_dual_mov_b32 v6, v2
	;; [unrolled: 1-line block ×3, first 2 shown]
	v_cmpx_gt_u64_e64 v[26:27], v[16:17]
	s_cbranch_execz .LBB111_75
; %bb.72:                               ;   in Loop: Header=BB111_37 Depth=1
	v_dual_mov_b32 v29, v25 :: v_dual_mov_b32 v28, v24
	v_dual_mov_b32 v31, v23 :: v_dual_mov_b32 v30, v22
	;; [unrolled: 1-line block ×5, first 2 shown]
	s_mul_i32 s4, s63, s52
	s_mul_hi_u32 s5, s62, s52
	s_and_b32 s98, s91, 0xfe
	s_add_i32 s99, s5, s4
	s_mul_i32 s100, s62, s52
	s_mov_b32 s101, 0
	s_mov_b64 s[68:69], 0
	s_mov_b64 s[70:71], 0
	;; [unrolled: 1-line block ×3, first 2 shown]
.LBB111_73:                             ;   Parent Loop BB111_37 Depth=1
                                        ; =>  This Inner Loop Header: Depth=2
	v_add_co_u32 v2, vcc_lo, v28, s48
	v_add_co_ci_u32_e32 v3, vcc_lo, s49, v29, vcc_lo
	v_add_co_u32 v4, vcc_lo, v30, s48
	v_add_co_ci_u32_e32 v5, vcc_lo, s49, v31, vcc_lo
	;; [unrolled: 2-line block ×4, first 2 shown]
	global_load_i16 v2, v[2:3], off
	global_load_i16 v3, v[4:5], off
	;; [unrolled: 1-line block ×4, first 2 shown]
	v_add_co_u32 v36, vcc_lo, v36, s54
	v_add_co_ci_u32_e32 v37, vcc_lo, 0, v37, vcc_lo
	v_add_co_u32 v34, vcc_lo, v34, s100
	v_add_co_ci_u32_e32 v35, vcc_lo, s99, v35, vcc_lo
	v_add_co_u32 v32, vcc_lo, v32, s100
	v_add_co_ci_u32_e32 v33, vcc_lo, s99, v33, vcc_lo
	v_add_co_u32 v30, vcc_lo, v30, s100
	v_add_co_ci_u32_e32 v31, vcc_lo, s99, v31, vcc_lo
	v_add_co_u32 v28, vcc_lo, v28, s100
	v_add_co_ci_u32_e32 v29, vcc_lo, s99, v29, vcc_lo
	v_cmp_ge_u64_e32 vcc_lo, v[36:37], v[26:27]
	s_waitcnt vmcnt(3)
	v_add_nc_u32_e32 v2, 0x8000, v2
	s_waitcnt vmcnt(2)
	v_add_nc_u32_e32 v3, 0x8000, v3
	;; [unrolled: 2-line block ×4, first 2 shown]
	v_and_b32_e32 v6, s97, v2
	v_bfe_u32 v2, v2, s98, 2
	v_and_b32_e32 v7, s97, v3
	v_bfe_u32 v3, v3, s98, 2
	v_and_b32_e32 v8, s97, v4
	v_bfe_u32 v4, v4, s98, 2
	v_cmp_eq_u32_e64 s4, s96, v6
	v_cmp_eq_u32_e64 s8, 0, v2
	v_and_b32_e32 v9, s97, v5
	v_bfe_u32 v5, v5, s98, 2
	v_cmp_eq_u32_e64 s5, s96, v7
	v_cmp_eq_u32_e64 s9, 0, v3
	;; [unrolled: 1-line block ×4, first 2 shown]
	s_and_b32 s8, s4, s8
	v_cmp_eq_u32_e64 s7, s96, v9
	v_cmp_eq_u32_e64 s11, 0, v5
	;; [unrolled: 1-line block ×5, first 2 shown]
	v_cndmask_b32_e64 v2, 0, 1, s8
	s_and_b32 s8, s5, s9
	v_cmp_eq_u32_e64 s13, 1, v3
	v_cmp_eq_u32_e64 s17, 2, v3
	v_cmp_eq_u32_e64 s21, 3, v3
	v_cndmask_b32_e64 v3, 0, 1, s8
	s_and_b32 s8, s6, s10
	v_cmp_eq_u32_e64 s14, 1, v4
	v_cmp_eq_u32_e64 s18, 2, v4
	v_cmp_eq_u32_e64 s22, 3, v4
	;; [unrolled: 5-line block ×3, first 2 shown]
	v_cndmask_b32_e64 v5, 0, 1, s8
	v_cmp_ne_u32_e64 s8, 0, v2
	v_cmp_ne_u32_e64 s9, 0, v3
	;; [unrolled: 1-line block ×3, first 2 shown]
	s_delay_alu instid0(VALU_DEP_4) | instskip(NEXT) | instid1(VALU_DEP_4)
	v_cmp_ne_u32_e64 s11, 0, v5
	s_bcnt1_i32_b32 s8, s8
	s_delay_alu instid0(VALU_DEP_3) | instskip(NEXT) | instid1(VALU_DEP_2)
	s_bcnt1_i32_b32 s9, s9
	s_bcnt1_i32_b32 s10, s10
	s_add_i32 s8, s9, s8
	s_bcnt1_i32_b32 s11, s11
	s_add_i32 s8, s8, s10
	s_delay_alu instid0(SALU_CYCLE_1) | instskip(NEXT) | instid1(SALU_CYCLE_1)
	s_add_i32 s8, s8, s11
	s_add_u32 s72, s72, s8
	s_addc_u32 s73, s73, 0
	s_and_b32 s8, s4, s12
	s_delay_alu instid0(SALU_CYCLE_1) | instskip(SKIP_1) | instid1(SALU_CYCLE_1)
	v_cndmask_b32_e64 v2, 0, 1, s8
	s_and_b32 s8, s5, s13
	v_cndmask_b32_e64 v3, 0, 1, s8
	s_and_b32 s8, s6, s14
	s_delay_alu instid0(SALU_CYCLE_1) | instskip(SKIP_1) | instid1(VALU_DEP_2)
	v_cndmask_b32_e64 v4, 0, 1, s8
	s_and_b32 s8, s7, s15
	v_cmp_ne_u32_e64 s9, 0, v3
	v_cndmask_b32_e64 v5, 0, 1, s8
	v_cmp_ne_u32_e64 s8, 0, v2
	v_cmp_ne_u32_e64 s10, 0, v4
	s_delay_alu instid0(VALU_DEP_4) | instskip(NEXT) | instid1(VALU_DEP_3)
	s_bcnt1_i32_b32 s9, s9
	v_cmp_ne_u32_e64 s11, 0, v5
	s_delay_alu instid0(VALU_DEP_3) | instskip(NEXT) | instid1(VALU_DEP_2)
	s_bcnt1_i32_b32 s8, s8
	s_bcnt1_i32_b32 s10, s10
	s_add_i32 s8, s9, s8
	s_delay_alu instid0(VALU_DEP_1) | instskip(SKIP_1) | instid1(SALU_CYCLE_1)
	s_bcnt1_i32_b32 s11, s11
	s_add_i32 s8, s8, s10
	s_add_i32 s8, s8, s11
	s_delay_alu instid0(SALU_CYCLE_1) | instskip(SKIP_2) | instid1(SALU_CYCLE_1)
	s_add_u32 s70, s70, s8
	s_addc_u32 s71, s71, 0
	s_and_b32 s8, s4, s16
	v_cndmask_b32_e64 v2, 0, 1, s8
	s_and_b32 s8, s5, s17
	s_delay_alu instid0(SALU_CYCLE_1) | instskip(SKIP_1) | instid1(SALU_CYCLE_1)
	v_cndmask_b32_e64 v3, 0, 1, s8
	s_and_b32 s8, s6, s18
	v_cndmask_b32_e64 v4, 0, 1, s8
	s_and_b32 s8, s7, s19
	s_delay_alu instid0(VALU_DEP_2) | instskip(SKIP_3) | instid1(VALU_DEP_4)
	v_cmp_ne_u32_e64 s9, 0, v3
	v_cndmask_b32_e64 v5, 0, 1, s8
	v_cmp_ne_u32_e64 s8, 0, v2
	v_cmp_ne_u32_e64 s10, 0, v4
	s_bcnt1_i32_b32 s9, s9
	s_delay_alu instid0(VALU_DEP_3) | instskip(NEXT) | instid1(VALU_DEP_3)
	v_cmp_ne_u32_e64 s11, 0, v5
	s_bcnt1_i32_b32 s8, s8
	s_delay_alu instid0(VALU_DEP_2) | instskip(SKIP_1) | instid1(VALU_DEP_1)
	s_bcnt1_i32_b32 s10, s10
	s_add_i32 s8, s9, s8
	s_bcnt1_i32_b32 s11, s11
	s_add_i32 s8, s8, s10
	s_delay_alu instid0(SALU_CYCLE_1) | instskip(NEXT) | instid1(SALU_CYCLE_1)
	s_add_i32 s8, s8, s11
	s_add_u32 s68, s68, s8
	s_addc_u32 s69, s69, 0
	v_mov_b32_e32 v6, s68
	s_and_b32 s4, s4, s20
	v_mov_b32_e32 v7, s69
	v_cndmask_b32_e64 v2, 0, 1, s4
	s_and_b32 s4, s5, s21
	s_delay_alu instid0(SALU_CYCLE_1) | instskip(SKIP_1) | instid1(SALU_CYCLE_1)
	v_cndmask_b32_e64 v3, 0, 1, s4
	s_and_b32 s4, s6, s22
	v_cndmask_b32_e64 v4, 0, 1, s4
	s_and_b32 s4, s7, s23
	s_delay_alu instid0(VALU_DEP_2)
	v_cmp_ne_u32_e64 s5, 0, v3
	v_cndmask_b32_e64 v5, 0, 1, s4
	v_cmp_ne_u32_e64 s4, 0, v2
	v_cmp_ne_u32_e64 s6, 0, v4
	v_mov_b32_e32 v2, s72
	s_bcnt1_i32_b32 s5, s5
	v_cmp_ne_u32_e64 s7, 0, v5
	s_bcnt1_i32_b32 s4, s4
	s_bcnt1_i32_b32 s6, s6
	s_add_i32 s4, s5, s4
	v_mov_b32_e32 v4, s70
	s_bcnt1_i32_b32 s5, s7
	s_add_i32 s4, s4, s6
	v_mov_b32_e32 v3, s73
	s_add_i32 s4, s4, s5
	v_mov_b32_e32 v5, s71
	s_add_u32 s66, s66, s4
	s_addc_u32 s67, s67, 0
	s_delay_alu instid0(SALU_CYCLE_1) | instskip(SKIP_1) | instid1(SALU_CYCLE_1)
	v_dual_mov_b32 v8, s66 :: v_dual_mov_b32 v9, s67
	s_or_b32 s101, vcc_lo, s101
	s_and_not1_b32 exec_lo, exec_lo, s101
	s_cbranch_execnz .LBB111_73
; %bb.74:                               ;   in Loop: Header=BB111_37 Depth=1
	s_or_b32 exec_lo, exec_lo, s101
.LBB111_75:                             ;   in Loop: Header=BB111_37 Depth=1
	s_delay_alu instid0(SALU_CYCLE_1) | instskip(SKIP_3) | instid1(VALU_DEP_2)
	s_or_b32 exec_lo, exec_lo, s65
	v_add_co_u32 v26, vcc_lo, v26, v0
	v_add_co_ci_u32_e32 v27, vcc_lo, 0, v27, vcc_lo
	v_mov_b32_e32 v28, 0
	v_cmp_gt_u64_e32 vcc_lo, s[24:25], v[26:27]
	s_and_saveexec_b32 s5, vcc_lo
	s_cbranch_execz .LBB111_77
; %bb.76:                               ;   in Loop: Header=BB111_37 Depth=1
	v_mul_lo_u32 v10, v27, s28
	v_mul_lo_u32 v30, v26, s29
	v_mad_u64_u32 v[28:29], null, v26, s28, 0
	s_delay_alu instid0(VALU_DEP_1) | instskip(NEXT) | instid1(VALU_DEP_1)
	v_add3_u32 v29, v29, v30, v10
	v_lshlrev_b64 v[28:29], 1, v[28:29]
	s_delay_alu instid0(VALU_DEP_1) | instskip(NEXT) | instid1(VALU_DEP_1)
	v_add_co_u32 v28, s4, s74, v28
	v_add_co_ci_u32_e64 v29, s4, s75, v29, s4
	global_load_u16 v28, v[28:29], off
.LBB111_77:                             ;   in Loop: Header=BB111_37 Depth=1
	s_or_b32 exec_lo, exec_lo, s5
	s_and_saveexec_b32 s8, vcc_lo
	s_cbranch_execz .LBB111_84
; %bb.78:                               ;   in Loop: Header=BB111_37 Depth=1
	s_and_b32 s10, s91, 0xfe
	s_mov_b32 s9, 0
	s_branch .LBB111_80
.LBB111_79:                             ;   in Loop: Header=BB111_80 Depth=2
	s_or_b32 exec_lo, exec_lo, s5
	s_waitcnt vmcnt(0)
	v_bfe_i32 v28, v28, 0, 16
	s_and_b32 s6, exec_lo, vcc_lo
	s_delay_alu instid0(SALU_CYCLE_1) | instskip(NEXT) | instid1(VALU_DEP_1)
	s_or_b32 s9, s6, s9
	v_add_nc_u32_e32 v28, 0x8000, v28
	s_delay_alu instid0(VALU_DEP_1) | instskip(SKIP_1) | instid1(VALU_DEP_2)
	v_and_b32_e32 v29, s97, v28
	v_bfe_u32 v28, v28, s10, 2
	v_cmp_eq_u32_e64 s4, s96, v29
	s_delay_alu instid0(VALU_DEP_2) | instskip(SKIP_2) | instid1(VALU_DEP_3)
	v_cmp_eq_u32_e64 s5, 0, v28
	v_cmp_eq_u32_e32 vcc_lo, 1, v28
	v_cmp_eq_u32_e64 s6, 2, v28
	s_and_b32 s5, s4, s5
	s_delay_alu instid0(SALU_CYCLE_1) | instskip(SKIP_4) | instid1(SALU_CYCLE_1)
	v_cndmask_b32_e64 v29, 0, 1, s5
	s_and_b32 s5, s4, vcc_lo
	v_cmp_eq_u32_e32 vcc_lo, 3, v28
	v_cndmask_b32_e64 v30, 0, 1, s5
	s_and_b32 s5, s4, s6
	v_cndmask_b32_e64 v31, 0, 1, s5
	v_cmp_ne_u32_e64 s5, 0, v29
	s_delay_alu instid0(VALU_DEP_3) | instskip(SKIP_1) | instid1(SALU_CYCLE_1)
	v_cmp_ne_u32_e64 s6, 0, v30
	s_and_b32 s4, s4, vcc_lo
	v_cndmask_b32_e64 v28, 0, 1, s4
	s_delay_alu instid0(VALU_DEP_3)
	s_bcnt1_i32_b32 s4, s5
	v_cmp_ne_u32_e64 s7, 0, v31
	v_add_co_u32 v2, vcc_lo, v2, s4
	s_bcnt1_i32_b32 s5, s6
	v_add_co_ci_u32_e32 v3, vcc_lo, 0, v3, vcc_lo
	v_add_co_u32 v4, vcc_lo, v4, s5
	v_add_co_ci_u32_e32 v5, vcc_lo, 0, v5, vcc_lo
	s_bcnt1_i32_b32 s6, s7
	v_cmp_ne_u32_e32 vcc_lo, 0, v28
	v_mov_b32_e32 v28, v10
	v_add_co_u32 v6, s4, v6, s6
	s_delay_alu instid0(VALU_DEP_1) | instskip(SKIP_1) | instid1(SALU_CYCLE_1)
	v_add_co_ci_u32_e64 v7, s4, 0, v7, s4
	s_bcnt1_i32_b32 s4, vcc_lo
	v_add_co_u32 v8, vcc_lo, v8, s4
	v_add_co_ci_u32_e32 v9, vcc_lo, 0, v9, vcc_lo
	s_and_not1_b32 exec_lo, exec_lo, s9
	s_cbranch_execz .LBB111_83
.LBB111_80:                             ;   Parent Loop BB111_37 Depth=1
                                        ; =>  This Inner Loop Header: Depth=2
	v_add_co_u32 v26, vcc_lo, v26, s52
	v_add_co_ci_u32_e32 v27, vcc_lo, 0, v27, vcc_lo
	v_mov_b32_e32 v10, 0
	s_mov_b32 s5, exec_lo
	s_delay_alu instid0(VALU_DEP_2)
	v_cmp_le_u64_e32 vcc_lo, s[24:25], v[26:27]
	v_cmpx_gt_u64_e64 s[24:25], v[26:27]
	s_cbranch_execz .LBB111_79
; %bb.81:                               ;   in Loop: Header=BB111_80 Depth=2
	v_mul_lo_u32 v10, v27, s28
	v_mul_lo_u32 v31, v26, s29
	v_mad_u64_u32 v[29:30], null, v26, s28, 0
	s_delay_alu instid0(VALU_DEP_1) | instskip(NEXT) | instid1(VALU_DEP_1)
	v_add3_u32 v30, v30, v31, v10
	v_lshlrev_b64 v[29:30], 1, v[29:30]
	s_delay_alu instid0(VALU_DEP_1) | instskip(NEXT) | instid1(VALU_DEP_1)
	v_add_co_u32 v29, s4, s74, v29
	v_add_co_ci_u32_e64 v30, s4, s75, v30, s4
	global_load_u16 v10, v[29:30], off
	s_branch .LBB111_79
.LBB111_82:                             ;   in Loop: Header=BB111_37 Depth=1
                                        ; implicit-def: $vgpr8_vgpr9
                                        ; implicit-def: $vgpr4_vgpr5
	s_cbranch_execnz .LBB111_85
	s_branch .LBB111_94
.LBB111_83:                             ;   in Loop: Header=BB111_37 Depth=1
	s_or_b32 exec_lo, exec_lo, s9
.LBB111_84:                             ;   in Loop: Header=BB111_37 Depth=1
	s_delay_alu instid0(SALU_CYCLE_1)
	s_or_b32 exec_lo, exec_lo, s8
	s_branch .LBB111_94
.LBB111_85:                             ;   in Loop: Header=BB111_37 Depth=1
	global_load_u16 v8, v11, s[56:57]
	s_mov_b64 s[66:67], 0
	s_mov_b32 s65, exec_lo
	s_waitcnt vmcnt(0)
	v_readfirstlane_b32 s4, v8
	v_and_b32_e32 v28, 0xffff, v8
	s_delay_alu instid0(VALU_DEP_2) | instskip(NEXT) | instid1(SALU_CYCLE_1)
	s_and_b32 s4, 0xffff, s4
	s_lshl_b32 s54, s4, 2
	s_delay_alu instid0(SALU_CYCLE_1) | instskip(SKIP_1) | instid1(VALU_DEP_1)
	v_cvt_f32_u32_e32 v2, s54
	s_sub_i32 s5, 0, s54
	v_rcp_iflag_f32_e32 v2, v2
	s_waitcnt_depctr 0xfff
	v_mul_f32_e32 v2, 0x4f7ffffe, v2
	s_delay_alu instid0(VALU_DEP_1) | instskip(NEXT) | instid1(VALU_DEP_1)
	v_cvt_u32_f32_e32 v2, v2
	v_readfirstlane_b32 s4, v2
	v_mov_b32_e32 v2, 0
	v_mov_b32_e32 v3, 0
	s_delay_alu instid0(VALU_DEP_3) | instskip(NEXT) | instid1(VALU_DEP_1)
	s_mul_i32 s5, s5, s4
	v_dual_mov_b32 v5, v3 :: v_dual_mov_b32 v4, v2
	s_mul_hi_u32 s5, s4, s5
	v_dual_mov_b32 v7, v3 :: v_dual_mov_b32 v6, v2
	s_add_i32 s4, s4, s5
	v_dual_mov_b32 v9, v3 :: v_dual_mov_b32 v8, v2
	s_mul_hi_u32 s4, s64, s4
	s_delay_alu instid0(SALU_CYCLE_1) | instskip(NEXT) | instid1(SALU_CYCLE_1)
	s_mul_i32 s4, s4, s54
	s_sub_i32 s4, s64, s4
	s_delay_alu instid0(SALU_CYCLE_1) | instskip(SKIP_2) | instid1(SALU_CYCLE_1)
	s_sub_i32 s5, s4, s54
	s_cmp_ge_u32 s4, s54
	s_cselect_b32 s4, s5, s4
	s_sub_i32 s5, s4, s54
	s_cmp_ge_u32 s4, s54
	s_cselect_b32 s4, s5, s4
	s_delay_alu instid0(SALU_CYCLE_1) | instskip(NEXT) | instid1(SALU_CYCLE_1)
	s_sub_i32 s52, s64, s4
	v_cmpx_gt_u32_e64 s52, v16
	s_cbranch_execz .LBB111_89
; %bb.86:                               ;   in Loop: Header=BB111_37 Depth=1
	v_dual_mov_b32 v29, v42 :: v_dual_lshlrev_b32 v10, 3, v28
	v_dual_mov_b32 v27, v17 :: v_dual_mov_b32 v26, v16
	s_and_b32 s98, s91, 0xfe
	s_mov_b32 s99, 0
	s_mov_b64 s[68:69], 0
	s_mov_b64 s[70:71], 0
	;; [unrolled: 1-line block ×3, first 2 shown]
.LBB111_87:                             ;   Parent Loop BB111_37 Depth=1
                                        ; =>  This Inner Loop Header: Depth=2
	ds_load_b64 v[2:3], v29
	v_add_co_u32 v26, vcc_lo, v26, s54
	v_add_co_ci_u32_e32 v27, vcc_lo, 0, v27, vcc_lo
	s_delay_alu instid0(VALU_DEP_1)
	v_cmp_le_u64_e32 vcc_lo, s[52:53], v[26:27]
	s_waitcnt lgkmcnt(0)
	v_bfe_i32 v4, v2, 0, 16
	v_ashrrev_i32_e32 v2, 16, v2
	v_bfe_i32 v5, v3, 0, 16
	v_ashrrev_i32_e32 v3, 16, v3
	s_delay_alu instid0(VALU_DEP_4) | instskip(NEXT) | instid1(VALU_DEP_4)
	v_add_nc_u32_e32 v4, 0x8000, v4
	v_add_nc_u32_e32 v2, 0x8000, v2
	s_delay_alu instid0(VALU_DEP_4) | instskip(NEXT) | instid1(VALU_DEP_4)
	v_add_nc_u32_e32 v5, 0x8000, v5
	v_add_nc_u32_e32 v3, 0x8000, v3
	s_delay_alu instid0(VALU_DEP_4)
	v_and_b32_e32 v6, s97, v4
	v_bfe_u32 v4, v4, s98, 2
	v_and_b32_e32 v7, s97, v2
	v_bfe_u32 v2, v2, s98, 2
	v_and_b32_e32 v8, s97, v5
	v_bfe_u32 v5, v5, s98, 2
	v_cmp_eq_u32_e64 s4, s96, v6
	v_cmp_eq_u32_e64 s8, 0, v4
	v_and_b32_e32 v9, s97, v3
	v_bfe_u32 v3, v3, s98, 2
	v_cmp_eq_u32_e64 s5, s96, v7
	v_cmp_eq_u32_e64 s9, 0, v2
	;; [unrolled: 1-line block ×4, first 2 shown]
	s_and_b32 s8, s4, s8
	v_cmp_eq_u32_e64 s7, s96, v9
	v_cmp_eq_u32_e64 s11, 0, v3
	;; [unrolled: 1-line block ×5, first 2 shown]
	v_cndmask_b32_e64 v2, 0, 1, s8
	s_and_b32 s8, s5, s9
	v_cmp_eq_u32_e64 s15, 1, v3
	v_cmp_eq_u32_e64 s19, 2, v3
	v_cmp_eq_u32_e64 s23, 3, v3
	v_cndmask_b32_e64 v3, 0, 1, s8
	s_and_b32 s8, s6, s10
	v_cmp_eq_u32_e64 s12, 1, v4
	v_cmp_eq_u32_e64 s16, 2, v4
	v_cmp_eq_u32_e64 s20, 3, v4
	;; [unrolled: 5-line block ×3, first 2 shown]
	v_cndmask_b32_e64 v5, 0, 1, s8
	v_cmp_ne_u32_e64 s8, 0, v2
	v_cmp_ne_u32_e64 s9, 0, v3
	;; [unrolled: 1-line block ×3, first 2 shown]
	s_delay_alu instid0(VALU_DEP_4) | instskip(NEXT) | instid1(VALU_DEP_4)
	v_cmp_ne_u32_e64 s11, 0, v5
	s_bcnt1_i32_b32 s8, s8
	s_delay_alu instid0(VALU_DEP_3) | instskip(NEXT) | instid1(VALU_DEP_2)
	s_bcnt1_i32_b32 s9, s9
	s_bcnt1_i32_b32 s10, s10
	s_add_i32 s8, s9, s8
	s_bcnt1_i32_b32 s11, s11
	s_add_i32 s8, s8, s10
	s_delay_alu instid0(SALU_CYCLE_1) | instskip(NEXT) | instid1(SALU_CYCLE_1)
	s_add_i32 s8, s8, s11
	s_add_u32 s72, s72, s8
	s_addc_u32 s73, s73, 0
	s_and_b32 s8, s4, s12
	v_add_nc_u32_e32 v29, v29, v10
	v_cndmask_b32_e64 v2, 0, 1, s8
	s_and_b32 s8, s5, s13
	s_delay_alu instid0(SALU_CYCLE_1) | instskip(SKIP_1) | instid1(SALU_CYCLE_1)
	v_cndmask_b32_e64 v3, 0, 1, s8
	s_and_b32 s8, s6, s14
	v_cndmask_b32_e64 v4, 0, 1, s8
	s_and_b32 s8, s7, s15
	s_delay_alu instid0(VALU_DEP_2) | instskip(SKIP_3) | instid1(VALU_DEP_4)
	v_cmp_ne_u32_e64 s9, 0, v3
	v_cndmask_b32_e64 v5, 0, 1, s8
	v_cmp_ne_u32_e64 s8, 0, v2
	v_cmp_ne_u32_e64 s10, 0, v4
	s_bcnt1_i32_b32 s9, s9
	s_delay_alu instid0(VALU_DEP_3) | instskip(NEXT) | instid1(VALU_DEP_3)
	v_cmp_ne_u32_e64 s11, 0, v5
	s_bcnt1_i32_b32 s8, s8
	s_delay_alu instid0(VALU_DEP_2) | instskip(SKIP_1) | instid1(VALU_DEP_1)
	s_bcnt1_i32_b32 s10, s10
	s_add_i32 s8, s9, s8
	s_bcnt1_i32_b32 s11, s11
	s_add_i32 s8, s8, s10
	s_delay_alu instid0(SALU_CYCLE_1) | instskip(NEXT) | instid1(SALU_CYCLE_1)
	s_add_i32 s8, s8, s11
	s_add_u32 s70, s70, s8
	s_addc_u32 s71, s71, 0
	s_and_b32 s8, s4, s16
	s_delay_alu instid0(SALU_CYCLE_1) | instskip(SKIP_1) | instid1(SALU_CYCLE_1)
	v_cndmask_b32_e64 v2, 0, 1, s8
	s_and_b32 s8, s5, s17
	v_cndmask_b32_e64 v3, 0, 1, s8
	s_and_b32 s8, s6, s18
	s_delay_alu instid0(SALU_CYCLE_1) | instskip(SKIP_1) | instid1(VALU_DEP_2)
	v_cndmask_b32_e64 v4, 0, 1, s8
	s_and_b32 s8, s7, s19
	v_cmp_ne_u32_e64 s9, 0, v3
	v_cndmask_b32_e64 v5, 0, 1, s8
	v_cmp_ne_u32_e64 s8, 0, v2
	v_cmp_ne_u32_e64 s10, 0, v4
	s_delay_alu instid0(VALU_DEP_4) | instskip(NEXT) | instid1(VALU_DEP_3)
	s_bcnt1_i32_b32 s9, s9
	v_cmp_ne_u32_e64 s11, 0, v5
	s_delay_alu instid0(VALU_DEP_3) | instskip(NEXT) | instid1(VALU_DEP_2)
	s_bcnt1_i32_b32 s8, s8
	s_bcnt1_i32_b32 s10, s10
	s_add_i32 s8, s9, s8
	s_delay_alu instid0(VALU_DEP_1) | instskip(SKIP_1) | instid1(SALU_CYCLE_1)
	s_bcnt1_i32_b32 s11, s11
	s_add_i32 s8, s8, s10
	s_add_i32 s8, s8, s11
	s_delay_alu instid0(SALU_CYCLE_1)
	s_add_u32 s68, s68, s8
	s_addc_u32 s69, s69, 0
	s_and_b32 s4, s4, s20
	v_mov_b32_e32 v6, s68
	v_cndmask_b32_e64 v2, 0, 1, s4
	s_and_b32 s4, s5, s21
	v_mov_b32_e32 v7, s69
	v_cndmask_b32_e64 v3, 0, 1, s4
	s_and_b32 s4, s6, s22
	s_delay_alu instid0(SALU_CYCLE_1) | instskip(SKIP_1) | instid1(VALU_DEP_2)
	v_cndmask_b32_e64 v4, 0, 1, s4
	s_and_b32 s4, s7, s23
	v_cmp_ne_u32_e64 s5, 0, v3
	v_cndmask_b32_e64 v5, 0, 1, s4
	v_cmp_ne_u32_e64 s4, 0, v2
	v_mov_b32_e32 v2, s72
	v_cmp_ne_u32_e64 s6, 0, v4
	s_bcnt1_i32_b32 s5, s5
	v_cmp_ne_u32_e64 s7, 0, v5
	s_bcnt1_i32_b32 s4, s4
	v_mov_b32_e32 v4, s70
	s_bcnt1_i32_b32 s6, s6
	s_add_i32 s4, s5, s4
	s_bcnt1_i32_b32 s5, s7
	s_add_i32 s4, s4, s6
	v_mov_b32_e32 v3, s73
	s_add_i32 s4, s4, s5
	v_mov_b32_e32 v5, s71
	s_add_u32 s66, s66, s4
	s_addc_u32 s67, s67, 0
	s_delay_alu instid0(SALU_CYCLE_1) | instskip(SKIP_1) | instid1(SALU_CYCLE_1)
	v_dual_mov_b32 v8, s66 :: v_dual_mov_b32 v9, s67
	s_or_b32 s99, vcc_lo, s99
	s_and_not1_b32 exec_lo, exec_lo, s99
	s_cbranch_execnz .LBB111_87
; %bb.88:                               ;   in Loop: Header=BB111_37 Depth=1
	s_or_b32 exec_lo, exec_lo, s99
.LBB111_89:                             ;   in Loop: Header=BB111_37 Depth=1
	s_delay_alu instid0(SALU_CYCLE_1) | instskip(SKIP_2) | instid1(VALU_DEP_1)
	s_or_b32 exec_lo, exec_lo, s65
	v_add_nc_u32_e32 v10, s52, v0
	s_mov_b32 s9, exec_lo
	v_cmpx_gt_u32_e64 s64, v10
	s_cbranch_execz .LBB111_93
; %bb.90:                               ;   in Loop: Header=BB111_37 Depth=1
	v_dual_mov_b32 v27, v11 :: v_dual_lshlrev_b32 v30, 1, v28
	v_dual_mov_b32 v26, v10 :: v_dual_lshlrev_b32 v29, 1, v10
	s_mov_b32 s11, 0
	s_and_b32 s10, s64, 0x7fffffff
	s_and_b32 s13, s91, 0xfe
	s_mov_b32 s12, s11
.LBB111_91:                             ;   Parent Loop BB111_37 Depth=1
                                        ; =>  This Inner Loop Header: Depth=2
	ds_load_i16 v10, v29
	v_add_co_u32 v26, vcc_lo, v26, v28
	v_add_co_ci_u32_e32 v27, vcc_lo, 0, v27, vcc_lo
	v_add_nc_u32_e32 v29, v29, v30
	s_delay_alu instid0(VALU_DEP_2) | instskip(SKIP_2) | instid1(VALU_DEP_1)
	v_cmp_le_u64_e32 vcc_lo, s[10:11], v[26:27]
	s_waitcnt lgkmcnt(0)
	v_add_nc_u32_e32 v10, 0x8000, v10
	v_and_b32_e32 v31, s97, v10
	v_bfe_u32 v10, v10, s13, 2
	s_delay_alu instid0(VALU_DEP_2) | instskip(NEXT) | instid1(VALU_DEP_2)
	v_cmp_eq_u32_e64 s4, s96, v31
	v_cmp_eq_u32_e64 s5, 0, v10
	;; [unrolled: 1-line block ×5, first 2 shown]
	s_delay_alu instid0(VALU_DEP_4) | instskip(NEXT) | instid1(SALU_CYCLE_1)
	s_and_b32 s5, s4, s5
	v_cndmask_b32_e64 v10, 0, 1, s5
	s_and_b32 s5, s4, s6
	s_delay_alu instid0(SALU_CYCLE_1)
	v_cndmask_b32_e64 v31, 0, 1, s5
	s_and_b32 s5, s4, s7
	s_and_b32 s4, s4, s8
	v_cndmask_b32_e64 v32, 0, 1, s5
	v_cndmask_b32_e64 v33, 0, 1, s4
	v_cmp_ne_u32_e64 s4, 0, v10
	v_cmp_ne_u32_e64 s5, 0, v31
	s_delay_alu instid0(VALU_DEP_4) | instskip(NEXT) | instid1(VALU_DEP_4)
	v_cmp_ne_u32_e64 s6, 0, v32
	v_cmp_ne_u32_e64 s7, 0, v33
	s_delay_alu instid0(VALU_DEP_4) | instskip(NEXT) | instid1(VALU_DEP_3)
	s_bcnt1_i32_b32 s4, s4
	s_bcnt1_i32_b32 s5, s5
	v_add_co_u32 v2, s4, v2, s4
	s_delay_alu instid0(VALU_DEP_1)
	v_add_co_ci_u32_e64 v3, s4, 0, v3, s4
	v_add_co_u32 v4, s4, v4, s5
	s_bcnt1_i32_b32 s6, s6
	v_add_co_ci_u32_e64 v5, s4, 0, v5, s4
	v_add_co_u32 v6, s4, v6, s6
	s_bcnt1_i32_b32 s7, s7
	v_add_co_ci_u32_e64 v7, s4, 0, v7, s4
	v_add_co_u32 v8, s4, v8, s7
	s_delay_alu instid0(VALU_DEP_1) | instskip(SKIP_1) | instid1(SALU_CYCLE_1)
	v_add_co_ci_u32_e64 v9, s4, 0, v9, s4
	s_or_b32 s12, vcc_lo, s12
	s_and_not1_b32 exec_lo, exec_lo, s12
	s_cbranch_execnz .LBB111_91
; %bb.92:                               ;   in Loop: Header=BB111_37 Depth=1
	s_or_b32 exec_lo, exec_lo, s12
.LBB111_93:                             ;   in Loop: Header=BB111_37 Depth=1
	s_delay_alu instid0(SALU_CYCLE_1)
	s_or_b32 exec_lo, exec_lo, s9
.LBB111_94:                             ;   in Loop: Header=BB111_37 Depth=1
	s_lshl_b32 s4, s94, 7
	s_and_saveexec_b32 s5, s1
	s_cbranch_execz .LBB111_96
; %bb.95:                               ;   in Loop: Header=BB111_37 Depth=1
	v_or_b32_e32 v10, s4, v41
	s_delay_alu instid0(VALU_DEP_1)
	v_lshlrev_b32_e32 v10, 3, v10
	ds_store_b128 v10, v[2:5] offset:3072
	ds_store_b128 v10, v[6:9] offset:3088
.LBB111_96:                             ;   in Loop: Header=BB111_37 Depth=1
	s_or_b32 exec_lo, exec_lo, s5
	s_waitcnt vmcnt(0) lgkmcnt(0)
	s_barrier
	buffer_gl0_inv
	s_and_saveexec_b32 s5, s76
	s_cbranch_execz .LBB111_107
; %bb.97:                               ;   in Loop: Header=BB111_37 Depth=1
	v_mov_b32_e32 v2, 0
	v_mov_b32_e32 v3, 0
	s_and_not1_b32 vcc_lo, exec_lo, s84
	s_cbranch_vccnz .LBB111_106
; %bb.98:                               ;   in Loop: Header=BB111_37 Depth=1
	v_mov_b32_e32 v2, 0
	v_mov_b32_e32 v3, 0
	s_and_not1_b32 vcc_lo, exec_lo, s82
	s_cbranch_vccnz .LBB111_103
; %bb.99:                               ;   in Loop: Header=BB111_37 Depth=1
	v_lshl_add_u32 v4, s94, 10, v44
	s_mov_b32 s6, 0
	s_set_inst_prefetch_distance 0x1
	.p2align	6
.LBB111_100:                            ;   Parent Loop BB111_37 Depth=1
                                        ; =>  This Inner Loop Header: Depth=2
	ds_load_2addr_b64 v[5:8], v4 offset1:4
	ds_load_2addr_b64 v[26:29], v4 offset0:8 offset1:12
	ds_load_2addr_b64 v[30:33], v4 offset0:16 offset1:20
	s_add_i32 s6, s6, 8
	s_delay_alu instid0(SALU_CYCLE_1) | instskip(SKIP_3) | instid1(VALU_DEP_2)
	s_cmp_eq_u32 s83, s6
	s_waitcnt lgkmcnt(2)
	v_add_co_u32 v2, vcc_lo, v5, v2
	v_add_co_ci_u32_e32 v3, vcc_lo, v6, v3, vcc_lo
	v_add_co_u32 v2, vcc_lo, v7, v2
	s_delay_alu instid0(VALU_DEP_2)
	v_add_co_ci_u32_e32 v3, vcc_lo, v8, v3, vcc_lo
	ds_load_2addr_b64 v[5:8], v4 offset0:24 offset1:28
	s_waitcnt lgkmcnt(2)
	v_add_co_u32 v2, vcc_lo, v26, v2
	v_add_co_ci_u32_e32 v3, vcc_lo, v27, v3, vcc_lo
	v_add_nc_u32_e32 v4, 0x100, v4
	s_delay_alu instid0(VALU_DEP_3) | instskip(NEXT) | instid1(VALU_DEP_3)
	v_add_co_u32 v2, vcc_lo, v28, v2
	v_add_co_ci_u32_e32 v3, vcc_lo, v29, v3, vcc_lo
	s_waitcnt lgkmcnt(1)
	s_delay_alu instid0(VALU_DEP_2) | instskip(NEXT) | instid1(VALU_DEP_2)
	v_add_co_u32 v2, vcc_lo, v30, v2
	v_add_co_ci_u32_e32 v3, vcc_lo, v31, v3, vcc_lo
	s_delay_alu instid0(VALU_DEP_2) | instskip(NEXT) | instid1(VALU_DEP_2)
	v_add_co_u32 v2, vcc_lo, v32, v2
	v_add_co_ci_u32_e32 v3, vcc_lo, v33, v3, vcc_lo
	s_waitcnt lgkmcnt(0)
	s_delay_alu instid0(VALU_DEP_2) | instskip(NEXT) | instid1(VALU_DEP_2)
	v_add_co_u32 v2, vcc_lo, v5, v2
	v_add_co_ci_u32_e32 v3, vcc_lo, v6, v3, vcc_lo
	s_delay_alu instid0(VALU_DEP_2) | instskip(NEXT) | instid1(VALU_DEP_2)
	v_add_co_u32 v2, vcc_lo, v7, v2
	v_add_co_ci_u32_e32 v3, vcc_lo, v8, v3, vcc_lo
	s_cbranch_scc0 .LBB111_100
; %bb.101:                              ;   in Loop: Header=BB111_37 Depth=1
	s_set_inst_prefetch_distance 0x2
	s_mov_b32 s6, s83
	s_and_not1_b32 vcc_lo, exec_lo, s85
	s_cbranch_vccz .LBB111_104
	s_branch .LBB111_106
.LBB111_102:                            ;   in Loop: Header=BB111_37 Depth=1
                                        ; implicit-def: $vgpr2_vgpr3
	s_branch .LBB111_70
.LBB111_103:                            ;   in Loop: Header=BB111_37 Depth=1
	s_mov_b32 s6, 0
	s_and_not1_b32 vcc_lo, exec_lo, s85
	s_cbranch_vccnz .LBB111_106
.LBB111_104:                            ;   in Loop: Header=BB111_37 Depth=1
	s_lshl_b32 s7, s94, 10
	s_lshl_b32 s6, s6, 5
	s_delay_alu instid0(SALU_CYCLE_1)
	v_add3_u32 v4, s7, s6, v44
	s_mov_b32 s6, s81
.LBB111_105:                            ;   Parent Loop BB111_37 Depth=1
                                        ; =>  This Inner Loop Header: Depth=2
	ds_load_b64 v[5:6], v4
	v_add_nc_u32_e32 v4, 32, v4
	s_add_i32 s6, s6, -1
	s_delay_alu instid0(SALU_CYCLE_1)
	s_cmp_lg_u32 s6, 0
	s_waitcnt lgkmcnt(0)
	v_add_co_u32 v2, vcc_lo, v5, v2
	v_add_co_ci_u32_e32 v3, vcc_lo, v6, v3, vcc_lo
	s_cbranch_scc1 .LBB111_105
.LBB111_106:                            ;   in Loop: Header=BB111_37 Depth=1
	v_add_lshl_u32 v4, s4, v38, 3
	ds_store_b64 v4, v[2:3] offset:3072
.LBB111_107:                            ;   in Loop: Header=BB111_37 Depth=1
	s_or_b32 exec_lo, exec_lo, s5
	s_lshl_b32 s4, s4, 3
	s_waitcnt lgkmcnt(0)
	v_mov_b32_e32 v6, s4
	s_barrier
	buffer_gl0_inv
	s_and_b32 s17, s91, 0xfe
	s_mov_b32 s19, -1
	ds_load_b128 v[2:5], v6 offset:3072
	ds_load_b128 v[6:9], v6 offset:3088
	s_lshl_b32 s16, 3, s17
	s_delay_alu instid0(SALU_CYCLE_1)
	s_not_b32 s18, s16
	s_waitcnt lgkmcnt(1)
	v_readfirstlane_b32 s13, v3
	v_readfirstlane_b32 s12, v2
	;; [unrolled: 1-line block ×4, first 2 shown]
	s_waitcnt lgkmcnt(0)
	v_readfirstlane_b32 s8, v6
	v_readfirstlane_b32 s9, v7
	s_cmp_eq_u64 s[12:13], 1
	v_readfirstlane_b32 s6, v8
	s_cselect_b32 s4, -1, 0
	s_cmp_eq_u64 s[46:47], 1
	v_readfirstlane_b32 s7, v9
	s_cselect_b32 s5, -1, 0
	s_delay_alu instid0(SALU_CYCLE_1) | instskip(NEXT) | instid1(SALU_CYCLE_1)
	s_and_b32 s20, s4, s5
	s_and_b32 vcc_lo, exec_lo, s20
	s_cbranch_vccz .LBB111_122
; %bb.108:                              ;   in Loop: Header=BB111_37 Depth=1
	ds_load_b64 v[2:3], v11 offset:5120
	s_waitcnt lgkmcnt(0)
	s_barrier
	buffer_gl0_inv
	v_readfirstlane_b32 s14, v2
	v_readfirstlane_b32 s15, v3
	s_and_saveexec_b32 s4, s3
	s_cbranch_execz .LBB111_110
; %bb.109:                              ;   in Loop: Header=BB111_37 Depth=1
	ds_store_b16 v40, v11
.LBB111_110:                            ;   in Loop: Header=BB111_37 Depth=1
	s_or_b32 exec_lo, exec_lo, s4
	s_and_b32 s96, s96, s18
	s_or_b32 s97, s97, s16
	s_cmp_eq_u64 s[14:15], 0
	s_waitcnt lgkmcnt(0)
	s_barrier
	buffer_gl0_inv
	s_cbranch_scc1 .LBB111_123
; %bb.111:                              ;   in Loop: Header=BB111_37 Depth=1
	s_add_u32 s21, s78, s14
	s_addc_u32 s5, s79, s15
	s_mov_b32 s4, s53
	s_delay_alu instid0(SALU_CYCLE_1)
	s_cmp_lg_u64 s[4:5], 0
	s_cbranch_scc0 .LBB111_168
; %bb.112:                              ;   in Loop: Header=BB111_37 Depth=1
	v_cvt_f32_u32_e32 v2, s33
	s_sub_u32 s23, 0, s33
	s_subb_u32 s52, 0, 0
	s_delay_alu instid0(VALU_DEP_1) | instskip(NEXT) | instid1(VALU_DEP_1)
	v_fmac_f32_e64 v2, 0, 0x4f800000
	v_rcp_f32_e32 v2, v2
	s_waitcnt_depctr 0xfff
	v_mul_f32_e32 v2, 0x5f7ffffc, v2
	s_delay_alu instid0(VALU_DEP_1) | instskip(NEXT) | instid1(VALU_DEP_1)
	v_mul_f32_e32 v3, 0x2f800000, v2
	v_trunc_f32_e32 v3, v3
	s_delay_alu instid0(VALU_DEP_1) | instskip(SKIP_1) | instid1(VALU_DEP_2)
	v_fmac_f32_e32 v2, 0xcf800000, v3
	v_cvt_u32_f32_e32 v3, v3
	v_cvt_u32_f32_e32 v2, v2
	s_delay_alu instid0(VALU_DEP_2) | instskip(NEXT) | instid1(VALU_DEP_2)
	v_readfirstlane_b32 s4, v3
	v_readfirstlane_b32 s22, v2
	s_delay_alu instid0(VALU_DEP_2) | instskip(NEXT) | instid1(VALU_DEP_1)
	s_mul_i32 s54, s23, s4
	s_mul_hi_u32 s65, s23, s22
	s_mul_i32 s64, s52, s22
	s_add_i32 s54, s65, s54
	s_mul_i32 s66, s23, s22
	s_add_i32 s54, s54, s64
	s_mul_hi_u32 s65, s22, s66
	s_mul_hi_u32 s67, s4, s66
	s_mul_i32 s64, s4, s66
	s_mul_hi_u32 s66, s22, s54
	s_mul_i32 s22, s22, s54
	s_mul_hi_u32 s68, s4, s54
	s_add_u32 s22, s65, s22
	s_addc_u32 s65, 0, s66
	s_add_u32 s22, s22, s64
	s_mul_i32 s54, s4, s54
	s_addc_u32 s22, s65, s67
	s_addc_u32 s64, s68, 0
	s_add_u32 s22, s22, s54
	s_addc_u32 s54, 0, s64
	v_add_co_u32 v2, s22, v2, s22
	s_delay_alu instid0(VALU_DEP_1) | instskip(SKIP_1) | instid1(VALU_DEP_1)
	s_cmp_lg_u32 s22, 0
	s_addc_u32 s4, s4, s54
	v_readfirstlane_b32 s22, v2
	s_mul_i32 s54, s23, s4
	s_delay_alu instid0(VALU_DEP_1)
	s_mul_hi_u32 s64, s23, s22
	s_mul_i32 s52, s52, s22
	s_add_i32 s54, s64, s54
	s_mul_i32 s23, s23, s22
	s_add_i32 s54, s54, s52
	s_mul_hi_u32 s64, s4, s23
	s_mul_i32 s65, s4, s23
	s_mul_hi_u32 s23, s22, s23
	s_mul_hi_u32 s66, s22, s54
	s_mul_i32 s22, s22, s54
	s_mul_hi_u32 s52, s4, s54
	s_add_u32 s22, s23, s22
	s_addc_u32 s23, 0, s66
	s_add_u32 s22, s22, s65
	s_mul_i32 s54, s4, s54
	s_addc_u32 s22, s23, s64
	s_addc_u32 s23, s52, 0
	s_add_u32 s22, s22, s54
	s_addc_u32 s23, 0, s23
	v_add_co_u32 v2, s22, v2, s22
	s_delay_alu instid0(VALU_DEP_1) | instskip(SKIP_1) | instid1(VALU_DEP_1)
	s_cmp_lg_u32 s22, 0
	s_addc_u32 s4, s4, s23
	v_readfirstlane_b32 s22, v2
	s_mul_i32 s52, s21, s4
	s_mul_hi_u32 s23, s21, s4
	s_mul_hi_u32 s54, s5, s4
	s_mul_i32 s4, s5, s4
	s_mul_hi_u32 s64, s21, s22
	s_mul_hi_u32 s65, s5, s22
	s_mul_i32 s22, s5, s22
	s_add_u32 s52, s64, s52
	s_addc_u32 s23, 0, s23
	s_add_u32 s22, s52, s22
	s_addc_u32 s22, s23, s65
	s_addc_u32 s23, s54, 0
	s_add_u32 s4, s22, s4
	s_addc_u32 s22, 0, s23
	s_mul_hi_u32 s23, s33, s4
	s_mul_i32 s4, s33, s4
	s_mul_i32 s22, s33, s22
	v_sub_co_u32 v2, s4, s21, s4
	s_add_i32 s23, s23, s22
	s_cmp_lg_u32 s4, 0
	s_delay_alu instid0(VALU_DEP_1) | instskip(SKIP_2) | instid1(VALU_DEP_1)
	v_sub_co_u32 v3, s4, v2, s33
	s_subb_u32 s22, s5, s23
	s_cmp_lg_u32 s4, 0
	v_cmp_le_u32_e32 vcc_lo, s33, v3
	v_sub_co_u32 v4, s4, v3, s33
	s_subb_u32 s23, s22, 0
	s_cmp_lg_u32 s4, 0
	v_cndmask_b32_e64 v5, 0, -1, vcc_lo
	s_subb_u32 s4, s23, 0
	s_cmp_eq_u32 s23, 0
	v_mov_b32_e32 v7, s4
	s_cselect_b32 vcc_lo, -1, 0
	s_cmp_eq_u32 s22, 0
	v_cndmask_b32_e32 v5, -1, v5, vcc_lo
	v_cmp_le_u32_e32 vcc_lo, s33, v2
	s_cselect_b32 s4, -1, 0
	v_cndmask_b32_e64 v6, 0, -1, vcc_lo
	s_delay_alu instid0(VALU_DEP_3) | instskip(NEXT) | instid1(VALU_DEP_2)
	v_cmp_ne_u32_e32 vcc_lo, 0, v5
	v_cndmask_b32_e64 v5, -1, v6, s4
	v_cndmask_b32_e32 v6, s23, v7, vcc_lo
	v_cndmask_b32_e32 v4, v3, v4, vcc_lo
	s_delay_alu instid0(VALU_DEP_3) | instskip(NEXT) | instid1(VALU_DEP_3)
	v_cmp_ne_u32_e32 vcc_lo, 0, v5
	v_cndmask_b32_e32 v3, s22, v6, vcc_lo
	s_delay_alu instid0(VALU_DEP_3)
	v_cndmask_b32_e32 v2, v2, v4, vcc_lo
	s_cbranch_execnz .LBB111_114
.LBB111_113:                            ;   in Loop: Header=BB111_37 Depth=1
	v_cvt_f32_u32_e32 v2, s33
	s_sub_i32 s4, 0, s33
	s_delay_alu instid0(VALU_DEP_1) | instskip(SKIP_2) | instid1(VALU_DEP_1)
	v_rcp_iflag_f32_e32 v2, v2
	s_waitcnt_depctr 0xfff
	v_mul_f32_e32 v2, 0x4f7ffffe, v2
	v_cvt_u32_f32_e32 v2, v2
	s_delay_alu instid0(VALU_DEP_1) | instskip(NEXT) | instid1(VALU_DEP_1)
	v_mul_lo_u32 v3, s4, v2
	v_mul_hi_u32 v3, v2, v3
	s_delay_alu instid0(VALU_DEP_1) | instskip(NEXT) | instid1(VALU_DEP_1)
	v_add_nc_u32_e32 v2, v2, v3
	v_mul_hi_u32 v2, s21, v2
	s_delay_alu instid0(VALU_DEP_1) | instskip(NEXT) | instid1(VALU_DEP_1)
	v_mul_lo_u32 v2, v2, s33
	v_sub_nc_u32_e32 v2, s21, v2
	s_delay_alu instid0(VALU_DEP_1) | instskip(SKIP_1) | instid1(VALU_DEP_2)
	v_subrev_nc_u32_e32 v3, s33, v2
	v_cmp_le_u32_e32 vcc_lo, s33, v2
	v_cndmask_b32_e32 v2, v2, v3, vcc_lo
	s_delay_alu instid0(VALU_DEP_1) | instskip(SKIP_1) | instid1(VALU_DEP_2)
	v_subrev_nc_u32_e32 v3, s33, v2
	v_cmp_le_u32_e32 vcc_lo, s33, v2
	v_cndmask_b32_e32 v10, v2, v3, vcc_lo
	s_delay_alu instid0(VALU_DEP_1)
	v_dual_mov_b32 v2, v10 :: v_dual_mov_b32 v3, v11
.LBB111_114:                            ;   in Loop: Header=BB111_37 Depth=1
	s_delay_alu instid0(VALU_DEP_1) | instskip(NEXT) | instid1(VALU_DEP_2)
	v_sub_co_u32 v2, vcc_lo, s21, v2
	v_sub_co_ci_u32_e32 v3, vcc_lo, s5, v3, vcc_lo
	s_mov_b32 s4, 0
	s_mov_b32 s5, exec_lo
                                        ; implicit-def: $vgpr45
	s_delay_alu instid0(VALU_DEP_1)
	v_cmpx_gt_u64_e64 v[2:3], v[0:1]
	s_cbranch_execz .LBB111_125
; %bb.115:                              ;   in Loop: Header=BB111_37 Depth=1
	v_dual_mov_b32 v6, v39 :: v_dual_mov_b32 v5, v1
	v_mov_b32_e32 v4, v0
	s_mov_b32 s21, 0
                                        ; implicit-def: $sgpr22
	s_set_inst_prefetch_distance 0x1
	s_branch .LBB111_117
	.p2align	6
.LBB111_116:                            ;   in Loop: Header=BB111_117 Depth=2
	s_or_b32 exec_lo, exec_lo, s4
	s_waitcnt lgkmcnt(0)
	s_barrier
	buffer_gl0_inv
	ds_load_b32 v7, v11 offset:3072
	v_add_co_u32 v4, vcc_lo, v4, s33
	v_add_co_ci_u32_e32 v5, vcc_lo, 0, v5, vcc_lo
	v_add_nc_u32_e32 v6, s86, v6
	s_waitcnt lgkmcnt(0)
	s_barrier
	s_delay_alu instid0(VALU_DEP_2) | instskip(SKIP_2) | instid1(VALU_DEP_1)
	v_cmp_ge_u64_e32 vcc_lo, v[4:5], v[2:3]
	buffer_gl0_inv
	v_cmp_ne_u16_e64 s4, 0, v7
	s_or_b32 s23, vcc_lo, s4
	s_delay_alu instid0(SALU_CYCLE_1) | instskip(NEXT) | instid1(SALU_CYCLE_1)
	s_and_b32 s23, exec_lo, s23
	s_or_b32 s21, s23, s21
	s_and_not1_b32 s22, s22, exec_lo
	s_and_b32 s4, s4, exec_lo
	s_delay_alu instid0(SALU_CYCLE_1)
	s_or_b32 s22, s22, s4
	s_and_not1_b32 exec_lo, exec_lo, s21
	s_cbranch_execz .LBB111_124
.LBB111_117:                            ;   Parent Loop BB111_37 Depth=1
                                        ; =>  This Inner Loop Header: Depth=2
	s_delay_alu instid0(VALU_DEP_1)
	v_cmp_gt_u64_e32 vcc_lo, s[14:15], v[4:5]
	v_mov_b32_e32 v7, 0
	s_and_saveexec_b32 s4, vcc_lo
	s_cbranch_execz .LBB111_119
; %bb.118:                              ;   in Loop: Header=BB111_117 Depth=2
	ds_load_u16 v7, v6
.LBB111_119:                            ;   in Loop: Header=BB111_117 Depth=2
	s_or_b32 exec_lo, exec_lo, s4
	s_and_saveexec_b32 s4, vcc_lo
	s_cbranch_execz .LBB111_116
; %bb.120:                              ;   in Loop: Header=BB111_117 Depth=2
	s_waitcnt lgkmcnt(0)
	v_bfe_i32 v8, v7, 0, 16
	s_delay_alu instid0(VALU_DEP_1) | instskip(NEXT) | instid1(VALU_DEP_1)
	v_add_nc_u32_e32 v8, 0x8000, v8
	v_and_b32_e32 v8, s97, v8
	s_delay_alu instid0(VALU_DEP_1)
	v_cmp_eq_u32_e32 vcc_lo, s96, v8
	s_and_b32 exec_lo, exec_lo, vcc_lo
	s_cbranch_execz .LBB111_116
; %bb.121:                              ;   in Loop: Header=BB111_117 Depth=2
	v_perm_b32 v7, v7, 1, 0x5040100
	ds_store_b32 v11, v7 offset:3072
	s_branch .LBB111_116
.LBB111_122:                            ;   in Loop: Header=BB111_37 Depth=1
	s_mov_b32 s4, -1
                                        ; implicit-def: $sgpr5
                                        ; implicit-def: $sgpr15
                                        ; implicit-def: $sgpr14
	s_branch .LBB111_139
.LBB111_123:                            ;   in Loop: Header=BB111_37 Depth=1
	s_mov_b32 s5, -1
	s_mov_b32 s4, 0
                                        ; implicit-def: $sgpr14
                                        ; implicit-def: $vgpr45
	s_mov_b32 s15, s5
	s_cbranch_execnz .LBB111_126
	s_branch .LBB111_139
.LBB111_124:                            ;   in Loop: Header=BB111_37 Depth=1
	s_set_inst_prefetch_distance 0x2
	s_or_b32 exec_lo, exec_lo, s21
	v_lshrrev_b32_e32 v45, 16, v7
	s_and_b32 s4, s22, exec_lo
.LBB111_125:                            ;   in Loop: Header=BB111_37 Depth=1
	s_or_b32 exec_lo, exec_lo, s5
	s_mov_b32 s14, -1
	s_mov_b32 s5, 0
	s_delay_alu instid0(SALU_CYCLE_1)
	s_mov_b32 s15, s5
	s_branch .LBB111_139
.LBB111_126:                            ;   in Loop: Header=BB111_37 Depth=1
	s_mov_b32 s54, s53
	s_delay_alu instid0(SALU_CYCLE_1)
	s_cmp_lg_u64 s[54:55], 0
	s_cbranch_scc0 .LBB111_169
; %bb.127:                              ;   in Loop: Header=BB111_37 Depth=1
	v_cvt_f32_u32_e32 v2, s33
	s_sub_u32 s14, 0, s33
	s_subb_u32 s15, 0, 0
	s_delay_alu instid0(VALU_DEP_1) | instskip(NEXT) | instid1(VALU_DEP_1)
	v_fmac_f32_e64 v2, 0, 0x4f800000
	v_rcp_f32_e32 v2, v2
	s_waitcnt_depctr 0xfff
	v_mul_f32_e32 v2, 0x5f7ffffc, v2
	s_delay_alu instid0(VALU_DEP_1) | instskip(NEXT) | instid1(VALU_DEP_1)
	v_mul_f32_e32 v3, 0x2f800000, v2
	v_trunc_f32_e32 v3, v3
	s_delay_alu instid0(VALU_DEP_1) | instskip(SKIP_1) | instid1(VALU_DEP_2)
	v_fmac_f32_e32 v2, 0xcf800000, v3
	v_cvt_u32_f32_e32 v3, v3
	v_cvt_u32_f32_e32 v2, v2
	s_delay_alu instid0(VALU_DEP_2) | instskip(NEXT) | instid1(VALU_DEP_2)
	v_readfirstlane_b32 s4, v3
	v_readfirstlane_b32 s5, v2
	s_delay_alu instid0(VALU_DEP_2) | instskip(NEXT) | instid1(VALU_DEP_1)
	s_mul_i32 s21, s14, s4
	s_mul_hi_u32 s23, s14, s5
	s_mul_i32 s22, s15, s5
	s_add_i32 s21, s23, s21
	s_mul_i32 s52, s14, s5
	s_add_i32 s21, s21, s22
	s_mul_hi_u32 s23, s5, s52
	s_mul_hi_u32 s54, s4, s52
	s_mul_i32 s22, s4, s52
	s_mul_hi_u32 s52, s5, s21
	s_mul_i32 s5, s5, s21
	s_mul_hi_u32 s64, s4, s21
	s_add_u32 s5, s23, s5
	s_addc_u32 s23, 0, s52
	s_add_u32 s5, s5, s22
	s_mul_i32 s21, s4, s21
	s_addc_u32 s5, s23, s54
	s_addc_u32 s22, s64, 0
	s_add_u32 s5, s5, s21
	s_addc_u32 s21, 0, s22
	v_add_co_u32 v2, s5, v2, s5
	s_delay_alu instid0(VALU_DEP_1) | instskip(SKIP_1) | instid1(VALU_DEP_1)
	s_cmp_lg_u32 s5, 0
	s_addc_u32 s4, s4, s21
	v_readfirstlane_b32 s5, v2
	s_mul_i32 s21, s14, s4
	s_delay_alu instid0(VALU_DEP_1)
	s_mul_hi_u32 s22, s14, s5
	s_mul_i32 s15, s15, s5
	s_add_i32 s21, s22, s21
	s_mul_i32 s14, s14, s5
	s_add_i32 s21, s21, s15
	s_mul_hi_u32 s22, s4, s14
	s_mul_i32 s23, s4, s14
	s_mul_hi_u32 s14, s5, s14
	s_mul_hi_u32 s52, s5, s21
	s_mul_i32 s5, s5, s21
	s_mul_hi_u32 s15, s4, s21
	s_add_u32 s5, s14, s5
	s_addc_u32 s14, 0, s52
	s_add_u32 s5, s5, s23
	s_mul_i32 s21, s4, s21
	s_addc_u32 s5, s14, s22
	s_addc_u32 s14, s15, 0
	s_add_u32 s5, s5, s21
	s_addc_u32 s14, 0, s14
	v_add_co_u32 v2, s5, v2, s5
	s_delay_alu instid0(VALU_DEP_1) | instskip(SKIP_1) | instid1(VALU_DEP_1)
	s_cmp_lg_u32 s5, 0
	s_addc_u32 s4, s4, s14
	v_readfirstlane_b32 s5, v2
	s_mul_i32 s15, s80, s4
	s_mul_hi_u32 s14, s80, s4
	s_mul_hi_u32 s21, s55, s4
	s_mul_i32 s4, s55, s4
	s_mul_hi_u32 s22, s80, s5
	s_mul_hi_u32 s23, s55, s5
	s_mul_i32 s5, s55, s5
	s_add_u32 s15, s22, s15
	s_addc_u32 s14, 0, s14
	s_add_u32 s5, s15, s5
	s_addc_u32 s5, s14, s23
	s_addc_u32 s14, s21, 0
	s_add_u32 s4, s5, s4
	s_addc_u32 s5, 0, s14
	s_mul_hi_u32 s14, s33, s4
	s_mul_i32 s4, s33, s4
	s_mul_i32 s5, s33, s5
	v_sub_co_u32 v2, s4, s80, s4
	s_add_i32 s14, s14, s5
	s_cmp_lg_u32 s4, 0
	s_delay_alu instid0(VALU_DEP_1) | instskip(SKIP_2) | instid1(VALU_DEP_1)
	v_sub_co_u32 v3, s4, v2, s33
	s_subb_u32 s5, s55, s14
	s_cmp_lg_u32 s4, 0
	v_cmp_le_u32_e32 vcc_lo, s33, v3
	v_sub_co_u32 v4, s4, v3, s33
	s_subb_u32 s14, s5, 0
	s_cmp_lg_u32 s4, 0
	v_cndmask_b32_e64 v5, 0, -1, vcc_lo
	s_subb_u32 s4, s14, 0
	s_cmp_eq_u32 s14, 0
	v_mov_b32_e32 v7, s4
	s_cselect_b32 vcc_lo, -1, 0
	s_cmp_eq_u32 s5, 0
	v_cndmask_b32_e32 v5, -1, v5, vcc_lo
	v_cmp_le_u32_e32 vcc_lo, s33, v2
	s_cselect_b32 s4, -1, 0
	v_cndmask_b32_e64 v6, 0, -1, vcc_lo
	s_delay_alu instid0(VALU_DEP_3) | instskip(NEXT) | instid1(VALU_DEP_2)
	v_cmp_ne_u32_e32 vcc_lo, 0, v5
	v_cndmask_b32_e64 v5, -1, v6, s4
	v_cndmask_b32_e32 v6, s14, v7, vcc_lo
	v_cndmask_b32_e32 v4, v3, v4, vcc_lo
	s_delay_alu instid0(VALU_DEP_3) | instskip(NEXT) | instid1(VALU_DEP_3)
	v_cmp_ne_u32_e32 vcc_lo, 0, v5
	v_cndmask_b32_e32 v3, s5, v6, vcc_lo
	s_delay_alu instid0(VALU_DEP_3)
	v_cndmask_b32_e32 v2, v2, v4, vcc_lo
	s_cbranch_execnz .LBB111_129
.LBB111_128:                            ;   in Loop: Header=BB111_37 Depth=1
	v_cvt_f32_u32_e32 v2, s33
	s_sub_i32 s4, 0, s33
	s_delay_alu instid0(VALU_DEP_1) | instskip(SKIP_2) | instid1(VALU_DEP_1)
	v_rcp_iflag_f32_e32 v2, v2
	s_waitcnt_depctr 0xfff
	v_mul_f32_e32 v2, 0x4f7ffffe, v2
	v_cvt_u32_f32_e32 v2, v2
	s_delay_alu instid0(VALU_DEP_1) | instskip(NEXT) | instid1(VALU_DEP_1)
	v_mul_lo_u32 v3, s4, v2
	v_mul_hi_u32 v3, v2, v3
	s_delay_alu instid0(VALU_DEP_1) | instskip(NEXT) | instid1(VALU_DEP_1)
	v_add_nc_u32_e32 v2, v2, v3
	v_mul_hi_u32 v2, s80, v2
	s_delay_alu instid0(VALU_DEP_1) | instskip(NEXT) | instid1(VALU_DEP_1)
	v_mul_lo_u32 v2, v2, s33
	v_sub_nc_u32_e32 v2, s80, v2
	s_delay_alu instid0(VALU_DEP_1) | instskip(SKIP_1) | instid1(VALU_DEP_2)
	v_subrev_nc_u32_e32 v3, s33, v2
	v_cmp_le_u32_e32 vcc_lo, s33, v2
	v_cndmask_b32_e32 v2, v2, v3, vcc_lo
	s_delay_alu instid0(VALU_DEP_1) | instskip(SKIP_1) | instid1(VALU_DEP_2)
	v_subrev_nc_u32_e32 v3, s33, v2
	v_cmp_le_u32_e32 vcc_lo, s33, v2
	v_cndmask_b32_e32 v10, v2, v3, vcc_lo
	s_delay_alu instid0(VALU_DEP_1)
	v_dual_mov_b32 v2, v10 :: v_dual_mov_b32 v3, v11
.LBB111_129:                            ;   in Loop: Header=BB111_37 Depth=1
	s_delay_alu instid0(VALU_DEP_1) | instskip(NEXT) | instid1(VALU_DEP_2)
	v_sub_co_u32 v2, vcc_lo, s80, v2
	v_sub_co_ci_u32_e32 v3, vcc_lo, s55, v3, vcc_lo
	s_mov_b32 s4, 0
	s_mov_b32 s5, exec_lo
                                        ; implicit-def: $vgpr45
	s_delay_alu instid0(VALU_DEP_1)
	v_cmpx_gt_u64_e64 v[2:3], v[0:1]
	s_cbranch_execz .LBB111_138
; %bb.130:                              ;   in Loop: Header=BB111_37 Depth=1
	v_dual_mov_b32 v4, v12 :: v_dual_mov_b32 v5, v13
	v_dual_mov_b32 v7, v1 :: v_dual_mov_b32 v6, v0
	s_mov_b32 s14, 0
                                        ; implicit-def: $sgpr15
	s_set_inst_prefetch_distance 0x1
	s_branch .LBB111_132
	.p2align	6
.LBB111_131:                            ;   in Loop: Header=BB111_132 Depth=2
	s_or_b32 exec_lo, exec_lo, s4
	s_waitcnt vmcnt(0) lgkmcnt(0)
	s_barrier
	buffer_gl0_inv
	ds_load_b32 v8, v11 offset:3072
	v_add_co_u32 v6, vcc_lo, v6, s33
	v_add_co_ci_u32_e32 v7, vcc_lo, 0, v7, vcc_lo
	s_waitcnt lgkmcnt(0)
	s_barrier
	buffer_gl0_inv
	v_cmp_ge_u64_e32 vcc_lo, v[6:7], v[2:3]
	v_cmp_ne_u16_e64 s4, 0, v8
	s_delay_alu instid0(VALU_DEP_1)
	s_or_b32 s21, vcc_lo, s4
	v_add_co_u32 v4, vcc_lo, v4, s50
	s_and_b32 s21, exec_lo, s21
	v_add_co_ci_u32_e32 v5, vcc_lo, s51, v5, vcc_lo
	s_or_b32 s14, s21, s14
	s_and_not1_b32 s15, s15, exec_lo
	s_and_b32 s4, s4, exec_lo
	s_delay_alu instid0(SALU_CYCLE_1)
	s_or_b32 s15, s15, s4
	s_and_not1_b32 exec_lo, exec_lo, s14
	s_cbranch_execz .LBB111_137
.LBB111_132:                            ;   Parent Loop BB111_37 Depth=1
                                        ; =>  This Inner Loop Header: Depth=2
	s_delay_alu instid0(VALU_DEP_1)
	v_cmp_gt_u64_e32 vcc_lo, s[24:25], v[6:7]
	v_mov_b32_e32 v8, 0
	s_and_saveexec_b32 s4, vcc_lo
	s_cbranch_execz .LBB111_134
; %bb.133:                              ;   in Loop: Header=BB111_132 Depth=2
	global_load_u16 v8, v[4:5], off
.LBB111_134:                            ;   in Loop: Header=BB111_132 Depth=2
	s_or_b32 exec_lo, exec_lo, s4
	s_and_saveexec_b32 s4, vcc_lo
	s_cbranch_execz .LBB111_131
; %bb.135:                              ;   in Loop: Header=BB111_132 Depth=2
	s_waitcnt vmcnt(0)
	v_bfe_i32 v9, v8, 0, 16
	s_delay_alu instid0(VALU_DEP_1) | instskip(NEXT) | instid1(VALU_DEP_1)
	v_add_nc_u32_e32 v9, 0x8000, v9
	v_and_b32_e32 v9, s97, v9
	s_delay_alu instid0(VALU_DEP_1)
	v_cmp_eq_u32_e32 vcc_lo, s96, v9
	s_and_b32 exec_lo, exec_lo, vcc_lo
	s_cbranch_execz .LBB111_131
; %bb.136:                              ;   in Loop: Header=BB111_132 Depth=2
	v_perm_b32 v8, v8, 1, 0x5040100
	ds_store_b32 v11, v8 offset:3072
	s_branch .LBB111_131
.LBB111_137:                            ;   in Loop: Header=BB111_37 Depth=1
	s_set_inst_prefetch_distance 0x2
	s_or_b32 exec_lo, exec_lo, s14
	v_lshrrev_b32_e32 v45, 16, v8
	s_and_b32 s4, s15, exec_lo
.LBB111_138:                            ;   in Loop: Header=BB111_37 Depth=1
	s_or_b32 exec_lo, exec_lo, s5
	s_mov_b32 s15, -1
	s_mov_b32 s5, 0
	s_mov_b32 s14, 0
.LBB111_139:                            ;   in Loop: Header=BB111_37 Depth=1
	s_and_not1_b32 s21, s92, exec_lo
	s_and_b32 s5, s5, exec_lo
	s_and_b32 s15, s15, exec_lo
	s_or_b32 s92, s21, s5
	s_and_not1_b32 s5, s95, exec_lo
	s_and_not1_b32 s21, s93, exec_lo
	s_and_b32 s14, s14, exec_lo
	s_or_b32 s95, s5, s15
	s_or_b32 s93, s21, s14
	s_and_saveexec_b32 s14, s4
	s_cbranch_execz .LBB111_36
; %bb.140:                              ;   in Loop: Header=BB111_37 Depth=1
	s_xor_b32 s4, s20, -1
	s_mov_b32 s52, 1
	s_and_not1_b32 vcc_lo, exec_lo, s4
	s_cbranch_vccnz .LBB111_151
; %bb.141:                              ;   in Loop: Header=BB111_37 Depth=1
	v_cmp_gt_u64_e64 s4, s[46:47], s[12:13]
                                        ; implicit-def: $sgpr52
                                        ; implicit-def: $sgpr5
                                        ; implicit-def: $sgpr15
	s_delay_alu instid0(VALU_DEP_1)
	s_and_b32 vcc_lo, exec_lo, s4
	s_mov_b32 s4, -1
	s_cbranch_vccnz .LBB111_147
; %bb.142:                              ;   in Loop: Header=BB111_37 Depth=1
	ds_load_b64 v[2:3], v11 offset:5120
	s_waitcnt lgkmcnt(0)
	v_cmp_ne_u64_e32 vcc_lo, 0, v[2:3]
	s_cbranch_vccnz .LBB111_146
; %bb.143:                              ;   in Loop: Header=BB111_37 Depth=1
	s_and_saveexec_b32 s4, s2
	s_cbranch_execz .LBB111_145
; %bb.144:                              ;   in Loop: Header=BB111_37 Depth=1
	v_dual_mov_b32 v2, s12 :: v_dual_mov_b32 v3, s13
	ds_store_b64 v11, v[2:3] offset:5128
.LBB111_145:                            ;   in Loop: Header=BB111_37 Depth=1
	s_or_b32 exec_lo, exec_lo, s4
	s_waitcnt lgkmcnt(0)
	s_barrier
	buffer_gl0_inv
.LBB111_146:                            ;   in Loop: Header=BB111_37 Depth=1
	s_and_b32 s5, s96, s18
	s_or_b32 s15, s97, s16
	s_mov_b32 s4, 0
	s_mov_b32 s52, 8
.LBB111_147:                            ;   in Loop: Header=BB111_37 Depth=1
	s_and_not1_b32 vcc_lo, exec_lo, s4
	s_cbranch_vccnz .LBB111_149
; %bb.148:                              ;   in Loop: Header=BB111_37 Depth=1
	s_sub_u32 s46, s46, s12
	s_subb_u32 s47, s47, s13
	s_mov_b32 s4, -1
	s_mov_b32 s52, 0
	s_mov_b32 s5, s96
	;; [unrolled: 1-line block ×3, first 2 shown]
.LBB111_149:                            ;   in Loop: Header=BB111_37 Depth=1
	s_delay_alu instid0(SALU_CYCLE_1)
	s_mov_b32 s97, s15
	s_mov_b32 s96, s5
	s_and_b32 vcc_lo, exec_lo, s4
	s_mov_b32 s15, -1
	s_cbranch_vccnz .LBB111_152
.LBB111_150:                            ;   in Loop: Header=BB111_37 Depth=1
	s_mov_b32 s5, -1
                                        ; implicit-def: $sgpr12
                                        ; implicit-def: $sgpr19
                                        ; implicit-def: $sgpr13
	s_delay_alu instid0(SALU_CYCLE_1) | instskip(NEXT) | instid1(SALU_CYCLE_1)
	s_and_saveexec_b32 s4, s5
	s_xor_b32 s4, exec_lo, s4
	s_cbranch_execz .LBB111_35
	s_branch .LBB111_298
.LBB111_151:                            ;   in Loop: Header=BB111_37 Depth=1
	s_mov_b64 s[46:47], 1
	s_mov_b32 s15, -1
	s_branch .LBB111_150
.LBB111_152:                            ;   in Loop: Header=BB111_37 Depth=1
	s_cmp_eq_u64 s[10:11], 1
	s_cselect_b32 s4, -1, 0
	s_cmp_eq_u64 s[46:47], 1
	s_cselect_b32 s5, -1, 0
	s_delay_alu instid0(SALU_CYCLE_1)
	s_and_b32 s21, s4, s5
	s_mov_b32 s4, -1
	s_and_b32 vcc_lo, exec_lo, s21
	s_cbranch_vccz .LBB111_167
; %bb.153:                              ;   in Loop: Header=BB111_37 Depth=1
	ds_load_b64 v[2:3], v11 offset:5120
	s_waitcnt lgkmcnt(0)
	s_barrier
	buffer_gl0_inv
	v_readfirstlane_b32 s12, v2
	v_readfirstlane_b32 s13, v3
	s_and_saveexec_b32 s4, s3
	s_cbranch_execz .LBB111_155
; %bb.154:                              ;   in Loop: Header=BB111_37 Depth=1
	ds_store_b16 v40, v11
.LBB111_155:                            ;   in Loop: Header=BB111_37 Depth=1
	s_or_b32 exec_lo, exec_lo, s4
	s_lshl_b32 s4, 1, s17
	s_and_b32 s5, s96, s18
	s_or_b32 s97, s97, s16
	s_or_b32 s96, s5, s4
	s_cmp_eq_u64 s[12:13], 0
	s_waitcnt lgkmcnt(0)
	s_barrier
	buffer_gl0_inv
	s_cbranch_scc1 .LBB111_170
; %bb.156:                              ;   in Loop: Header=BB111_37 Depth=1
	s_add_u32 s19, s78, s12
	s_addc_u32 s5, s79, s13
	s_mov_b32 s4, s53
	s_delay_alu instid0(SALU_CYCLE_1)
	s_cmp_lg_u64 s[4:5], 0
	s_cbranch_scc0 .LBB111_215
; %bb.157:                              ;   in Loop: Header=BB111_37 Depth=1
	v_cvt_f32_u32_e32 v2, s33
	s_sub_u32 s22, 0, s33
	s_subb_u32 s23, 0, 0
	s_delay_alu instid0(VALU_DEP_1) | instskip(NEXT) | instid1(VALU_DEP_1)
	v_fmac_f32_e64 v2, 0, 0x4f800000
	v_rcp_f32_e32 v2, v2
	s_waitcnt_depctr 0xfff
	v_mul_f32_e32 v2, 0x5f7ffffc, v2
	s_delay_alu instid0(VALU_DEP_1) | instskip(NEXT) | instid1(VALU_DEP_1)
	v_mul_f32_e32 v3, 0x2f800000, v2
	v_trunc_f32_e32 v3, v3
	s_delay_alu instid0(VALU_DEP_1) | instskip(SKIP_1) | instid1(VALU_DEP_2)
	v_fmac_f32_e32 v2, 0xcf800000, v3
	v_cvt_u32_f32_e32 v3, v3
	v_cvt_u32_f32_e32 v2, v2
	s_delay_alu instid0(VALU_DEP_2) | instskip(NEXT) | instid1(VALU_DEP_2)
	v_readfirstlane_b32 s4, v3
	v_readfirstlane_b32 s20, v2
	s_delay_alu instid0(VALU_DEP_2) | instskip(NEXT) | instid1(VALU_DEP_1)
	s_mul_i32 s52, s22, s4
	s_mul_hi_u32 s64, s22, s20
	s_mul_i32 s54, s23, s20
	s_add_i32 s52, s64, s52
	s_mul_i32 s65, s22, s20
	s_add_i32 s52, s52, s54
	s_mul_hi_u32 s64, s20, s65
	s_mul_hi_u32 s66, s4, s65
	s_mul_i32 s54, s4, s65
	s_mul_hi_u32 s65, s20, s52
	s_mul_i32 s20, s20, s52
	s_mul_hi_u32 s67, s4, s52
	s_add_u32 s20, s64, s20
	s_addc_u32 s64, 0, s65
	s_add_u32 s20, s20, s54
	s_mul_i32 s52, s4, s52
	s_addc_u32 s20, s64, s66
	s_addc_u32 s54, s67, 0
	s_add_u32 s20, s20, s52
	s_addc_u32 s52, 0, s54
	v_add_co_u32 v2, s20, v2, s20
	s_delay_alu instid0(VALU_DEP_1) | instskip(SKIP_1) | instid1(VALU_DEP_1)
	s_cmp_lg_u32 s20, 0
	s_addc_u32 s4, s4, s52
	v_readfirstlane_b32 s20, v2
	s_mul_i32 s52, s22, s4
	s_delay_alu instid0(VALU_DEP_1)
	s_mul_hi_u32 s54, s22, s20
	s_mul_i32 s23, s23, s20
	s_add_i32 s52, s54, s52
	s_mul_i32 s22, s22, s20
	s_add_i32 s52, s52, s23
	s_mul_hi_u32 s54, s4, s22
	s_mul_i32 s64, s4, s22
	s_mul_hi_u32 s22, s20, s22
	s_mul_hi_u32 s65, s20, s52
	s_mul_i32 s20, s20, s52
	s_mul_hi_u32 s23, s4, s52
	s_add_u32 s20, s22, s20
	s_addc_u32 s22, 0, s65
	s_add_u32 s20, s20, s64
	s_mul_i32 s52, s4, s52
	s_addc_u32 s20, s22, s54
	s_addc_u32 s22, s23, 0
	s_add_u32 s20, s20, s52
	s_addc_u32 s22, 0, s22
	v_add_co_u32 v2, s20, v2, s20
	s_delay_alu instid0(VALU_DEP_1) | instskip(SKIP_1) | instid1(VALU_DEP_1)
	s_cmp_lg_u32 s20, 0
	s_addc_u32 s4, s4, s22
	v_readfirstlane_b32 s20, v2
	s_mul_i32 s23, s19, s4
	s_mul_hi_u32 s22, s19, s4
	s_mul_hi_u32 s52, s5, s4
	s_mul_i32 s4, s5, s4
	s_mul_hi_u32 s54, s19, s20
	s_mul_hi_u32 s64, s5, s20
	s_mul_i32 s20, s5, s20
	s_add_u32 s23, s54, s23
	s_addc_u32 s22, 0, s22
	s_add_u32 s20, s23, s20
	s_addc_u32 s20, s22, s64
	s_addc_u32 s22, s52, 0
	s_add_u32 s4, s20, s4
	s_addc_u32 s20, 0, s22
	s_mul_hi_u32 s22, s33, s4
	s_mul_i32 s4, s33, s4
	s_mul_i32 s20, s33, s20
	v_sub_co_u32 v2, s4, s19, s4
	s_add_i32 s22, s22, s20
	s_cmp_lg_u32 s4, 0
	s_delay_alu instid0(VALU_DEP_1) | instskip(SKIP_2) | instid1(VALU_DEP_1)
	v_sub_co_u32 v3, s4, v2, s33
	s_subb_u32 s20, s5, s22
	s_cmp_lg_u32 s4, 0
	v_cmp_le_u32_e32 vcc_lo, s33, v3
	v_sub_co_u32 v4, s4, v3, s33
	s_subb_u32 s22, s20, 0
	s_cmp_lg_u32 s4, 0
	v_cndmask_b32_e64 v5, 0, -1, vcc_lo
	s_subb_u32 s4, s22, 0
	s_cmp_eq_u32 s22, 0
	v_mov_b32_e32 v7, s4
	s_cselect_b32 vcc_lo, -1, 0
	s_cmp_eq_u32 s20, 0
	v_cndmask_b32_e32 v5, -1, v5, vcc_lo
	v_cmp_le_u32_e32 vcc_lo, s33, v2
	s_cselect_b32 s4, -1, 0
	v_cndmask_b32_e64 v6, 0, -1, vcc_lo
	s_delay_alu instid0(VALU_DEP_3) | instskip(NEXT) | instid1(VALU_DEP_2)
	v_cmp_ne_u32_e32 vcc_lo, 0, v5
	v_cndmask_b32_e64 v5, -1, v6, s4
	v_cndmask_b32_e32 v6, s22, v7, vcc_lo
	v_cndmask_b32_e32 v4, v3, v4, vcc_lo
	s_delay_alu instid0(VALU_DEP_3) | instskip(NEXT) | instid1(VALU_DEP_3)
	v_cmp_ne_u32_e32 vcc_lo, 0, v5
	v_cndmask_b32_e32 v3, s20, v6, vcc_lo
	s_delay_alu instid0(VALU_DEP_3)
	v_cndmask_b32_e32 v2, v2, v4, vcc_lo
	s_cbranch_execnz .LBB111_159
.LBB111_158:                            ;   in Loop: Header=BB111_37 Depth=1
	v_cvt_f32_u32_e32 v2, s33
	s_sub_i32 s4, 0, s33
	s_delay_alu instid0(VALU_DEP_1) | instskip(SKIP_2) | instid1(VALU_DEP_1)
	v_rcp_iflag_f32_e32 v2, v2
	s_waitcnt_depctr 0xfff
	v_mul_f32_e32 v2, 0x4f7ffffe, v2
	v_cvt_u32_f32_e32 v2, v2
	s_delay_alu instid0(VALU_DEP_1) | instskip(NEXT) | instid1(VALU_DEP_1)
	v_mul_lo_u32 v3, s4, v2
	v_mul_hi_u32 v3, v2, v3
	s_delay_alu instid0(VALU_DEP_1) | instskip(NEXT) | instid1(VALU_DEP_1)
	v_add_nc_u32_e32 v2, v2, v3
	v_mul_hi_u32 v2, s19, v2
	s_delay_alu instid0(VALU_DEP_1) | instskip(NEXT) | instid1(VALU_DEP_1)
	v_mul_lo_u32 v2, v2, s33
	v_sub_nc_u32_e32 v2, s19, v2
	s_delay_alu instid0(VALU_DEP_1) | instskip(SKIP_1) | instid1(VALU_DEP_2)
	v_subrev_nc_u32_e32 v3, s33, v2
	v_cmp_le_u32_e32 vcc_lo, s33, v2
	v_cndmask_b32_e32 v2, v2, v3, vcc_lo
	s_delay_alu instid0(VALU_DEP_1) | instskip(SKIP_1) | instid1(VALU_DEP_2)
	v_subrev_nc_u32_e32 v3, s33, v2
	v_cmp_le_u32_e32 vcc_lo, s33, v2
	v_cndmask_b32_e32 v10, v2, v3, vcc_lo
	s_delay_alu instid0(VALU_DEP_1)
	v_dual_mov_b32 v2, v10 :: v_dual_mov_b32 v3, v11
.LBB111_159:                            ;   in Loop: Header=BB111_37 Depth=1
	s_delay_alu instid0(VALU_DEP_1) | instskip(NEXT) | instid1(VALU_DEP_2)
	v_sub_co_u32 v2, vcc_lo, s19, v2
	v_sub_co_ci_u32_e32 v3, vcc_lo, s5, v3, vcc_lo
	s_mov_b32 s4, 0
	s_mov_b32 s5, exec_lo
                                        ; implicit-def: $vgpr45
	s_delay_alu instid0(VALU_DEP_1)
	v_cmpx_gt_u64_e64 v[2:3], v[0:1]
	s_cbranch_execz .LBB111_172
; %bb.160:                              ;   in Loop: Header=BB111_37 Depth=1
	v_dual_mov_b32 v6, v39 :: v_dual_mov_b32 v5, v1
	v_mov_b32_e32 v4, v0
	s_mov_b32 s19, 0
                                        ; implicit-def: $sgpr20
	s_set_inst_prefetch_distance 0x1
	s_branch .LBB111_162
	.p2align	6
.LBB111_161:                            ;   in Loop: Header=BB111_162 Depth=2
	s_or_b32 exec_lo, exec_lo, s4
	s_waitcnt lgkmcnt(0)
	s_barrier
	buffer_gl0_inv
	ds_load_b32 v7, v11 offset:3072
	v_add_co_u32 v4, vcc_lo, v4, s33
	v_add_co_ci_u32_e32 v5, vcc_lo, 0, v5, vcc_lo
	v_add_nc_u32_e32 v6, s86, v6
	s_waitcnt lgkmcnt(0)
	s_barrier
	s_delay_alu instid0(VALU_DEP_2) | instskip(SKIP_2) | instid1(VALU_DEP_1)
	v_cmp_ge_u64_e32 vcc_lo, v[4:5], v[2:3]
	buffer_gl0_inv
	v_cmp_ne_u16_e64 s4, 0, v7
	s_or_b32 s22, vcc_lo, s4
	s_delay_alu instid0(SALU_CYCLE_1) | instskip(NEXT) | instid1(SALU_CYCLE_1)
	s_and_b32 s22, exec_lo, s22
	s_or_b32 s19, s22, s19
	s_and_not1_b32 s20, s20, exec_lo
	s_and_b32 s4, s4, exec_lo
	s_delay_alu instid0(SALU_CYCLE_1)
	s_or_b32 s20, s20, s4
	s_and_not1_b32 exec_lo, exec_lo, s19
	s_cbranch_execz .LBB111_171
.LBB111_162:                            ;   Parent Loop BB111_37 Depth=1
                                        ; =>  This Inner Loop Header: Depth=2
	s_delay_alu instid0(VALU_DEP_1)
	v_cmp_gt_u64_e32 vcc_lo, s[12:13], v[4:5]
	v_mov_b32_e32 v7, 0
	s_and_saveexec_b32 s4, vcc_lo
	s_cbranch_execz .LBB111_164
; %bb.163:                              ;   in Loop: Header=BB111_162 Depth=2
	ds_load_u16 v7, v6
.LBB111_164:                            ;   in Loop: Header=BB111_162 Depth=2
	s_or_b32 exec_lo, exec_lo, s4
	s_and_saveexec_b32 s4, vcc_lo
	s_cbranch_execz .LBB111_161
; %bb.165:                              ;   in Loop: Header=BB111_162 Depth=2
	s_waitcnt lgkmcnt(0)
	v_bfe_i32 v8, v7, 0, 16
	s_delay_alu instid0(VALU_DEP_1) | instskip(NEXT) | instid1(VALU_DEP_1)
	v_add_nc_u32_e32 v8, 0x8000, v8
	v_and_b32_e32 v8, s97, v8
	s_delay_alu instid0(VALU_DEP_1)
	v_cmp_eq_u32_e32 vcc_lo, s96, v8
	s_and_b32 exec_lo, exec_lo, vcc_lo
	s_cbranch_execz .LBB111_161
; %bb.166:                              ;   in Loop: Header=BB111_162 Depth=2
	v_perm_b32 v7, v7, 1, 0x5040100
	ds_store_b32 v11, v7 offset:3072
	s_branch .LBB111_161
.LBB111_167:                            ;   in Loop: Header=BB111_37 Depth=1
                                        ; implicit-def: $sgpr13
                                        ; implicit-def: $sgpr19
                                        ; implicit-def: $sgpr12
	s_branch .LBB111_186
.LBB111_168:                            ;   in Loop: Header=BB111_37 Depth=1
                                        ; implicit-def: $vgpr2_vgpr3
	s_branch .LBB111_113
.LBB111_169:                            ;   in Loop: Header=BB111_37 Depth=1
                                        ; implicit-def: $vgpr2_vgpr3
	s_branch .LBB111_128
.LBB111_170:                            ;   in Loop: Header=BB111_37 Depth=1
	s_mov_b32 s13, -1
	s_mov_b32 s4, 0
                                        ; implicit-def: $sgpr12
                                        ; implicit-def: $vgpr45
	s_mov_b32 s19, s13
	s_cbranch_execnz .LBB111_173
	s_branch .LBB111_186
.LBB111_171:                            ;   in Loop: Header=BB111_37 Depth=1
	s_set_inst_prefetch_distance 0x2
	s_or_b32 exec_lo, exec_lo, s19
	v_lshrrev_b32_e32 v45, 16, v7
	s_and_b32 s4, s20, exec_lo
.LBB111_172:                            ;   in Loop: Header=BB111_37 Depth=1
	s_or_b32 exec_lo, exec_lo, s5
	s_mov_b32 s12, -1
	s_mov_b32 s13, 0
	s_delay_alu instid0(SALU_CYCLE_1)
	s_mov_b32 s19, s13
	s_branch .LBB111_186
.LBB111_173:                            ;   in Loop: Header=BB111_37 Depth=1
	s_mov_b32 s54, s53
	s_delay_alu instid0(SALU_CYCLE_1)
	s_cmp_lg_u64 s[54:55], 0
	s_cbranch_scc0 .LBB111_216
; %bb.174:                              ;   in Loop: Header=BB111_37 Depth=1
	v_cvt_f32_u32_e32 v2, s33
	s_sub_u32 s12, 0, s33
	s_subb_u32 s13, 0, 0
	s_delay_alu instid0(VALU_DEP_1) | instskip(NEXT) | instid1(VALU_DEP_1)
	v_fmac_f32_e64 v2, 0, 0x4f800000
	v_rcp_f32_e32 v2, v2
	s_waitcnt_depctr 0xfff
	v_mul_f32_e32 v2, 0x5f7ffffc, v2
	s_delay_alu instid0(VALU_DEP_1) | instskip(NEXT) | instid1(VALU_DEP_1)
	v_mul_f32_e32 v3, 0x2f800000, v2
	v_trunc_f32_e32 v3, v3
	s_delay_alu instid0(VALU_DEP_1) | instskip(SKIP_1) | instid1(VALU_DEP_2)
	v_fmac_f32_e32 v2, 0xcf800000, v3
	v_cvt_u32_f32_e32 v3, v3
	v_cvt_u32_f32_e32 v2, v2
	s_delay_alu instid0(VALU_DEP_2) | instskip(NEXT) | instid1(VALU_DEP_2)
	v_readfirstlane_b32 s4, v3
	v_readfirstlane_b32 s5, v2
	s_delay_alu instid0(VALU_DEP_2) | instskip(NEXT) | instid1(VALU_DEP_1)
	s_mul_i32 s19, s12, s4
	s_mul_hi_u32 s22, s12, s5
	s_mul_i32 s20, s13, s5
	s_add_i32 s19, s22, s19
	s_mul_i32 s23, s12, s5
	s_add_i32 s19, s19, s20
	s_mul_hi_u32 s22, s5, s23
	s_mul_hi_u32 s52, s4, s23
	s_mul_i32 s20, s4, s23
	s_mul_hi_u32 s23, s5, s19
	s_mul_i32 s5, s5, s19
	s_mul_hi_u32 s54, s4, s19
	s_add_u32 s5, s22, s5
	s_addc_u32 s22, 0, s23
	s_add_u32 s5, s5, s20
	s_mul_i32 s19, s4, s19
	s_addc_u32 s5, s22, s52
	s_addc_u32 s20, s54, 0
	s_add_u32 s5, s5, s19
	s_addc_u32 s19, 0, s20
	v_add_co_u32 v2, s5, v2, s5
	s_delay_alu instid0(VALU_DEP_1) | instskip(SKIP_1) | instid1(VALU_DEP_1)
	s_cmp_lg_u32 s5, 0
	s_addc_u32 s4, s4, s19
	v_readfirstlane_b32 s5, v2
	s_mul_i32 s19, s12, s4
	s_delay_alu instid0(VALU_DEP_1)
	s_mul_hi_u32 s20, s12, s5
	s_mul_i32 s13, s13, s5
	s_add_i32 s19, s20, s19
	s_mul_i32 s12, s12, s5
	s_add_i32 s19, s19, s13
	s_mul_hi_u32 s20, s4, s12
	s_mul_i32 s22, s4, s12
	s_mul_hi_u32 s12, s5, s12
	s_mul_hi_u32 s23, s5, s19
	s_mul_i32 s5, s5, s19
	s_mul_hi_u32 s13, s4, s19
	s_add_u32 s5, s12, s5
	s_addc_u32 s12, 0, s23
	s_add_u32 s5, s5, s22
	s_mul_i32 s19, s4, s19
	s_addc_u32 s5, s12, s20
	s_addc_u32 s12, s13, 0
	s_add_u32 s5, s5, s19
	s_addc_u32 s12, 0, s12
	v_add_co_u32 v2, s5, v2, s5
	s_delay_alu instid0(VALU_DEP_1) | instskip(SKIP_1) | instid1(VALU_DEP_1)
	s_cmp_lg_u32 s5, 0
	s_addc_u32 s4, s4, s12
	v_readfirstlane_b32 s5, v2
	s_mul_i32 s13, s80, s4
	s_mul_hi_u32 s12, s80, s4
	s_mul_hi_u32 s19, s55, s4
	s_mul_i32 s4, s55, s4
	s_mul_hi_u32 s20, s80, s5
	s_mul_hi_u32 s22, s55, s5
	s_mul_i32 s5, s55, s5
	s_add_u32 s13, s20, s13
	s_addc_u32 s12, 0, s12
	s_add_u32 s5, s13, s5
	s_addc_u32 s5, s12, s22
	s_addc_u32 s12, s19, 0
	s_add_u32 s4, s5, s4
	s_addc_u32 s5, 0, s12
	s_mul_hi_u32 s12, s33, s4
	s_mul_i32 s4, s33, s4
	s_mul_i32 s5, s33, s5
	v_sub_co_u32 v2, s4, s80, s4
	s_add_i32 s12, s12, s5
	s_cmp_lg_u32 s4, 0
	s_delay_alu instid0(VALU_DEP_1) | instskip(SKIP_2) | instid1(VALU_DEP_1)
	v_sub_co_u32 v3, s4, v2, s33
	s_subb_u32 s5, s55, s12
	s_cmp_lg_u32 s4, 0
	v_cmp_le_u32_e32 vcc_lo, s33, v3
	v_sub_co_u32 v4, s4, v3, s33
	s_subb_u32 s12, s5, 0
	s_cmp_lg_u32 s4, 0
	v_cndmask_b32_e64 v5, 0, -1, vcc_lo
	s_subb_u32 s4, s12, 0
	s_cmp_eq_u32 s12, 0
	v_mov_b32_e32 v7, s4
	s_cselect_b32 vcc_lo, -1, 0
	s_cmp_eq_u32 s5, 0
	v_cndmask_b32_e32 v5, -1, v5, vcc_lo
	v_cmp_le_u32_e32 vcc_lo, s33, v2
	s_cselect_b32 s4, -1, 0
	v_cndmask_b32_e64 v6, 0, -1, vcc_lo
	s_delay_alu instid0(VALU_DEP_3) | instskip(NEXT) | instid1(VALU_DEP_2)
	v_cmp_ne_u32_e32 vcc_lo, 0, v5
	v_cndmask_b32_e64 v5, -1, v6, s4
	v_cndmask_b32_e32 v6, s12, v7, vcc_lo
	v_cndmask_b32_e32 v4, v3, v4, vcc_lo
	s_delay_alu instid0(VALU_DEP_3) | instskip(NEXT) | instid1(VALU_DEP_3)
	v_cmp_ne_u32_e32 vcc_lo, 0, v5
	v_cndmask_b32_e32 v3, s5, v6, vcc_lo
	s_delay_alu instid0(VALU_DEP_3)
	v_cndmask_b32_e32 v2, v2, v4, vcc_lo
	s_cbranch_execnz .LBB111_176
.LBB111_175:                            ;   in Loop: Header=BB111_37 Depth=1
	v_cvt_f32_u32_e32 v2, s33
	s_sub_i32 s4, 0, s33
	s_delay_alu instid0(VALU_DEP_1) | instskip(SKIP_2) | instid1(VALU_DEP_1)
	v_rcp_iflag_f32_e32 v2, v2
	s_waitcnt_depctr 0xfff
	v_mul_f32_e32 v2, 0x4f7ffffe, v2
	v_cvt_u32_f32_e32 v2, v2
	s_delay_alu instid0(VALU_DEP_1) | instskip(NEXT) | instid1(VALU_DEP_1)
	v_mul_lo_u32 v3, s4, v2
	v_mul_hi_u32 v3, v2, v3
	s_delay_alu instid0(VALU_DEP_1) | instskip(NEXT) | instid1(VALU_DEP_1)
	v_add_nc_u32_e32 v2, v2, v3
	v_mul_hi_u32 v2, s80, v2
	s_delay_alu instid0(VALU_DEP_1) | instskip(NEXT) | instid1(VALU_DEP_1)
	v_mul_lo_u32 v2, v2, s33
	v_sub_nc_u32_e32 v2, s80, v2
	s_delay_alu instid0(VALU_DEP_1) | instskip(SKIP_1) | instid1(VALU_DEP_2)
	v_subrev_nc_u32_e32 v3, s33, v2
	v_cmp_le_u32_e32 vcc_lo, s33, v2
	v_cndmask_b32_e32 v2, v2, v3, vcc_lo
	s_delay_alu instid0(VALU_DEP_1) | instskip(SKIP_1) | instid1(VALU_DEP_2)
	v_subrev_nc_u32_e32 v3, s33, v2
	v_cmp_le_u32_e32 vcc_lo, s33, v2
	v_cndmask_b32_e32 v10, v2, v3, vcc_lo
	s_delay_alu instid0(VALU_DEP_1)
	v_dual_mov_b32 v2, v10 :: v_dual_mov_b32 v3, v11
.LBB111_176:                            ;   in Loop: Header=BB111_37 Depth=1
	s_delay_alu instid0(VALU_DEP_1) | instskip(NEXT) | instid1(VALU_DEP_2)
	v_sub_co_u32 v2, vcc_lo, s80, v2
	v_sub_co_ci_u32_e32 v3, vcc_lo, s55, v3, vcc_lo
	s_mov_b32 s4, 0
	s_mov_b32 s5, exec_lo
                                        ; implicit-def: $vgpr45
	s_delay_alu instid0(VALU_DEP_1)
	v_cmpx_gt_u64_e64 v[2:3], v[0:1]
	s_cbranch_execz .LBB111_185
; %bb.177:                              ;   in Loop: Header=BB111_37 Depth=1
	v_dual_mov_b32 v4, v12 :: v_dual_mov_b32 v5, v13
	v_dual_mov_b32 v7, v1 :: v_dual_mov_b32 v6, v0
	s_mov_b32 s12, 0
                                        ; implicit-def: $sgpr13
	s_set_inst_prefetch_distance 0x1
	s_branch .LBB111_179
	.p2align	6
.LBB111_178:                            ;   in Loop: Header=BB111_179 Depth=2
	s_or_b32 exec_lo, exec_lo, s4
	s_waitcnt vmcnt(0) lgkmcnt(0)
	s_barrier
	buffer_gl0_inv
	ds_load_b32 v8, v11 offset:3072
	v_add_co_u32 v6, vcc_lo, v6, s33
	v_add_co_ci_u32_e32 v7, vcc_lo, 0, v7, vcc_lo
	s_waitcnt lgkmcnt(0)
	s_barrier
	buffer_gl0_inv
	v_cmp_ge_u64_e32 vcc_lo, v[6:7], v[2:3]
	v_cmp_ne_u16_e64 s4, 0, v8
	s_delay_alu instid0(VALU_DEP_1)
	s_or_b32 s19, vcc_lo, s4
	v_add_co_u32 v4, vcc_lo, v4, s50
	s_and_b32 s19, exec_lo, s19
	v_add_co_ci_u32_e32 v5, vcc_lo, s51, v5, vcc_lo
	s_or_b32 s12, s19, s12
	s_and_not1_b32 s13, s13, exec_lo
	s_and_b32 s4, s4, exec_lo
	s_delay_alu instid0(SALU_CYCLE_1)
	s_or_b32 s13, s13, s4
	s_and_not1_b32 exec_lo, exec_lo, s12
	s_cbranch_execz .LBB111_184
.LBB111_179:                            ;   Parent Loop BB111_37 Depth=1
                                        ; =>  This Inner Loop Header: Depth=2
	s_delay_alu instid0(VALU_DEP_1)
	v_cmp_gt_u64_e32 vcc_lo, s[24:25], v[6:7]
	v_mov_b32_e32 v8, 0
	s_and_saveexec_b32 s4, vcc_lo
	s_cbranch_execz .LBB111_181
; %bb.180:                              ;   in Loop: Header=BB111_179 Depth=2
	global_load_u16 v8, v[4:5], off
.LBB111_181:                            ;   in Loop: Header=BB111_179 Depth=2
	s_or_b32 exec_lo, exec_lo, s4
	s_and_saveexec_b32 s4, vcc_lo
	s_cbranch_execz .LBB111_178
; %bb.182:                              ;   in Loop: Header=BB111_179 Depth=2
	s_waitcnt vmcnt(0)
	v_bfe_i32 v9, v8, 0, 16
	s_delay_alu instid0(VALU_DEP_1) | instskip(NEXT) | instid1(VALU_DEP_1)
	v_add_nc_u32_e32 v9, 0x8000, v9
	v_and_b32_e32 v9, s97, v9
	s_delay_alu instid0(VALU_DEP_1)
	v_cmp_eq_u32_e32 vcc_lo, s96, v9
	s_and_b32 exec_lo, exec_lo, vcc_lo
	s_cbranch_execz .LBB111_178
; %bb.183:                              ;   in Loop: Header=BB111_179 Depth=2
	v_perm_b32 v8, v8, 1, 0x5040100
	ds_store_b32 v11, v8 offset:3072
	s_branch .LBB111_178
.LBB111_184:                            ;   in Loop: Header=BB111_37 Depth=1
	s_set_inst_prefetch_distance 0x2
	s_or_b32 exec_lo, exec_lo, s12
	v_lshrrev_b32_e32 v45, 16, v8
	s_and_b32 s4, s13, exec_lo
.LBB111_185:                            ;   in Loop: Header=BB111_37 Depth=1
	s_or_b32 exec_lo, exec_lo, s5
	s_mov_b32 s19, -1
	s_mov_b32 s13, 0
	s_mov_b32 s12, 0
.LBB111_186:                            ;   in Loop: Header=BB111_37 Depth=1
	s_mov_b32 s5, 0
                                        ; implicit-def: $sgpr52
	s_and_saveexec_b32 s20, s4
	s_cbranch_execz .LBB111_297
; %bb.187:                              ;   in Loop: Header=BB111_37 Depth=1
	s_xor_b32 s4, s21, -1
	s_mov_b32 s52, 1
	s_and_not1_b32 vcc_lo, exec_lo, s4
	s_cbranch_vccnz .LBB111_198
; %bb.188:                              ;   in Loop: Header=BB111_37 Depth=1
	v_cmp_gt_u64_e64 s4, s[46:47], s[10:11]
                                        ; implicit-def: $sgpr52
                                        ; implicit-def: $sgpr5
                                        ; implicit-def: $sgpr21
	s_delay_alu instid0(VALU_DEP_1)
	s_and_b32 vcc_lo, exec_lo, s4
	s_mov_b32 s4, -1
	s_cbranch_vccnz .LBB111_194
; %bb.189:                              ;   in Loop: Header=BB111_37 Depth=1
	ds_load_b64 v[2:3], v11 offset:5120
	s_waitcnt lgkmcnt(0)
	v_cmp_ne_u64_e32 vcc_lo, 0, v[2:3]
	s_cbranch_vccnz .LBB111_193
; %bb.190:                              ;   in Loop: Header=BB111_37 Depth=1
	s_and_saveexec_b32 s4, s2
	s_cbranch_execz .LBB111_192
; %bb.191:                              ;   in Loop: Header=BB111_37 Depth=1
	v_dual_mov_b32 v2, s10 :: v_dual_mov_b32 v3, s11
	ds_store_b64 v11, v[2:3] offset:5128
.LBB111_192:                            ;   in Loop: Header=BB111_37 Depth=1
	s_or_b32 exec_lo, exec_lo, s4
	s_waitcnt lgkmcnt(0)
	s_barrier
	buffer_gl0_inv
.LBB111_193:                            ;   in Loop: Header=BB111_37 Depth=1
	s_lshl_b32 s4, 1, s17
	s_and_b32 s5, s96, s18
	s_or_b32 s21, s97, s16
	s_or_b32 s5, s5, s4
	s_mov_b32 s4, 0
	s_mov_b32 s52, 8
.LBB111_194:                            ;   in Loop: Header=BB111_37 Depth=1
	s_and_not1_b32 vcc_lo, exec_lo, s4
	s_cbranch_vccnz .LBB111_196
; %bb.195:                              ;   in Loop: Header=BB111_37 Depth=1
	s_sub_u32 s46, s46, s10
	s_subb_u32 s47, s47, s11
	s_mov_b32 s4, -1
	s_mov_b32 s52, 0
	s_mov_b32 s5, s96
	;; [unrolled: 1-line block ×3, first 2 shown]
.LBB111_196:                            ;   in Loop: Header=BB111_37 Depth=1
	s_delay_alu instid0(SALU_CYCLE_1)
	s_mov_b32 s97, s21
	s_mov_b32 s96, s5
	s_and_not1_b32 vcc_lo, exec_lo, s4
	s_mov_b32 s5, -1
	s_cbranch_vccz .LBB111_199
.LBB111_197:                            ;   in Loop: Header=BB111_37 Depth=1
                                        ; implicit-def: $sgpr11
                                        ; implicit-def: $sgpr21
                                        ; implicit-def: $sgpr10
	s_branch .LBB111_296
.LBB111_198:                            ;   in Loop: Header=BB111_37 Depth=1
	s_mov_b64 s[46:47], 1
	s_mov_b32 s5, -1
	s_cbranch_execnz .LBB111_197
.LBB111_199:                            ;   in Loop: Header=BB111_37 Depth=1
	s_cmp_eq_u64 s[8:9], 1
	s_cselect_b32 s4, -1, 0
	s_cmp_eq_u64 s[46:47], 1
	s_cselect_b32 s5, -1, 0
	s_delay_alu instid0(SALU_CYCLE_1)
	s_and_b32 s23, s4, s5
	s_mov_b32 s4, -1
	s_and_b32 vcc_lo, exec_lo, s23
	s_cbranch_vccz .LBB111_214
; %bb.200:                              ;   in Loop: Header=BB111_37 Depth=1
	ds_load_b64 v[2:3], v11 offset:5120
	s_waitcnt lgkmcnt(0)
	s_barrier
	buffer_gl0_inv
	v_readfirstlane_b32 s10, v2
	v_readfirstlane_b32 s11, v3
	s_and_saveexec_b32 s4, s3
	s_cbranch_execz .LBB111_202
; %bb.201:                              ;   in Loop: Header=BB111_37 Depth=1
	ds_store_b16 v40, v11
.LBB111_202:                            ;   in Loop: Header=BB111_37 Depth=1
	s_or_b32 exec_lo, exec_lo, s4
	s_lshl_b32 s4, 2, s17
	s_and_b32 s5, s96, s18
	s_or_b32 s97, s97, s16
	s_or_b32 s96, s5, s4
	s_cmp_eq_u64 s[10:11], 0
	s_waitcnt lgkmcnt(0)
	s_barrier
	buffer_gl0_inv
	s_cbranch_scc1 .LBB111_217
; %bb.203:                              ;   in Loop: Header=BB111_37 Depth=1
	s_add_u32 s21, s78, s10
	s_addc_u32 s5, s79, s11
	s_mov_b32 s4, s53
	s_delay_alu instid0(SALU_CYCLE_1)
	s_cmp_lg_u64 s[4:5], 0
	s_cbranch_scc0 .LBB111_262
; %bb.204:                              ;   in Loop: Header=BB111_37 Depth=1
	v_cvt_f32_u32_e32 v2, s33
	s_sub_u32 s52, 0, s33
	s_subb_u32 s54, 0, 0
	s_delay_alu instid0(VALU_DEP_1) | instskip(NEXT) | instid1(VALU_DEP_1)
	v_fmac_f32_e64 v2, 0, 0x4f800000
	v_rcp_f32_e32 v2, v2
	s_waitcnt_depctr 0xfff
	v_mul_f32_e32 v2, 0x5f7ffffc, v2
	s_delay_alu instid0(VALU_DEP_1) | instskip(NEXT) | instid1(VALU_DEP_1)
	v_mul_f32_e32 v3, 0x2f800000, v2
	v_trunc_f32_e32 v3, v3
	s_delay_alu instid0(VALU_DEP_1) | instskip(SKIP_1) | instid1(VALU_DEP_2)
	v_fmac_f32_e32 v2, 0xcf800000, v3
	v_cvt_u32_f32_e32 v3, v3
	v_cvt_u32_f32_e32 v2, v2
	s_delay_alu instid0(VALU_DEP_2) | instskip(NEXT) | instid1(VALU_DEP_2)
	v_readfirstlane_b32 s4, v3
	v_readfirstlane_b32 s22, v2
	s_delay_alu instid0(VALU_DEP_2) | instskip(NEXT) | instid1(VALU_DEP_1)
	s_mul_i32 s64, s52, s4
	s_mul_hi_u32 s66, s52, s22
	s_mul_i32 s65, s54, s22
	s_add_i32 s64, s66, s64
	s_mul_i32 s67, s52, s22
	s_add_i32 s64, s64, s65
	s_mul_hi_u32 s66, s22, s67
	s_mul_hi_u32 s68, s4, s67
	s_mul_i32 s65, s4, s67
	s_mul_hi_u32 s67, s22, s64
	s_mul_i32 s22, s22, s64
	s_mul_hi_u32 s69, s4, s64
	s_add_u32 s22, s66, s22
	s_addc_u32 s66, 0, s67
	s_add_u32 s22, s22, s65
	s_mul_i32 s64, s4, s64
	s_addc_u32 s22, s66, s68
	s_addc_u32 s65, s69, 0
	s_add_u32 s22, s22, s64
	s_addc_u32 s64, 0, s65
	v_add_co_u32 v2, s22, v2, s22
	s_delay_alu instid0(VALU_DEP_1) | instskip(SKIP_1) | instid1(VALU_DEP_1)
	s_cmp_lg_u32 s22, 0
	s_addc_u32 s4, s4, s64
	v_readfirstlane_b32 s22, v2
	s_mul_i32 s64, s52, s4
	s_delay_alu instid0(VALU_DEP_1)
	s_mul_hi_u32 s65, s52, s22
	s_mul_i32 s54, s54, s22
	s_add_i32 s64, s65, s64
	s_mul_i32 s52, s52, s22
	s_add_i32 s64, s64, s54
	s_mul_hi_u32 s65, s4, s52
	s_mul_i32 s66, s4, s52
	s_mul_hi_u32 s52, s22, s52
	s_mul_hi_u32 s67, s22, s64
	s_mul_i32 s22, s22, s64
	s_mul_hi_u32 s54, s4, s64
	s_add_u32 s22, s52, s22
	s_addc_u32 s52, 0, s67
	s_add_u32 s22, s22, s66
	s_mul_i32 s64, s4, s64
	s_addc_u32 s22, s52, s65
	s_addc_u32 s52, s54, 0
	s_add_u32 s22, s22, s64
	s_addc_u32 s52, 0, s52
	v_add_co_u32 v2, s22, v2, s22
	s_delay_alu instid0(VALU_DEP_1) | instskip(SKIP_1) | instid1(VALU_DEP_1)
	s_cmp_lg_u32 s22, 0
	s_addc_u32 s4, s4, s52
	v_readfirstlane_b32 s22, v2
	s_mul_i32 s54, s21, s4
	s_mul_hi_u32 s52, s21, s4
	s_mul_hi_u32 s64, s5, s4
	s_mul_i32 s4, s5, s4
	s_mul_hi_u32 s65, s21, s22
	s_mul_hi_u32 s66, s5, s22
	s_mul_i32 s22, s5, s22
	s_add_u32 s54, s65, s54
	s_addc_u32 s52, 0, s52
	s_add_u32 s22, s54, s22
	s_addc_u32 s22, s52, s66
	s_addc_u32 s52, s64, 0
	s_add_u32 s4, s22, s4
	s_addc_u32 s22, 0, s52
	s_mul_hi_u32 s52, s33, s4
	s_mul_i32 s4, s33, s4
	s_mul_i32 s22, s33, s22
	v_sub_co_u32 v2, s4, s21, s4
	s_add_i32 s52, s52, s22
	s_cmp_lg_u32 s4, 0
	s_delay_alu instid0(VALU_DEP_1) | instskip(SKIP_2) | instid1(VALU_DEP_1)
	v_sub_co_u32 v3, s4, v2, s33
	s_subb_u32 s22, s5, s52
	s_cmp_lg_u32 s4, 0
	v_cmp_le_u32_e32 vcc_lo, s33, v3
	v_sub_co_u32 v4, s4, v3, s33
	s_subb_u32 s52, s22, 0
	s_cmp_lg_u32 s4, 0
	v_cndmask_b32_e64 v5, 0, -1, vcc_lo
	s_subb_u32 s4, s52, 0
	s_cmp_eq_u32 s52, 0
	v_mov_b32_e32 v7, s4
	s_cselect_b32 vcc_lo, -1, 0
	s_cmp_eq_u32 s22, 0
	v_cndmask_b32_e32 v5, -1, v5, vcc_lo
	v_cmp_le_u32_e32 vcc_lo, s33, v2
	s_cselect_b32 s4, -1, 0
	v_cndmask_b32_e64 v6, 0, -1, vcc_lo
	s_delay_alu instid0(VALU_DEP_3) | instskip(NEXT) | instid1(VALU_DEP_2)
	v_cmp_ne_u32_e32 vcc_lo, 0, v5
	v_cndmask_b32_e64 v5, -1, v6, s4
	v_cndmask_b32_e32 v6, s52, v7, vcc_lo
	v_cndmask_b32_e32 v4, v3, v4, vcc_lo
	s_delay_alu instid0(VALU_DEP_3) | instskip(NEXT) | instid1(VALU_DEP_3)
	v_cmp_ne_u32_e32 vcc_lo, 0, v5
	v_cndmask_b32_e32 v3, s22, v6, vcc_lo
	s_delay_alu instid0(VALU_DEP_3)
	v_cndmask_b32_e32 v2, v2, v4, vcc_lo
	s_cbranch_execnz .LBB111_206
.LBB111_205:                            ;   in Loop: Header=BB111_37 Depth=1
	v_cvt_f32_u32_e32 v2, s33
	s_sub_i32 s4, 0, s33
	s_delay_alu instid0(VALU_DEP_1) | instskip(SKIP_2) | instid1(VALU_DEP_1)
	v_rcp_iflag_f32_e32 v2, v2
	s_waitcnt_depctr 0xfff
	v_mul_f32_e32 v2, 0x4f7ffffe, v2
	v_cvt_u32_f32_e32 v2, v2
	s_delay_alu instid0(VALU_DEP_1) | instskip(NEXT) | instid1(VALU_DEP_1)
	v_mul_lo_u32 v3, s4, v2
	v_mul_hi_u32 v3, v2, v3
	s_delay_alu instid0(VALU_DEP_1) | instskip(NEXT) | instid1(VALU_DEP_1)
	v_add_nc_u32_e32 v2, v2, v3
	v_mul_hi_u32 v2, s21, v2
	s_delay_alu instid0(VALU_DEP_1) | instskip(NEXT) | instid1(VALU_DEP_1)
	v_mul_lo_u32 v2, v2, s33
	v_sub_nc_u32_e32 v2, s21, v2
	s_delay_alu instid0(VALU_DEP_1) | instskip(SKIP_1) | instid1(VALU_DEP_2)
	v_subrev_nc_u32_e32 v3, s33, v2
	v_cmp_le_u32_e32 vcc_lo, s33, v2
	v_cndmask_b32_e32 v2, v2, v3, vcc_lo
	s_delay_alu instid0(VALU_DEP_1) | instskip(SKIP_1) | instid1(VALU_DEP_2)
	v_subrev_nc_u32_e32 v3, s33, v2
	v_cmp_le_u32_e32 vcc_lo, s33, v2
	v_cndmask_b32_e32 v10, v2, v3, vcc_lo
	s_delay_alu instid0(VALU_DEP_1)
	v_dual_mov_b32 v2, v10 :: v_dual_mov_b32 v3, v11
.LBB111_206:                            ;   in Loop: Header=BB111_37 Depth=1
	s_delay_alu instid0(VALU_DEP_1) | instskip(NEXT) | instid1(VALU_DEP_2)
	v_sub_co_u32 v2, vcc_lo, s21, v2
	v_sub_co_ci_u32_e32 v3, vcc_lo, s5, v3, vcc_lo
	s_mov_b32 s4, 0
	s_mov_b32 s5, exec_lo
                                        ; implicit-def: $vgpr45
	s_delay_alu instid0(VALU_DEP_1)
	v_cmpx_gt_u64_e64 v[2:3], v[0:1]
	s_cbranch_execz .LBB111_219
; %bb.207:                              ;   in Loop: Header=BB111_37 Depth=1
	v_dual_mov_b32 v6, v39 :: v_dual_mov_b32 v5, v1
	v_mov_b32_e32 v4, v0
	s_mov_b32 s21, 0
                                        ; implicit-def: $sgpr22
	s_set_inst_prefetch_distance 0x1
	s_branch .LBB111_209
	.p2align	6
.LBB111_208:                            ;   in Loop: Header=BB111_209 Depth=2
	s_or_b32 exec_lo, exec_lo, s4
	s_waitcnt lgkmcnt(0)
	s_barrier
	buffer_gl0_inv
	ds_load_b32 v7, v11 offset:3072
	v_add_co_u32 v4, vcc_lo, v4, s33
	v_add_co_ci_u32_e32 v5, vcc_lo, 0, v5, vcc_lo
	v_add_nc_u32_e32 v6, s86, v6
	s_waitcnt lgkmcnt(0)
	s_barrier
	s_delay_alu instid0(VALU_DEP_2) | instskip(SKIP_2) | instid1(VALU_DEP_1)
	v_cmp_ge_u64_e32 vcc_lo, v[4:5], v[2:3]
	buffer_gl0_inv
	v_cmp_ne_u16_e64 s4, 0, v7
	s_or_b32 s52, vcc_lo, s4
	s_delay_alu instid0(SALU_CYCLE_1) | instskip(NEXT) | instid1(SALU_CYCLE_1)
	s_and_b32 s52, exec_lo, s52
	s_or_b32 s21, s52, s21
	s_and_not1_b32 s22, s22, exec_lo
	s_and_b32 s4, s4, exec_lo
	s_delay_alu instid0(SALU_CYCLE_1)
	s_or_b32 s22, s22, s4
	s_and_not1_b32 exec_lo, exec_lo, s21
	s_cbranch_execz .LBB111_218
.LBB111_209:                            ;   Parent Loop BB111_37 Depth=1
                                        ; =>  This Inner Loop Header: Depth=2
	s_delay_alu instid0(VALU_DEP_1)
	v_cmp_gt_u64_e32 vcc_lo, s[10:11], v[4:5]
	v_mov_b32_e32 v7, 0
	s_and_saveexec_b32 s4, vcc_lo
	s_cbranch_execz .LBB111_211
; %bb.210:                              ;   in Loop: Header=BB111_209 Depth=2
	ds_load_u16 v7, v6
.LBB111_211:                            ;   in Loop: Header=BB111_209 Depth=2
	s_or_b32 exec_lo, exec_lo, s4
	s_and_saveexec_b32 s4, vcc_lo
	s_cbranch_execz .LBB111_208
; %bb.212:                              ;   in Loop: Header=BB111_209 Depth=2
	s_waitcnt lgkmcnt(0)
	v_bfe_i32 v8, v7, 0, 16
	s_delay_alu instid0(VALU_DEP_1) | instskip(NEXT) | instid1(VALU_DEP_1)
	v_add_nc_u32_e32 v8, 0x8000, v8
	v_and_b32_e32 v8, s97, v8
	s_delay_alu instid0(VALU_DEP_1)
	v_cmp_eq_u32_e32 vcc_lo, s96, v8
	s_and_b32 exec_lo, exec_lo, vcc_lo
	s_cbranch_execz .LBB111_208
; %bb.213:                              ;   in Loop: Header=BB111_209 Depth=2
	v_perm_b32 v7, v7, 1, 0x5040100
	ds_store_b32 v11, v7 offset:3072
	s_branch .LBB111_208
.LBB111_214:                            ;   in Loop: Header=BB111_37 Depth=1
                                        ; implicit-def: $sgpr10
                                        ; implicit-def: $sgpr21
                                        ; implicit-def: $sgpr11
	s_branch .LBB111_233
.LBB111_215:                            ;   in Loop: Header=BB111_37 Depth=1
                                        ; implicit-def: $vgpr2_vgpr3
	s_branch .LBB111_158
.LBB111_216:                            ;   in Loop: Header=BB111_37 Depth=1
                                        ; implicit-def: $vgpr2_vgpr3
	s_branch .LBB111_175
.LBB111_217:                            ;   in Loop: Header=BB111_37 Depth=1
	s_mov_b32 s10, -1
	s_mov_b32 s4, 0
                                        ; implicit-def: $sgpr11
                                        ; implicit-def: $vgpr45
	s_mov_b32 s21, s10
	s_cbranch_execnz .LBB111_220
	s_branch .LBB111_233
.LBB111_218:                            ;   in Loop: Header=BB111_37 Depth=1
	s_set_inst_prefetch_distance 0x2
	s_or_b32 exec_lo, exec_lo, s21
	v_lshrrev_b32_e32 v45, 16, v7
	s_and_b32 s4, s22, exec_lo
.LBB111_219:                            ;   in Loop: Header=BB111_37 Depth=1
	s_or_b32 exec_lo, exec_lo, s5
	s_mov_b32 s11, -1
	s_mov_b32 s10, 0
	s_delay_alu instid0(SALU_CYCLE_1)
	s_mov_b32 s21, s10
	s_branch .LBB111_233
.LBB111_220:                            ;   in Loop: Header=BB111_37 Depth=1
	s_mov_b32 s54, s53
	s_delay_alu instid0(SALU_CYCLE_1)
	s_cmp_lg_u64 s[54:55], 0
	s_cbranch_scc0 .LBB111_263
; %bb.221:                              ;   in Loop: Header=BB111_37 Depth=1
	v_cvt_f32_u32_e32 v2, s33
	s_sub_u32 s10, 0, s33
	s_subb_u32 s11, 0, 0
	s_delay_alu instid0(VALU_DEP_1) | instskip(NEXT) | instid1(VALU_DEP_1)
	v_fmac_f32_e64 v2, 0, 0x4f800000
	v_rcp_f32_e32 v2, v2
	s_waitcnt_depctr 0xfff
	v_mul_f32_e32 v2, 0x5f7ffffc, v2
	s_delay_alu instid0(VALU_DEP_1) | instskip(NEXT) | instid1(VALU_DEP_1)
	v_mul_f32_e32 v3, 0x2f800000, v2
	v_trunc_f32_e32 v3, v3
	s_delay_alu instid0(VALU_DEP_1) | instskip(SKIP_1) | instid1(VALU_DEP_2)
	v_fmac_f32_e32 v2, 0xcf800000, v3
	v_cvt_u32_f32_e32 v3, v3
	v_cvt_u32_f32_e32 v2, v2
	s_delay_alu instid0(VALU_DEP_2) | instskip(NEXT) | instid1(VALU_DEP_2)
	v_readfirstlane_b32 s4, v3
	v_readfirstlane_b32 s5, v2
	s_delay_alu instid0(VALU_DEP_2) | instskip(NEXT) | instid1(VALU_DEP_1)
	s_mul_i32 s21, s10, s4
	s_mul_hi_u32 s52, s10, s5
	s_mul_i32 s22, s11, s5
	s_add_i32 s21, s52, s21
	s_mul_i32 s54, s10, s5
	s_add_i32 s21, s21, s22
	s_mul_hi_u32 s52, s5, s54
	s_mul_hi_u32 s64, s4, s54
	s_mul_i32 s22, s4, s54
	s_mul_hi_u32 s54, s5, s21
	s_mul_i32 s5, s5, s21
	s_mul_hi_u32 s65, s4, s21
	s_add_u32 s5, s52, s5
	s_addc_u32 s52, 0, s54
	s_add_u32 s5, s5, s22
	s_mul_i32 s21, s4, s21
	s_addc_u32 s5, s52, s64
	s_addc_u32 s22, s65, 0
	s_add_u32 s5, s5, s21
	s_addc_u32 s21, 0, s22
	v_add_co_u32 v2, s5, v2, s5
	s_delay_alu instid0(VALU_DEP_1) | instskip(SKIP_1) | instid1(VALU_DEP_1)
	s_cmp_lg_u32 s5, 0
	s_addc_u32 s4, s4, s21
	v_readfirstlane_b32 s5, v2
	s_mul_i32 s21, s10, s4
	s_delay_alu instid0(VALU_DEP_1)
	s_mul_hi_u32 s22, s10, s5
	s_mul_i32 s11, s11, s5
	s_add_i32 s21, s22, s21
	s_mul_i32 s10, s10, s5
	s_add_i32 s21, s21, s11
	s_mul_hi_u32 s22, s4, s10
	s_mul_i32 s52, s4, s10
	s_mul_hi_u32 s10, s5, s10
	s_mul_hi_u32 s54, s5, s21
	s_mul_i32 s5, s5, s21
	s_mul_hi_u32 s11, s4, s21
	s_add_u32 s5, s10, s5
	s_addc_u32 s10, 0, s54
	s_add_u32 s5, s5, s52
	s_mul_i32 s21, s4, s21
	s_addc_u32 s5, s10, s22
	s_addc_u32 s10, s11, 0
	s_add_u32 s5, s5, s21
	s_addc_u32 s10, 0, s10
	v_add_co_u32 v2, s5, v2, s5
	s_delay_alu instid0(VALU_DEP_1) | instskip(SKIP_1) | instid1(VALU_DEP_1)
	s_cmp_lg_u32 s5, 0
	s_addc_u32 s4, s4, s10
	v_readfirstlane_b32 s5, v2
	s_mul_i32 s11, s80, s4
	s_mul_hi_u32 s10, s80, s4
	s_mul_hi_u32 s21, s55, s4
	s_mul_i32 s4, s55, s4
	s_mul_hi_u32 s22, s80, s5
	s_mul_hi_u32 s52, s55, s5
	s_mul_i32 s5, s55, s5
	s_add_u32 s11, s22, s11
	s_addc_u32 s10, 0, s10
	s_add_u32 s5, s11, s5
	s_addc_u32 s5, s10, s52
	s_addc_u32 s10, s21, 0
	s_add_u32 s4, s5, s4
	s_addc_u32 s5, 0, s10
	s_mul_hi_u32 s10, s33, s4
	s_mul_i32 s4, s33, s4
	s_mul_i32 s5, s33, s5
	v_sub_co_u32 v2, s4, s80, s4
	s_add_i32 s10, s10, s5
	s_cmp_lg_u32 s4, 0
	s_delay_alu instid0(VALU_DEP_1) | instskip(SKIP_2) | instid1(VALU_DEP_1)
	v_sub_co_u32 v3, s4, v2, s33
	s_subb_u32 s5, s55, s10
	s_cmp_lg_u32 s4, 0
	v_cmp_le_u32_e32 vcc_lo, s33, v3
	v_sub_co_u32 v4, s4, v3, s33
	s_subb_u32 s10, s5, 0
	s_cmp_lg_u32 s4, 0
	v_cndmask_b32_e64 v5, 0, -1, vcc_lo
	s_subb_u32 s4, s10, 0
	s_cmp_eq_u32 s10, 0
	v_mov_b32_e32 v7, s4
	s_cselect_b32 vcc_lo, -1, 0
	s_cmp_eq_u32 s5, 0
	v_cndmask_b32_e32 v5, -1, v5, vcc_lo
	v_cmp_le_u32_e32 vcc_lo, s33, v2
	s_cselect_b32 s4, -1, 0
	v_cndmask_b32_e64 v6, 0, -1, vcc_lo
	s_delay_alu instid0(VALU_DEP_3) | instskip(NEXT) | instid1(VALU_DEP_2)
	v_cmp_ne_u32_e32 vcc_lo, 0, v5
	v_cndmask_b32_e64 v5, -1, v6, s4
	v_cndmask_b32_e32 v6, s10, v7, vcc_lo
	v_cndmask_b32_e32 v4, v3, v4, vcc_lo
	s_delay_alu instid0(VALU_DEP_3) | instskip(NEXT) | instid1(VALU_DEP_3)
	v_cmp_ne_u32_e32 vcc_lo, 0, v5
	v_cndmask_b32_e32 v3, s5, v6, vcc_lo
	s_delay_alu instid0(VALU_DEP_3)
	v_cndmask_b32_e32 v2, v2, v4, vcc_lo
	s_cbranch_execnz .LBB111_223
.LBB111_222:                            ;   in Loop: Header=BB111_37 Depth=1
	v_cvt_f32_u32_e32 v2, s33
	s_sub_i32 s4, 0, s33
	s_delay_alu instid0(VALU_DEP_1) | instskip(SKIP_2) | instid1(VALU_DEP_1)
	v_rcp_iflag_f32_e32 v2, v2
	s_waitcnt_depctr 0xfff
	v_mul_f32_e32 v2, 0x4f7ffffe, v2
	v_cvt_u32_f32_e32 v2, v2
	s_delay_alu instid0(VALU_DEP_1) | instskip(NEXT) | instid1(VALU_DEP_1)
	v_mul_lo_u32 v3, s4, v2
	v_mul_hi_u32 v3, v2, v3
	s_delay_alu instid0(VALU_DEP_1) | instskip(NEXT) | instid1(VALU_DEP_1)
	v_add_nc_u32_e32 v2, v2, v3
	v_mul_hi_u32 v2, s80, v2
	s_delay_alu instid0(VALU_DEP_1) | instskip(NEXT) | instid1(VALU_DEP_1)
	v_mul_lo_u32 v2, v2, s33
	v_sub_nc_u32_e32 v2, s80, v2
	s_delay_alu instid0(VALU_DEP_1) | instskip(SKIP_1) | instid1(VALU_DEP_2)
	v_subrev_nc_u32_e32 v3, s33, v2
	v_cmp_le_u32_e32 vcc_lo, s33, v2
	v_cndmask_b32_e32 v2, v2, v3, vcc_lo
	s_delay_alu instid0(VALU_DEP_1) | instskip(SKIP_1) | instid1(VALU_DEP_2)
	v_subrev_nc_u32_e32 v3, s33, v2
	v_cmp_le_u32_e32 vcc_lo, s33, v2
	v_cndmask_b32_e32 v10, v2, v3, vcc_lo
	s_delay_alu instid0(VALU_DEP_1)
	v_dual_mov_b32 v2, v10 :: v_dual_mov_b32 v3, v11
.LBB111_223:                            ;   in Loop: Header=BB111_37 Depth=1
	s_delay_alu instid0(VALU_DEP_1) | instskip(NEXT) | instid1(VALU_DEP_2)
	v_sub_co_u32 v2, vcc_lo, s80, v2
	v_sub_co_ci_u32_e32 v3, vcc_lo, s55, v3, vcc_lo
	s_mov_b32 s4, 0
	s_mov_b32 s5, exec_lo
                                        ; implicit-def: $vgpr45
	s_delay_alu instid0(VALU_DEP_1)
	v_cmpx_gt_u64_e64 v[2:3], v[0:1]
	s_cbranch_execz .LBB111_232
; %bb.224:                              ;   in Loop: Header=BB111_37 Depth=1
	v_dual_mov_b32 v4, v12 :: v_dual_mov_b32 v5, v13
	v_dual_mov_b32 v7, v1 :: v_dual_mov_b32 v6, v0
	s_mov_b32 s10, 0
                                        ; implicit-def: $sgpr11
	s_set_inst_prefetch_distance 0x1
	s_branch .LBB111_226
	.p2align	6
.LBB111_225:                            ;   in Loop: Header=BB111_226 Depth=2
	s_or_b32 exec_lo, exec_lo, s4
	s_waitcnt vmcnt(0) lgkmcnt(0)
	s_barrier
	buffer_gl0_inv
	ds_load_b32 v8, v11 offset:3072
	v_add_co_u32 v6, vcc_lo, v6, s33
	v_add_co_ci_u32_e32 v7, vcc_lo, 0, v7, vcc_lo
	s_waitcnt lgkmcnt(0)
	s_barrier
	buffer_gl0_inv
	v_cmp_ge_u64_e32 vcc_lo, v[6:7], v[2:3]
	v_cmp_ne_u16_e64 s4, 0, v8
	s_delay_alu instid0(VALU_DEP_1)
	s_or_b32 s21, vcc_lo, s4
	v_add_co_u32 v4, vcc_lo, v4, s50
	s_and_b32 s21, exec_lo, s21
	v_add_co_ci_u32_e32 v5, vcc_lo, s51, v5, vcc_lo
	s_or_b32 s10, s21, s10
	s_and_not1_b32 s11, s11, exec_lo
	s_and_b32 s4, s4, exec_lo
	s_delay_alu instid0(SALU_CYCLE_1)
	s_or_b32 s11, s11, s4
	s_and_not1_b32 exec_lo, exec_lo, s10
	s_cbranch_execz .LBB111_231
.LBB111_226:                            ;   Parent Loop BB111_37 Depth=1
                                        ; =>  This Inner Loop Header: Depth=2
	s_delay_alu instid0(VALU_DEP_1)
	v_cmp_gt_u64_e32 vcc_lo, s[24:25], v[6:7]
	v_mov_b32_e32 v8, 0
	s_and_saveexec_b32 s4, vcc_lo
	s_cbranch_execz .LBB111_228
; %bb.227:                              ;   in Loop: Header=BB111_226 Depth=2
	global_load_u16 v8, v[4:5], off
.LBB111_228:                            ;   in Loop: Header=BB111_226 Depth=2
	s_or_b32 exec_lo, exec_lo, s4
	s_and_saveexec_b32 s4, vcc_lo
	s_cbranch_execz .LBB111_225
; %bb.229:                              ;   in Loop: Header=BB111_226 Depth=2
	s_waitcnt vmcnt(0)
	v_bfe_i32 v9, v8, 0, 16
	s_delay_alu instid0(VALU_DEP_1) | instskip(NEXT) | instid1(VALU_DEP_1)
	v_add_nc_u32_e32 v9, 0x8000, v9
	v_and_b32_e32 v9, s97, v9
	s_delay_alu instid0(VALU_DEP_1)
	v_cmp_eq_u32_e32 vcc_lo, s96, v9
	s_and_b32 exec_lo, exec_lo, vcc_lo
	s_cbranch_execz .LBB111_225
; %bb.230:                              ;   in Loop: Header=BB111_226 Depth=2
	v_perm_b32 v8, v8, 1, 0x5040100
	ds_store_b32 v11, v8 offset:3072
	s_branch .LBB111_225
.LBB111_231:                            ;   in Loop: Header=BB111_37 Depth=1
	s_set_inst_prefetch_distance 0x2
	s_or_b32 exec_lo, exec_lo, s10
	v_lshrrev_b32_e32 v45, 16, v8
	s_and_b32 s4, s11, exec_lo
.LBB111_232:                            ;   in Loop: Header=BB111_37 Depth=1
	s_or_b32 exec_lo, exec_lo, s5
	s_mov_b32 s21, -1
	s_mov_b32 s10, 0
	s_mov_b32 s11, 0
.LBB111_233:                            ;   in Loop: Header=BB111_37 Depth=1
	s_mov_b32 s5, 0
                                        ; implicit-def: $sgpr52
	s_and_saveexec_b32 s22, s4
	s_cbranch_execz .LBB111_295
; %bb.234:                              ;   in Loop: Header=BB111_37 Depth=1
	s_xor_b32 s4, s23, -1
	s_mov_b32 s52, 1
	s_and_not1_b32 vcc_lo, exec_lo, s4
	s_cbranch_vccnz .LBB111_245
; %bb.235:                              ;   in Loop: Header=BB111_37 Depth=1
	v_cmp_gt_u64_e64 s4, s[46:47], s[8:9]
                                        ; implicit-def: $sgpr52
                                        ; implicit-def: $sgpr5
                                        ; implicit-def: $sgpr23
	s_delay_alu instid0(VALU_DEP_1)
	s_and_b32 vcc_lo, exec_lo, s4
	s_mov_b32 s4, -1
	s_cbranch_vccnz .LBB111_241
; %bb.236:                              ;   in Loop: Header=BB111_37 Depth=1
	ds_load_b64 v[2:3], v11 offset:5120
	s_waitcnt lgkmcnt(0)
	v_cmp_ne_u64_e32 vcc_lo, 0, v[2:3]
	s_cbranch_vccnz .LBB111_240
; %bb.237:                              ;   in Loop: Header=BB111_37 Depth=1
	s_and_saveexec_b32 s4, s2
	s_cbranch_execz .LBB111_239
; %bb.238:                              ;   in Loop: Header=BB111_37 Depth=1
	v_dual_mov_b32 v2, s8 :: v_dual_mov_b32 v3, s9
	ds_store_b64 v11, v[2:3] offset:5128
.LBB111_239:                            ;   in Loop: Header=BB111_37 Depth=1
	s_or_b32 exec_lo, exec_lo, s4
	s_waitcnt lgkmcnt(0)
	s_barrier
	buffer_gl0_inv
.LBB111_240:                            ;   in Loop: Header=BB111_37 Depth=1
	s_lshl_b32 s4, 2, s17
	s_and_b32 s5, s96, s18
	s_or_b32 s23, s97, s16
	s_or_b32 s5, s5, s4
	s_mov_b32 s4, 0
	s_mov_b32 s52, 8
.LBB111_241:                            ;   in Loop: Header=BB111_37 Depth=1
	s_and_not1_b32 vcc_lo, exec_lo, s4
	s_cbranch_vccnz .LBB111_243
; %bb.242:                              ;   in Loop: Header=BB111_37 Depth=1
	s_sub_u32 s46, s46, s8
	s_subb_u32 s47, s47, s9
	s_mov_b32 s4, -1
	s_mov_b32 s52, 0
	s_mov_b32 s5, s96
	;; [unrolled: 1-line block ×3, first 2 shown]
.LBB111_243:                            ;   in Loop: Header=BB111_37 Depth=1
	s_delay_alu instid0(SALU_CYCLE_1)
	s_mov_b32 s97, s23
	s_mov_b32 s96, s5
	s_and_not1_b32 vcc_lo, exec_lo, s4
	s_mov_b32 s64, -1
	s_cbranch_vccz .LBB111_246
.LBB111_244:                            ;   in Loop: Header=BB111_37 Depth=1
                                        ; implicit-def: $sgpr8
                                        ; implicit-def: $sgpr18
                                        ; implicit-def: $sgpr9
	s_branch .LBB111_294
.LBB111_245:                            ;   in Loop: Header=BB111_37 Depth=1
	s_mov_b64 s[46:47], 1
	s_mov_b32 s64, -1
	s_cbranch_execnz .LBB111_244
.LBB111_246:                            ;   in Loop: Header=BB111_37 Depth=1
	s_cmp_eq_u64 s[6:7], 1
	s_mov_b32 s23, -1
	s_cselect_b32 s4, -1, 0
	s_cmp_eq_u64 s[46:47], 1
	s_cselect_b32 s5, -1, 0
	s_delay_alu instid0(SALU_CYCLE_1) | instskip(NEXT) | instid1(SALU_CYCLE_1)
	s_and_b32 s17, s4, s5
	s_and_b32 vcc_lo, exec_lo, s17
	s_cbranch_vccz .LBB111_261
; %bb.247:                              ;   in Loop: Header=BB111_37 Depth=1
	ds_load_b64 v[2:3], v11 offset:5120
	s_waitcnt lgkmcnt(0)
	s_barrier
	buffer_gl0_inv
	v_readfirstlane_b32 s8, v2
	v_readfirstlane_b32 s9, v3
	s_and_saveexec_b32 s4, s3
	s_cbranch_execz .LBB111_249
; %bb.248:                              ;   in Loop: Header=BB111_37 Depth=1
	ds_store_b16 v40, v11
.LBB111_249:                            ;   in Loop: Header=BB111_37 Depth=1
	s_or_b32 exec_lo, exec_lo, s4
	s_or_b32 s96, s96, s16
	s_or_b32 s97, s97, s16
	s_cmp_eq_u64 s[8:9], 0
	s_waitcnt lgkmcnt(0)
	s_barrier
	buffer_gl0_inv
	s_cbranch_scc1 .LBB111_264
; %bb.250:                              ;   in Loop: Header=BB111_37 Depth=1
	s_add_u32 s18, s78, s8
	s_addc_u32 s5, s79, s9
	s_mov_b32 s4, s53
	s_delay_alu instid0(SALU_CYCLE_1)
	s_cmp_lg_u64 s[4:5], 0
	s_cbranch_scc0 .LBB111_300
; %bb.251:                              ;   in Loop: Header=BB111_37 Depth=1
	v_cvt_f32_u32_e32 v2, s33
	s_sub_u32 s52, 0, s33
	s_subb_u32 s54, 0, 0
	s_delay_alu instid0(VALU_DEP_1) | instskip(NEXT) | instid1(VALU_DEP_1)
	v_fmac_f32_e64 v2, 0, 0x4f800000
	v_rcp_f32_e32 v2, v2
	s_waitcnt_depctr 0xfff
	v_mul_f32_e32 v2, 0x5f7ffffc, v2
	s_delay_alu instid0(VALU_DEP_1) | instskip(NEXT) | instid1(VALU_DEP_1)
	v_mul_f32_e32 v3, 0x2f800000, v2
	v_trunc_f32_e32 v3, v3
	s_delay_alu instid0(VALU_DEP_1) | instskip(SKIP_1) | instid1(VALU_DEP_2)
	v_fmac_f32_e32 v2, 0xcf800000, v3
	v_cvt_u32_f32_e32 v3, v3
	v_cvt_u32_f32_e32 v2, v2
	s_delay_alu instid0(VALU_DEP_2) | instskip(NEXT) | instid1(VALU_DEP_2)
	v_readfirstlane_b32 s4, v3
	v_readfirstlane_b32 s23, v2
	s_delay_alu instid0(VALU_DEP_2) | instskip(NEXT) | instid1(VALU_DEP_1)
	s_mul_i32 s64, s52, s4
	s_mul_hi_u32 s66, s52, s23
	s_mul_i32 s65, s54, s23
	s_add_i32 s64, s66, s64
	s_mul_i32 s67, s52, s23
	s_add_i32 s64, s64, s65
	s_mul_hi_u32 s66, s23, s67
	s_mul_hi_u32 s68, s4, s67
	s_mul_i32 s65, s4, s67
	s_mul_hi_u32 s67, s23, s64
	s_mul_i32 s23, s23, s64
	s_mul_hi_u32 s69, s4, s64
	s_add_u32 s23, s66, s23
	s_addc_u32 s66, 0, s67
	s_add_u32 s23, s23, s65
	s_mul_i32 s64, s4, s64
	s_addc_u32 s23, s66, s68
	s_addc_u32 s65, s69, 0
	s_add_u32 s23, s23, s64
	s_addc_u32 s64, 0, s65
	v_add_co_u32 v2, s23, v2, s23
	s_delay_alu instid0(VALU_DEP_1) | instskip(SKIP_1) | instid1(VALU_DEP_1)
	s_cmp_lg_u32 s23, 0
	s_addc_u32 s4, s4, s64
	v_readfirstlane_b32 s23, v2
	s_mul_i32 s64, s52, s4
	s_delay_alu instid0(VALU_DEP_1)
	s_mul_hi_u32 s65, s52, s23
	s_mul_i32 s54, s54, s23
	s_add_i32 s64, s65, s64
	s_mul_i32 s52, s52, s23
	s_add_i32 s64, s64, s54
	s_mul_hi_u32 s65, s4, s52
	s_mul_i32 s66, s4, s52
	s_mul_hi_u32 s52, s23, s52
	s_mul_hi_u32 s67, s23, s64
	s_mul_i32 s23, s23, s64
	s_mul_hi_u32 s54, s4, s64
	s_add_u32 s23, s52, s23
	s_addc_u32 s52, 0, s67
	s_add_u32 s23, s23, s66
	s_mul_i32 s64, s4, s64
	s_addc_u32 s23, s52, s65
	s_addc_u32 s52, s54, 0
	s_add_u32 s23, s23, s64
	s_addc_u32 s52, 0, s52
	v_add_co_u32 v2, s23, v2, s23
	s_delay_alu instid0(VALU_DEP_1) | instskip(SKIP_1) | instid1(VALU_DEP_1)
	s_cmp_lg_u32 s23, 0
	s_addc_u32 s4, s4, s52
	v_readfirstlane_b32 s23, v2
	s_mul_i32 s54, s18, s4
	s_mul_hi_u32 s52, s18, s4
	s_mul_hi_u32 s64, s5, s4
	s_mul_i32 s4, s5, s4
	s_mul_hi_u32 s65, s18, s23
	s_mul_hi_u32 s66, s5, s23
	s_mul_i32 s23, s5, s23
	s_add_u32 s54, s65, s54
	s_addc_u32 s52, 0, s52
	s_add_u32 s23, s54, s23
	s_addc_u32 s23, s52, s66
	s_addc_u32 s52, s64, 0
	s_add_u32 s4, s23, s4
	s_addc_u32 s23, 0, s52
	s_mul_hi_u32 s52, s33, s4
	s_mul_i32 s4, s33, s4
	s_mul_i32 s23, s33, s23
	v_sub_co_u32 v2, s4, s18, s4
	s_add_i32 s52, s52, s23
	s_cmp_lg_u32 s4, 0
	s_delay_alu instid0(VALU_DEP_1) | instskip(SKIP_2) | instid1(VALU_DEP_1)
	v_sub_co_u32 v3, s4, v2, s33
	s_subb_u32 s23, s5, s52
	s_cmp_lg_u32 s4, 0
	v_cmp_le_u32_e32 vcc_lo, s33, v3
	v_sub_co_u32 v4, s4, v3, s33
	s_subb_u32 s52, s23, 0
	s_cmp_lg_u32 s4, 0
	v_cndmask_b32_e64 v5, 0, -1, vcc_lo
	s_subb_u32 s4, s52, 0
	s_cmp_eq_u32 s52, 0
	v_mov_b32_e32 v7, s4
	s_cselect_b32 vcc_lo, -1, 0
	s_cmp_eq_u32 s23, 0
	v_cndmask_b32_e32 v5, -1, v5, vcc_lo
	v_cmp_le_u32_e32 vcc_lo, s33, v2
	s_cselect_b32 s4, -1, 0
	v_cndmask_b32_e64 v6, 0, -1, vcc_lo
	s_delay_alu instid0(VALU_DEP_3) | instskip(NEXT) | instid1(VALU_DEP_2)
	v_cmp_ne_u32_e32 vcc_lo, 0, v5
	v_cndmask_b32_e64 v5, -1, v6, s4
	v_cndmask_b32_e32 v6, s52, v7, vcc_lo
	v_cndmask_b32_e32 v4, v3, v4, vcc_lo
	s_delay_alu instid0(VALU_DEP_3) | instskip(NEXT) | instid1(VALU_DEP_3)
	v_cmp_ne_u32_e32 vcc_lo, 0, v5
	v_cndmask_b32_e32 v3, s23, v6, vcc_lo
	s_delay_alu instid0(VALU_DEP_3)
	v_cndmask_b32_e32 v2, v2, v4, vcc_lo
	s_cbranch_execnz .LBB111_253
.LBB111_252:                            ;   in Loop: Header=BB111_37 Depth=1
	v_cvt_f32_u32_e32 v2, s33
	s_sub_i32 s4, 0, s33
	s_delay_alu instid0(VALU_DEP_1) | instskip(SKIP_2) | instid1(VALU_DEP_1)
	v_rcp_iflag_f32_e32 v2, v2
	s_waitcnt_depctr 0xfff
	v_mul_f32_e32 v2, 0x4f7ffffe, v2
	v_cvt_u32_f32_e32 v2, v2
	s_delay_alu instid0(VALU_DEP_1) | instskip(NEXT) | instid1(VALU_DEP_1)
	v_mul_lo_u32 v3, s4, v2
	v_mul_hi_u32 v3, v2, v3
	s_delay_alu instid0(VALU_DEP_1) | instskip(NEXT) | instid1(VALU_DEP_1)
	v_add_nc_u32_e32 v2, v2, v3
	v_mul_hi_u32 v2, s18, v2
	s_delay_alu instid0(VALU_DEP_1) | instskip(NEXT) | instid1(VALU_DEP_1)
	v_mul_lo_u32 v2, v2, s33
	v_sub_nc_u32_e32 v2, s18, v2
	s_delay_alu instid0(VALU_DEP_1) | instskip(SKIP_1) | instid1(VALU_DEP_2)
	v_subrev_nc_u32_e32 v3, s33, v2
	v_cmp_le_u32_e32 vcc_lo, s33, v2
	v_cndmask_b32_e32 v2, v2, v3, vcc_lo
	s_delay_alu instid0(VALU_DEP_1) | instskip(SKIP_1) | instid1(VALU_DEP_2)
	v_subrev_nc_u32_e32 v3, s33, v2
	v_cmp_le_u32_e32 vcc_lo, s33, v2
	v_cndmask_b32_e32 v10, v2, v3, vcc_lo
	s_delay_alu instid0(VALU_DEP_1)
	v_dual_mov_b32 v2, v10 :: v_dual_mov_b32 v3, v11
.LBB111_253:                            ;   in Loop: Header=BB111_37 Depth=1
	s_delay_alu instid0(VALU_DEP_1) | instskip(NEXT) | instid1(VALU_DEP_2)
	v_sub_co_u32 v2, vcc_lo, s18, v2
	v_sub_co_ci_u32_e32 v3, vcc_lo, s5, v3, vcc_lo
	s_mov_b32 s23, 0
	s_mov_b32 s5, exec_lo
                                        ; implicit-def: $vgpr45
	s_delay_alu instid0(VALU_DEP_1)
	v_cmpx_gt_u64_e64 v[2:3], v[0:1]
	s_cbranch_execz .LBB111_266
; %bb.254:                              ;   in Loop: Header=BB111_37 Depth=1
	v_dual_mov_b32 v6, v39 :: v_dual_mov_b32 v5, v1
	v_mov_b32_e32 v4, v0
	s_mov_b32 s18, 0
                                        ; implicit-def: $sgpr23
	s_set_inst_prefetch_distance 0x1
	s_branch .LBB111_256
	.p2align	6
.LBB111_255:                            ;   in Loop: Header=BB111_256 Depth=2
	s_or_b32 exec_lo, exec_lo, s4
	s_waitcnt lgkmcnt(0)
	s_barrier
	buffer_gl0_inv
	ds_load_b32 v7, v11 offset:3072
	v_add_co_u32 v4, vcc_lo, v4, s33
	v_add_co_ci_u32_e32 v5, vcc_lo, 0, v5, vcc_lo
	v_add_nc_u32_e32 v6, s86, v6
	s_waitcnt lgkmcnt(0)
	s_barrier
	s_delay_alu instid0(VALU_DEP_2) | instskip(SKIP_2) | instid1(VALU_DEP_1)
	v_cmp_ge_u64_e32 vcc_lo, v[4:5], v[2:3]
	buffer_gl0_inv
	v_cmp_ne_u16_e64 s4, 0, v7
	s_or_b32 s52, vcc_lo, s4
	s_delay_alu instid0(SALU_CYCLE_1) | instskip(NEXT) | instid1(SALU_CYCLE_1)
	s_and_b32 s52, exec_lo, s52
	s_or_b32 s18, s52, s18
	s_and_not1_b32 s23, s23, exec_lo
	s_and_b32 s4, s4, exec_lo
	s_delay_alu instid0(SALU_CYCLE_1)
	s_or_b32 s23, s23, s4
	s_and_not1_b32 exec_lo, exec_lo, s18
	s_cbranch_execz .LBB111_265
.LBB111_256:                            ;   Parent Loop BB111_37 Depth=1
                                        ; =>  This Inner Loop Header: Depth=2
	s_delay_alu instid0(VALU_DEP_1)
	v_cmp_gt_u64_e32 vcc_lo, s[8:9], v[4:5]
	v_mov_b32_e32 v7, 0
	s_and_saveexec_b32 s4, vcc_lo
	s_cbranch_execz .LBB111_258
; %bb.257:                              ;   in Loop: Header=BB111_256 Depth=2
	ds_load_u16 v7, v6
.LBB111_258:                            ;   in Loop: Header=BB111_256 Depth=2
	s_or_b32 exec_lo, exec_lo, s4
	s_and_saveexec_b32 s4, vcc_lo
	s_cbranch_execz .LBB111_255
; %bb.259:                              ;   in Loop: Header=BB111_256 Depth=2
	s_waitcnt lgkmcnt(0)
	v_bfe_i32 v8, v7, 0, 16
	s_delay_alu instid0(VALU_DEP_1) | instskip(NEXT) | instid1(VALU_DEP_1)
	v_add_nc_u32_e32 v8, 0x8000, v8
	v_and_b32_e32 v8, s97, v8
	s_delay_alu instid0(VALU_DEP_1)
	v_cmp_eq_u32_e32 vcc_lo, s96, v8
	s_and_b32 exec_lo, exec_lo, vcc_lo
	s_cbranch_execz .LBB111_255
; %bb.260:                              ;   in Loop: Header=BB111_256 Depth=2
	v_perm_b32 v7, v7, 1, 0x5040100
	ds_store_b32 v11, v7 offset:3072
	s_branch .LBB111_255
.LBB111_261:                            ;   in Loop: Header=BB111_37 Depth=1
                                        ; implicit-def: $sgpr8
                                        ; implicit-def: $sgpr18
                                        ; implicit-def: $sgpr9
	s_branch .LBB111_280
.LBB111_262:                            ;   in Loop: Header=BB111_37 Depth=1
                                        ; implicit-def: $vgpr2_vgpr3
	s_branch .LBB111_205
.LBB111_263:                            ;   in Loop: Header=BB111_37 Depth=1
                                        ; implicit-def: $vgpr2_vgpr3
	s_branch .LBB111_222
.LBB111_264:                            ;   in Loop: Header=BB111_37 Depth=1
	s_mov_b32 s8, -1
	s_mov_b32 s23, 0
                                        ; implicit-def: $sgpr9
                                        ; implicit-def: $vgpr45
	s_mov_b32 s18, s8
	s_cbranch_execnz .LBB111_267
	s_branch .LBB111_280
.LBB111_265:                            ;   in Loop: Header=BB111_37 Depth=1
	s_set_inst_prefetch_distance 0x2
	s_or_b32 exec_lo, exec_lo, s18
	v_lshrrev_b32_e32 v45, 16, v7
	s_and_b32 s23, s23, exec_lo
.LBB111_266:                            ;   in Loop: Header=BB111_37 Depth=1
	s_or_b32 exec_lo, exec_lo, s5
	s_mov_b32 s9, -1
	s_mov_b32 s8, 0
	s_delay_alu instid0(SALU_CYCLE_1)
	s_mov_b32 s18, s8
	s_branch .LBB111_280
.LBB111_267:                            ;   in Loop: Header=BB111_37 Depth=1
	s_mov_b32 s54, s53
	s_delay_alu instid0(SALU_CYCLE_1)
	s_cmp_lg_u64 s[54:55], 0
	s_cbranch_scc0 .LBB111_301
; %bb.268:                              ;   in Loop: Header=BB111_37 Depth=1
	v_cvt_f32_u32_e32 v2, s33
	s_sub_u32 s8, 0, s33
	s_subb_u32 s9, 0, 0
	s_delay_alu instid0(VALU_DEP_1) | instskip(NEXT) | instid1(VALU_DEP_1)
	v_fmac_f32_e64 v2, 0, 0x4f800000
	v_rcp_f32_e32 v2, v2
	s_waitcnt_depctr 0xfff
	v_mul_f32_e32 v2, 0x5f7ffffc, v2
	s_delay_alu instid0(VALU_DEP_1) | instskip(NEXT) | instid1(VALU_DEP_1)
	v_mul_f32_e32 v3, 0x2f800000, v2
	v_trunc_f32_e32 v3, v3
	s_delay_alu instid0(VALU_DEP_1) | instskip(SKIP_1) | instid1(VALU_DEP_2)
	v_fmac_f32_e32 v2, 0xcf800000, v3
	v_cvt_u32_f32_e32 v3, v3
	v_cvt_u32_f32_e32 v2, v2
	s_delay_alu instid0(VALU_DEP_2) | instskip(NEXT) | instid1(VALU_DEP_2)
	v_readfirstlane_b32 s4, v3
	v_readfirstlane_b32 s5, v2
	s_delay_alu instid0(VALU_DEP_2) | instskip(NEXT) | instid1(VALU_DEP_1)
	s_mul_i32 s18, s8, s4
	s_mul_hi_u32 s52, s8, s5
	s_mul_i32 s23, s9, s5
	s_add_i32 s18, s52, s18
	s_mul_i32 s54, s8, s5
	s_add_i32 s18, s18, s23
	s_mul_hi_u32 s52, s5, s54
	s_mul_hi_u32 s64, s4, s54
	s_mul_i32 s23, s4, s54
	s_mul_hi_u32 s54, s5, s18
	s_mul_i32 s5, s5, s18
	s_mul_hi_u32 s65, s4, s18
	s_add_u32 s5, s52, s5
	s_addc_u32 s52, 0, s54
	s_add_u32 s5, s5, s23
	s_mul_i32 s18, s4, s18
	s_addc_u32 s5, s52, s64
	s_addc_u32 s23, s65, 0
	s_add_u32 s5, s5, s18
	s_addc_u32 s18, 0, s23
	v_add_co_u32 v2, s5, v2, s5
	s_delay_alu instid0(VALU_DEP_1) | instskip(SKIP_1) | instid1(VALU_DEP_1)
	s_cmp_lg_u32 s5, 0
	s_addc_u32 s4, s4, s18
	v_readfirstlane_b32 s5, v2
	s_mul_i32 s18, s8, s4
	s_delay_alu instid0(VALU_DEP_1)
	s_mul_hi_u32 s23, s8, s5
	s_mul_i32 s9, s9, s5
	s_add_i32 s18, s23, s18
	s_mul_i32 s8, s8, s5
	s_add_i32 s18, s18, s9
	s_mul_hi_u32 s23, s4, s8
	s_mul_i32 s52, s4, s8
	s_mul_hi_u32 s8, s5, s8
	s_mul_hi_u32 s54, s5, s18
	s_mul_i32 s5, s5, s18
	s_mul_hi_u32 s9, s4, s18
	s_add_u32 s5, s8, s5
	s_addc_u32 s8, 0, s54
	s_add_u32 s5, s5, s52
	s_mul_i32 s18, s4, s18
	s_addc_u32 s5, s8, s23
	s_addc_u32 s8, s9, 0
	s_add_u32 s5, s5, s18
	s_addc_u32 s8, 0, s8
	v_add_co_u32 v2, s5, v2, s5
	s_delay_alu instid0(VALU_DEP_1) | instskip(SKIP_1) | instid1(VALU_DEP_1)
	s_cmp_lg_u32 s5, 0
	s_addc_u32 s4, s4, s8
	v_readfirstlane_b32 s5, v2
	s_mul_i32 s9, s80, s4
	s_mul_hi_u32 s8, s80, s4
	s_mul_hi_u32 s18, s55, s4
	s_mul_i32 s4, s55, s4
	s_mul_hi_u32 s23, s80, s5
	s_mul_hi_u32 s52, s55, s5
	s_mul_i32 s5, s55, s5
	s_add_u32 s9, s23, s9
	s_addc_u32 s8, 0, s8
	s_add_u32 s5, s9, s5
	s_addc_u32 s5, s8, s52
	s_addc_u32 s8, s18, 0
	s_add_u32 s4, s5, s4
	s_addc_u32 s5, 0, s8
	s_mul_hi_u32 s8, s33, s4
	s_mul_i32 s4, s33, s4
	s_mul_i32 s5, s33, s5
	v_sub_co_u32 v2, s4, s80, s4
	s_add_i32 s8, s8, s5
	s_cmp_lg_u32 s4, 0
	s_delay_alu instid0(VALU_DEP_1) | instskip(SKIP_2) | instid1(VALU_DEP_1)
	v_sub_co_u32 v3, s4, v2, s33
	s_subb_u32 s5, s55, s8
	s_cmp_lg_u32 s4, 0
	v_cmp_le_u32_e32 vcc_lo, s33, v3
	v_sub_co_u32 v4, s4, v3, s33
	s_subb_u32 s8, s5, 0
	s_cmp_lg_u32 s4, 0
	v_cndmask_b32_e64 v5, 0, -1, vcc_lo
	s_subb_u32 s4, s8, 0
	s_cmp_eq_u32 s8, 0
	v_mov_b32_e32 v7, s4
	s_cselect_b32 vcc_lo, -1, 0
	s_cmp_eq_u32 s5, 0
	v_cndmask_b32_e32 v5, -1, v5, vcc_lo
	v_cmp_le_u32_e32 vcc_lo, s33, v2
	s_cselect_b32 s4, -1, 0
	v_cndmask_b32_e64 v6, 0, -1, vcc_lo
	s_delay_alu instid0(VALU_DEP_3) | instskip(NEXT) | instid1(VALU_DEP_2)
	v_cmp_ne_u32_e32 vcc_lo, 0, v5
	v_cndmask_b32_e64 v5, -1, v6, s4
	v_cndmask_b32_e32 v6, s8, v7, vcc_lo
	v_cndmask_b32_e32 v4, v3, v4, vcc_lo
	s_delay_alu instid0(VALU_DEP_3) | instskip(NEXT) | instid1(VALU_DEP_3)
	v_cmp_ne_u32_e32 vcc_lo, 0, v5
	v_cndmask_b32_e32 v3, s5, v6, vcc_lo
	s_delay_alu instid0(VALU_DEP_3)
	v_cndmask_b32_e32 v2, v2, v4, vcc_lo
	s_cbranch_execnz .LBB111_270
.LBB111_269:                            ;   in Loop: Header=BB111_37 Depth=1
	v_cvt_f32_u32_e32 v2, s33
	s_sub_i32 s4, 0, s33
	s_delay_alu instid0(VALU_DEP_1) | instskip(SKIP_2) | instid1(VALU_DEP_1)
	v_rcp_iflag_f32_e32 v2, v2
	s_waitcnt_depctr 0xfff
	v_mul_f32_e32 v2, 0x4f7ffffe, v2
	v_cvt_u32_f32_e32 v2, v2
	s_delay_alu instid0(VALU_DEP_1) | instskip(NEXT) | instid1(VALU_DEP_1)
	v_mul_lo_u32 v3, s4, v2
	v_mul_hi_u32 v3, v2, v3
	s_delay_alu instid0(VALU_DEP_1) | instskip(NEXT) | instid1(VALU_DEP_1)
	v_add_nc_u32_e32 v2, v2, v3
	v_mul_hi_u32 v2, s80, v2
	s_delay_alu instid0(VALU_DEP_1) | instskip(NEXT) | instid1(VALU_DEP_1)
	v_mul_lo_u32 v2, v2, s33
	v_sub_nc_u32_e32 v2, s80, v2
	s_delay_alu instid0(VALU_DEP_1) | instskip(SKIP_1) | instid1(VALU_DEP_2)
	v_subrev_nc_u32_e32 v3, s33, v2
	v_cmp_le_u32_e32 vcc_lo, s33, v2
	v_cndmask_b32_e32 v2, v2, v3, vcc_lo
	s_delay_alu instid0(VALU_DEP_1) | instskip(SKIP_1) | instid1(VALU_DEP_2)
	v_subrev_nc_u32_e32 v3, s33, v2
	v_cmp_le_u32_e32 vcc_lo, s33, v2
	v_cndmask_b32_e32 v10, v2, v3, vcc_lo
	s_delay_alu instid0(VALU_DEP_1)
	v_dual_mov_b32 v2, v10 :: v_dual_mov_b32 v3, v11
.LBB111_270:                            ;   in Loop: Header=BB111_37 Depth=1
	s_delay_alu instid0(VALU_DEP_1) | instskip(NEXT) | instid1(VALU_DEP_2)
	v_sub_co_u32 v2, vcc_lo, s80, v2
	v_sub_co_ci_u32_e32 v3, vcc_lo, s55, v3, vcc_lo
	s_mov_b32 s23, 0
	s_mov_b32 s5, exec_lo
                                        ; implicit-def: $vgpr45
	s_delay_alu instid0(VALU_DEP_1)
	v_cmpx_gt_u64_e64 v[2:3], v[0:1]
	s_cbranch_execz .LBB111_279
; %bb.271:                              ;   in Loop: Header=BB111_37 Depth=1
	v_dual_mov_b32 v4, v12 :: v_dual_mov_b32 v5, v13
	v_dual_mov_b32 v7, v1 :: v_dual_mov_b32 v6, v0
	s_mov_b32 s8, 0
                                        ; implicit-def: $sgpr9
	s_set_inst_prefetch_distance 0x1
	s_branch .LBB111_273
	.p2align	6
.LBB111_272:                            ;   in Loop: Header=BB111_273 Depth=2
	s_or_b32 exec_lo, exec_lo, s4
	s_waitcnt vmcnt(0) lgkmcnt(0)
	s_barrier
	buffer_gl0_inv
	ds_load_b32 v8, v11 offset:3072
	v_add_co_u32 v6, vcc_lo, v6, s33
	v_add_co_ci_u32_e32 v7, vcc_lo, 0, v7, vcc_lo
	s_waitcnt lgkmcnt(0)
	s_barrier
	buffer_gl0_inv
	v_cmp_ge_u64_e32 vcc_lo, v[6:7], v[2:3]
	v_cmp_ne_u16_e64 s4, 0, v8
	s_delay_alu instid0(VALU_DEP_1)
	s_or_b32 s18, vcc_lo, s4
	v_add_co_u32 v4, vcc_lo, v4, s50
	s_and_b32 s18, exec_lo, s18
	v_add_co_ci_u32_e32 v5, vcc_lo, s51, v5, vcc_lo
	s_or_b32 s8, s18, s8
	s_and_not1_b32 s9, s9, exec_lo
	s_and_b32 s4, s4, exec_lo
	s_delay_alu instid0(SALU_CYCLE_1)
	s_or_b32 s9, s9, s4
	s_and_not1_b32 exec_lo, exec_lo, s8
	s_cbranch_execz .LBB111_278
.LBB111_273:                            ;   Parent Loop BB111_37 Depth=1
                                        ; =>  This Inner Loop Header: Depth=2
	s_delay_alu instid0(VALU_DEP_1)
	v_cmp_gt_u64_e32 vcc_lo, s[24:25], v[6:7]
	v_mov_b32_e32 v8, 0
	s_and_saveexec_b32 s4, vcc_lo
	s_cbranch_execz .LBB111_275
; %bb.274:                              ;   in Loop: Header=BB111_273 Depth=2
	global_load_u16 v8, v[4:5], off
.LBB111_275:                            ;   in Loop: Header=BB111_273 Depth=2
	s_or_b32 exec_lo, exec_lo, s4
	s_and_saveexec_b32 s4, vcc_lo
	s_cbranch_execz .LBB111_272
; %bb.276:                              ;   in Loop: Header=BB111_273 Depth=2
	s_waitcnt vmcnt(0)
	v_bfe_i32 v9, v8, 0, 16
	s_delay_alu instid0(VALU_DEP_1) | instskip(NEXT) | instid1(VALU_DEP_1)
	v_add_nc_u32_e32 v9, 0x8000, v9
	v_and_b32_e32 v9, s97, v9
	s_delay_alu instid0(VALU_DEP_1)
	v_cmp_eq_u32_e32 vcc_lo, s96, v9
	s_and_b32 exec_lo, exec_lo, vcc_lo
	s_cbranch_execz .LBB111_272
; %bb.277:                              ;   in Loop: Header=BB111_273 Depth=2
	v_perm_b32 v8, v8, 1, 0x5040100
	ds_store_b32 v11, v8 offset:3072
	s_branch .LBB111_272
.LBB111_278:                            ;   in Loop: Header=BB111_37 Depth=1
	s_set_inst_prefetch_distance 0x2
	s_or_b32 exec_lo, exec_lo, s8
	v_lshrrev_b32_e32 v45, 16, v8
	s_and_b32 s23, s9, exec_lo
.LBB111_279:                            ;   in Loop: Header=BB111_37 Depth=1
	s_or_b32 exec_lo, exec_lo, s5
	s_mov_b32 s18, -1
	s_mov_b32 s8, 0
	s_mov_b32 s9, 0
.LBB111_280:                            ;   in Loop: Header=BB111_37 Depth=1
	s_mov_b32 s64, 0
                                        ; implicit-def: $sgpr52
                                        ; implicit-def: $sgpr4_sgpr5
	s_and_saveexec_b32 s54, s23
	s_cbranch_execz .LBB111_293
; %bb.281:                              ;   in Loop: Header=BB111_37 Depth=1
	s_xor_b32 s17, s17, -1
	s_mov_b64 s[4:5], 1
	s_and_not1_b32 vcc_lo, exec_lo, s17
	s_mov_b32 s52, 1
	s_cbranch_vccnz .LBB111_292
; %bb.282:                              ;   in Loop: Header=BB111_37 Depth=1
	v_cmp_gt_u64_e64 s4, s[46:47], s[6:7]
	s_delay_alu instid0(VALU_DEP_1)
	s_and_b32 vcc_lo, exec_lo, s4
	s_cbranch_vccnz .LBB111_288
; %bb.283:                              ;   in Loop: Header=BB111_37 Depth=1
	ds_load_b64 v[2:3], v11 offset:5120
	s_waitcnt lgkmcnt(0)
	v_cmp_ne_u64_e32 vcc_lo, 0, v[2:3]
	s_cbranch_vccnz .LBB111_287
; %bb.284:                              ;   in Loop: Header=BB111_37 Depth=1
	s_and_saveexec_b32 s4, s2
	s_cbranch_execz .LBB111_286
; %bb.285:                              ;   in Loop: Header=BB111_37 Depth=1
	v_dual_mov_b32 v2, s6 :: v_dual_mov_b32 v3, s7
	ds_store_b64 v11, v[2:3] offset:5128
.LBB111_286:                            ;   in Loop: Header=BB111_37 Depth=1
	s_or_b32 exec_lo, exec_lo, s4
	s_waitcnt lgkmcnt(0)
	s_barrier
	buffer_gl0_inv
.LBB111_287:                            ;   in Loop: Header=BB111_37 Depth=1
	s_or_b32 s17, s96, s16
	s_or_b32 s16, s97, s16
	s_mov_b32 s4, 0
	s_mov_b32 s52, 8
	s_branch .LBB111_289
.LBB111_288:                            ;   in Loop: Header=BB111_37 Depth=1
	s_mov_b32 s4, -1
                                        ; implicit-def: $sgpr52
                                        ; implicit-def: $sgpr17
                                        ; implicit-def: $sgpr16
.LBB111_289:                            ;   in Loop: Header=BB111_37 Depth=1
	s_delay_alu instid0(SALU_CYCLE_1)
	s_and_not1_b32 vcc_lo, exec_lo, s4
	s_cbranch_vccnz .LBB111_291
; %bb.290:                              ;   in Loop: Header=BB111_37 Depth=1
	s_sub_u32 s46, s46, s6
	s_subb_u32 s47, s47, s7
	s_mov_b32 s52, 8
	s_mov_b32 s17, s96
	;; [unrolled: 1-line block ×3, first 2 shown]
.LBB111_291:                            ;   in Loop: Header=BB111_37 Depth=1
	s_mov_b64 s[4:5], s[46:47]
	s_mov_b32 s96, s17
	s_mov_b32 s97, s16
.LBB111_292:                            ;   in Loop: Header=BB111_37 Depth=1
	s_mov_b32 s64, exec_lo
.LBB111_293:                            ;   in Loop: Header=BB111_37 Depth=1
	s_or_b32 exec_lo, exec_lo, s54
	s_mov_b64 s[46:47], s[4:5]
.LBB111_294:                            ;   in Loop: Header=BB111_37 Depth=1
	s_and_not1_b32 s4, s10, exec_lo
	s_and_b32 s5, s8, exec_lo
	s_and_not1_b32 s6, s11, exec_lo
	s_or_b32 s10, s4, s5
	s_and_not1_b32 s4, s21, exec_lo
	s_and_b32 s5, s18, exec_lo
	s_and_b32 s7, s9, exec_lo
	s_or_b32 s21, s4, s5
	s_or_b32 s11, s6, s7
	s_and_b32 s5, s64, exec_lo
.LBB111_295:                            ;   in Loop: Header=BB111_37 Depth=1
	s_or_b32 exec_lo, exec_lo, s22
.LBB111_296:                            ;   in Loop: Header=BB111_37 Depth=1
	s_delay_alu instid0(SALU_CYCLE_1)
	s_and_not1_b32 s4, s13, exec_lo
	s_and_b32 s6, s10, exec_lo
	s_and_not1_b32 s7, s12, exec_lo
	s_or_b32 s13, s4, s6
	s_and_not1_b32 s4, s19, exec_lo
	s_and_b32 s6, s21, exec_lo
	s_and_b32 s8, s11, exec_lo
	s_or_b32 s19, s4, s6
	s_or_b32 s12, s7, s8
	s_and_b32 s5, s5, exec_lo
.LBB111_297:                            ;   in Loop: Header=BB111_37 Depth=1
	s_or_b32 exec_lo, exec_lo, s20
	s_and_saveexec_b32 s4, s5
	s_delay_alu instid0(SALU_CYCLE_1)
	s_xor_b32 s4, exec_lo, s4
	s_cbranch_execz .LBB111_35
.LBB111_298:                            ;   in Loop: Header=BB111_37 Depth=1
	s_and_b32 s5, s52, -9
	s_delay_alu instid0(SALU_CYCLE_1)
	s_cmp_eq_u32 s5, 0
	s_cbranch_scc1 .LBB111_33
; %bb.299:                              ;   in Loop: Header=BB111_37 Depth=1
	s_mov_b32 s5, -1
	s_mov_b32 s6, -1
                                        ; implicit-def: $sgpr97
                                        ; implicit-def: $sgpr46_sgpr47
                                        ; implicit-def: $sgpr91
                                        ; implicit-def: $sgpr94
	s_branch .LBB111_34
.LBB111_300:                            ;   in Loop: Header=BB111_37 Depth=1
                                        ; implicit-def: $vgpr2_vgpr3
	s_branch .LBB111_252
.LBB111_301:                            ;   in Loop: Header=BB111_37 Depth=1
                                        ; implicit-def: $vgpr2_vgpr3
	s_branch .LBB111_269
.LBB111_302:
	s_or_b32 exec_lo, exec_lo, s87
	s_xor_b32 s4, s90, -1
	s_xor_b32 s1, s88, -1
	;; [unrolled: 1-line block ×3, first 2 shown]
	s_mov_b32 s2, 0
	s_and_saveexec_b32 s5, s1
	s_delay_alu instid0(SALU_CYCLE_1)
	s_xor_b32 s1, exec_lo, s5
	s_cbranch_execz .LBB111_316
; %bb.303:
	s_and_saveexec_b32 s2, s4
	s_delay_alu instid0(SALU_CYCLE_1)
	s_xor_b32 s2, exec_lo, s2
	s_cbranch_execz .LBB111_314
; %bb.304:
	s_and_saveexec_b32 s4, s3
	s_delay_alu instid0(SALU_CYCLE_1)
	s_xor_b32 s3, exec_lo, s4
; %bb.305:
	v_xor_b32_e32 v45, 0xffff8000, v2
; %bb.306:
	s_or_b32 exec_lo, exec_lo, s3
	s_mul_i32 s3, s36, s35
	s_mul_hi_u32 s4, s36, s34
	s_mul_i32 s5, s37, s34
	s_add_i32 s3, s4, s3
	s_mul_i32 s4, s36, s34
	s_add_i32 s5, s3, s5
	v_mov_b32_e32 v2, 0
	s_lshl_b64 s[4:5], s[4:5], 1
	s_delay_alu instid0(SALU_CYCLE_1) | instskip(SKIP_2) | instid1(SALU_CYCLE_1)
	s_add_u32 s3, s44, s4
	s_addc_u32 s6, s45, s5
	s_lshl_b64 s[4:5], s[26:27], 1
	s_add_u32 s4, s3, s4
	s_addc_u32 s5, s6, s5
	global_store_b16 v2, v45, s[4:5]
	s_and_saveexec_b32 s3, s0
	s_cbranch_execz .LBB111_313
; %bb.307:
	s_mov_b32 s4, 0
                                        ; implicit-def: $sgpr5
                                        ; implicit-def: $sgpr7
                                        ; implicit-def: $sgpr6
	s_set_inst_prefetch_distance 0x1
	s_branch .LBB111_309
	.p2align	6
.LBB111_308:                            ;   in Loop: Header=BB111_309 Depth=1
	s_or_b32 exec_lo, exec_lo, s8
	s_delay_alu instid0(SALU_CYCLE_1) | instskip(NEXT) | instid1(SALU_CYCLE_1)
	s_and_b32 s0, exec_lo, s7
	s_or_b32 s4, s0, s4
	s_and_not1_b32 s0, s5, exec_lo
	s_and_b32 s5, s6, exec_lo
	s_delay_alu instid0(SALU_CYCLE_1)
	s_or_b32 s5, s0, s5
	s_and_not1_b32 exec_lo, exec_lo, s4
	s_cbranch_execz .LBB111_311
.LBB111_309:                            ; =>This Inner Loop Header: Depth=1
	global_load_u16 v4, v[12:13], off
	v_dual_mov_b32 v3, v1 :: v_dual_mov_b32 v2, v0
	s_or_b32 s6, s6, exec_lo
	s_or_b32 s7, s7, exec_lo
	s_mov_b32 s8, exec_lo
                                        ; implicit-def: $vgpr0_vgpr1
	s_waitcnt vmcnt(0)
	v_cmpx_ne_u16_e64 v4, v45
	s_cbranch_execz .LBB111_308
; %bb.310:                              ;   in Loop: Header=BB111_309 Depth=1
	v_add_co_u32 v0, vcc_lo, v2, s33
	v_add_co_ci_u32_e32 v1, vcc_lo, 0, v3, vcc_lo
	v_add_co_u32 v12, s0, v12, s50
	s_delay_alu instid0(VALU_DEP_1) | instskip(NEXT) | instid1(VALU_DEP_3)
	v_add_co_ci_u32_e64 v13, s0, s51, v13, s0
	v_cmp_le_u64_e32 vcc_lo, s[24:25], v[0:1]
	s_and_not1_b32 s0, s7, exec_lo
	s_and_not1_b32 s6, s6, exec_lo
	s_and_b32 s7, vcc_lo, exec_lo
	s_delay_alu instid0(SALU_CYCLE_1)
	s_or_b32 s7, s0, s7
	s_branch .LBB111_308
.LBB111_311:
	s_set_inst_prefetch_distance 0x2
	s_or_b32 exec_lo, exec_lo, s4
	s_and_saveexec_b32 s0, s5
	s_delay_alu instid0(SALU_CYCLE_1)
	s_xor_b32 s0, exec_lo, s0
	s_cbranch_execz .LBB111_313
; %bb.312:
	s_mul_i32 s0, s40, s39
	s_mul_hi_u32 s4, s40, s38
	s_mul_i32 s5, s41, s38
	s_add_i32 s0, s4, s0
	s_mul_i32 s4, s40, s38
	s_add_i32 s5, s0, s5
	v_mov_b32_e32 v0, 0
	s_lshl_b64 s[4:5], s[4:5], 3
	s_delay_alu instid0(SALU_CYCLE_1) | instskip(SKIP_2) | instid1(SALU_CYCLE_1)
	s_add_u32 s0, s42, s4
	s_addc_u32 s6, s43, s5
	s_lshl_b64 s[4:5], s[30:31], 3
	s_add_u32 s4, s0, s4
	s_addc_u32 s5, s6, s5
	global_store_b64 v0, v[2:3], s[4:5]
.LBB111_313:
	s_or_b32 exec_lo, exec_lo, s3
.LBB111_314:
	s_or_saveexec_b32 s0, s2
	s_mov_b32 s2, 0
	s_xor_b32 exec_lo, exec_lo, s0
	s_cbranch_execnz .LBB111_322
.LBB111_315:
	s_or_b32 exec_lo, exec_lo, s0
	s_delay_alu instid0(SALU_CYCLE_1)
	s_and_b32 s2, s2, exec_lo
.LBB111_316:
	s_and_not1_saveexec_b32 s0, s1
	s_cbranch_execnz .LBB111_320
; %bb.317:
	s_or_b32 exec_lo, exec_lo, s0
	s_and_saveexec_b32 s0, s2
.LBB111_318:
	; divergent unreachable
.LBB111_319:
	s_nop 0
	s_sendmsg sendmsg(MSG_DEALLOC_VGPRS)
	s_endpgm
.LBB111_320:
	s_cbranch_execnz .LBB111_324
; %bb.321:
	s_or_b32 s2, s2, exec_lo
	s_or_b32 exec_lo, exec_lo, s0
	s_and_saveexec_b32 s0, s2
	s_cbranch_execnz .LBB111_318
	s_branch .LBB111_319
.LBB111_322:
	s_cbranch_execnz .LBB111_326
; %bb.323:
	s_mov_b32 s2, exec_lo
	s_branch .LBB111_315
.LBB111_324:
	s_trap 2
	s_sendmsg_rtn_b32 s0, sendmsg(MSG_RTN_GET_DOORBELL)
	s_mov_b32 ttmp2, m0
	s_waitcnt lgkmcnt(0)
	s_and_b32 s0, s0, 0x3ff
	s_delay_alu instid0(SALU_CYCLE_1) | instskip(NEXT) | instid1(SALU_CYCLE_1)
	s_bitset1_b32 s0, 10
	s_mov_b32 m0, s0
	s_sendmsg sendmsg(MSG_INTERRUPT)
	s_mov_b32 m0, ttmp2
.LBB111_325:                            ; =>This Inner Loop Header: Depth=1
	s_sethalt 5
	s_branch .LBB111_325
.LBB111_326:
	s_trap 2
	s_sendmsg_rtn_b32 s0, sendmsg(MSG_RTN_GET_DOORBELL)
	s_mov_b32 ttmp2, m0
	s_waitcnt lgkmcnt(0)
	s_and_b32 s0, s0, 0x3ff
	s_delay_alu instid0(SALU_CYCLE_1) | instskip(NEXT) | instid1(SALU_CYCLE_1)
	s_bitset1_b32 s0, 10
	s_mov_b32 m0, s0
	s_sendmsg sendmsg(MSG_INTERRUPT)
	s_mov_b32 m0, ttmp2
.LBB111_327:                            ; =>This Inner Loop Header: Depth=1
	s_sethalt 5
	s_branch .LBB111_327
	.section	.rodata,"a",@progbits
	.p2align	6, 0x0
	.amdhsa_kernel _ZN2at6native12_GLOBAL__N_112gatherMedianIsmLin1EEEvNS_4cuda6detail10TensorInfoIT_T0_EENS5_IlS7_EENS5_IKS6_S7_EES7_S7_S7_b
		.amdhsa_group_segment_fixed_size 5152
		.amdhsa_private_segment_fixed_size 0
		.amdhsa_kernarg_size 1536
		.amdhsa_user_sgpr_count 13
		.amdhsa_user_sgpr_dispatch_ptr 0
		.amdhsa_user_sgpr_queue_ptr 0
		.amdhsa_user_sgpr_kernarg_segment_ptr 1
		.amdhsa_user_sgpr_dispatch_id 0
		.amdhsa_user_sgpr_private_segment_size 0
		.amdhsa_wavefront_size32 1
		.amdhsa_uses_dynamic_stack 0
		.amdhsa_enable_private_segment 0
		.amdhsa_system_sgpr_workgroup_id_x 1
		.amdhsa_system_sgpr_workgroup_id_y 1
		.amdhsa_system_sgpr_workgroup_id_z 1
		.amdhsa_system_sgpr_workgroup_info 0
		.amdhsa_system_vgpr_workitem_id 0
		.amdhsa_next_free_vgpr 46
		.amdhsa_next_free_sgpr 102
		.amdhsa_reserve_vcc 1
		.amdhsa_float_round_mode_32 0
		.amdhsa_float_round_mode_16_64 0
		.amdhsa_float_denorm_mode_32 3
		.amdhsa_float_denorm_mode_16_64 3
		.amdhsa_dx10_clamp 1
		.amdhsa_ieee_mode 1
		.amdhsa_fp16_overflow 0
		.amdhsa_workgroup_processor_mode 1
		.amdhsa_memory_ordered 1
		.amdhsa_forward_progress 0
		.amdhsa_shared_vgpr_count 0
		.amdhsa_exception_fp_ieee_invalid_op 0
		.amdhsa_exception_fp_denorm_src 0
		.amdhsa_exception_fp_ieee_div_zero 0
		.amdhsa_exception_fp_ieee_overflow 0
		.amdhsa_exception_fp_ieee_underflow 0
		.amdhsa_exception_fp_ieee_inexact 0
		.amdhsa_exception_int_div_zero 0
	.end_amdhsa_kernel
	.section	.text._ZN2at6native12_GLOBAL__N_112gatherMedianIsmLin1EEEvNS_4cuda6detail10TensorInfoIT_T0_EENS5_IlS7_EENS5_IKS6_S7_EES7_S7_S7_b,"axG",@progbits,_ZN2at6native12_GLOBAL__N_112gatherMedianIsmLin1EEEvNS_4cuda6detail10TensorInfoIT_T0_EENS5_IlS7_EENS5_IKS6_S7_EES7_S7_S7_b,comdat
.Lfunc_end111:
	.size	_ZN2at6native12_GLOBAL__N_112gatherMedianIsmLin1EEEvNS_4cuda6detail10TensorInfoIT_T0_EENS5_IlS7_EENS5_IKS6_S7_EES7_S7_S7_b, .Lfunc_end111-_ZN2at6native12_GLOBAL__N_112gatherMedianIsmLin1EEEvNS_4cuda6detail10TensorInfoIT_T0_EENS5_IlS7_EENS5_IKS6_S7_EES7_S7_S7_b
                                        ; -- End function
	.section	.AMDGPU.csdata,"",@progbits
; Kernel info:
; codeLenInByte = 19384
; NumSgprs: 104
; NumVgprs: 46
; ScratchSize: 0
; MemoryBound: 0
; FloatMode: 240
; IeeeMode: 1
; LDSByteSize: 5152 bytes/workgroup (compile time only)
; SGPRBlocks: 12
; VGPRBlocks: 5
; NumSGPRsForWavesPerEU: 104
; NumVGPRsForWavesPerEU: 46
; Occupancy: 16
; WaveLimiterHint : 1
; COMPUTE_PGM_RSRC2:SCRATCH_EN: 0
; COMPUTE_PGM_RSRC2:USER_SGPR: 13
; COMPUTE_PGM_RSRC2:TRAP_HANDLER: 0
; COMPUTE_PGM_RSRC2:TGID_X_EN: 1
; COMPUTE_PGM_RSRC2:TGID_Y_EN: 1
; COMPUTE_PGM_RSRC2:TGID_Z_EN: 1
; COMPUTE_PGM_RSRC2:TIDIG_COMP_CNT: 0
	.section	.text._ZN2at6native12_GLOBAL__N_112gatherMedianIdjLi1EEEvNS_4cuda6detail10TensorInfoIT_T0_EENS5_IlS7_EENS5_IKS6_S7_EES7_S7_S7_b,"axG",@progbits,_ZN2at6native12_GLOBAL__N_112gatherMedianIdjLi1EEEvNS_4cuda6detail10TensorInfoIT_T0_EENS5_IlS7_EENS5_IKS6_S7_EES7_S7_S7_b,comdat
	.globl	_ZN2at6native12_GLOBAL__N_112gatherMedianIdjLi1EEEvNS_4cuda6detail10TensorInfoIT_T0_EENS5_IlS7_EENS5_IKS6_S7_EES7_S7_S7_b ; -- Begin function _ZN2at6native12_GLOBAL__N_112gatherMedianIdjLi1EEEvNS_4cuda6detail10TensorInfoIT_T0_EENS5_IlS7_EENS5_IKS6_S7_EES7_S7_S7_b
	.p2align	8
	.type	_ZN2at6native12_GLOBAL__N_112gatherMedianIdjLi1EEEvNS_4cuda6detail10TensorInfoIT_T0_EENS5_IlS7_EENS5_IKS6_S7_EES7_S7_S7_b,@function
_ZN2at6native12_GLOBAL__N_112gatherMedianIdjLi1EEEvNS_4cuda6detail10TensorInfoIT_T0_EENS5_IlS7_EENS5_IKS6_S7_EES7_S7_S7_b: ; @_ZN2at6native12_GLOBAL__N_112gatherMedianIdjLi1EEEvNS_4cuda6detail10TensorInfoIT_T0_EENS5_IlS7_EENS5_IKS6_S7_EES7_S7_S7_b
; %bb.0:
	s_clause 0x1
	s_load_b64 s[6:7], s[0:1], 0x298
	s_load_b128 s[28:31], s[0:1], 0x288
	s_add_u32 s4, s0, 0x298
	s_addc_u32 s5, s1, 0
	s_waitcnt lgkmcnt(0)
	s_mul_i32 s2, s7, s15
	s_delay_alu instid0(SALU_CYCLE_1) | instskip(NEXT) | instid1(SALU_CYCLE_1)
	s_add_i32 s2, s2, s14
	s_mul_i32 s27, s2, s6
	s_delay_alu instid0(SALU_CYCLE_1) | instskip(NEXT) | instid1(SALU_CYCLE_1)
	s_add_i32 s27, s27, s13
	s_cmp_ge_u32 s27, s29
	s_cbranch_scc1 .LBB112_271
; %bb.1:
	s_clause 0x3
	s_load_b32 s2, s[0:1], 0x21c
	s_load_b64 s[10:11], s[0:1], 0x1b0
	s_load_b64 s[34:35], s[0:1], 0xd8
	;; [unrolled: 1-line block ×3, first 2 shown]
	v_mul_lo_u32 v11, v0, s30
	s_mov_b32 s9, 0
	v_mov_b32_e32 v3, 0
	s_waitcnt lgkmcnt(0)
	s_mul_i32 s8, s2, s27
	v_cmp_gt_u32_e64 s2, s28, v0
	s_lshl_b64 s[14:15], s[8:9], 3
	s_delay_alu instid0(SALU_CYCLE_1) | instskip(SKIP_1) | instid1(VALU_DEP_1)
	s_add_u32 s29, s10, s14
	s_addc_u32 s33, s11, s15
	s_and_saveexec_b32 s7, s2
	s_cbranch_execz .LBB112_5
; %bb.2:
	s_load_b32 s3, s[4:5], 0xc
	v_mul_lo_u32 v1, v0, s30
	v_dual_mov_b32 v3, 0 :: v_dual_mov_b32 v2, 0
	v_mov_b32_e32 v4, v0
	s_waitcnt lgkmcnt(0)
	s_and_b32 s8, s3, 0xffff
	s_delay_alu instid0(SALU_CYCLE_1)
	s_mul_i32 s10, s30, s8
	.p2align	6
.LBB112_3:                              ; =>This Inner Loop Header: Depth=1
	s_delay_alu instid0(VALU_DEP_3) | instskip(SKIP_2) | instid1(VALU_DEP_3)
	v_lshlrev_b64 v[5:6], 3, v[1:2]
	v_add_nc_u32_e32 v4, s8, v4
	v_add_nc_u32_e32 v1, s10, v1
	v_add_co_u32 v5, vcc_lo, s29, v5
	s_delay_alu instid0(VALU_DEP_4) | instskip(NEXT) | instid1(VALU_DEP_4)
	v_add_co_ci_u32_e32 v6, vcc_lo, s33, v6, vcc_lo
	v_cmp_le_u32_e32 vcc_lo, s28, v4
	global_load_b64 v[5:6], v[5:6], off
	s_or_b32 s9, vcc_lo, s9
	s_waitcnt vmcnt(0)
	v_cmp_u_f64_e64 s3, v[5:6], v[5:6]
	s_delay_alu instid0(VALU_DEP_1)
	v_add_co_ci_u32_e64 v3, s3, 0, v3, s3
	s_and_not1_b32 exec_lo, exec_lo, s9
	s_cbranch_execnz .LBB112_3
; %bb.4:
	s_or_b32 exec_lo, exec_lo, s9
.LBB112_5:
	s_delay_alu instid0(SALU_CYCLE_1) | instskip(SKIP_4) | instid1(VALU_DEP_1)
	s_or_b32 exec_lo, exec_lo, s7
	s_clause 0x1
	s_load_b32 s44, s[0:1], 0x144
	s_load_b32 s45, s[0:1], 0x6c
	v_cmp_eq_u32_e64 s0, 0, v0
	s_and_saveexec_b32 s1, s0
	s_cbranch_execz .LBB112_7
; %bb.6:
	v_mov_b32_e32 v1, 0
	s_delay_alu instid0(VALU_DEP_1)
	v_mov_b32_e32 v2, v1
	ds_store_b64 v1, v[1:2] offset:4096
.LBB112_7:
	s_or_b32 exec_lo, exec_lo, s1
	s_delay_alu instid0(SALU_CYCLE_1)
	s_mov_b32 s1, exec_lo
	s_waitcnt lgkmcnt(0)
	s_barrier
	buffer_gl0_inv
	v_cmpx_ne_u32_e32 0, v3
	s_cbranch_execz .LBB112_12
; %bb.8:
	v_mov_b32_e32 v1, 0
	s_mov_b32 s3, exec_lo
	s_mov_b64 s[8:9], 0
.LBB112_9:                              ; =>This Inner Loop Header: Depth=1
	s_ctz_i32_b32 s7, s3
	s_delay_alu instid0(SALU_CYCLE_1) | instskip(SKIP_1) | instid1(VALU_DEP_2)
	v_readlane_b32 s10, v3, s7
	v_readlane_b32 s11, v1, s7
	s_add_u32 s8, s8, s10
	s_delay_alu instid0(VALU_DEP_1) | instskip(SKIP_1) | instid1(SALU_CYCLE_1)
	s_addc_u32 s9, s9, s11
	s_lshl_b32 s7, 1, s7
	s_and_not1_b32 s3, s3, s7
	s_delay_alu instid0(SALU_CYCLE_1)
	s_cmp_lg_u32 s3, 0
	s_cbranch_scc1 .LBB112_9
; %bb.10:
	v_mbcnt_lo_u32_b32 v1, exec_lo, 0
	s_mov_b32 s3, exec_lo
	s_delay_alu instid0(VALU_DEP_1)
	v_cmpx_eq_u32_e32 0, v1
	s_xor_b32 s3, exec_lo, s3
	s_cbranch_execz .LBB112_12
; %bb.11:
	v_mov_b32_e32 v1, s8
	v_dual_mov_b32 v3, 0 :: v_dual_mov_b32 v2, s9
	ds_add_u64 v3, v[1:2] offset:4096
.LBB112_12:
	s_or_b32 exec_lo, exec_lo, s1
	v_mov_b32_e32 v1, 0
	s_waitcnt lgkmcnt(0)
	s_barrier
	buffer_gl0_inv
	s_bitcmp1_b32 s31, 0
	ds_load_b64 v[1:2], v1 offset:4096
	s_cselect_b32 s1, -1, 0
	s_mov_b32 s72, s28
	s_waitcnt lgkmcnt(0)
	v_cmp_gt_i64_e32 vcc_lo, 1, v[1:2]
	s_or_b32 s1, s1, vcc_lo
	s_delay_alu instid0(SALU_CYCLE_1)
	s_and_not1_b32 vcc_lo, exec_lo, s1
	s_cbranch_vccnz .LBB112_14
; %bb.13:
	v_not_b32_e32 v1, v1
	v_not_b32_e32 v2, v2
	s_delay_alu instid0(VALU_DEP_2) | instskip(NEXT) | instid1(VALU_DEP_2)
	v_add_co_u32 v1, vcc_lo, v1, s28
	v_add_co_ci_u32_e32 v2, vcc_lo, 0, v2, vcc_lo
	s_delay_alu instid0(VALU_DEP_1) | instskip(NEXT) | instid1(VALU_DEP_1)
	v_lshrrev_b32_e32 v3, 31, v2
	v_add_co_u32 v1, vcc_lo, v1, v3
	v_add_co_ci_u32_e32 v2, vcc_lo, 0, v2, vcc_lo
	s_delay_alu instid0(VALU_DEP_1) | instskip(NEXT) | instid1(VALU_DEP_1)
	v_alignbit_b32 v1, v2, v1, 1
	v_readfirstlane_b32 s1, v1
	s_delay_alu instid0(VALU_DEP_1)
	s_add_i32 s72, s1, 1
.LBB112_14:
	s_and_saveexec_b32 s1, s0
	s_cbranch_execz .LBB112_16
; %bb.15:
	v_dual_mov_b32 v1, 0 :: v_dual_mov_b32 v2, s28
	ds_store_b32 v1, v1 offset:4112
	ds_store_b64 v1, v[1:2] offset:4104
.LBB112_16:
	s_or_b32 exec_lo, exec_lo, s1
	s_waitcnt lgkmcnt(0)
	s_barrier
	buffer_gl0_inv
	s_load_b32 s7, s[4:5], 0xc
	v_mbcnt_lo_u32_b32 v23, -1, 0
	v_cmp_gt_u32_e32 vcc_lo, 32, v0
	v_lshrrev_b32_e32 v1, 3, v0
	v_dual_mov_b32 v13, 0 :: v_dual_lshlrev_b32 v24, 2, v0
	s_delay_alu instid0(VALU_DEP_4) | instskip(SKIP_1) | instid1(VALU_DEP_4)
	v_cmp_gt_i32_e64 s3, 4, v23
	v_lshlrev_b32_e32 v25, 3, v0
	v_and_b32_e32 v27, 0x7c, v1
	s_delay_alu instid0(VALU_DEP_4)
	v_or_b32_e32 v4, 2, v24
	v_mov_b32_e32 v12, v13
	s_and_b32 s49, vcc_lo, s3
	v_or_b32_e32 v5, 3, v24
	v_add_nc_u32_e32 v26, 0xc00, v25
	v_mul_lo_u32 v30, s30, v4
	v_cmp_gt_u32_e64 s1, 2, v0
	v_cmp_eq_u32_e64 s3, 0, v23
	v_mul_lo_u32 v31, s30, v5
	v_lshlrev_b32_e32 v32, 2, v11
	v_lshlrev_b32_e32 v34, 5, v0
	s_waitcnt lgkmcnt(0)
	s_and_b32 s31, s7, 0xffff
	s_bfe_u32 s7, s7, 0xb0005
	s_lshl_b32 s48, s31, 2
	s_add_i32 s50, s31, -1
	v_cvt_f32_u32_e32 v2, s48
	s_add_i32 s8, s50, s28
	s_cmpk_gt_u32 s28, 0x180
	v_cvt_f32_u32_e32 v3, s31
	s_cselect_b32 s51, -1, 0
	v_rcp_iflag_f32_e32 v2, v2
	s_cmp_gt_u32 s31, 31
	v_mad_u64_u32 v[14:15], null, s30, v24, s[30:31]
	s_cselect_b32 s52, -1, 0
	s_cmp_lt_u32 s13, s6
	v_rcp_iflag_f32_e32 v3, v3
	s_cselect_b32 s6, 12, 18
	v_lshl_or_b32 v35, v23, 2, 0xc00
	s_add_u32 s38, s4, s6
	s_waitcnt_depctr 0xfff
	v_mul_f32_e32 v2, 0x4f7ffffe, v2
	s_addc_u32 s39, s5, 0
	s_add_i32 s4, s7, -1
	s_bfe_u32 s53, s31, 0x30005
	s_cmp_gt_u32 s4, 6
	v_cvt_u32_f32_e32 v2, v2
	s_cselect_b32 s54, -1, 0
	s_and_b32 s55, s7, 0x7f8
	s_cmp_lg_u32 s53, 0
	s_mul_i32 s47, s30, s31
	v_readfirstlane_b32 s4, v2
	s_cselect_b32 s56, -1, 0
	s_sub_i32 s5, 0, s48
	v_lshlrev_b64 v[1:2], v23, -1
	v_mul_f32_e32 v2, 0x4f7ffffe, v3
	s_mul_i32 s5, s5, s4
	s_mov_b32 s46, 0
	s_mul_hi_u32 s5, s4, s5
	s_mov_b64 s[40:41], 0
	s_add_i32 s57, s4, s5
	v_cvt_u32_f32_e32 v6, v2
	s_mul_hi_u32 s4, s28, s57
	v_lshlrev_b64 v[2:3], 3, v[11:12]
	s_mul_i32 s4, s4, s48
	v_not_b32_e32 v28, v1
	s_sub_i32 s4, s28, s4
	v_add3_u32 v1, s31, s28, v0
	s_sub_i32 s5, s4, s48
	s_cmp_ge_u32 s4, s48
	v_add_co_u32 v15, vcc_lo, s29, v2
	s_cselect_b32 s4, s5, s4
	v_readfirstlane_b32 s5, v6
	s_sub_i32 s6, s4, s48
	s_cmp_ge_u32 s4, s48
	v_add_co_ci_u32_e32 v16, vcc_lo, s33, v3, vcc_lo
	s_cselect_b32 s4, s6, s4
	s_sub_i32 s6, 0, s31
	s_sub_i32 s58, s28, s4
	s_mul_i32 s6, s6, s5
	v_add_nc_u32_e32 v29, s58, v0
	s_mul_hi_u32 s6, s5, s6
	v_subrev_nc_u32_e32 v3, s4, v1
	s_add_i32 s59, s5, s6
	v_mov_b32_e32 v5, 0
	s_mul_hi_u32 s5, s8, s59
	v_mul_lo_u32 v12, v29, s30
	s_mul_i32 s5, s5, s31
	v_mul_lo_u32 v33, s30, v3
	s_sub_i32 s5, s8, s5
	v_cmp_gt_u32_e64 s4, s58, v24
	s_sub_i32 s6, s5, s31
	s_cmp_ge_u32 s5, s31
	v_mov_b32_e32 v6, 0
	s_cselect_b32 s6, s6, s5
	v_lshlrev_b64 v[1:2], 3, v[12:13]
	s_sub_i32 s7, s6, s31
	s_cmp_ge_u32 s6, s31
	v_cmp_gt_u32_e64 s5, s28, v29
	s_cselect_b32 s6, s7, s6
	s_lshl_b32 s60, s47, 2
	s_sub_i32 s61, s8, s6
	v_add_co_u32 v17, vcc_lo, s29, v1
	v_add_co_ci_u32_e32 v18, vcc_lo, s33, v2, vcc_lo
	v_cmp_gt_u32_e64 s6, s61, v0
	v_mov_b32_e32 v2, 0x3ff00000
	s_lshl_b32 s62, s31, 5
	s_lshl_b32 s63, s31, 3
	s_mov_b32 s67, 62
	s_mov_b32 s70, 0
	s_mov_b64 s[42:43], 0
                                        ; implicit-def: $sgpr64
                                        ; implicit-def: $sgpr66
                                        ; implicit-def: $sgpr65
                                        ; implicit-def: $sgpr69
                                        ; implicit-def: $sgpr71
                                        ; implicit-def: $sgpr68
	s_branch .LBB112_21
.LBB112_17:                             ;   in Loop: Header=BB112_21 Depth=1
	s_xor_b32 s70, s70, 1
	s_add_i32 s10, s67, -2
	s_cmp_eq_u32 s67, 0
	s_mov_b32 s7, 0
	s_cselect_b32 s9, -1, 0
	s_mov_b32 s67, s10
.LBB112_18:                             ;   in Loop: Header=BB112_21 Depth=1
	s_and_not1_b32 s10, s21, exec_lo
	s_and_b32 s7, s7, exec_lo
	s_and_not1_b32 s23, s23, exec_lo
	s_or_b32 s21, s10, s7
	s_and_not1_b32 s20, s20, exec_lo
	s_or_not1_b32 s18, s9, exec_lo
	s_mov_b32 s72, s26
.LBB112_19:                             ;   in Loop: Header=BB112_21 Depth=1
	s_or_b32 exec_lo, exec_lo, s8
	s_delay_alu instid0(SALU_CYCLE_1)
	s_and_not1_b32 s7, s68, exec_lo
	s_and_b32 s8, s21, exec_lo
	s_and_not1_b32 s9, s69, exec_lo
	s_or_b32 s68, s7, s8
	s_and_not1_b32 s7, s71, exec_lo
	s_and_b32 s8, s23, exec_lo
	s_and_b32 s10, s20, exec_lo
	s_or_b32 s71, s7, s8
	s_or_b32 s69, s9, s10
	s_or_not1_b32 s12, s18, exec_lo
.LBB112_20:                             ;   in Loop: Header=BB112_21 Depth=1
	s_or_b32 exec_lo, exec_lo, s17
	s_delay_alu instid0(SALU_CYCLE_1)
	s_and_b32 s7, exec_lo, s12
	v_dual_mov_b32 v3, s40 :: v_dual_mov_b32 v4, s41
	s_or_b32 s46, s7, s46
	s_and_not1_b32 s7, s65, exec_lo
	s_and_b32 s8, s68, exec_lo
	s_and_not1_b32 s9, s64, exec_lo
	s_or_b32 s65, s7, s8
	s_and_not1_b32 s7, s66, exec_lo
	s_and_b32 s8, s71, exec_lo
	s_and_b32 s10, s69, exec_lo
	s_or_b32 s66, s7, s8
	s_or_b32 s64, s9, s10
	s_and_not1_b32 exec_lo, exec_lo, s46
	s_cbranch_execz .LBB112_254
.LBB112_21:                             ; =>This Loop Header: Depth=1
                                        ;     Child Loop BB112_29 Depth 2
                                        ;     Child Loop BB112_44 Depth 2
	;; [unrolled: 1-line block ×16, first 2 shown]
	ds_load_b64 v[3:4], v13 offset:4104
	s_waitcnt lgkmcnt(0)
	v_readfirstlane_b32 s73, v3
	s_delay_alu instid0(VALU_DEP_1)
	s_cmp_lg_u32 s73, 0
	s_cbranch_scc1 .LBB112_51
; %bb.22:                               ;   in Loop: Header=BB112_21 Depth=1
	s_and_b32 vcc_lo, exec_lo, s51
	s_cbranch_vccz .LBB112_37
; %bb.23:                               ;   in Loop: Header=BB112_21 Depth=1
	v_cmp_gt_u32_e32 vcc_lo, 0x181, v4
	s_mov_b32 s73, 0
	s_mov_b32 s7, 0
	s_cbranch_vccz .LBB112_38
; %bb.24:                               ;   in Loop: Header=BB112_21 Depth=1
	v_mov_b32_e32 v3, 0
	v_mov_b32_e32 v4, 0
	s_and_saveexec_b32 s7, s2
	s_cbranch_execz .LBB112_26
; %bb.25:                               ;   in Loop: Header=BB112_21 Depth=1
	global_load_b64 v[3:4], v[15:16], off
.LBB112_26:                             ;   in Loop: Header=BB112_21 Depth=1
	s_or_b32 exec_lo, exec_lo, s7
	s_and_saveexec_b32 s9, s2
	s_cbranch_execz .LBB112_139
; %bb.27:                               ;   in Loop: Header=BB112_21 Depth=1
	global_load_u16 v1, v13, s[38:39]
	v_mov_b32_e32 v10, v0
	s_mov_b32 s10, 0
	s_waitcnt vmcnt(0)
	v_add_nc_u32_e32 v7, v0, v1
	v_mul_lo_u32 v9, s30, v1
	s_delay_alu instid0(VALU_DEP_2)
	v_mul_lo_u32 v12, s30, v7
	s_branch .LBB112_29
.LBB112_28:                             ;   in Loop: Header=BB112_29 Depth=2
	s_or_b32 exec_lo, exec_lo, s8
	s_waitcnt vmcnt(0)
	v_dual_mov_b32 v3, v7 :: v_dual_add_nc_u32 v12, v12, v9
	v_mov_b32_e32 v4, v8
	s_and_not1_b32 exec_lo, exec_lo, s10
	s_cbranch_execz .LBB112_139
.LBB112_29:                             ;   Parent Loop BB112_21 Depth=1
                                        ; =>  This Inner Loop Header: Depth=2
	v_dual_mov_b32 v7, 0 :: v_dual_add_nc_u32 v10, v10, v1
	v_mov_b32_e32 v8, 0
	s_mov_b32 s8, exec_lo
	s_delay_alu instid0(VALU_DEP_2)
	v_cmp_le_u32_e32 vcc_lo, s28, v10
	v_cmpx_gt_u32_e64 s28, v10
	s_cbranch_execz .LBB112_31
; %bb.30:                               ;   in Loop: Header=BB112_29 Depth=2
	v_lshlrev_b64 v[7:8], 3, v[12:13]
	s_delay_alu instid0(VALU_DEP_1) | instskip(NEXT) | instid1(VALU_DEP_1)
	v_add_co_u32 v7, s7, s29, v7
	v_add_co_ci_u32_e64 v8, s7, s33, v8, s7
	global_load_b64 v[7:8], v[7:8], off
.LBB112_31:                             ;   in Loop: Header=BB112_29 Depth=2
	s_or_b32 exec_lo, exec_lo, s8
	v_cmp_o_f64_e64 s7, v[3:4], v[3:4]
	s_waitcnt lgkmcnt(0)
	v_ashrrev_i32_e32 v19, 31, v4
	s_delay_alu instid0(VALU_DEP_1) | instskip(SKIP_1) | instid1(VALU_DEP_2)
	v_or_b32_e32 v20, 0x80000000, v19
	v_xor_b32_e32 v19, v19, v3
	v_xor_b32_e32 v20, v20, v4
	s_delay_alu instid0(VALU_DEP_1) | instskip(NEXT) | instid1(VALU_DEP_3)
	v_cndmask_b32_e64 v20, -1, v20, s7
	v_cndmask_b32_e64 v19, -1, v19, s7
	s_delay_alu instid0(VALU_DEP_2) | instskip(NEXT) | instid1(VALU_DEP_2)
	v_and_b32_e32 v20, s43, v20
	v_and_b32_e32 v19, s42, v19
	s_delay_alu instid0(VALU_DEP_1) | instskip(SKIP_1) | instid1(VALU_DEP_2)
	v_cmp_eq_u64_e64 s7, s[40:41], v[19:20]
	v_mov_b32_e32 v19, 0
	s_cmp_lg_u32 s7, 0
	s_cselect_b32 s8, -1, 0
	s_delay_alu instid0(SALU_CYCLE_1) | instskip(NEXT) | instid1(SALU_CYCLE_1)
	s_and_b32 s8, s3, s8
	s_and_saveexec_b32 s11, s8
	s_cbranch_execz .LBB112_35
; %bb.32:                               ;   in Loop: Header=BB112_29 Depth=2
	s_mov_b32 s14, exec_lo
	s_bcnt1_i32_b32 s12, s7
	v_mbcnt_lo_u32_b32 v19, s14, 0
	s_mov_b32 s13, exec_lo
                                        ; implicit-def: $vgpr20
	s_delay_alu instid0(VALU_DEP_1)
	v_cmpx_eq_u32_e32 0, v19
	s_cbranch_execz .LBB112_34
; %bb.33:                               ;   in Loop: Header=BB112_29 Depth=2
	s_bcnt1_i32_b32 s8, s14
	s_delay_alu instid0(SALU_CYCLE_1) | instskip(NEXT) | instid1(SALU_CYCLE_1)
	s_mul_i32 s8, s12, s8
	v_mov_b32_e32 v20, s8
	ds_add_rtn_u32 v20, v13, v20 offset:4112
.LBB112_34:                             ;   in Loop: Header=BB112_29 Depth=2
	s_or_b32 exec_lo, exec_lo, s13
	s_waitcnt lgkmcnt(0)
	v_readfirstlane_b32 s8, v20
	s_delay_alu instid0(VALU_DEP_1)
	v_mad_u32_u24 v19, s12, v19, s8
.LBB112_35:                             ;   in Loop: Header=BB112_29 Depth=2
	s_or_b32 exec_lo, exec_lo, s11
	ds_bpermute_b32 v19, v13, v19
	s_and_b32 s8, exec_lo, vcc_lo
	s_delay_alu instid0(SALU_CYCLE_1)
	s_or_b32 s10, s8, s10
	s_and_saveexec_b32 s8, s7
	s_cbranch_execz .LBB112_28
; %bb.36:                               ;   in Loop: Header=BB112_29 Depth=2
	v_and_b32_e32 v20, s7, v28
	s_delay_alu instid0(VALU_DEP_1) | instskip(NEXT) | instid1(VALU_DEP_1)
	v_bcnt_u32_b32 v20, v20, 0
	v_lshlrev_b32_e32 v20, 3, v20
	s_waitcnt lgkmcnt(0)
	s_delay_alu instid0(VALU_DEP_1)
	v_lshl_add_u32 v19, v19, 3, v20
	ds_store_b64 v19, v[3:4]
	s_branch .LBB112_28
.LBB112_37:                             ;   in Loop: Header=BB112_21 Depth=1
	s_mov_b32 s73, -1
	s_mov_b32 s7, 0
.LBB112_38:                             ;   in Loop: Header=BB112_21 Depth=1
	s_and_b32 vcc_lo, exec_lo, s73
	s_cbranch_vccz .LBB112_49
.LBB112_39:                             ;   in Loop: Header=BB112_21 Depth=1
	v_mov_b32_e32 v3, 0
	v_mov_b32_e32 v4, 0
	s_and_saveexec_b32 s7, s2
	s_cbranch_execz .LBB112_41
; %bb.40:                               ;   in Loop: Header=BB112_21 Depth=1
	global_load_b64 v[3:4], v[15:16], off
.LBB112_41:                             ;   in Loop: Header=BB112_21 Depth=1
	s_or_b32 exec_lo, exec_lo, s7
	s_and_saveexec_b32 s8, s2
	s_cbranch_execz .LBB112_46
; %bb.42:                               ;   in Loop: Header=BB112_21 Depth=1
	global_load_u16 v1, v13, s[38:39]
	v_mov_b32_e32 v20, v0
	s_mov_b32 s9, 0
	v_mov_b32_e32 v19, v25
	s_waitcnt vmcnt(0)
	v_add_nc_u32_e32 v7, v0, v1
	v_mul_lo_u32 v9, s30, v1
	v_lshlrev_b32_e32 v10, 3, v1
	s_delay_alu instid0(VALU_DEP_3)
	v_mul_lo_u32 v12, s30, v7
	s_set_inst_prefetch_distance 0x1
	s_branch .LBB112_44
	.p2align	6
.LBB112_43:                             ;   in Loop: Header=BB112_44 Depth=2
	s_or_b32 exec_lo, exec_lo, s10
	ds_store_b64 v19, v[3:4]
	s_waitcnt vmcnt(0)
	v_dual_mov_b32 v3, v7 :: v_dual_add_nc_u32 v12, v12, v9
	v_dual_mov_b32 v4, v8 :: v_dual_add_nc_u32 v19, v19, v10
	s_and_b32 s7, exec_lo, vcc_lo
	s_delay_alu instid0(SALU_CYCLE_1) | instskip(NEXT) | instid1(SALU_CYCLE_1)
	s_or_b32 s9, s7, s9
	s_and_not1_b32 exec_lo, exec_lo, s9
	s_cbranch_execz .LBB112_46
.LBB112_44:                             ;   Parent Loop BB112_21 Depth=1
                                        ; =>  This Inner Loop Header: Depth=2
	v_dual_mov_b32 v7, 0 :: v_dual_add_nc_u32 v20, v20, v1
	v_mov_b32_e32 v8, 0
	s_mov_b32 s10, exec_lo
	s_delay_alu instid0(VALU_DEP_2)
	v_cmp_le_u32_e32 vcc_lo, s28, v20
	v_cmpx_gt_u32_e64 s28, v20
	s_cbranch_execz .LBB112_43
; %bb.45:                               ;   in Loop: Header=BB112_44 Depth=2
	v_lshlrev_b64 v[7:8], 3, v[12:13]
	s_delay_alu instid0(VALU_DEP_1) | instskip(NEXT) | instid1(VALU_DEP_1)
	v_add_co_u32 v7, s7, s29, v7
	v_add_co_ci_u32_e64 v8, s7, s33, v8, s7
	global_load_b64 v[7:8], v[7:8], off
	s_branch .LBB112_43
.LBB112_46:                             ;   in Loop: Header=BB112_21 Depth=1
	s_set_inst_prefetch_distance 0x2
	s_or_b32 exec_lo, exec_lo, s8
	s_waitcnt vmcnt(0) lgkmcnt(0)
	s_barrier
	buffer_gl0_inv
	s_and_saveexec_b32 s7, s0
	s_cbranch_execz .LBB112_48
; %bb.47:                               ;   in Loop: Header=BB112_21 Depth=1
	v_mov_b32_e32 v1, s28
	ds_store_b32 v13, v1 offset:4104
.LBB112_48:                             ;   in Loop: Header=BB112_21 Depth=1
	s_or_b32 exec_lo, exec_lo, s7
	s_mov_b32 s7, -1
	s_waitcnt lgkmcnt(0)
	s_barrier
                                        ; implicit-def: $sgpr73
.LBB112_49:                             ;   in Loop: Header=BB112_21 Depth=1
	s_and_b32 vcc_lo, exec_lo, s7
	s_cbranch_vccz .LBB112_51
; %bb.50:                               ;   in Loop: Header=BB112_21 Depth=1
	buffer_gl0_inv
	ds_load_b32 v1, v13 offset:4104
	s_waitcnt lgkmcnt(0)
	v_readfirstlane_b32 s73, v1
.LBB112_51:                             ;   in Loop: Header=BB112_21 Depth=1
	s_delay_alu instid0(VALU_DEP_1)
	s_cmp_lt_i32 s73, 1
	s_cbranch_scc0 .LBB112_63
; %bb.52:                               ;   in Loop: Header=BB112_21 Depth=1
	v_dual_mov_b32 v7, 0 :: v_dual_mov_b32 v8, 0
	v_dual_mov_b32 v9, 0 :: v_dual_mov_b32 v10, 0
	s_mov_b32 s22, 0
	s_and_saveexec_b32 s21, s4
	s_cbranch_execz .LBB112_56
; %bb.53:                               ;   in Loop: Header=BB112_21 Depth=1
	v_mov_b32_e32 v1, v24
	s_and_b32 s23, s67, 0xfe
	s_mov_b32 s24, 0
	s_mov_b32 s25, 0
	;; [unrolled: 1-line block ×5, first 2 shown]
.LBB112_54:                             ;   Parent Loop BB112_21 Depth=1
                                        ; =>  This Inner Loop Header: Depth=2
	v_dual_mov_b32 v21, v13 :: v_dual_add_nc_u32 v12, s24, v32
	v_dual_mov_b32 v22, v13 :: v_dual_add_nc_u32 v1, s48, v1
	v_mov_b32_e32 v37, v13
	s_delay_alu instid0(VALU_DEP_3) | instskip(SKIP_1) | instid1(VALU_DEP_1)
	v_lshlrev_b64 v[3:4], 3, v[12:13]
	v_add_nc_u32_e32 v12, s24, v14
	v_lshlrev_b64 v[7:8], 3, v[12:13]
	v_add_nc_u32_e32 v12, s24, v30
	s_delay_alu instid0(VALU_DEP_4) | instskip(SKIP_1) | instid1(VALU_DEP_3)
	v_add_co_u32 v3, vcc_lo, s29, v3
	v_add_co_ci_u32_e32 v4, vcc_lo, s33, v4, vcc_lo
	v_lshlrev_b64 v[9:10], 3, v[12:13]
	v_add_nc_u32_e32 v12, s24, v31
	v_add_co_u32 v7, vcc_lo, s29, v7
	global_load_b64 v[3:4], v[3:4], off
	v_add_co_ci_u32_e32 v8, vcc_lo, s33, v8, vcc_lo
	v_lshlrev_b64 v[19:20], 3, v[12:13]
	v_add_co_u32 v9, vcc_lo, s29, v9
	v_add_co_ci_u32_e32 v10, vcc_lo, s33, v10, vcc_lo
	s_clause 0x1
	global_load_b64 v[7:8], v[7:8], off
	global_load_b64 v[9:10], v[9:10], off
	v_add_co_u32 v19, vcc_lo, s29, v19
	v_add_co_ci_u32_e32 v20, vcc_lo, s33, v20, vcc_lo
	v_cmp_le_u32_e32 vcc_lo, s58, v1
	s_add_i32 s24, s24, s60
	global_load_b64 v[19:20], v[19:20], off
	s_waitcnt vmcnt(3)
	v_cmp_o_f64_e64 s7, v[3:4], v[3:4]
	v_ashrrev_i32_e32 v12, 31, v4
	s_delay_alu instid0(VALU_DEP_1)
	v_or_b32_e32 v36, 0x80000000, v12
	v_xor_b32_e32 v12, v12, v3
	s_waitcnt vmcnt(2)
	v_cmp_o_f64_e64 s8, v[7:8], v[7:8]
	s_waitcnt vmcnt(1)
	v_cmp_o_f64_e64 s9, v[9:10], v[9:10]
	v_xor_b32_e32 v36, v36, v4
	v_ashrrev_i32_e32 v39, 31, v10
	v_ashrrev_i32_e32 v38, 31, v8
	s_delay_alu instid0(VALU_DEP_2) | instskip(SKIP_2) | instid1(VALU_DEP_3)
	v_or_b32_e32 v3, 0x80000000, v39
	s_waitcnt vmcnt(0)
	v_cmp_o_f64_e64 s10, v[19:20], v[19:20]
	v_or_b32_e32 v40, 0x80000000, v38
	v_xor_b32_e32 v38, v38, v7
	v_xor_b32_e32 v42, v39, v9
	;; [unrolled: 1-line block ×3, first 2 shown]
	s_delay_alu instid0(VALU_DEP_4) | instskip(SKIP_2) | instid1(VALU_DEP_2)
	v_xor_b32_e32 v40, v40, v8
	v_cndmask_b32_e64 v4, -1, v36, s7
	v_ashrrev_i32_e32 v36, 31, v20
	v_and_b32_e32 v10, s43, v4
	s_delay_alu instid0(VALU_DEP_2) | instskip(SKIP_3) | instid1(VALU_DEP_4)
	v_or_b32_e32 v7, 0x80000000, v36
	v_xor_b32_e32 v36, v36, v19
	v_cndmask_b32_e64 v8, -1, v40, s8
	v_cndmask_b32_e64 v19, -1, v42, s9
	v_xor_b32_e32 v7, v7, v20
	v_cndmask_b32_e64 v20, -1, v3, s9
	v_cndmask_b32_e64 v3, -1, v12, s7
	v_and_b32_e32 v39, s43, v8
	v_and_b32_e32 v42, s42, v19
	s_delay_alu instid0(VALU_DEP_4) | instskip(NEXT) | instid1(VALU_DEP_4)
	v_and_b32_e32 v43, s43, v20
	v_and_b32_e32 v9, s42, v3
	v_lshrrev_b64 v[3:4], s23, v[3:4]
	v_cndmask_b32_e64 v41, -1, v7, s10
	v_cndmask_b32_e64 v7, -1, v38, s8
	;; [unrolled: 1-line block ×3, first 2 shown]
	v_cmp_eq_u64_e64 s7, s[40:41], v[9:10]
	v_cmp_eq_u64_e64 s13, s[40:41], v[42:43]
	v_and_b32_e32 v12, 3, v3
	v_and_b32_e32 v38, s42, v7
	v_lshrrev_b64 v[7:8], s23, v[7:8]
	v_lshrrev_b64 v[3:4], s23, v[19:20]
	v_and_b32_e32 v44, s43, v41
	v_cmp_eq_u64_e64 s9, 0, v[12:13]
	v_cmp_eq_u64_e64 s10, 1, v[12:13]
	;; [unrolled: 1-line block ×3, first 2 shown]
	v_and_b32_e32 v20, 3, v7
	v_cmp_eq_u64_e64 s12, 3, v[12:13]
	v_cmp_eq_u64_e64 s8, s[40:41], v[38:39]
	s_and_b32 s9, s7, s9
	v_and_b32_e32 v36, 3, v3
	v_cmp_eq_u64_e64 s14, 0, v[20:21]
	v_cmp_eq_u64_e64 s15, 1, v[20:21]
	v_cmp_eq_u64_e64 s16, 2, v[20:21]
	v_lshrrev_b64 v[7:8], s23, v[40:41]
	v_cndmask_b32_e64 v3, 0, 1, s9
	s_and_b32 s9, s7, s10
	v_cmp_eq_u64_e64 s17, 3, v[20:21]
	v_cndmask_b32_e64 v4, 0, 1, s9
	s_and_b32 s9, s7, s11
	s_and_b32 s7, s7, s12
	v_cndmask_b32_e64 v8, 0, 1, s9
	v_cmp_eq_u64_e64 s9, 0, v[36:37]
	v_cmp_eq_u64_e64 s10, 1, v[36:37]
	v_cndmask_b32_e64 v9, 0, 1, s7
	s_and_b32 s14, s8, s14
	s_and_b32 s15, s8, s15
	;; [unrolled: 1-line block ×3, first 2 shown]
	v_and_b32_e32 v43, s42, v40
	v_and_b32_e32 v21, 3, v7
	v_cmp_eq_u64_e64 s11, 2, v[36:37]
	v_cmp_eq_u64_e64 s12, 3, v[36:37]
	v_cmp_ne_u32_e64 s18, 0, v3
	v_cndmask_b32_e64 v3, 0, 1, s14
	v_cmp_ne_u32_e64 s14, 0, v4
	v_cndmask_b32_e64 v4, 0, 1, s15
	v_cndmask_b32_e64 v7, 0, 1, s16
	s_and_b32 s8, s8, s17
	v_cmp_ne_u32_e64 s15, 0, v8
	v_cndmask_b32_e64 v8, 0, 1, s8
	v_cmp_ne_u32_e64 s16, 0, v9
	s_and_b32 s9, s13, s9
	s_and_b32 s10, s13, s10
	v_cmp_eq_u64_e64 s7, s[40:41], v[43:44]
	v_cmp_eq_u64_e64 s8, 0, v[21:22]
	;; [unrolled: 1-line block ×5, first 2 shown]
	s_bcnt1_i32_b32 s76, s18
	v_cmp_ne_u32_e64 s18, 0, v3
	v_cndmask_b32_e64 v3, 0, 1, s9
	v_cmp_ne_u32_e64 s9, 0, v4
	v_cndmask_b32_e64 v4, 0, 1, s10
	v_cmp_ne_u32_e64 s10, 0, v7
	s_and_b32 s11, s13, s11
	s_and_b32 s12, s13, s12
	v_cndmask_b32_e64 v7, 0, 1, s11
	v_cmp_ne_u32_e64 s11, 0, v8
	v_cndmask_b32_e64 v8, 0, 1, s12
	s_bcnt1_i32_b32 s16, s16
	s_and_b32 s8, s7, s8
	s_add_i32 s16, s16, s25
	s_bcnt1_i32_b32 s25, s9
	s_and_b32 s9, s7, s17
	s_bcnt1_i32_b32 s17, s10
	s_and_b32 s10, s7, s19
	s_and_b32 s7, s7, s20
	v_cmp_ne_u32_e64 s12, 0, v3
	v_cndmask_b32_e64 v3, 0, 1, s8
	v_cmp_ne_u32_e64 s8, 0, v4
	v_cndmask_b32_e64 v4, 0, 1, s9
	v_cmp_ne_u32_e64 s9, 0, v7
	v_cndmask_b32_e64 v7, 0, 1, s10
	v_cmp_ne_u32_e64 s10, 0, v8
	v_cndmask_b32_e64 v8, 0, 1, s7
	s_bcnt1_i32_b32 s15, s15
	s_add_i32 s13, s76, s75
	s_add_i32 s15, s15, s26
	s_bcnt1_i32_b32 s18, s18
	s_bcnt1_i32_b32 s11, s11
	;; [unrolled: 1-line block ×3, first 2 shown]
	s_add_i32 s13, s13, s18
	s_add_i32 s15, s15, s17
	;; [unrolled: 1-line block ×3, first 2 shown]
	v_cmp_ne_u32_e64 s7, 0, v3
	s_bcnt1_i32_b32 s16, s8
	v_cmp_ne_u32_e64 s8, 0, v4
	s_bcnt1_i32_b32 s17, s9
	;; [unrolled: 2-line block ×3, first 2 shown]
	v_cmp_ne_u32_e64 s10, 0, v8
	s_add_i32 s14, s14, s74
	s_bcnt1_i32_b32 s12, s12
	s_add_i32 s14, s14, s25
	s_add_i32 s12, s13, s12
	;; [unrolled: 1-line block ×5, first 2 shown]
	s_bcnt1_i32_b32 s7, s7
	s_bcnt1_i32_b32 s8, s8
	;; [unrolled: 1-line block ×4, first 2 shown]
	s_add_i32 s75, s12, s7
	s_add_i32 s74, s13, s8
	;; [unrolled: 1-line block ×4, first 2 shown]
	s_delay_alu instid0(SALU_CYCLE_1) | instskip(SKIP_2) | instid1(SALU_CYCLE_1)
	v_dual_mov_b32 v7, s75 :: v_dual_mov_b32 v10, s25
	v_dual_mov_b32 v8, s74 :: v_dual_mov_b32 v9, s26
	s_or_b32 s22, vcc_lo, s22
	s_and_not1_b32 exec_lo, exec_lo, s22
	s_cbranch_execnz .LBB112_54
; %bb.55:                               ;   in Loop: Header=BB112_21 Depth=1
	s_or_b32 exec_lo, exec_lo, s22
.LBB112_56:                             ;   in Loop: Header=BB112_21 Depth=1
	s_delay_alu instid0(SALU_CYCLE_1)
	s_or_b32 exec_lo, exec_lo, s21
	v_mov_b32_e32 v21, 0
	v_mov_b32_e32 v22, 0
	s_and_saveexec_b32 s7, s5
	s_cbranch_execz .LBB112_58
; %bb.57:                               ;   in Loop: Header=BB112_21 Depth=1
	global_load_b64 v[21:22], v[17:18], off
.LBB112_58:                             ;   in Loop: Header=BB112_21 Depth=1
	s_or_b32 exec_lo, exec_lo, s7
	s_and_saveexec_b32 s11, s5
	s_cbranch_execz .LBB112_65
; %bb.59:                               ;   in Loop: Header=BB112_21 Depth=1
	v_mov_b32_e32 v3, v33
	v_mov_b32_e32 v1, v29
	s_and_b32 s13, s67, 0xfe
	s_mov_b32 s12, 0
	s_branch .LBB112_61
.LBB112_60:                             ;   in Loop: Header=BB112_61 Depth=2
	s_or_b32 exec_lo, exec_lo, s8
	s_waitcnt vmcnt(0)
	v_cmp_o_f64_e64 s7, v[21:22], v[21:22]
	v_ashrrev_i32_e32 v4, 31, v22
	s_and_b32 s9, exec_lo, vcc_lo
	v_add_nc_u32_e32 v3, s47, v3
	s_or_b32 s12, s9, s12
	s_delay_alu instid0(VALU_DEP_2) | instskip(SKIP_1) | instid1(VALU_DEP_2)
	v_or_b32_e32 v12, 0x80000000, v4
	v_xor_b32_e32 v4, v4, v21
	v_xor_b32_e32 v12, v12, v22
	s_delay_alu instid0(VALU_DEP_1) | instskip(NEXT) | instid1(VALU_DEP_3)
	v_cndmask_b32_e64 v22, -1, v12, s7
	v_cndmask_b32_e64 v21, -1, v4, s7
	s_delay_alu instid0(VALU_DEP_1) | instskip(SKIP_2) | instid1(VALU_DEP_3)
	v_lshrrev_b64 v[36:37], s13, v[21:22]
	v_and_b32_e32 v22, s43, v22
	v_and_b32_e32 v21, s42, v21
	;; [unrolled: 1-line block ×3, first 2 shown]
	s_delay_alu instid0(VALU_DEP_2) | instskip(NEXT) | instid1(VALU_DEP_2)
	v_cmp_eq_u64_e64 s7, s[40:41], v[21:22]
	v_cmp_eq_u64_e64 s8, 0, v[12:13]
	v_cmp_eq_u64_e32 vcc_lo, 1, v[12:13]
	v_cmp_eq_u64_e64 s9, 2, v[12:13]
	v_cmp_eq_u64_e64 s10, 3, v[12:13]
	s_delay_alu instid0(VALU_DEP_4) | instskip(NEXT) | instid1(SALU_CYCLE_1)
	s_and_b32 s8, s7, s8
	v_cndmask_b32_e64 v4, 0, 1, s8
	s_and_b32 s8, s7, vcc_lo
	s_delay_alu instid0(SALU_CYCLE_1)
	v_cndmask_b32_e64 v12, 0, 1, s8
	s_and_b32 s8, s7, s9
	s_and_b32 s7, s7, s10
	v_cndmask_b32_e64 v21, 0, 1, s8
	v_cndmask_b32_e64 v22, 0, 1, s7
	v_cmp_ne_u32_e32 vcc_lo, 0, v4
	v_cmp_ne_u32_e64 s7, 0, v12
	s_delay_alu instid0(VALU_DEP_4) | instskip(NEXT) | instid1(VALU_DEP_4)
	v_cmp_ne_u32_e64 s8, 0, v21
	v_cmp_ne_u32_e64 s9, 0, v22
	s_bcnt1_i32_b32 s10, vcc_lo
	s_delay_alu instid0(VALU_DEP_3)
	s_bcnt1_i32_b32 s7, s7
	v_dual_mov_b32 v22, v20 :: v_dual_mov_b32 v21, v19
	s_bcnt1_i32_b32 s8, s8
	s_bcnt1_i32_b32 s9, s9
	v_add_nc_u32_e32 v7, s10, v7
	v_add_nc_u32_e32 v8, s7, v8
	v_add_nc_u32_e32 v9, s8, v9
	v_add_nc_u32_e32 v10, s9, v10
	s_and_not1_b32 exec_lo, exec_lo, s12
	s_cbranch_execz .LBB112_64
.LBB112_61:                             ;   Parent Loop BB112_21 Depth=1
                                        ; =>  This Inner Loop Header: Depth=2
	s_delay_alu instid0(VALU_DEP_1) | instskip(SKIP_3) | instid1(VALU_DEP_3)
	v_add_nc_u32_e32 v1, s31, v1
	v_mov_b32_e32 v19, 0
	v_mov_b32_e32 v20, 0
	s_mov_b32 s8, exec_lo
	v_cmp_le_u32_e32 vcc_lo, s28, v1
	v_cmpx_gt_u32_e64 s28, v1
	s_cbranch_execz .LBB112_60
; %bb.62:                               ;   in Loop: Header=BB112_61 Depth=2
	v_mov_b32_e32 v4, v13
	s_delay_alu instid0(VALU_DEP_1) | instskip(NEXT) | instid1(VALU_DEP_1)
	v_lshlrev_b64 v[19:20], 3, v[3:4]
	v_add_co_u32 v19, s7, s29, v19
	s_delay_alu instid0(VALU_DEP_1)
	v_add_co_ci_u32_e64 v20, s7, s33, v20, s7
	global_load_b64 v[19:20], v[19:20], off
	s_branch .LBB112_60
.LBB112_63:                             ;   in Loop: Header=BB112_21 Depth=1
                                        ; implicit-def: $vgpr10
	s_cbranch_execnz .LBB112_66
	s_branch .LBB112_75
.LBB112_64:                             ;   in Loop: Header=BB112_21 Depth=1
	s_or_b32 exec_lo, exec_lo, s12
.LBB112_65:                             ;   in Loop: Header=BB112_21 Depth=1
	s_delay_alu instid0(SALU_CYCLE_1)
	s_or_b32 exec_lo, exec_lo, s11
	s_branch .LBB112_75
.LBB112_66:                             ;   in Loop: Header=BB112_21 Depth=1
	s_mul_hi_u32 s7, s73, s57
	v_dual_mov_b32 v7, 0 :: v_dual_mov_b32 v8, 0
	s_mul_i32 s7, s7, s48
	v_dual_mov_b32 v9, 0 :: v_dual_mov_b32 v10, 0
	s_sub_i32 s7, s73, s7
	s_mov_b32 s76, 0
	s_sub_i32 s8, s7, s48
	s_cmp_ge_u32 s7, s48
	s_mov_b32 s75, exec_lo
	s_cselect_b32 s7, s8, s7
	s_delay_alu instid0(SALU_CYCLE_1) | instskip(SKIP_2) | instid1(SALU_CYCLE_1)
	s_sub_i32 s8, s7, s48
	s_cmp_ge_u32 s7, s48
	s_cselect_b32 s7, s8, s7
	s_sub_i32 s74, s73, s7
	s_delay_alu instid0(SALU_CYCLE_1)
	v_cmpx_gt_u32_e64 s74, v24
	s_cbranch_execz .LBB112_70
; %bb.67:                               ;   in Loop: Header=BB112_21 Depth=1
	v_mov_b32_e32 v1, v34
	v_mov_b32_e32 v3, v24
	s_and_b32 s77, s67, 0xfe
	s_mov_b32 s78, 0
	s_mov_b32 s79, 0
	;; [unrolled: 1-line block ×4, first 2 shown]
.LBB112_68:                             ;   Parent Loop BB112_21 Depth=1
                                        ; =>  This Inner Loop Header: Depth=2
	ds_load_b128 v[7:10], v1
	s_waitcnt vmcnt(0)
	ds_load_b128 v[19:22], v1 offset:16
	s_waitcnt lgkmcnt(1)
	v_cmp_o_f64_e64 s8, v[7:8], v[7:8]
	s_waitcnt lgkmcnt(0)
	v_cmp_o_f64_e64 s10, v[21:22], v[21:22]
	v_cmp_o_f64_e64 s7, v[9:10], v[9:10]
	;; [unrolled: 1-line block ×3, first 2 shown]
	v_ashrrev_i32_e32 v4, 31, v8
	v_ashrrev_i32_e32 v38, 31, v22
	;; [unrolled: 1-line block ×4, first 2 shown]
	s_delay_alu instid0(VALU_DEP_4) | instskip(NEXT) | instid1(VALU_DEP_4)
	v_or_b32_e32 v40, 0x80000000, v4
	v_or_b32_e32 v44, 0x80000000, v38
	s_delay_alu instid0(VALU_DEP_4) | instskip(NEXT) | instid1(VALU_DEP_4)
	v_or_b32_e32 v42, 0x80000000, v12
	v_or_b32_e32 v43, 0x80000000, v36
	v_xor_b32_e32 v4, v4, v7
	v_xor_b32_e32 v40, v40, v8
	;; [unrolled: 1-line block ×8, first 2 shown]
	v_cndmask_b32_e64 v8, -1, v40, s8
	v_cndmask_b32_e64 v22, -1, v7, s10
	;; [unrolled: 1-line block ×7, first 2 shown]
	v_dual_mov_b32 v37, v13 :: v_dual_and_b32 v42, s42, v7
	v_and_b32_e32 v43, s43, v8
	v_lshrrev_b64 v[7:8], s77, v[7:8]
	v_cndmask_b32_e64 v21, -1, v38, s10
	v_dual_mov_b32 v39, v13 :: v_dual_and_b32 v44, s42, v9
	v_lshrrev_b64 v[8:9], s77, v[9:10]
	v_and_b32_e32 v45, s43, v10
	v_lshrrev_b64 v[9:10], s77, v[19:20]
	v_dual_mov_b32 v41, v13 :: v_dual_and_b32 v46, s42, v19
	v_and_b32_e32 v47, s43, v20
	v_lshrrev_b64 v[19:20], s77, v[21:22]
	v_and_b32_e32 v12, 3, v7
	v_and_b32_e32 v36, 3, v8
	;; [unrolled: 1-line block ×3, first 2 shown]
	v_cmp_eq_u64_e64 s7, s[40:41], v[42:43]
	v_and_b32_e32 v49, s43, v22
	v_cmp_eq_u64_e64 s11, 0, v[12:13]
	v_and_b32_e32 v48, s42, v21
	v_and_b32_e32 v40, 3, v19
	v_cmp_eq_u64_e64 s8, s[40:41], v[44:45]
	v_cmp_eq_u64_e64 s12, 0, v[36:37]
	;; [unrolled: 1-line block ×6, first 2 shown]
	s_and_b32 s11, s7, s11
	v_cmp_eq_u64_e64 s15, 1, v[12:13]
	v_cndmask_b32_e64 v4, 0, 1, s11
	s_and_b32 s11, s8, s12
	v_cmp_eq_u64_e64 s16, 1, v[36:37]
	v_cndmask_b32_e64 v7, 0, 1, s11
	;; [unrolled: 3-line block ×4, first 2 shown]
	s_and_b32 s11, s7, s15
	v_cmp_eq_u64_e64 s19, 2, v[12:13]
	v_cmp_eq_u64_e64 s23, 3, v[12:13]
	v_cndmask_b32_e64 v10, 0, 1, s11
	s_and_b32 s11, s8, s16
	v_cmp_eq_u64_e64 s20, 2, v[36:37]
	v_cmp_eq_u64_e64 s24, 3, v[36:37]
	v_cndmask_b32_e64 v12, 0, 1, s11
	;; [unrolled: 4-line block ×4, first 2 shown]
	s_and_b32 s11, s7, s19
	s_and_b32 s7, s7, s23
	v_cndmask_b32_e64 v21, 0, 1, s11
	s_and_b32 s11, s8, s20
	v_cndmask_b32_e64 v38, 0, 1, s7
	;; [unrolled: 2-line block ×7, first 2 shown]
	v_cndmask_b32_e64 v41, 0, 1, s7
	v_cmp_ne_u32_e64 s7, 0, v4
	v_cmp_ne_u32_e64 s11, 0, v10
	;; [unrolled: 1-line block ×7, first 2 shown]
	s_bcnt1_i32_b32 s7, s7
	s_bcnt1_i32_b32 s11, s11
	v_cmp_ne_u32_e64 s14, 0, v20
	v_cmp_ne_u32_e64 s16, 0, v22
	;; [unrolled: 1-line block ×3, first 2 shown]
	s_bcnt1_i32_b32 s8, s8
	s_bcnt1_i32_b32 s12, s12
	s_add_i32 s7, s7, s81
	s_add_i32 s11, s11, s80
	v_cmp_ne_u32_e64 s9, 0, v8
	v_cmp_ne_u32_e64 s17, 0, v36
	;; [unrolled: 1-line block ×3, first 2 shown]
	s_bcnt1_i32_b32 s13, s13
	s_add_i32 s7, s7, s8
	s_add_i32 s8, s11, s12
	s_bcnt1_i32_b32 s15, s15
	s_bcnt1_i32_b32 s19, s19
	v_cmp_ne_u32_e64 s10, 0, v9
	v_cmp_ne_u32_e64 s18, 0, v37
	;; [unrolled: 1-line block ×3, first 2 shown]
	s_bcnt1_i32_b32 s14, s14
	s_add_i32 s8, s8, s13
	s_bcnt1_i32_b32 s16, s16
	s_bcnt1_i32_b32 s20, s20
	s_add_i32 s15, s15, s79
	s_add_i32 s19, s19, s78
	;; [unrolled: 1-line block ×3, first 2 shown]
	s_delay_alu instid0(SALU_CYCLE_1)
	v_dual_mov_b32 v8, s80 :: v_dual_add_nc_u32 v3, s48, v3
	s_bcnt1_i32_b32 s9, s9
	s_bcnt1_i32_b32 s17, s17
	;; [unrolled: 1-line block ×3, first 2 shown]
	s_add_i32 s11, s15, s16
	s_add_i32 s12, s19, s20
	s_bcnt1_i32_b32 s10, s10
	s_bcnt1_i32_b32 s18, s18
	;; [unrolled: 1-line block ×3, first 2 shown]
	s_add_i32 s7, s7, s9
	s_add_i32 s9, s11, s17
	;; [unrolled: 1-line block ×3, first 2 shown]
	v_cmp_le_u32_e32 vcc_lo, s74, v3
	s_add_i32 s81, s7, s10
	s_add_i32 s79, s9, s18
	s_add_i32 s78, s11, s22
	s_delay_alu instid0(SALU_CYCLE_1) | instskip(SKIP_3) | instid1(SALU_CYCLE_1)
	v_dual_mov_b32 v10, s78 :: v_dual_add_nc_u32 v1, s62, v1
	v_mov_b32_e32 v7, s81
	v_mov_b32_e32 v9, s79
	s_or_b32 s76, vcc_lo, s76
	s_and_not1_b32 exec_lo, exec_lo, s76
	s_cbranch_execnz .LBB112_68
; %bb.69:                               ;   in Loop: Header=BB112_21 Depth=1
	s_or_b32 exec_lo, exec_lo, s76
.LBB112_70:                             ;   in Loop: Header=BB112_21 Depth=1
	s_delay_alu instid0(SALU_CYCLE_1) | instskip(SKIP_2) | instid1(VALU_DEP_1)
	s_or_b32 exec_lo, exec_lo, s75
	v_add_nc_u32_e32 v1, s74, v0
	s_mov_b32 s12, exec_lo
	v_cmpx_gt_u32_e64 s73, v1
	s_cbranch_execz .LBB112_74
; %bb.71:                               ;   in Loop: Header=BB112_21 Depth=1
	v_lshlrev_b32_e32 v3, 3, v1
	s_and_b32 s14, s67, 0xfe
	s_mov_b32 s13, 0
.LBB112_72:                             ;   Parent Loop BB112_21 Depth=1
                                        ; =>  This Inner Loop Header: Depth=2
	ds_load_b64 v[19:20], v3
	v_add_nc_u32_e32 v3, s63, v3
	s_waitcnt lgkmcnt(0)
	v_cmp_o_f64_e32 vcc_lo, v[19:20], v[19:20]
	v_ashrrev_i32_e32 v4, 31, v20
	s_delay_alu instid0(VALU_DEP_1) | instskip(SKIP_1) | instid1(VALU_DEP_2)
	v_or_b32_e32 v12, 0x80000000, v4
	v_xor_b32_e32 v4, v4, v19
	v_xor_b32_e32 v12, v12, v20
	s_delay_alu instid0(VALU_DEP_1) | instskip(NEXT) | instid1(VALU_DEP_3)
	v_dual_cndmask_b32 v20, -1, v12 :: v_dual_add_nc_u32 v1, s31, v1
	v_cndmask_b32_e32 v19, -1, v4, vcc_lo
	s_delay_alu instid0(VALU_DEP_2) | instskip(SKIP_1) | instid1(VALU_DEP_3)
	v_cmp_le_u32_e64 s7, s73, v1
	s_waitcnt vmcnt(0)
	v_and_b32_e32 v22, s43, v20
	s_delay_alu instid0(VALU_DEP_3) | instskip(SKIP_1) | instid1(VALU_DEP_2)
	v_and_b32_e32 v21, s42, v19
	v_lshrrev_b64 v[19:20], s14, v[19:20]
	v_cmp_eq_u64_e32 vcc_lo, s[40:41], v[21:22]
	s_delay_alu instid0(VALU_DEP_2) | instskip(NEXT) | instid1(VALU_DEP_1)
	v_and_b32_e32 v12, 3, v19
	v_cmp_eq_u64_e64 s8, 0, v[12:13]
	v_cmp_eq_u64_e64 s9, 1, v[12:13]
	;; [unrolled: 1-line block ×4, first 2 shown]
	s_delay_alu instid0(VALU_DEP_4) | instskip(NEXT) | instid1(SALU_CYCLE_1)
	s_and_b32 s8, vcc_lo, s8
	v_cndmask_b32_e64 v4, 0, 1, s8
	s_delay_alu instid0(VALU_DEP_4) | instskip(NEXT) | instid1(SALU_CYCLE_1)
	s_and_b32 s8, vcc_lo, s9
	v_cndmask_b32_e64 v12, 0, 1, s8
	s_and_b32 s8, vcc_lo, s10
	s_delay_alu instid0(SALU_CYCLE_1)
	v_cndmask_b32_e64 v19, 0, 1, s8
	s_and_b32 s8, vcc_lo, s11
	v_cmp_ne_u32_e32 vcc_lo, 0, v4
	v_cndmask_b32_e64 v20, 0, 1, s8
	v_cmp_ne_u32_e64 s8, 0, v12
	v_cmp_ne_u32_e64 s9, 0, v19
	s_bcnt1_i32_b32 s11, vcc_lo
	s_delay_alu instid0(VALU_DEP_3) | instskip(NEXT) | instid1(VALU_DEP_3)
	v_cmp_ne_u32_e64 s10, 0, v20
	s_bcnt1_i32_b32 s8, s8
	s_delay_alu instid0(VALU_DEP_2)
	s_bcnt1_i32_b32 s9, s9
	v_add_nc_u32_e32 v7, s11, v7
	v_add_nc_u32_e32 v8, s8, v8
	s_bcnt1_i32_b32 s10, s10
	v_add_nc_u32_e32 v9, s9, v9
	v_add_nc_u32_e32 v10, s10, v10
	s_or_b32 s13, s7, s13
	s_delay_alu instid0(SALU_CYCLE_1)
	s_and_not1_b32 exec_lo, exec_lo, s13
	s_cbranch_execnz .LBB112_72
; %bb.73:                               ;   in Loop: Header=BB112_21 Depth=1
	s_or_b32 exec_lo, exec_lo, s13
.LBB112_74:                             ;   in Loop: Header=BB112_21 Depth=1
	s_delay_alu instid0(SALU_CYCLE_1)
	s_or_b32 exec_lo, exec_lo, s12
.LBB112_75:                             ;   in Loop: Header=BB112_21 Depth=1
	s_lshl_b32 s7, s70, 7
	s_and_saveexec_b32 s8, s3
	s_cbranch_execz .LBB112_77
; %bb.76:                               ;   in Loop: Header=BB112_21 Depth=1
	v_or_b32_e32 v1, s7, v27
	s_delay_alu instid0(VALU_DEP_1)
	v_lshlrev_b32_e32 v1, 2, v1
	ds_store_b128 v1, v[7:10] offset:3072
.LBB112_77:                             ;   in Loop: Header=BB112_21 Depth=1
	s_or_b32 exec_lo, exec_lo, s8
	s_waitcnt vmcnt(0) lgkmcnt(0)
	s_barrier
	buffer_gl0_inv
	s_and_saveexec_b32 s8, s49
	s_cbranch_execz .LBB112_87
; %bb.78:                               ;   in Loop: Header=BB112_21 Depth=1
	v_mov_b32_e32 v1, 0
	s_and_not1_b32 vcc_lo, exec_lo, s52
	s_cbranch_vccnz .LBB112_86
; %bb.79:                               ;   in Loop: Header=BB112_21 Depth=1
	v_mov_b32_e32 v1, 0
	s_and_not1_b32 vcc_lo, exec_lo, s54
	s_mov_b32 s9, 0
	s_cbranch_vccnz .LBB112_83
; %bb.80:                               ;   in Loop: Header=BB112_21 Depth=1
	v_lshl_add_u32 v3, s70, 9, v35
	v_mov_b32_e32 v1, 0
	.p2align	6
.LBB112_81:                             ;   Parent Loop BB112_21 Depth=1
                                        ; =>  This Inner Loop Header: Depth=2
	ds_load_2addr_b32 v[7:8], v3 offset1:4
	ds_load_2addr_b32 v[9:10], v3 offset0:8 offset1:12
	ds_load_2addr_b32 v[19:20], v3 offset0:16 offset1:20
	;; [unrolled: 1-line block ×3, first 2 shown]
	v_add_nc_u32_e32 v3, 0x80, v3
	s_add_i32 s9, s9, 8
	s_delay_alu instid0(SALU_CYCLE_1) | instskip(SKIP_3) | instid1(VALU_DEP_1)
	s_cmp_eq_u32 s55, s9
	s_waitcnt lgkmcnt(3)
	v_add3_u32 v1, v7, v1, v8
	s_waitcnt lgkmcnt(2)
	v_add3_u32 v1, v9, v1, v10
	s_waitcnt lgkmcnt(1)
	s_delay_alu instid0(VALU_DEP_1) | instskip(SKIP_1) | instid1(VALU_DEP_1)
	v_add3_u32 v1, v19, v1, v20
	s_waitcnt lgkmcnt(0)
	v_add3_u32 v1, v21, v1, v22
	s_cbranch_scc0 .LBB112_81
; %bb.82:                               ;   in Loop: Header=BB112_21 Depth=1
	s_mov_b32 s9, s55
.LBB112_83:                             ;   in Loop: Header=BB112_21 Depth=1
	s_and_not1_b32 vcc_lo, exec_lo, s56
	s_cbranch_vccnz .LBB112_86
; %bb.84:                               ;   in Loop: Header=BB112_21 Depth=1
	s_lshl_b32 s10, s70, 9
	s_lshl_b32 s9, s9, 4
	s_delay_alu instid0(SALU_CYCLE_1)
	v_add3_u32 v3, s10, s9, v35
	s_mov_b32 s9, s53
.LBB112_85:                             ;   Parent Loop BB112_21 Depth=1
                                        ; =>  This Inner Loop Header: Depth=2
	ds_load_b32 v4, v3
	v_add_nc_u32_e32 v3, 16, v3
	s_add_i32 s9, s9, -1
	s_delay_alu instid0(SALU_CYCLE_1)
	s_cmp_lg_u32 s9, 0
	s_waitcnt lgkmcnt(0)
	v_add_nc_u32_e32 v1, v4, v1
	s_cbranch_scc1 .LBB112_85
.LBB112_86:                             ;   in Loop: Header=BB112_21 Depth=1
	v_add_lshl_u32 v3, s7, v23, 2
	ds_store_b32 v3, v1 offset:3072
.LBB112_87:                             ;   in Loop: Header=BB112_21 Depth=1
	s_or_b32 exec_lo, exec_lo, s8
	s_lshl_b32 s7, s7, 2
	s_waitcnt lgkmcnt(0)
	v_mov_b32_e32 v1, s7
	s_barrier
	buffer_gl0_inv
	s_and_b32 s22, s67, 0xfe
	s_delay_alu instid0(SALU_CYCLE_1)
	s_lshl_b64 s[8:9], 3, s22
	ds_load_b128 v[7:10], v1 offset:3072
	s_not_b64 s[10:11], s[8:9]
	s_waitcnt lgkmcnt(0)
	v_readfirstlane_b32 s18, v7
	v_readfirstlane_b32 s25, v8
	;; [unrolled: 1-line block ×4, first 2 shown]
	s_delay_alu instid0(VALU_DEP_4) | instskip(SKIP_3) | instid1(SALU_CYCLE_1)
	s_cmp_eq_u32 s18, 1
	s_cselect_b32 s7, -1, 0
	s_cmp_eq_u32 s72, 1
	s_cselect_b32 s12, -1, 0
	s_and_b32 s13, s7, s12
	s_mov_b32 s12, -1
	s_and_b32 vcc_lo, exec_lo, s13
	s_cbranch_vccz .LBB112_99
; %bb.88:                               ;   in Loop: Header=BB112_21 Depth=1
	ds_load_b32 v1, v13 offset:4104
	s_waitcnt lgkmcnt(0)
	s_barrier
	buffer_gl0_inv
	v_readfirstlane_b32 s14, v1
	s_and_saveexec_b32 s7, s1
	s_cbranch_execz .LBB112_90
; %bb.89:                               ;   in Loop: Header=BB112_21 Depth=1
	v_mov_b32_e32 v12, v13
	ds_store_b64 v26, v[12:13]
.LBB112_90:                             ;   in Loop: Header=BB112_21 Depth=1
	s_or_b32 exec_lo, exec_lo, s7
	s_and_b64 s[40:41], s[40:41], s[10:11]
	s_or_b64 s[42:43], s[42:43], s[8:9]
	s_cmp_eq_u32 s14, 0
	s_waitcnt lgkmcnt(0)
	s_barrier
	buffer_gl0_inv
	s_cbranch_scc1 .LBB112_100
; %bb.91:                               ;   in Loop: Header=BB112_21 Depth=1
	s_add_i32 s7, s14, s50
                                        ; implicit-def: $vgpr5_vgpr6
	s_delay_alu instid0(SALU_CYCLE_1) | instskip(NEXT) | instid1(SALU_CYCLE_1)
	s_mul_hi_u32 s15, s7, s59
	s_mul_i32 s15, s15, s31
	s_delay_alu instid0(SALU_CYCLE_1) | instskip(NEXT) | instid1(SALU_CYCLE_1)
	s_sub_i32 s15, s7, s15
	s_sub_i32 s17, s15, s31
	s_cmp_ge_u32 s15, s31
	s_cselect_b32 s15, s17, s15
	s_delay_alu instid0(SALU_CYCLE_1) | instskip(SKIP_2) | instid1(SALU_CYCLE_1)
	s_sub_i32 s17, s15, s31
	s_cmp_ge_u32 s15, s31
	s_cselect_b32 s15, s17, s15
	s_sub_i32 s17, s7, s15
	s_mov_b32 s7, 0
	s_mov_b32 s15, exec_lo
	v_cmpx_gt_u32_e64 s17, v0
	s_cbranch_execz .LBB112_102
; %bb.92:                               ;   in Loop: Header=BB112_21 Depth=1
	v_dual_mov_b32 v7, v25 :: v_dual_mov_b32 v8, v0
	s_mov_b32 s21, 0
                                        ; implicit-def: $sgpr20
	s_set_inst_prefetch_distance 0x1
	s_branch .LBB112_94
	.p2align	6
.LBB112_93:                             ;   in Loop: Header=BB112_94 Depth=2
	s_or_b32 exec_lo, exec_lo, s7
	s_waitcnt lgkmcnt(0)
	s_barrier
	buffer_gl0_inv
	ds_load_b128 v[3:6], v13 offset:3072
	v_add_nc_u32_e32 v8, s31, v8
	v_add_nc_u32_e32 v7, s63, v7
	s_waitcnt lgkmcnt(0)
	s_barrier
	buffer_gl0_inv
	v_cmp_le_u32_e64 s7, s17, v8
	v_cmp_neq_f64_e32 vcc_lo, 0, v[3:4]
	s_delay_alu instid0(VALU_DEP_2) | instskip(NEXT) | instid1(SALU_CYCLE_1)
	s_or_b32 s7, s7, vcc_lo
	s_and_b32 s7, exec_lo, s7
	s_delay_alu instid0(SALU_CYCLE_1) | instskip(SKIP_2) | instid1(SALU_CYCLE_1)
	s_or_b32 s21, s7, s21
	s_and_not1_b32 s7, s20, exec_lo
	s_and_b32 s20, vcc_lo, exec_lo
	s_or_b32 s20, s7, s20
	s_and_not1_b32 exec_lo, exec_lo, s21
	s_cbranch_execz .LBB112_101
.LBB112_94:                             ;   Parent Loop BB112_21 Depth=1
                                        ; =>  This Inner Loop Header: Depth=2
	v_mov_b32_e32 v3, 0
	v_mov_b32_e32 v4, 0
	v_cmp_gt_u32_e32 vcc_lo, s14, v8
	s_and_saveexec_b32 s7, vcc_lo
	s_cbranch_execz .LBB112_96
; %bb.95:                               ;   in Loop: Header=BB112_94 Depth=2
	ds_load_b64 v[3:4], v7
.LBB112_96:                             ;   in Loop: Header=BB112_94 Depth=2
	s_or_b32 exec_lo, exec_lo, s7
	s_and_saveexec_b32 s7, vcc_lo
	s_cbranch_execz .LBB112_93
; %bb.97:                               ;   in Loop: Header=BB112_94 Depth=2
	s_waitcnt lgkmcnt(0)
	v_cmp_o_f64_e32 vcc_lo, v[3:4], v[3:4]
	v_ashrrev_i32_e32 v1, 31, v4
	s_delay_alu instid0(VALU_DEP_1) | instskip(SKIP_1) | instid1(VALU_DEP_2)
	v_or_b32_e32 v5, 0x80000000, v1
	v_xor_b32_e32 v1, v1, v3
	v_xor_b32_e32 v5, v5, v4
	s_delay_alu instid0(VALU_DEP_1) | instskip(NEXT) | instid1(VALU_DEP_3)
	v_cndmask_b32_e32 v5, -1, v5, vcc_lo
	v_cndmask_b32_e32 v1, -1, v1, vcc_lo
	s_delay_alu instid0(VALU_DEP_2) | instskip(NEXT) | instid1(VALU_DEP_2)
	v_and_b32_e32 v6, s43, v5
	v_and_b32_e32 v5, s42, v1
	s_delay_alu instid0(VALU_DEP_1)
	v_cmp_eq_u64_e32 vcc_lo, s[40:41], v[5:6]
	s_and_b32 exec_lo, exec_lo, vcc_lo
	s_cbranch_execz .LBB112_93
; %bb.98:                               ;   in Loop: Header=BB112_94 Depth=2
	v_mov_b32_e32 v1, v13
	ds_store_b128 v13, v[1:4] offset:3072
	s_branch .LBB112_93
.LBB112_99:                             ;   in Loop: Header=BB112_21 Depth=1
	s_mov_b32 s7, -1
                                        ; implicit-def: $sgpr14
                                        ; implicit-def: $sgpr17
                                        ; implicit-def: $sgpr15
	s_branch .LBB112_113
.LBB112_100:                            ;   in Loop: Header=BB112_21 Depth=1
	s_mov_b32 s14, -1
	s_mov_b32 s7, 0
                                        ; implicit-def: $sgpr15
                                        ; implicit-def: $vgpr5_vgpr6
	s_mov_b32 s17, s14
	s_cbranch_execnz .LBB112_103
	s_branch .LBB112_113
.LBB112_101:                            ;   in Loop: Header=BB112_21 Depth=1
	s_set_inst_prefetch_distance 0x2
	s_or_b32 exec_lo, exec_lo, s21
	s_delay_alu instid0(SALU_CYCLE_1)
	s_and_b32 s7, s20, exec_lo
.LBB112_102:                            ;   in Loop: Header=BB112_21 Depth=1
	s_or_b32 exec_lo, exec_lo, s15
	s_mov_b32 s15, -1
	s_mov_b32 s14, 0
	s_delay_alu instid0(SALU_CYCLE_1)
	s_mov_b32 s17, s14
	s_branch .LBB112_113
.LBB112_103:                            ;   in Loop: Header=BB112_21 Depth=1
	s_mov_b32 s7, 0
                                        ; implicit-def: $vgpr5_vgpr6
	s_and_saveexec_b32 s14, s6
	s_cbranch_execz .LBB112_112
; %bb.104:                              ;   in Loop: Header=BB112_21 Depth=1
	v_dual_mov_b32 v12, v11 :: v_dual_mov_b32 v7, v0
	s_mov_b32 s17, 0
                                        ; implicit-def: $sgpr15
	s_branch .LBB112_106
.LBB112_105:                            ;   in Loop: Header=BB112_106 Depth=2
	s_or_b32 exec_lo, exec_lo, s7
	s_waitcnt vmcnt(0) lgkmcnt(0)
	s_barrier
	buffer_gl0_inv
	ds_load_b128 v[3:6], v13 offset:3072
	v_add_nc_u32_e32 v7, s31, v7
	v_add_nc_u32_e32 v12, s47, v12
	s_waitcnt lgkmcnt(0)
	s_barrier
	buffer_gl0_inv
	v_cmp_le_u32_e64 s7, s61, v7
	v_cmp_neq_f64_e32 vcc_lo, 0, v[3:4]
	s_delay_alu instid0(VALU_DEP_2) | instskip(NEXT) | instid1(SALU_CYCLE_1)
	s_or_b32 s7, s7, vcc_lo
	s_and_b32 s7, exec_lo, s7
	s_delay_alu instid0(SALU_CYCLE_1) | instskip(SKIP_2) | instid1(SALU_CYCLE_1)
	s_or_b32 s17, s7, s17
	s_and_not1_b32 s7, s15, exec_lo
	s_and_b32 s15, vcc_lo, exec_lo
	s_or_b32 s15, s7, s15
	s_and_not1_b32 exec_lo, exec_lo, s17
	s_cbranch_execz .LBB112_111
.LBB112_106:                            ;   Parent Loop BB112_21 Depth=1
                                        ; =>  This Inner Loop Header: Depth=2
	v_mov_b32_e32 v3, 0
	v_mov_b32_e32 v4, 0
	v_cmp_gt_u32_e32 vcc_lo, s28, v7
	s_and_saveexec_b32 s20, vcc_lo
	s_cbranch_execz .LBB112_108
; %bb.107:                              ;   in Loop: Header=BB112_106 Depth=2
	v_lshlrev_b64 v[3:4], 3, v[12:13]
	s_delay_alu instid0(VALU_DEP_1) | instskip(NEXT) | instid1(VALU_DEP_1)
	v_add_co_u32 v3, s7, s29, v3
	v_add_co_ci_u32_e64 v4, s7, s33, v4, s7
	global_load_b64 v[3:4], v[3:4], off
.LBB112_108:                            ;   in Loop: Header=BB112_106 Depth=2
	s_or_b32 exec_lo, exec_lo, s20
	s_and_saveexec_b32 s7, vcc_lo
	s_cbranch_execz .LBB112_105
; %bb.109:                              ;   in Loop: Header=BB112_106 Depth=2
	s_waitcnt vmcnt(0)
	v_cmp_o_f64_e32 vcc_lo, v[3:4], v[3:4]
	v_ashrrev_i32_e32 v1, 31, v4
	s_delay_alu instid0(VALU_DEP_1) | instskip(SKIP_1) | instid1(VALU_DEP_2)
	v_or_b32_e32 v5, 0x80000000, v1
	v_xor_b32_e32 v1, v1, v3
	v_xor_b32_e32 v5, v5, v4
	s_delay_alu instid0(VALU_DEP_1) | instskip(NEXT) | instid1(VALU_DEP_3)
	v_cndmask_b32_e32 v5, -1, v5, vcc_lo
	v_cndmask_b32_e32 v1, -1, v1, vcc_lo
	s_delay_alu instid0(VALU_DEP_2) | instskip(NEXT) | instid1(VALU_DEP_2)
	v_and_b32_e32 v6, s43, v5
	v_and_b32_e32 v5, s42, v1
	s_delay_alu instid0(VALU_DEP_1)
	v_cmp_eq_u64_e32 vcc_lo, s[40:41], v[5:6]
	s_and_b32 exec_lo, exec_lo, vcc_lo
	s_cbranch_execz .LBB112_105
; %bb.110:                              ;   in Loop: Header=BB112_106 Depth=2
	v_mov_b32_e32 v1, v13
	ds_store_b128 v13, v[1:4] offset:3072
	s_branch .LBB112_105
.LBB112_111:                            ;   in Loop: Header=BB112_21 Depth=1
	s_or_b32 exec_lo, exec_lo, s17
	s_delay_alu instid0(SALU_CYCLE_1)
	s_and_b32 s7, s15, exec_lo
.LBB112_112:                            ;   in Loop: Header=BB112_21 Depth=1
	s_or_b32 exec_lo, exec_lo, s14
	s_mov_b32 s17, -1
	s_mov_b32 s14, 0
	s_mov_b32 s15, 0
.LBB112_113:                            ;   in Loop: Header=BB112_21 Depth=1
	s_and_not1_b32 s20, s68, exec_lo
	s_and_b32 s14, s14, exec_lo
	s_and_b32 s17, s17, exec_lo
	s_or_b32 s68, s20, s14
	s_and_not1_b32 s14, s71, exec_lo
	s_and_not1_b32 s20, s69, exec_lo
	s_and_b32 s15, s15, exec_lo
	s_or_b32 s71, s14, s17
	s_or_b32 s69, s20, s15
	s_and_saveexec_b32 s17, s7
	s_cbranch_execz .LBB112_20
; %bb.114:                              ;   in Loop: Header=BB112_21 Depth=1
	s_xor_b32 s7, s13, -1
	s_mov_b32 s20, 0
	s_and_not1_b32 vcc_lo, exec_lo, s7
	s_mov_b32 s26, 1
	s_cbranch_vccnz .LBB112_125
; %bb.115:                              ;   in Loop: Header=BB112_21 Depth=1
	s_cmp_gt_u32 s72, s18
	s_mov_b32 s20, -1
                                        ; implicit-def: $sgpr7
                                        ; implicit-def: $sgpr12_sgpr13
                                        ; implicit-def: $sgpr14_sgpr15
	s_cbranch_scc1 .LBB112_121
; %bb.116:                              ;   in Loop: Header=BB112_21 Depth=1
	ds_load_b32 v1, v13 offset:4104
	s_waitcnt lgkmcnt(0)
	v_cmp_ne_u32_e32 vcc_lo, 0, v1
	s_cbranch_vccnz .LBB112_120
; %bb.117:                              ;   in Loop: Header=BB112_21 Depth=1
	s_and_saveexec_b32 s7, s0
	s_cbranch_execz .LBB112_119
; %bb.118:                              ;   in Loop: Header=BB112_21 Depth=1
	v_mov_b32_e32 v1, s18
	ds_store_b32 v13, v1 offset:4108
.LBB112_119:                            ;   in Loop: Header=BB112_21 Depth=1
	s_or_b32 exec_lo, exec_lo, s7
	s_waitcnt lgkmcnt(0)
	s_barrier
	buffer_gl0_inv
.LBB112_120:                            ;   in Loop: Header=BB112_21 Depth=1
	s_and_b64 s[12:13], s[40:41], s[10:11]
	s_or_b64 s[14:15], s[42:43], s[8:9]
	s_mov_b32 s20, 0
	s_mov_b32 s7, 8
.LBB112_121:                            ;   in Loop: Header=BB112_21 Depth=1
	s_and_not1_b32 vcc_lo, exec_lo, s20
	s_cbranch_vccnz .LBB112_123
; %bb.122:                              ;   in Loop: Header=BB112_21 Depth=1
	s_sub_i32 s72, s72, s18
	s_mov_b32 s20, -1
	s_mov_b32 s7, 0
	s_mov_b64 s[12:13], s[40:41]
	s_mov_b64 s[14:15], s[42:43]
.LBB112_123:                            ;   in Loop: Header=BB112_21 Depth=1
	s_delay_alu instid0(SALU_CYCLE_1)
	s_mov_b64 s[42:43], s[14:15]
	s_mov_b64 s[40:41], s[12:13]
	s_mov_b32 s26, s72
	s_and_b32 vcc_lo, exec_lo, s20
	s_mov_b32 s18, -1
	s_cbranch_vccnz .LBB112_126
.LBB112_124:                            ;   in Loop: Header=BB112_21 Depth=1
	s_mov_b32 s13, -1
                                        ; implicit-def: $sgpr20
                                        ; implicit-def: $sgpr23
                                        ; implicit-def: $sgpr21
                                        ; implicit-def: $sgpr72
	s_delay_alu instid0(SALU_CYCLE_1) | instskip(NEXT) | instid1(SALU_CYCLE_1)
	s_and_saveexec_b32 s8, s13
	s_xor_b32 s8, exec_lo, s8
	s_cbranch_execz .LBB112_19
	s_branch .LBB112_252
.LBB112_125:                            ;   in Loop: Header=BB112_21 Depth=1
	s_mov_b32 s7, 1
	s_and_b32 vcc_lo, exec_lo, s20
	s_mov_b32 s18, -1
	s_cbranch_vccz .LBB112_124
.LBB112_126:                            ;   in Loop: Header=BB112_21 Depth=1
	s_cmp_eq_u32 s25, 1
	s_mov_b32 s14, -1
	s_cselect_b32 s7, -1, 0
	s_cmp_eq_u32 s26, 1
	s_cselect_b32 s12, -1, 0
	s_delay_alu instid0(SALU_CYCLE_1) | instskip(NEXT) | instid1(SALU_CYCLE_1)
	s_and_b32 s12, s7, s12
	s_and_b32 vcc_lo, exec_lo, s12
	s_cbranch_vccz .LBB112_138
; %bb.127:                              ;   in Loop: Header=BB112_21 Depth=1
	ds_load_b32 v1, v13 offset:4104
	s_waitcnt lgkmcnt(0)
	s_barrier
	buffer_gl0_inv
	v_readfirstlane_b32 s13, v1
	s_and_saveexec_b32 s7, s1
	s_cbranch_execz .LBB112_129
; %bb.128:                              ;   in Loop: Header=BB112_21 Depth=1
	v_mov_b32_e32 v12, v13
	ds_store_b64 v26, v[12:13]
.LBB112_129:                            ;   in Loop: Header=BB112_21 Depth=1
	s_or_b32 exec_lo, exec_lo, s7
	s_lshl_b64 s[14:15], 1, s22
	s_and_b64 s[20:21], s[40:41], s[10:11]
	s_or_b64 s[42:43], s[42:43], s[8:9]
	s_or_b64 s[40:41], s[20:21], s[14:15]
	s_cmp_eq_u32 s13, 0
	s_waitcnt lgkmcnt(0)
	s_barrier
	buffer_gl0_inv
	s_cbranch_scc1 .LBB112_142
; %bb.130:                              ;   in Loop: Header=BB112_21 Depth=1
	s_add_i32 s7, s13, s50
                                        ; implicit-def: $vgpr5_vgpr6
	s_delay_alu instid0(SALU_CYCLE_1) | instskip(NEXT) | instid1(SALU_CYCLE_1)
	s_mul_hi_u32 s14, s7, s59
	s_mul_i32 s14, s14, s31
	s_delay_alu instid0(SALU_CYCLE_1) | instskip(NEXT) | instid1(SALU_CYCLE_1)
	s_sub_i32 s14, s7, s14
	s_sub_i32 s15, s14, s31
	s_cmp_ge_u32 s14, s31
	s_cselect_b32 s14, s15, s14
	s_delay_alu instid0(SALU_CYCLE_1)
	s_sub_i32 s15, s14, s31
	s_cmp_ge_u32 s14, s31
	s_cselect_b32 s14, s15, s14
	s_mov_b32 s15, exec_lo
	s_sub_i32 s20, s7, s14
	s_mov_b32 s14, 0
	v_cmpx_gt_u32_e64 s20, v0
	s_cbranch_execz .LBB112_144
; %bb.131:                              ;   in Loop: Header=BB112_21 Depth=1
	v_dual_mov_b32 v7, v25 :: v_dual_mov_b32 v8, v0
	s_mov_b32 s21, 0
                                        ; implicit-def: $sgpr14
	s_set_inst_prefetch_distance 0x1
	s_branch .LBB112_133
	.p2align	6
.LBB112_132:                            ;   in Loop: Header=BB112_133 Depth=2
	s_or_b32 exec_lo, exec_lo, s7
	s_waitcnt lgkmcnt(0)
	s_barrier
	buffer_gl0_inv
	ds_load_b128 v[3:6], v13 offset:3072
	v_add_nc_u32_e32 v8, s31, v8
	v_add_nc_u32_e32 v7, s63, v7
	s_waitcnt lgkmcnt(0)
	s_barrier
	buffer_gl0_inv
	v_cmp_le_u32_e64 s7, s20, v8
	v_cmp_neq_f64_e32 vcc_lo, 0, v[3:4]
	s_delay_alu instid0(VALU_DEP_2) | instskip(NEXT) | instid1(SALU_CYCLE_1)
	s_or_b32 s7, s7, vcc_lo
	s_and_b32 s7, exec_lo, s7
	s_delay_alu instid0(SALU_CYCLE_1) | instskip(SKIP_2) | instid1(SALU_CYCLE_1)
	s_or_b32 s21, s7, s21
	s_and_not1_b32 s7, s14, exec_lo
	s_and_b32 s14, vcc_lo, exec_lo
	s_or_b32 s14, s7, s14
	s_and_not1_b32 exec_lo, exec_lo, s21
	s_cbranch_execz .LBB112_143
.LBB112_133:                            ;   Parent Loop BB112_21 Depth=1
                                        ; =>  This Inner Loop Header: Depth=2
	v_mov_b32_e32 v3, 0
	v_mov_b32_e32 v4, 0
	v_cmp_gt_u32_e32 vcc_lo, s13, v8
	s_and_saveexec_b32 s7, vcc_lo
	s_cbranch_execz .LBB112_135
; %bb.134:                              ;   in Loop: Header=BB112_133 Depth=2
	ds_load_b64 v[3:4], v7
.LBB112_135:                            ;   in Loop: Header=BB112_133 Depth=2
	s_or_b32 exec_lo, exec_lo, s7
	s_and_saveexec_b32 s7, vcc_lo
	s_cbranch_execz .LBB112_132
; %bb.136:                              ;   in Loop: Header=BB112_133 Depth=2
	s_waitcnt lgkmcnt(0)
	v_cmp_o_f64_e32 vcc_lo, v[3:4], v[3:4]
	v_ashrrev_i32_e32 v1, 31, v4
	s_delay_alu instid0(VALU_DEP_1) | instskip(SKIP_1) | instid1(VALU_DEP_2)
	v_or_b32_e32 v5, 0x80000000, v1
	v_xor_b32_e32 v1, v1, v3
	v_xor_b32_e32 v5, v5, v4
	s_delay_alu instid0(VALU_DEP_1) | instskip(NEXT) | instid1(VALU_DEP_3)
	v_cndmask_b32_e32 v5, -1, v5, vcc_lo
	v_cndmask_b32_e32 v1, -1, v1, vcc_lo
	s_delay_alu instid0(VALU_DEP_2) | instskip(NEXT) | instid1(VALU_DEP_2)
	v_and_b32_e32 v6, s43, v5
	v_and_b32_e32 v5, s42, v1
	s_delay_alu instid0(VALU_DEP_1)
	v_cmp_eq_u64_e32 vcc_lo, s[40:41], v[5:6]
	s_and_b32 exec_lo, exec_lo, vcc_lo
	s_cbranch_execz .LBB112_132
; %bb.137:                              ;   in Loop: Header=BB112_133 Depth=2
	v_mov_b32_e32 v1, v13
	ds_store_b128 v13, v[1:4] offset:3072
	s_branch .LBB112_132
.LBB112_138:                            ;   in Loop: Header=BB112_21 Depth=1
                                        ; implicit-def: $sgpr21
                                        ; implicit-def: $sgpr23
                                        ; implicit-def: $sgpr20
	s_branch .LBB112_155
.LBB112_139:                            ;   in Loop: Header=BB112_21 Depth=1
	s_or_b32 exec_lo, exec_lo, s9
	s_waitcnt vmcnt(0) lgkmcnt(0)
	s_barrier
	buffer_gl0_inv
	s_and_saveexec_b32 s7, s0
	s_cbranch_execz .LBB112_141
; %bb.140:                              ;   in Loop: Header=BB112_21 Depth=1
	ds_load_b32 v1, v13 offset:4112
	s_waitcnt lgkmcnt(0)
	ds_store_b32 v13, v1 offset:4104
.LBB112_141:                            ;   in Loop: Header=BB112_21 Depth=1
	s_or_b32 exec_lo, exec_lo, s7
	s_waitcnt lgkmcnt(0)
	s_mov_b32 s7, -1
	s_barrier
	s_and_b32 vcc_lo, exec_lo, s73
	s_cbranch_vccnz .LBB112_39
	s_branch .LBB112_49
.LBB112_142:                            ;   in Loop: Header=BB112_21 Depth=1
	s_mov_b32 s21, -1
	s_mov_b32 s14, 0
                                        ; implicit-def: $sgpr20
                                        ; implicit-def: $vgpr5_vgpr6
	s_mov_b32 s23, s21
	s_cbranch_execnz .LBB112_145
	s_branch .LBB112_155
.LBB112_143:                            ;   in Loop: Header=BB112_21 Depth=1
	s_set_inst_prefetch_distance 0x2
	s_or_b32 exec_lo, exec_lo, s21
	s_delay_alu instid0(SALU_CYCLE_1)
	s_and_b32 s14, s14, exec_lo
.LBB112_144:                            ;   in Loop: Header=BB112_21 Depth=1
	s_or_b32 exec_lo, exec_lo, s15
	s_mov_b32 s20, -1
	s_mov_b32 s21, 0
	s_delay_alu instid0(SALU_CYCLE_1)
	s_mov_b32 s23, s21
	s_branch .LBB112_155
.LBB112_145:                            ;   in Loop: Header=BB112_21 Depth=1
	s_mov_b32 s14, 0
                                        ; implicit-def: $vgpr5_vgpr6
	s_and_saveexec_b32 s13, s6
	s_cbranch_execz .LBB112_154
; %bb.146:                              ;   in Loop: Header=BB112_21 Depth=1
	v_dual_mov_b32 v12, v11 :: v_dual_mov_b32 v7, v0
	s_mov_b32 s15, 0
                                        ; implicit-def: $sgpr14
	s_branch .LBB112_148
.LBB112_147:                            ;   in Loop: Header=BB112_148 Depth=2
	s_or_b32 exec_lo, exec_lo, s7
	s_waitcnt vmcnt(0) lgkmcnt(0)
	s_barrier
	buffer_gl0_inv
	ds_load_b128 v[3:6], v13 offset:3072
	v_add_nc_u32_e32 v7, s31, v7
	v_add_nc_u32_e32 v12, s47, v12
	s_waitcnt lgkmcnt(0)
	s_barrier
	buffer_gl0_inv
	v_cmp_le_u32_e64 s7, s61, v7
	v_cmp_neq_f64_e32 vcc_lo, 0, v[3:4]
	s_delay_alu instid0(VALU_DEP_2) | instskip(NEXT) | instid1(SALU_CYCLE_1)
	s_or_b32 s7, s7, vcc_lo
	s_and_b32 s7, exec_lo, s7
	s_delay_alu instid0(SALU_CYCLE_1) | instskip(SKIP_2) | instid1(SALU_CYCLE_1)
	s_or_b32 s15, s7, s15
	s_and_not1_b32 s7, s14, exec_lo
	s_and_b32 s14, vcc_lo, exec_lo
	s_or_b32 s14, s7, s14
	s_and_not1_b32 exec_lo, exec_lo, s15
	s_cbranch_execz .LBB112_153
.LBB112_148:                            ;   Parent Loop BB112_21 Depth=1
                                        ; =>  This Inner Loop Header: Depth=2
	v_mov_b32_e32 v3, 0
	v_mov_b32_e32 v4, 0
	v_cmp_gt_u32_e32 vcc_lo, s28, v7
	s_and_saveexec_b32 s20, vcc_lo
	s_cbranch_execz .LBB112_150
; %bb.149:                              ;   in Loop: Header=BB112_148 Depth=2
	v_lshlrev_b64 v[3:4], 3, v[12:13]
	s_delay_alu instid0(VALU_DEP_1) | instskip(NEXT) | instid1(VALU_DEP_1)
	v_add_co_u32 v3, s7, s29, v3
	v_add_co_ci_u32_e64 v4, s7, s33, v4, s7
	global_load_b64 v[3:4], v[3:4], off
.LBB112_150:                            ;   in Loop: Header=BB112_148 Depth=2
	s_or_b32 exec_lo, exec_lo, s20
	s_and_saveexec_b32 s7, vcc_lo
	s_cbranch_execz .LBB112_147
; %bb.151:                              ;   in Loop: Header=BB112_148 Depth=2
	s_waitcnt vmcnt(0)
	v_cmp_o_f64_e32 vcc_lo, v[3:4], v[3:4]
	v_ashrrev_i32_e32 v1, 31, v4
	s_delay_alu instid0(VALU_DEP_1) | instskip(SKIP_1) | instid1(VALU_DEP_2)
	v_or_b32_e32 v5, 0x80000000, v1
	v_xor_b32_e32 v1, v1, v3
	v_xor_b32_e32 v5, v5, v4
	s_delay_alu instid0(VALU_DEP_1) | instskip(NEXT) | instid1(VALU_DEP_3)
	v_cndmask_b32_e32 v5, -1, v5, vcc_lo
	v_cndmask_b32_e32 v1, -1, v1, vcc_lo
	s_delay_alu instid0(VALU_DEP_2) | instskip(NEXT) | instid1(VALU_DEP_2)
	v_and_b32_e32 v6, s43, v5
	v_and_b32_e32 v5, s42, v1
	s_delay_alu instid0(VALU_DEP_1)
	v_cmp_eq_u64_e32 vcc_lo, s[40:41], v[5:6]
	s_and_b32 exec_lo, exec_lo, vcc_lo
	s_cbranch_execz .LBB112_147
; %bb.152:                              ;   in Loop: Header=BB112_148 Depth=2
	v_mov_b32_e32 v1, v13
	ds_store_b128 v13, v[1:4] offset:3072
	s_branch .LBB112_147
.LBB112_153:                            ;   in Loop: Header=BB112_21 Depth=1
	s_or_b32 exec_lo, exec_lo, s15
	s_delay_alu instid0(SALU_CYCLE_1)
	s_and_b32 s14, s14, exec_lo
.LBB112_154:                            ;   in Loop: Header=BB112_21 Depth=1
	s_or_b32 exec_lo, exec_lo, s13
	s_mov_b32 s23, -1
	s_mov_b32 s21, 0
	s_mov_b32 s20, 0
.LBB112_155:                            ;   in Loop: Header=BB112_21 Depth=1
	s_mov_b32 s13, 0
                                        ; implicit-def: $sgpr7
	s_and_saveexec_b32 s24, s14
	s_cbranch_execz .LBB112_251
; %bb.156:                              ;   in Loop: Header=BB112_21 Depth=1
	s_xor_b32 s7, s12, -1
	s_mov_b32 s72, 0
	s_and_not1_b32 vcc_lo, exec_lo, s7
	s_mov_b32 s74, 1
	s_cbranch_vccnz .LBB112_167
; %bb.157:                              ;   in Loop: Header=BB112_21 Depth=1
	s_cmp_gt_u32 s26, s25
	s_mov_b32 s72, -1
                                        ; implicit-def: $sgpr7
                                        ; implicit-def: $sgpr12_sgpr13
                                        ; implicit-def: $sgpr14_sgpr15
	s_cbranch_scc1 .LBB112_163
; %bb.158:                              ;   in Loop: Header=BB112_21 Depth=1
	ds_load_b32 v1, v13 offset:4104
	s_waitcnt lgkmcnt(0)
	v_cmp_ne_u32_e32 vcc_lo, 0, v1
	s_cbranch_vccnz .LBB112_162
; %bb.159:                              ;   in Loop: Header=BB112_21 Depth=1
	s_and_saveexec_b32 s7, s0
	s_cbranch_execz .LBB112_161
; %bb.160:                              ;   in Loop: Header=BB112_21 Depth=1
	v_mov_b32_e32 v1, s25
	ds_store_b32 v13, v1 offset:4108
.LBB112_161:                            ;   in Loop: Header=BB112_21 Depth=1
	s_or_b32 exec_lo, exec_lo, s7
	s_waitcnt lgkmcnt(0)
	s_barrier
	buffer_gl0_inv
.LBB112_162:                            ;   in Loop: Header=BB112_21 Depth=1
	s_lshl_b64 s[12:13], 1, s22
	s_and_b64 s[14:15], s[40:41], s[10:11]
	s_mov_b32 s72, 0
	s_or_b64 s[12:13], s[14:15], s[12:13]
	s_or_b64 s[14:15], s[42:43], s[8:9]
	s_mov_b32 s7, 8
.LBB112_163:                            ;   in Loop: Header=BB112_21 Depth=1
	s_and_not1_b32 vcc_lo, exec_lo, s72
	s_cbranch_vccnz .LBB112_165
; %bb.164:                              ;   in Loop: Header=BB112_21 Depth=1
	s_sub_i32 s26, s26, s25
	s_mov_b32 s72, -1
	s_mov_b32 s7, 0
	s_mov_b64 s[12:13], s[40:41]
	s_mov_b64 s[14:15], s[42:43]
.LBB112_165:                            ;   in Loop: Header=BB112_21 Depth=1
	s_delay_alu instid0(SALU_CYCLE_1)
	s_mov_b64 s[42:43], s[14:15]
	s_mov_b64 s[40:41], s[12:13]
	s_mov_b32 s74, s26
	s_and_not1_b32 vcc_lo, exec_lo, s72
	s_mov_b32 s13, -1
	s_cbranch_vccz .LBB112_168
.LBB112_166:                            ;   in Loop: Header=BB112_21 Depth=1
                                        ; implicit-def: $sgpr26
                                        ; implicit-def: $sgpr72
                                        ; implicit-def: $sgpr25
	s_branch .LBB112_250
.LBB112_167:                            ;   in Loop: Header=BB112_21 Depth=1
	s_mov_b32 s7, 1
	s_and_not1_b32 vcc_lo, exec_lo, s72
	s_mov_b32 s13, -1
	s_cbranch_vccnz .LBB112_166
.LBB112_168:                            ;   in Loop: Header=BB112_21 Depth=1
	s_cmp_eq_u32 s19, 1
	s_mov_b32 s14, -1
	s_cselect_b32 s7, -1, 0
	s_cmp_eq_u32 s74, 1
	s_cselect_b32 s12, -1, 0
	s_delay_alu instid0(SALU_CYCLE_1) | instskip(NEXT) | instid1(SALU_CYCLE_1)
	s_and_b32 s12, s7, s12
	s_and_b32 vcc_lo, exec_lo, s12
	s_cbranch_vccz .LBB112_180
; %bb.169:                              ;   in Loop: Header=BB112_21 Depth=1
	ds_load_b32 v1, v13 offset:4104
	s_waitcnt lgkmcnt(0)
	s_barrier
	buffer_gl0_inv
	v_readfirstlane_b32 s13, v1
	s_and_saveexec_b32 s7, s1
	s_cbranch_execz .LBB112_171
; %bb.170:                              ;   in Loop: Header=BB112_21 Depth=1
	v_mov_b32_e32 v12, v13
	ds_store_b64 v26, v[12:13]
.LBB112_171:                            ;   in Loop: Header=BB112_21 Depth=1
	s_or_b32 exec_lo, exec_lo, s7
	s_lshl_b64 s[14:15], 2, s22
	s_and_b64 s[40:41], s[40:41], s[10:11]
	s_or_b64 s[42:43], s[42:43], s[8:9]
	s_or_b64 s[40:41], s[40:41], s[14:15]
	s_cmp_eq_u32 s13, 0
	s_waitcnt lgkmcnt(0)
	s_barrier
	buffer_gl0_inv
	s_cbranch_scc1 .LBB112_181
; %bb.172:                              ;   in Loop: Header=BB112_21 Depth=1
	s_add_i32 s7, s13, s50
                                        ; implicit-def: $vgpr5_vgpr6
	s_delay_alu instid0(SALU_CYCLE_1) | instskip(NEXT) | instid1(SALU_CYCLE_1)
	s_mul_hi_u32 s14, s7, s59
	s_mul_i32 s14, s14, s31
	s_delay_alu instid0(SALU_CYCLE_1) | instskip(NEXT) | instid1(SALU_CYCLE_1)
	s_sub_i32 s14, s7, s14
	s_sub_i32 s15, s14, s31
	s_cmp_ge_u32 s14, s31
	s_cselect_b32 s14, s15, s14
	s_delay_alu instid0(SALU_CYCLE_1)
	s_sub_i32 s15, s14, s31
	s_cmp_ge_u32 s14, s31
	s_cselect_b32 s14, s15, s14
	s_mov_b32 s15, exec_lo
	s_sub_i32 s25, s7, s14
	s_mov_b32 s14, 0
	v_cmpx_gt_u32_e64 s25, v0
	s_cbranch_execz .LBB112_183
; %bb.173:                              ;   in Loop: Header=BB112_21 Depth=1
	v_dual_mov_b32 v7, v25 :: v_dual_mov_b32 v8, v0
	s_mov_b32 s26, 0
                                        ; implicit-def: $sgpr14
	s_set_inst_prefetch_distance 0x1
	s_branch .LBB112_175
	.p2align	6
.LBB112_174:                            ;   in Loop: Header=BB112_175 Depth=2
	s_or_b32 exec_lo, exec_lo, s7
	s_waitcnt lgkmcnt(0)
	s_barrier
	buffer_gl0_inv
	ds_load_b128 v[3:6], v13 offset:3072
	v_add_nc_u32_e32 v8, s31, v8
	v_add_nc_u32_e32 v7, s63, v7
	s_waitcnt lgkmcnt(0)
	s_barrier
	buffer_gl0_inv
	v_cmp_le_u32_e64 s7, s25, v8
	v_cmp_neq_f64_e32 vcc_lo, 0, v[3:4]
	s_delay_alu instid0(VALU_DEP_2) | instskip(NEXT) | instid1(SALU_CYCLE_1)
	s_or_b32 s7, s7, vcc_lo
	s_and_b32 s7, exec_lo, s7
	s_delay_alu instid0(SALU_CYCLE_1) | instskip(SKIP_2) | instid1(SALU_CYCLE_1)
	s_or_b32 s26, s7, s26
	s_and_not1_b32 s7, s14, exec_lo
	s_and_b32 s14, vcc_lo, exec_lo
	s_or_b32 s14, s7, s14
	s_and_not1_b32 exec_lo, exec_lo, s26
	s_cbranch_execz .LBB112_182
.LBB112_175:                            ;   Parent Loop BB112_21 Depth=1
                                        ; =>  This Inner Loop Header: Depth=2
	v_mov_b32_e32 v3, 0
	v_mov_b32_e32 v4, 0
	v_cmp_gt_u32_e32 vcc_lo, s13, v8
	s_and_saveexec_b32 s7, vcc_lo
	s_cbranch_execz .LBB112_177
; %bb.176:                              ;   in Loop: Header=BB112_175 Depth=2
	ds_load_b64 v[3:4], v7
.LBB112_177:                            ;   in Loop: Header=BB112_175 Depth=2
	s_or_b32 exec_lo, exec_lo, s7
	s_and_saveexec_b32 s7, vcc_lo
	s_cbranch_execz .LBB112_174
; %bb.178:                              ;   in Loop: Header=BB112_175 Depth=2
	s_waitcnt lgkmcnt(0)
	v_cmp_o_f64_e32 vcc_lo, v[3:4], v[3:4]
	v_ashrrev_i32_e32 v1, 31, v4
	s_delay_alu instid0(VALU_DEP_1) | instskip(SKIP_1) | instid1(VALU_DEP_2)
	v_or_b32_e32 v5, 0x80000000, v1
	v_xor_b32_e32 v1, v1, v3
	v_xor_b32_e32 v5, v5, v4
	s_delay_alu instid0(VALU_DEP_1) | instskip(NEXT) | instid1(VALU_DEP_3)
	v_cndmask_b32_e32 v5, -1, v5, vcc_lo
	v_cndmask_b32_e32 v1, -1, v1, vcc_lo
	s_delay_alu instid0(VALU_DEP_2) | instskip(NEXT) | instid1(VALU_DEP_2)
	v_and_b32_e32 v6, s43, v5
	v_and_b32_e32 v5, s42, v1
	s_delay_alu instid0(VALU_DEP_1)
	v_cmp_eq_u64_e32 vcc_lo, s[40:41], v[5:6]
	s_and_b32 exec_lo, exec_lo, vcc_lo
	s_cbranch_execz .LBB112_174
; %bb.179:                              ;   in Loop: Header=BB112_175 Depth=2
	v_mov_b32_e32 v1, v13
	ds_store_b128 v13, v[1:4] offset:3072
	s_branch .LBB112_174
.LBB112_180:                            ;   in Loop: Header=BB112_21 Depth=1
                                        ; implicit-def: $sgpr25
                                        ; implicit-def: $sgpr72
                                        ; implicit-def: $sgpr26
	s_branch .LBB112_194
.LBB112_181:                            ;   in Loop: Header=BB112_21 Depth=1
	s_mov_b32 s25, -1
	s_mov_b32 s14, 0
                                        ; implicit-def: $sgpr26
                                        ; implicit-def: $vgpr5_vgpr6
	s_mov_b32 s72, s25
	s_cbranch_execnz .LBB112_184
	s_branch .LBB112_194
.LBB112_182:                            ;   in Loop: Header=BB112_21 Depth=1
	s_set_inst_prefetch_distance 0x2
	s_or_b32 exec_lo, exec_lo, s26
	s_delay_alu instid0(SALU_CYCLE_1)
	s_and_b32 s14, s14, exec_lo
.LBB112_183:                            ;   in Loop: Header=BB112_21 Depth=1
	s_or_b32 exec_lo, exec_lo, s15
	s_mov_b32 s26, -1
	s_mov_b32 s25, 0
	s_delay_alu instid0(SALU_CYCLE_1)
	s_mov_b32 s72, s25
	s_branch .LBB112_194
.LBB112_184:                            ;   in Loop: Header=BB112_21 Depth=1
	s_mov_b32 s14, 0
                                        ; implicit-def: $vgpr5_vgpr6
	s_and_saveexec_b32 s13, s6
	s_cbranch_execz .LBB112_193
; %bb.185:                              ;   in Loop: Header=BB112_21 Depth=1
	v_dual_mov_b32 v12, v11 :: v_dual_mov_b32 v7, v0
	s_mov_b32 s15, 0
                                        ; implicit-def: $sgpr14
	s_branch .LBB112_187
.LBB112_186:                            ;   in Loop: Header=BB112_187 Depth=2
	s_or_b32 exec_lo, exec_lo, s7
	s_waitcnt vmcnt(0) lgkmcnt(0)
	s_barrier
	buffer_gl0_inv
	ds_load_b128 v[3:6], v13 offset:3072
	v_add_nc_u32_e32 v7, s31, v7
	v_add_nc_u32_e32 v12, s47, v12
	s_waitcnt lgkmcnt(0)
	s_barrier
	buffer_gl0_inv
	v_cmp_le_u32_e64 s7, s61, v7
	v_cmp_neq_f64_e32 vcc_lo, 0, v[3:4]
	s_delay_alu instid0(VALU_DEP_2) | instskip(NEXT) | instid1(SALU_CYCLE_1)
	s_or_b32 s7, s7, vcc_lo
	s_and_b32 s7, exec_lo, s7
	s_delay_alu instid0(SALU_CYCLE_1) | instskip(SKIP_2) | instid1(SALU_CYCLE_1)
	s_or_b32 s15, s7, s15
	s_and_not1_b32 s7, s14, exec_lo
	s_and_b32 s14, vcc_lo, exec_lo
	s_or_b32 s14, s7, s14
	s_and_not1_b32 exec_lo, exec_lo, s15
	s_cbranch_execz .LBB112_192
.LBB112_187:                            ;   Parent Loop BB112_21 Depth=1
                                        ; =>  This Inner Loop Header: Depth=2
	v_mov_b32_e32 v3, 0
	v_mov_b32_e32 v4, 0
	v_cmp_gt_u32_e32 vcc_lo, s28, v7
	s_and_saveexec_b32 s25, vcc_lo
	s_cbranch_execz .LBB112_189
; %bb.188:                              ;   in Loop: Header=BB112_187 Depth=2
	v_lshlrev_b64 v[3:4], 3, v[12:13]
	s_delay_alu instid0(VALU_DEP_1) | instskip(NEXT) | instid1(VALU_DEP_1)
	v_add_co_u32 v3, s7, s29, v3
	v_add_co_ci_u32_e64 v4, s7, s33, v4, s7
	global_load_b64 v[3:4], v[3:4], off
.LBB112_189:                            ;   in Loop: Header=BB112_187 Depth=2
	s_or_b32 exec_lo, exec_lo, s25
	s_and_saveexec_b32 s7, vcc_lo
	s_cbranch_execz .LBB112_186
; %bb.190:                              ;   in Loop: Header=BB112_187 Depth=2
	s_waitcnt vmcnt(0)
	v_cmp_o_f64_e32 vcc_lo, v[3:4], v[3:4]
	v_ashrrev_i32_e32 v1, 31, v4
	s_delay_alu instid0(VALU_DEP_1) | instskip(SKIP_1) | instid1(VALU_DEP_2)
	v_or_b32_e32 v5, 0x80000000, v1
	v_xor_b32_e32 v1, v1, v3
	v_xor_b32_e32 v5, v5, v4
	s_delay_alu instid0(VALU_DEP_1) | instskip(NEXT) | instid1(VALU_DEP_3)
	v_cndmask_b32_e32 v5, -1, v5, vcc_lo
	v_cndmask_b32_e32 v1, -1, v1, vcc_lo
	s_delay_alu instid0(VALU_DEP_2) | instskip(NEXT) | instid1(VALU_DEP_2)
	v_and_b32_e32 v6, s43, v5
	v_and_b32_e32 v5, s42, v1
	s_delay_alu instid0(VALU_DEP_1)
	v_cmp_eq_u64_e32 vcc_lo, s[40:41], v[5:6]
	s_and_b32 exec_lo, exec_lo, vcc_lo
	s_cbranch_execz .LBB112_186
; %bb.191:                              ;   in Loop: Header=BB112_187 Depth=2
	v_mov_b32_e32 v1, v13
	ds_store_b128 v13, v[1:4] offset:3072
	s_branch .LBB112_186
.LBB112_192:                            ;   in Loop: Header=BB112_21 Depth=1
	s_or_b32 exec_lo, exec_lo, s15
	s_delay_alu instid0(SALU_CYCLE_1)
	s_and_b32 s14, s14, exec_lo
.LBB112_193:                            ;   in Loop: Header=BB112_21 Depth=1
	s_or_b32 exec_lo, exec_lo, s13
	s_mov_b32 s72, -1
	s_mov_b32 s25, 0
	s_mov_b32 s26, 0
.LBB112_194:                            ;   in Loop: Header=BB112_21 Depth=1
	s_mov_b32 s13, 0
                                        ; implicit-def: $sgpr7
	s_and_saveexec_b32 s73, s14
	s_cbranch_execz .LBB112_249
; %bb.195:                              ;   in Loop: Header=BB112_21 Depth=1
	s_xor_b32 s7, s12, -1
	s_mov_b32 s75, 0
	s_and_not1_b32 vcc_lo, exec_lo, s7
	s_mov_b32 s12, 1
	s_cbranch_vccnz .LBB112_206
; %bb.196:                              ;   in Loop: Header=BB112_21 Depth=1
	s_cmp_gt_u32 s74, s19
	s_mov_b32 s75, -1
                                        ; implicit-def: $sgpr7
                                        ; implicit-def: $sgpr12_sgpr13
                                        ; implicit-def: $sgpr14_sgpr15
	s_cbranch_scc1 .LBB112_202
; %bb.197:                              ;   in Loop: Header=BB112_21 Depth=1
	ds_load_b32 v1, v13 offset:4104
	s_waitcnt lgkmcnt(0)
	v_cmp_ne_u32_e32 vcc_lo, 0, v1
	s_cbranch_vccnz .LBB112_201
; %bb.198:                              ;   in Loop: Header=BB112_21 Depth=1
	s_and_saveexec_b32 s7, s0
	s_cbranch_execz .LBB112_200
; %bb.199:                              ;   in Loop: Header=BB112_21 Depth=1
	v_mov_b32_e32 v1, s19
	ds_store_b32 v13, v1 offset:4108
.LBB112_200:                            ;   in Loop: Header=BB112_21 Depth=1
	s_or_b32 exec_lo, exec_lo, s7
	s_waitcnt lgkmcnt(0)
	s_barrier
	buffer_gl0_inv
.LBB112_201:                            ;   in Loop: Header=BB112_21 Depth=1
	s_lshl_b64 s[12:13], 2, s22
	s_and_b64 s[10:11], s[40:41], s[10:11]
	s_or_b64 s[14:15], s[42:43], s[8:9]
	s_or_b64 s[12:13], s[10:11], s[12:13]
	s_mov_b32 s75, 0
	s_mov_b32 s7, 8
.LBB112_202:                            ;   in Loop: Header=BB112_21 Depth=1
	s_and_not1_b32 vcc_lo, exec_lo, s75
	s_cbranch_vccnz .LBB112_204
; %bb.203:                              ;   in Loop: Header=BB112_21 Depth=1
	s_sub_i32 s74, s74, s19
	s_mov_b32 s75, -1
	s_mov_b32 s7, 0
	s_mov_b64 s[12:13], s[40:41]
	s_mov_b64 s[14:15], s[42:43]
.LBB112_204:                            ;   in Loop: Header=BB112_21 Depth=1
	s_delay_alu instid0(SALU_CYCLE_1)
	s_mov_b64 s[42:43], s[14:15]
	s_mov_b64 s[40:41], s[12:13]
	s_mov_b32 s12, s74
	s_and_not1_b32 vcc_lo, exec_lo, s75
	s_mov_b32 s11, -1
	s_cbranch_vccz .LBB112_207
.LBB112_205:                            ;   in Loop: Header=BB112_21 Depth=1
                                        ; implicit-def: $sgpr13
                                        ; implicit-def: $sgpr15
                                        ; implicit-def: $sgpr14
	s_branch .LBB112_248
.LBB112_206:                            ;   in Loop: Header=BB112_21 Depth=1
	s_mov_b32 s7, 1
	s_and_not1_b32 vcc_lo, exec_lo, s75
	s_mov_b32 s11, -1
	s_cbranch_vccnz .LBB112_205
.LBB112_207:                            ;   in Loop: Header=BB112_21 Depth=1
	s_cmp_eq_u32 s16, 1
	s_mov_b32 s19, -1
	s_cselect_b32 s7, -1, 0
	s_cmp_eq_u32 s12, 1
	s_cselect_b32 s10, -1, 0
	s_delay_alu instid0(SALU_CYCLE_1) | instskip(NEXT) | instid1(SALU_CYCLE_1)
	s_and_b32 s10, s7, s10
	s_and_b32 vcc_lo, exec_lo, s10
	s_cbranch_vccz .LBB112_219
; %bb.208:                              ;   in Loop: Header=BB112_21 Depth=1
	ds_load_b32 v1, v13 offset:4104
	s_waitcnt lgkmcnt(0)
	s_barrier
	buffer_gl0_inv
	v_readfirstlane_b32 s11, v1
	s_and_saveexec_b32 s7, s1
	s_cbranch_execz .LBB112_210
; %bb.209:                              ;   in Loop: Header=BB112_21 Depth=1
	v_mov_b32_e32 v12, v13
	ds_store_b64 v26, v[12:13]
.LBB112_210:                            ;   in Loop: Header=BB112_21 Depth=1
	s_or_b32 exec_lo, exec_lo, s7
	s_or_b64 s[40:41], s[40:41], s[8:9]
	s_or_b64 s[42:43], s[42:43], s[8:9]
	s_cmp_eq_u32 s11, 0
	s_waitcnt lgkmcnt(0)
	s_barrier
	buffer_gl0_inv
	s_cbranch_scc1 .LBB112_220
; %bb.211:                              ;   in Loop: Header=BB112_21 Depth=1
	s_add_i32 s7, s11, s50
	s_mov_b32 s19, 0
	s_mul_hi_u32 s13, s7, s59
                                        ; implicit-def: $vgpr5_vgpr6
	s_delay_alu instid0(SALU_CYCLE_1) | instskip(NEXT) | instid1(SALU_CYCLE_1)
	s_mul_i32 s13, s13, s31
	s_sub_i32 s13, s7, s13
	s_delay_alu instid0(SALU_CYCLE_1) | instskip(SKIP_2) | instid1(SALU_CYCLE_1)
	s_sub_i32 s14, s13, s31
	s_cmp_ge_u32 s13, s31
	s_cselect_b32 s13, s14, s13
	s_sub_i32 s14, s13, s31
	s_cmp_ge_u32 s13, s31
	s_cselect_b32 s13, s14, s13
	s_delay_alu instid0(SALU_CYCLE_1)
	s_sub_i32 s14, s7, s13
	s_mov_b32 s13, exec_lo
	v_cmpx_gt_u32_e64 s14, v0
	s_cbranch_execz .LBB112_222
; %bb.212:                              ;   in Loop: Header=BB112_21 Depth=1
	v_dual_mov_b32 v7, v25 :: v_dual_mov_b32 v8, v0
                                        ; implicit-def: $sgpr15
	s_set_inst_prefetch_distance 0x1
	s_branch .LBB112_214
	.p2align	6
.LBB112_213:                            ;   in Loop: Header=BB112_214 Depth=2
	s_or_b32 exec_lo, exec_lo, s7
	s_waitcnt lgkmcnt(0)
	s_barrier
	buffer_gl0_inv
	ds_load_b128 v[3:6], v13 offset:3072
	v_add_nc_u32_e32 v8, s31, v8
	v_add_nc_u32_e32 v7, s63, v7
	s_waitcnt lgkmcnt(0)
	s_barrier
	buffer_gl0_inv
	v_cmp_le_u32_e64 s7, s14, v8
	v_cmp_neq_f64_e32 vcc_lo, 0, v[3:4]
	s_delay_alu instid0(VALU_DEP_2) | instskip(NEXT) | instid1(SALU_CYCLE_1)
	s_or_b32 s7, s7, vcc_lo
	s_and_b32 s7, exec_lo, s7
	s_delay_alu instid0(SALU_CYCLE_1) | instskip(SKIP_2) | instid1(SALU_CYCLE_1)
	s_or_b32 s19, s7, s19
	s_and_not1_b32 s7, s15, exec_lo
	s_and_b32 s15, vcc_lo, exec_lo
	s_or_b32 s15, s7, s15
	s_and_not1_b32 exec_lo, exec_lo, s19
	s_cbranch_execz .LBB112_221
.LBB112_214:                            ;   Parent Loop BB112_21 Depth=1
                                        ; =>  This Inner Loop Header: Depth=2
	v_mov_b32_e32 v3, 0
	v_mov_b32_e32 v4, 0
	v_cmp_gt_u32_e32 vcc_lo, s11, v8
	s_and_saveexec_b32 s7, vcc_lo
	s_cbranch_execz .LBB112_216
; %bb.215:                              ;   in Loop: Header=BB112_214 Depth=2
	ds_load_b64 v[3:4], v7
.LBB112_216:                            ;   in Loop: Header=BB112_214 Depth=2
	s_or_b32 exec_lo, exec_lo, s7
	s_and_saveexec_b32 s7, vcc_lo
	s_cbranch_execz .LBB112_213
; %bb.217:                              ;   in Loop: Header=BB112_214 Depth=2
	s_waitcnt lgkmcnt(0)
	v_cmp_o_f64_e32 vcc_lo, v[3:4], v[3:4]
	v_ashrrev_i32_e32 v1, 31, v4
	s_delay_alu instid0(VALU_DEP_1) | instskip(SKIP_1) | instid1(VALU_DEP_2)
	v_or_b32_e32 v5, 0x80000000, v1
	v_xor_b32_e32 v1, v1, v3
	v_xor_b32_e32 v5, v5, v4
	s_delay_alu instid0(VALU_DEP_1) | instskip(NEXT) | instid1(VALU_DEP_3)
	v_cndmask_b32_e32 v5, -1, v5, vcc_lo
	v_cndmask_b32_e32 v1, -1, v1, vcc_lo
	s_delay_alu instid0(VALU_DEP_2) | instskip(NEXT) | instid1(VALU_DEP_2)
	v_and_b32_e32 v6, s43, v5
	v_and_b32_e32 v5, s42, v1
	s_delay_alu instid0(VALU_DEP_1)
	v_cmp_eq_u64_e32 vcc_lo, s[40:41], v[5:6]
	s_and_b32 exec_lo, exec_lo, vcc_lo
	s_cbranch_execz .LBB112_213
; %bb.218:                              ;   in Loop: Header=BB112_214 Depth=2
	v_mov_b32_e32 v1, v13
	ds_store_b128 v13, v[1:4] offset:3072
	s_branch .LBB112_213
.LBB112_219:                            ;   in Loop: Header=BB112_21 Depth=1
                                        ; implicit-def: $sgpr13
                                        ; implicit-def: $sgpr15
                                        ; implicit-def: $sgpr14
	s_branch .LBB112_233
.LBB112_220:                            ;   in Loop: Header=BB112_21 Depth=1
	s_mov_b32 s13, -1
	s_mov_b32 s19, 0
                                        ; implicit-def: $sgpr14
                                        ; implicit-def: $vgpr5_vgpr6
	s_mov_b32 s15, s13
	s_cbranch_execnz .LBB112_223
	s_branch .LBB112_233
.LBB112_221:                            ;   in Loop: Header=BB112_21 Depth=1
	s_set_inst_prefetch_distance 0x2
	s_or_b32 exec_lo, exec_lo, s19
	s_delay_alu instid0(SALU_CYCLE_1)
	s_and_b32 s19, s15, exec_lo
.LBB112_222:                            ;   in Loop: Header=BB112_21 Depth=1
	s_or_b32 exec_lo, exec_lo, s13
	s_mov_b32 s14, -1
	s_mov_b32 s13, 0
	s_delay_alu instid0(SALU_CYCLE_1)
	s_mov_b32 s15, s13
	s_branch .LBB112_233
.LBB112_223:                            ;   in Loop: Header=BB112_21 Depth=1
	s_mov_b32 s19, 0
                                        ; implicit-def: $vgpr5_vgpr6
	s_and_saveexec_b32 s11, s6
	s_cbranch_execz .LBB112_232
; %bb.224:                              ;   in Loop: Header=BB112_21 Depth=1
	v_dual_mov_b32 v12, v11 :: v_dual_mov_b32 v7, v0
	s_mov_b32 s14, 0
                                        ; implicit-def: $sgpr13
	s_branch .LBB112_226
.LBB112_225:                            ;   in Loop: Header=BB112_226 Depth=2
	s_or_b32 exec_lo, exec_lo, s7
	s_waitcnt vmcnt(0) lgkmcnt(0)
	s_barrier
	buffer_gl0_inv
	ds_load_b128 v[3:6], v13 offset:3072
	v_add_nc_u32_e32 v7, s31, v7
	v_add_nc_u32_e32 v12, s47, v12
	s_waitcnt lgkmcnt(0)
	s_barrier
	buffer_gl0_inv
	v_cmp_le_u32_e64 s7, s61, v7
	v_cmp_neq_f64_e32 vcc_lo, 0, v[3:4]
	s_delay_alu instid0(VALU_DEP_2) | instskip(NEXT) | instid1(SALU_CYCLE_1)
	s_or_b32 s7, s7, vcc_lo
	s_and_b32 s7, exec_lo, s7
	s_delay_alu instid0(SALU_CYCLE_1) | instskip(SKIP_2) | instid1(SALU_CYCLE_1)
	s_or_b32 s14, s7, s14
	s_and_not1_b32 s7, s13, exec_lo
	s_and_b32 s13, vcc_lo, exec_lo
	s_or_b32 s13, s7, s13
	s_and_not1_b32 exec_lo, exec_lo, s14
	s_cbranch_execz .LBB112_231
.LBB112_226:                            ;   Parent Loop BB112_21 Depth=1
                                        ; =>  This Inner Loop Header: Depth=2
	v_mov_b32_e32 v3, 0
	v_mov_b32_e32 v4, 0
	v_cmp_gt_u32_e32 vcc_lo, s28, v7
	s_and_saveexec_b32 s15, vcc_lo
	s_cbranch_execz .LBB112_228
; %bb.227:                              ;   in Loop: Header=BB112_226 Depth=2
	v_lshlrev_b64 v[3:4], 3, v[12:13]
	s_delay_alu instid0(VALU_DEP_1) | instskip(NEXT) | instid1(VALU_DEP_1)
	v_add_co_u32 v3, s7, s29, v3
	v_add_co_ci_u32_e64 v4, s7, s33, v4, s7
	global_load_b64 v[3:4], v[3:4], off
.LBB112_228:                            ;   in Loop: Header=BB112_226 Depth=2
	s_or_b32 exec_lo, exec_lo, s15
	s_and_saveexec_b32 s7, vcc_lo
	s_cbranch_execz .LBB112_225
; %bb.229:                              ;   in Loop: Header=BB112_226 Depth=2
	s_waitcnt vmcnt(0)
	v_cmp_o_f64_e32 vcc_lo, v[3:4], v[3:4]
	v_ashrrev_i32_e32 v1, 31, v4
	s_delay_alu instid0(VALU_DEP_1) | instskip(SKIP_1) | instid1(VALU_DEP_2)
	v_or_b32_e32 v5, 0x80000000, v1
	v_xor_b32_e32 v1, v1, v3
	v_xor_b32_e32 v5, v5, v4
	s_delay_alu instid0(VALU_DEP_1) | instskip(NEXT) | instid1(VALU_DEP_3)
	v_cndmask_b32_e32 v5, -1, v5, vcc_lo
	v_cndmask_b32_e32 v1, -1, v1, vcc_lo
	s_delay_alu instid0(VALU_DEP_2) | instskip(NEXT) | instid1(VALU_DEP_2)
	v_and_b32_e32 v6, s43, v5
	v_and_b32_e32 v5, s42, v1
	s_delay_alu instid0(VALU_DEP_1)
	v_cmp_eq_u64_e32 vcc_lo, s[40:41], v[5:6]
	s_and_b32 exec_lo, exec_lo, vcc_lo
	s_cbranch_execz .LBB112_225
; %bb.230:                              ;   in Loop: Header=BB112_226 Depth=2
	v_mov_b32_e32 v1, v13
	ds_store_b128 v13, v[1:4] offset:3072
	s_branch .LBB112_225
.LBB112_231:                            ;   in Loop: Header=BB112_21 Depth=1
	s_or_b32 exec_lo, exec_lo, s14
	s_delay_alu instid0(SALU_CYCLE_1)
	s_and_b32 s19, s13, exec_lo
.LBB112_232:                            ;   in Loop: Header=BB112_21 Depth=1
	s_or_b32 exec_lo, exec_lo, s11
	s_mov_b32 s15, -1
	s_mov_b32 s13, 0
	s_mov_b32 s14, 0
.LBB112_233:                            ;   in Loop: Header=BB112_21 Depth=1
	s_mov_b32 s11, 0
                                        ; implicit-def: $sgpr7
	s_and_saveexec_b32 s22, s19
	s_cbranch_execz .LBB112_247
; %bb.234:                              ;   in Loop: Header=BB112_21 Depth=1
	s_xor_b32 s7, s10, -1
	s_delay_alu instid0(SALU_CYCLE_1)
	s_and_not1_b32 vcc_lo, exec_lo, s7
	s_mov_b32 s7, 1
	s_cbranch_vccnz .LBB112_241
; %bb.235:                              ;   in Loop: Header=BB112_21 Depth=1
	s_cmp_gt_u32 s12, s16
	s_cbranch_scc1 .LBB112_242
; %bb.236:                              ;   in Loop: Header=BB112_21 Depth=1
	ds_load_b32 v1, v13 offset:4104
	s_waitcnt lgkmcnt(0)
	v_cmp_ne_u32_e32 vcc_lo, 0, v1
	s_cbranch_vccnz .LBB112_240
; %bb.237:                              ;   in Loop: Header=BB112_21 Depth=1
	s_and_saveexec_b32 s7, s0
	s_cbranch_execz .LBB112_239
; %bb.238:                              ;   in Loop: Header=BB112_21 Depth=1
	v_mov_b32_e32 v1, s16
	ds_store_b32 v13, v1 offset:4108
.LBB112_239:                            ;   in Loop: Header=BB112_21 Depth=1
	s_or_b32 exec_lo, exec_lo, s7
	s_waitcnt lgkmcnt(0)
	s_barrier
	buffer_gl0_inv
.LBB112_240:                            ;   in Loop: Header=BB112_21 Depth=1
	s_or_b64 s[10:11], s[40:41], s[8:9]
	s_or_b64 s[8:9], s[42:43], s[8:9]
	s_mov_b32 s19, 0
	s_mov_b32 s7, 8
	s_branch .LBB112_243
.LBB112_241:                            ;   in Loop: Header=BB112_21 Depth=1
	s_mov_b32 s12, 1
	s_branch .LBB112_246
.LBB112_242:                            ;   in Loop: Header=BB112_21 Depth=1
	s_mov_b32 s19, -1
                                        ; implicit-def: $sgpr7
                                        ; implicit-def: $sgpr10_sgpr11
                                        ; implicit-def: $sgpr8_sgpr9
.LBB112_243:                            ;   in Loop: Header=BB112_21 Depth=1
	s_delay_alu instid0(SALU_CYCLE_1)
	s_and_not1_b32 vcc_lo, exec_lo, s19
	s_cbranch_vccnz .LBB112_245
; %bb.244:                              ;   in Loop: Header=BB112_21 Depth=1
	s_sub_i32 s12, s12, s16
	s_mov_b32 s7, 8
	s_mov_b64 s[10:11], s[40:41]
	s_mov_b64 s[8:9], s[42:43]
.LBB112_245:                            ;   in Loop: Header=BB112_21 Depth=1
	s_mov_b64 s[40:41], s[10:11]
	s_mov_b64 s[42:43], s[8:9]
.LBB112_246:                            ;   in Loop: Header=BB112_21 Depth=1
	s_mov_b32 s11, exec_lo
.LBB112_247:                            ;   in Loop: Header=BB112_21 Depth=1
	s_or_b32 exec_lo, exec_lo, s22
.LBB112_248:                            ;   in Loop: Header=BB112_21 Depth=1
	s_delay_alu instid0(SALU_CYCLE_1)
	s_and_not1_b32 s8, s25, exec_lo
	s_and_b32 s9, s13, exec_lo
	s_and_not1_b32 s10, s26, exec_lo
	s_or_b32 s25, s8, s9
	s_and_not1_b32 s8, s72, exec_lo
	s_and_b32 s9, s15, exec_lo
	s_and_b32 s13, s14, exec_lo
	s_or_b32 s72, s8, s9
	s_or_b32 s26, s10, s13
	s_and_b32 s13, s11, exec_lo
	s_mov_b32 s74, s12
.LBB112_249:                            ;   in Loop: Header=BB112_21 Depth=1
	s_or_b32 exec_lo, exec_lo, s73
.LBB112_250:                            ;   in Loop: Header=BB112_21 Depth=1
	s_delay_alu instid0(SALU_CYCLE_1)
	s_and_not1_b32 s8, s21, exec_lo
	s_and_b32 s9, s25, exec_lo
	s_and_not1_b32 s10, s20, exec_lo
	s_or_b32 s21, s8, s9
	s_and_not1_b32 s8, s23, exec_lo
	s_and_b32 s9, s72, exec_lo
	s_and_b32 s11, s26, exec_lo
	s_or_b32 s23, s8, s9
	s_or_b32 s20, s10, s11
	s_and_b32 s13, s13, exec_lo
	s_mov_b32 s26, s74
.LBB112_251:                            ;   in Loop: Header=BB112_21 Depth=1
	s_or_b32 exec_lo, exec_lo, s24
                                        ; implicit-def: $sgpr72
	s_and_saveexec_b32 s8, s13
	s_delay_alu instid0(SALU_CYCLE_1)
	s_xor_b32 s8, exec_lo, s8
	s_cbranch_execz .LBB112_19
.LBB112_252:                            ;   in Loop: Header=BB112_21 Depth=1
	s_and_b32 s7, s7, -9
	s_delay_alu instid0(SALU_CYCLE_1)
	s_cmp_eq_u32 s7, 0
	s_cbranch_scc1 .LBB112_17
; %bb.253:                              ;   in Loop: Header=BB112_21 Depth=1
	s_mov_b32 s7, -1
	s_mov_b32 s9, -1
                                        ; implicit-def: $sgpr42_sgpr43
                                        ; implicit-def: $sgpr26
                                        ; implicit-def: $sgpr67
                                        ; implicit-def: $sgpr70
	s_branch .LBB112_18
.LBB112_254:
	s_or_b32 exec_lo, exec_lo, s46
	s_xor_b32 s4, s66, -1
	s_xor_b32 s3, s64, -1
	;; [unrolled: 1-line block ×3, first 2 shown]
	s_mov_b32 s0, 0
	s_and_saveexec_b32 s5, s3
	s_delay_alu instid0(SALU_CYCLE_1)
	s_xor_b32 s3, exec_lo, s5
	s_cbranch_execz .LBB112_268
; %bb.255:
	s_and_saveexec_b32 s0, s4
	s_delay_alu instid0(SALU_CYCLE_1)
	s_xor_b32 s4, exec_lo, s0
	s_cbranch_execz .LBB112_266
; %bb.256:
	s_and_saveexec_b32 s0, s1
	s_delay_alu instid0(SALU_CYCLE_1)
	s_xor_b32 s0, exec_lo, s0
; %bb.257:
	v_lshrrev_b32_e32 v1, 31, v4
	s_delay_alu instid0(VALU_DEP_1) | instskip(NEXT) | instid1(VALU_DEP_1)
	v_add_co_u32 v1, s1, v1, -1
	v_add_co_ci_u32_e64 v2, null, 0, -1, s1
	s_delay_alu instid0(VALU_DEP_2) | instskip(NEXT) | instid1(VALU_DEP_2)
	v_xor_b32_e32 v5, v1, v3
	v_or_b32_e32 v2, 0x80000000, v2
	s_delay_alu instid0(VALU_DEP_1)
	v_xor_b32_e32 v6, v2, v4
; %bb.258:
	s_or_b32 exec_lo, exec_lo, s0
	s_mul_i32 s0, s45, s27
	s_mov_b32 s1, 0
	v_mov_b32_e32 v12, 0
	s_lshl_b64 s[6:7], s[0:1], 3
	s_delay_alu instid0(SALU_CYCLE_1)
	s_add_u32 s6, s36, s6
	s_addc_u32 s7, s37, s7
	global_store_b64 v12, v[5:6], s[6:7]
	s_and_saveexec_b32 s5, s2
	s_cbranch_execz .LBB112_265
; %bb.259:
	v_cmp_u_f64_e32 vcc_lo, v[5:6], v[5:6]
                                        ; implicit-def: $sgpr2
                                        ; implicit-def: $sgpr8
                                        ; implicit-def: $sgpr7
	s_xor_b32 s6, vcc_lo, -1
	s_set_inst_prefetch_distance 0x1
	s_branch .LBB112_261
	.p2align	6
.LBB112_260:                            ;   in Loop: Header=BB112_261 Depth=1
	s_or_b32 exec_lo, exec_lo, s0
	s_delay_alu instid0(SALU_CYCLE_1) | instskip(NEXT) | instid1(SALU_CYCLE_1)
	s_and_b32 s0, exec_lo, s8
	s_or_b32 s1, s0, s1
	s_and_not1_b32 s0, s2, exec_lo
	s_and_b32 s2, s7, exec_lo
	s_delay_alu instid0(SALU_CYCLE_1)
	s_or_b32 s2, s0, s2
	s_and_not1_b32 exec_lo, exec_lo, s1
	s_cbranch_execz .LBB112_263
.LBB112_261:                            ; =>This Inner Loop Header: Depth=1
	v_lshlrev_b64 v[1:2], 3, v[11:12]
	s_or_b32 s7, s7, exec_lo
	s_or_b32 s8, s8, exec_lo
	s_delay_alu instid0(VALU_DEP_1) | instskip(NEXT) | instid1(VALU_DEP_2)
	v_add_co_u32 v1, vcc_lo, s29, v1
	v_add_co_ci_u32_e32 v2, vcc_lo, s33, v2, vcc_lo
	global_load_b64 v[1:2], v[1:2], off
	s_waitcnt vmcnt(0)
	v_cmp_o_f64_e32 vcc_lo, v[1:2], v[1:2]
	v_cmp_neq_f64_e64 s0, v[1:2], v[5:6]
	v_mov_b32_e32 v1, v0
                                        ; implicit-def: $vgpr0
	s_or_b32 s9, vcc_lo, s6
	s_delay_alu instid0(VALU_DEP_2) | instid1(SALU_CYCLE_1)
	s_and_b32 s9, s0, s9
	s_delay_alu instid0(SALU_CYCLE_1)
	s_and_saveexec_b32 s0, s9
	s_cbranch_execz .LBB112_260
; %bb.262:                              ;   in Loop: Header=BB112_261 Depth=1
	v_add_nc_u32_e32 v0, s31, v1
	s_and_not1_b32 s8, s8, exec_lo
	v_add_nc_u32_e32 v11, s47, v11
	s_and_not1_b32 s7, s7, exec_lo
	s_delay_alu instid0(VALU_DEP_2) | instskip(SKIP_1) | instid1(SALU_CYCLE_1)
	v_cmp_le_u32_e32 vcc_lo, s28, v0
	s_and_b32 s9, vcc_lo, exec_lo
	s_or_b32 s8, s8, s9
	s_branch .LBB112_260
.LBB112_263:
	s_set_inst_prefetch_distance 0x2
	s_or_b32 exec_lo, exec_lo, s1
	s_and_saveexec_b32 s0, s2
	s_delay_alu instid0(SALU_CYCLE_1)
	s_xor_b32 s0, exec_lo, s0
	s_cbranch_execz .LBB112_265
; %bb.264:
	s_mul_i32 s0, s44, s27
	s_mov_b32 s1, 0
	v_mov_b32_e32 v2, 0
	s_lshl_b64 s[0:1], s[0:1], 3
	s_delay_alu instid0(SALU_CYCLE_1)
	s_add_u32 s0, s34, s0
	s_addc_u32 s1, s35, s1
	global_store_b64 v2, v[1:2], s[0:1]
.LBB112_265:
	s_or_b32 exec_lo, exec_lo, s5
.LBB112_266:
	s_or_saveexec_b32 s0, s4
	s_mov_b32 s1, 0
	s_xor_b32 exec_lo, exec_lo, s0
	s_cbranch_execnz .LBB112_274
.LBB112_267:
	s_or_b32 exec_lo, exec_lo, s0
	s_delay_alu instid0(SALU_CYCLE_1)
	s_and_b32 s0, s1, exec_lo
.LBB112_268:
	s_and_not1_saveexec_b32 s1, s3
	s_cbranch_execnz .LBB112_272
; %bb.269:
	s_or_b32 exec_lo, exec_lo, s1
	s_and_saveexec_b32 s1, s0
.LBB112_270:
	; divergent unreachable
.LBB112_271:
	s_nop 0
	s_sendmsg sendmsg(MSG_DEALLOC_VGPRS)
	s_endpgm
.LBB112_272:
	s_cbranch_execnz .LBB112_276
; %bb.273:
	s_or_b32 s0, s0, exec_lo
	s_or_b32 exec_lo, exec_lo, s1
	s_and_saveexec_b32 s1, s0
	s_cbranch_execnz .LBB112_270
	s_branch .LBB112_271
.LBB112_274:
	s_cbranch_execnz .LBB112_278
; %bb.275:
	s_mov_b32 s1, exec_lo
	s_branch .LBB112_267
.LBB112_276:
	s_trap 2
	s_sendmsg_rtn_b32 s0, sendmsg(MSG_RTN_GET_DOORBELL)
	s_mov_b32 ttmp2, m0
	s_waitcnt lgkmcnt(0)
	s_and_b32 s0, s0, 0x3ff
	s_delay_alu instid0(SALU_CYCLE_1) | instskip(NEXT) | instid1(SALU_CYCLE_1)
	s_bitset1_b32 s0, 10
	s_mov_b32 m0, s0
	s_sendmsg sendmsg(MSG_INTERRUPT)
	s_mov_b32 m0, ttmp2
.LBB112_277:                            ; =>This Inner Loop Header: Depth=1
	s_sethalt 5
	s_branch .LBB112_277
.LBB112_278:
	s_trap 2
	s_sendmsg_rtn_b32 s0, sendmsg(MSG_RTN_GET_DOORBELL)
	s_mov_b32 ttmp2, m0
	s_waitcnt lgkmcnt(0)
	s_and_b32 s0, s0, 0x3ff
	s_delay_alu instid0(SALU_CYCLE_1) | instskip(NEXT) | instid1(SALU_CYCLE_1)
	s_bitset1_b32 s0, 10
	s_mov_b32 m0, s0
	s_sendmsg sendmsg(MSG_INTERRUPT)
	s_mov_b32 m0, ttmp2
.LBB112_279:                            ; =>This Inner Loop Header: Depth=1
	s_sethalt 5
	s_branch .LBB112_279
	.section	.rodata,"a",@progbits
	.p2align	6, 0x0
	.amdhsa_kernel _ZN2at6native12_GLOBAL__N_112gatherMedianIdjLi1EEEvNS_4cuda6detail10TensorInfoIT_T0_EENS5_IlS7_EENS5_IKS6_S7_EES7_S7_S7_b
		.amdhsa_group_segment_fixed_size 4120
		.amdhsa_private_segment_fixed_size 0
		.amdhsa_kernarg_size 920
		.amdhsa_user_sgpr_count 13
		.amdhsa_user_sgpr_dispatch_ptr 0
		.amdhsa_user_sgpr_queue_ptr 0
		.amdhsa_user_sgpr_kernarg_segment_ptr 1
		.amdhsa_user_sgpr_dispatch_id 0
		.amdhsa_user_sgpr_private_segment_size 0
		.amdhsa_wavefront_size32 1
		.amdhsa_uses_dynamic_stack 0
		.amdhsa_enable_private_segment 0
		.amdhsa_system_sgpr_workgroup_id_x 1
		.amdhsa_system_sgpr_workgroup_id_y 1
		.amdhsa_system_sgpr_workgroup_id_z 1
		.amdhsa_system_sgpr_workgroup_info 0
		.amdhsa_system_vgpr_workitem_id 0
		.amdhsa_next_free_vgpr 50
		.amdhsa_next_free_sgpr 82
		.amdhsa_reserve_vcc 1
		.amdhsa_float_round_mode_32 0
		.amdhsa_float_round_mode_16_64 0
		.amdhsa_float_denorm_mode_32 3
		.amdhsa_float_denorm_mode_16_64 3
		.amdhsa_dx10_clamp 1
		.amdhsa_ieee_mode 1
		.amdhsa_fp16_overflow 0
		.amdhsa_workgroup_processor_mode 1
		.amdhsa_memory_ordered 1
		.amdhsa_forward_progress 0
		.amdhsa_shared_vgpr_count 0
		.amdhsa_exception_fp_ieee_invalid_op 0
		.amdhsa_exception_fp_denorm_src 0
		.amdhsa_exception_fp_ieee_div_zero 0
		.amdhsa_exception_fp_ieee_overflow 0
		.amdhsa_exception_fp_ieee_underflow 0
		.amdhsa_exception_fp_ieee_inexact 0
		.amdhsa_exception_int_div_zero 0
	.end_amdhsa_kernel
	.section	.text._ZN2at6native12_GLOBAL__N_112gatherMedianIdjLi1EEEvNS_4cuda6detail10TensorInfoIT_T0_EENS5_IlS7_EENS5_IKS6_S7_EES7_S7_S7_b,"axG",@progbits,_ZN2at6native12_GLOBAL__N_112gatherMedianIdjLi1EEEvNS_4cuda6detail10TensorInfoIT_T0_EENS5_IlS7_EENS5_IKS6_S7_EES7_S7_S7_b,comdat
.Lfunc_end112:
	.size	_ZN2at6native12_GLOBAL__N_112gatherMedianIdjLi1EEEvNS_4cuda6detail10TensorInfoIT_T0_EENS5_IlS7_EENS5_IKS6_S7_EES7_S7_S7_b, .Lfunc_end112-_ZN2at6native12_GLOBAL__N_112gatherMedianIdjLi1EEEvNS_4cuda6detail10TensorInfoIT_T0_EENS5_IlS7_EENS5_IKS6_S7_EES7_S7_S7_b
                                        ; -- End function
	.section	.AMDGPU.csdata,"",@progbits
; Kernel info:
; codeLenInByte = 10680
; NumSgprs: 84
; NumVgprs: 50
; ScratchSize: 0
; MemoryBound: 0
; FloatMode: 240
; IeeeMode: 1
; LDSByteSize: 4120 bytes/workgroup (compile time only)
; SGPRBlocks: 10
; VGPRBlocks: 6
; NumSGPRsForWavesPerEU: 84
; NumVGPRsForWavesPerEU: 50
; Occupancy: 16
; WaveLimiterHint : 1
; COMPUTE_PGM_RSRC2:SCRATCH_EN: 0
; COMPUTE_PGM_RSRC2:USER_SGPR: 13
; COMPUTE_PGM_RSRC2:TRAP_HANDLER: 0
; COMPUTE_PGM_RSRC2:TGID_X_EN: 1
; COMPUTE_PGM_RSRC2:TGID_Y_EN: 1
; COMPUTE_PGM_RSRC2:TGID_Z_EN: 1
; COMPUTE_PGM_RSRC2:TIDIG_COMP_CNT: 0
	.section	.text._ZN2at6native12_GLOBAL__N_112gatherMedianIdjLi2EEEvNS_4cuda6detail10TensorInfoIT_T0_EENS5_IlS7_EENS5_IKS6_S7_EES7_S7_S7_b,"axG",@progbits,_ZN2at6native12_GLOBAL__N_112gatherMedianIdjLi2EEEvNS_4cuda6detail10TensorInfoIT_T0_EENS5_IlS7_EENS5_IKS6_S7_EES7_S7_S7_b,comdat
	.globl	_ZN2at6native12_GLOBAL__N_112gatherMedianIdjLi2EEEvNS_4cuda6detail10TensorInfoIT_T0_EENS5_IlS7_EENS5_IKS6_S7_EES7_S7_S7_b ; -- Begin function _ZN2at6native12_GLOBAL__N_112gatherMedianIdjLi2EEEvNS_4cuda6detail10TensorInfoIT_T0_EENS5_IlS7_EENS5_IKS6_S7_EES7_S7_S7_b
	.p2align	8
	.type	_ZN2at6native12_GLOBAL__N_112gatherMedianIdjLi2EEEvNS_4cuda6detail10TensorInfoIT_T0_EENS5_IlS7_EENS5_IKS6_S7_EES7_S7_S7_b,@function
_ZN2at6native12_GLOBAL__N_112gatherMedianIdjLi2EEEvNS_4cuda6detail10TensorInfoIT_T0_EENS5_IlS7_EENS5_IKS6_S7_EES7_S7_S7_b: ; @_ZN2at6native12_GLOBAL__N_112gatherMedianIdjLi2EEEvNS_4cuda6detail10TensorInfoIT_T0_EENS5_IlS7_EENS5_IKS6_S7_EES7_S7_S7_b
; %bb.0:
	s_clause 0x1
	s_load_b64 s[6:7], s[0:1], 0x298
	s_load_b128 s[28:31], s[0:1], 0x288
	s_add_u32 s4, s0, 0x298
	s_addc_u32 s5, s1, 0
	s_waitcnt lgkmcnt(0)
	s_mul_i32 s2, s7, s15
	s_delay_alu instid0(SALU_CYCLE_1) | instskip(NEXT) | instid1(SALU_CYCLE_1)
	s_add_i32 s2, s2, s14
	s_mul_i32 s27, s2, s6
	s_delay_alu instid0(SALU_CYCLE_1) | instskip(NEXT) | instid1(SALU_CYCLE_1)
	s_add_i32 s27, s27, s13
	s_cmp_ge_u32 s27, s29
	s_cbranch_scc1 .LBB113_271
; %bb.1:
	s_clause 0x8
	s_load_b32 s50, s[0:1], 0xc
	s_load_b32 s2, s[0:1], 0x1bc
	;; [unrolled: 1-line block ×3, first 2 shown]
	s_load_b64 s[8:9], s[0:1], 0x1b0
	s_load_b64 s[10:11], s[0:1], 0x21c
	;; [unrolled: 1-line block ×6, first 2 shown]
	v_mul_lo_u32 v11, v0, s30
	s_waitcnt lgkmcnt(0)
	v_cvt_f32_u32_e32 v1, s50
	v_cvt_f32_u32_e32 v2, s2
	;; [unrolled: 1-line block ×3, first 2 shown]
	s_sub_i32 s16, 0, s2
	s_sub_i32 s3, 0, s50
	v_rcp_iflag_f32_e32 v1, v1
	v_rcp_iflag_f32_e32 v2, v2
	;; [unrolled: 1-line block ×3, first 2 shown]
	s_sub_i32 s15, 0, s29
	s_waitcnt_depctr 0xfff
	v_dual_mul_f32 v1, 0x4f7ffffe, v1 :: v_dual_mul_f32 v2, 0x4f7ffffe, v2
	v_mul_f32_e32 v3, 0x4f7ffffe, v3
	s_delay_alu instid0(VALU_DEP_2) | instskip(NEXT) | instid1(VALU_DEP_3)
	v_cvt_u32_f32_e32 v1, v1
	v_cvt_u32_f32_e32 v2, v2
	s_delay_alu instid0(VALU_DEP_3) | instskip(NEXT) | instid1(VALU_DEP_3)
	v_cvt_u32_f32_e32 v3, v3
	v_readfirstlane_b32 s7, v1
	s_delay_alu instid0(VALU_DEP_3) | instskip(NEXT) | instid1(VALU_DEP_3)
	v_readfirstlane_b32 s12, v2
	v_readfirstlane_b32 s14, v3
	v_mov_b32_e32 v3, 0
	s_delay_alu instid0(VALU_DEP_4) | instskip(NEXT) | instid1(VALU_DEP_3)
	s_mul_i32 s3, s3, s7
	s_mul_i32 s16, s16, s12
	s_mul_hi_u32 s3, s7, s3
	s_mul_hi_u32 s16, s12, s16
	s_mul_i32 s15, s15, s14
	s_add_i32 s12, s12, s16
	s_add_i32 s7, s7, s3
	s_mul_hi_u32 s12, s27, s12
	s_mul_hi_u32 s15, s14, s15
	s_mul_i32 s3, s12, s2
	s_add_i32 s14, s14, s15
	s_sub_i32 s3, s27, s3
	s_add_i32 s15, s12, 1
	s_sub_i32 s16, s3, s2
	s_cmp_ge_u32 s3, s2
	s_mul_hi_u32 s51, s27, s7
	s_cselect_b32 s0, s15, s12
	s_cselect_b32 s1, s16, s3
	s_add_i32 s3, s0, 1
	s_cmp_ge_u32 s1, s2
	s_mul_hi_u32 s33, s27, s14
	s_cselect_b32 s1, s3, s0
	s_mov_b32 s3, 0
	s_mul_i32 s2, s1, s2
	s_mul_i32 s1, s1, s10
	s_sub_i32 s2, s27, s2
	v_cmp_gt_u32_e64 s0, s28, v0
	s_mul_i32 s2, s2, s11
	s_delay_alu instid0(SALU_CYCLE_1) | instskip(NEXT) | instid1(SALU_CYCLE_1)
	s_add_i32 s2, s1, s2
	s_lshl_b64 s[10:11], s[2:3], 3
	s_delay_alu instid0(SALU_CYCLE_1)
	s_add_u32 s48, s8, s10
	s_addc_u32 s49, s9, s11
	s_and_saveexec_b32 s2, s0
	s_cbranch_execz .LBB113_5
; %bb.2:
	s_load_b32 s1, s[4:5], 0xc
	v_mul_lo_u32 v1, v0, s30
	v_dual_mov_b32 v3, 0 :: v_dual_mov_b32 v2, 0
	v_mov_b32_e32 v4, v0
	s_waitcnt lgkmcnt(0)
	s_and_b32 s7, s1, 0xffff
	s_delay_alu instid0(SALU_CYCLE_1)
	s_mul_i32 s8, s30, s7
	.p2align	6
.LBB113_3:                              ; =>This Inner Loop Header: Depth=1
	s_delay_alu instid0(VALU_DEP_3) | instskip(SKIP_2) | instid1(VALU_DEP_3)
	v_lshlrev_b64 v[5:6], 3, v[1:2]
	v_add_nc_u32_e32 v4, s7, v4
	v_add_nc_u32_e32 v1, s8, v1
	v_add_co_u32 v5, vcc_lo, s48, v5
	s_delay_alu instid0(VALU_DEP_4) | instskip(NEXT) | instid1(VALU_DEP_4)
	v_add_co_ci_u32_e32 v6, vcc_lo, s49, v6, vcc_lo
	v_cmp_le_u32_e32 vcc_lo, s28, v4
	global_load_b64 v[5:6], v[5:6], off
	s_or_b32 s3, vcc_lo, s3
	s_waitcnt vmcnt(0)
	v_cmp_u_f64_e64 s1, v[5:6], v[5:6]
	s_delay_alu instid0(VALU_DEP_1)
	v_add_co_ci_u32_e64 v3, s1, 0, v3, s1
	s_and_not1_b32 exec_lo, exec_lo, s3
	s_cbranch_execnz .LBB113_3
; %bb.4:
	s_or_b32 exec_lo, exec_lo, s3
.LBB113_5:
	s_delay_alu instid0(SALU_CYCLE_1) | instskip(SKIP_1) | instid1(VALU_DEP_1)
	s_or_b32 exec_lo, exec_lo, s2
	v_cmp_eq_u32_e64 s1, 0, v0
	s_and_saveexec_b32 s2, s1
	s_cbranch_execz .LBB113_7
; %bb.6:
	v_mov_b32_e32 v1, 0
	s_delay_alu instid0(VALU_DEP_1)
	v_mov_b32_e32 v2, v1
	ds_store_b64 v1, v[1:2] offset:4096
.LBB113_7:
	s_or_b32 exec_lo, exec_lo, s2
	s_delay_alu instid0(SALU_CYCLE_1)
	s_mov_b32 s7, exec_lo
	s_waitcnt lgkmcnt(0)
	s_barrier
	buffer_gl0_inv
	v_cmpx_ne_u32_e32 0, v3
	s_cbranch_execz .LBB113_12
; %bb.8:
	v_mov_b32_e32 v1, 0
	s_mov_b32 s8, exec_lo
	s_mov_b64 s[2:3], 0
.LBB113_9:                              ; =>This Inner Loop Header: Depth=1
	s_ctz_i32_b32 s9, s8
	s_delay_alu instid0(SALU_CYCLE_1) | instskip(SKIP_1) | instid1(VALU_DEP_2)
	v_readlane_b32 s10, v3, s9
	v_readlane_b32 s11, v1, s9
	s_add_u32 s2, s2, s10
	s_delay_alu instid0(VALU_DEP_1) | instskip(SKIP_1) | instid1(SALU_CYCLE_1)
	s_addc_u32 s3, s3, s11
	s_lshl_b32 s9, 1, s9
	s_and_not1_b32 s8, s8, s9
	s_delay_alu instid0(SALU_CYCLE_1)
	s_cmp_lg_u32 s8, 0
	s_cbranch_scc1 .LBB113_9
; %bb.10:
	v_mbcnt_lo_u32_b32 v1, exec_lo, 0
	s_mov_b32 s8, exec_lo
	s_delay_alu instid0(VALU_DEP_1)
	v_cmpx_eq_u32_e32 0, v1
	s_xor_b32 s8, exec_lo, s8
	s_cbranch_execz .LBB113_12
; %bb.11:
	v_mov_b32_e32 v1, s2
	v_dual_mov_b32 v3, 0 :: v_dual_mov_b32 v2, s3
	ds_add_u64 v3, v[1:2] offset:4096
.LBB113_12:
	s_or_b32 exec_lo, exec_lo, s7
	v_mov_b32_e32 v1, 0
	s_waitcnt lgkmcnt(0)
	s_barrier
	buffer_gl0_inv
	s_bitcmp1_b32 s31, 0
	ds_load_b64 v[1:2], v1 offset:4096
	s_cselect_b32 s2, -1, 0
	s_mov_b32 s78, s28
	s_waitcnt lgkmcnt(0)
	v_cmp_gt_i64_e32 vcc_lo, 1, v[1:2]
	s_or_b32 s2, s2, vcc_lo
	s_delay_alu instid0(SALU_CYCLE_1)
	s_and_not1_b32 vcc_lo, exec_lo, s2
	s_cbranch_vccnz .LBB113_14
; %bb.13:
	v_not_b32_e32 v1, v1
	v_not_b32_e32 v2, v2
	s_delay_alu instid0(VALU_DEP_2) | instskip(NEXT) | instid1(VALU_DEP_2)
	v_add_co_u32 v1, vcc_lo, v1, s28
	v_add_co_ci_u32_e32 v2, vcc_lo, 0, v2, vcc_lo
	s_delay_alu instid0(VALU_DEP_1) | instskip(NEXT) | instid1(VALU_DEP_1)
	v_lshrrev_b32_e32 v3, 31, v2
	v_add_co_u32 v1, vcc_lo, v1, v3
	v_add_co_ci_u32_e32 v2, vcc_lo, 0, v2, vcc_lo
	s_delay_alu instid0(VALU_DEP_1) | instskip(NEXT) | instid1(VALU_DEP_1)
	v_alignbit_b32 v1, v2, v1, 1
	v_readfirstlane_b32 s2, v1
	s_delay_alu instid0(VALU_DEP_1)
	s_add_i32 s78, s2, 1
.LBB113_14:
	s_and_saveexec_b32 s2, s1
	s_cbranch_execz .LBB113_16
; %bb.15:
	v_dual_mov_b32 v1, 0 :: v_dual_mov_b32 v2, s28
	ds_store_b32 v1, v1 offset:4112
	ds_store_b64 v1, v[1:2] offset:4104
.LBB113_16:
	s_or_b32 exec_lo, exec_lo, s2
	s_waitcnt lgkmcnt(0)
	s_barrier
	buffer_gl0_inv
	s_load_b32 s7, s[4:5], 0xc
	v_mbcnt_lo_u32_b32 v23, -1, 0
	v_cmp_gt_u32_e32 vcc_lo, 32, v0
	v_lshrrev_b32_e32 v1, 3, v0
	v_dual_mov_b32 v13, 0 :: v_dual_lshlrev_b32 v24, 2, v0
	s_delay_alu instid0(VALU_DEP_4) | instskip(SKIP_1) | instid1(VALU_DEP_4)
	v_cmp_gt_i32_e64 s3, 4, v23
	v_lshlrev_b32_e32 v25, 3, v0
	v_and_b32_e32 v27, 0x7c, v1
	s_delay_alu instid0(VALU_DEP_4)
	v_or_b32_e32 v4, 2, v24
	v_mov_b32_e32 v12, v13
	s_and_b32 s55, vcc_lo, s3
	v_or_b32_e32 v5, 3, v24
	v_add_nc_u32_e32 v26, 0xc00, v25
	v_mul_lo_u32 v30, s30, v4
	v_cmp_gt_u32_e64 s2, 2, v0
	v_cmp_eq_u32_e64 s3, 0, v23
	v_mul_lo_u32 v31, s30, v5
	v_lshlrev_b32_e32 v32, 2, v11
	v_lshlrev_b32_e32 v34, 5, v0
	s_waitcnt lgkmcnt(0)
	s_and_b32 s31, s7, 0xffff
	s_bfe_u32 s7, s7, 0xb0005
	s_lshl_b32 s54, s31, 2
	s_add_i32 s56, s31, -1
	v_cvt_f32_u32_e32 v2, s54
	s_add_i32 s8, s56, s28
	s_cmpk_gt_u32 s28, 0x180
	v_cvt_f32_u32_e32 v3, s31
	s_cselect_b32 s57, -1, 0
	v_rcp_iflag_f32_e32 v2, v2
	s_cmp_gt_u32 s31, 31
	v_mad_u64_u32 v[14:15], null, s30, v24, s[30:31]
	s_cselect_b32 s58, -1, 0
	s_cmp_lt_u32 s13, s6
	v_rcp_iflag_f32_e32 v3, v3
	s_cselect_b32 s6, 12, 18
	v_lshl_or_b32 v35, v23, 2, 0xc00
	s_add_u32 s42, s4, s6
	s_waitcnt_depctr 0xfff
	v_mul_f32_e32 v2, 0x4f7ffffe, v2
	s_addc_u32 s43, s5, 0
	s_add_i32 s4, s7, -1
	s_bfe_u32 s59, s31, 0x30005
	s_cmp_gt_u32 s4, 6
	v_cvt_u32_f32_e32 v2, v2
	s_cselect_b32 s60, -1, 0
	s_and_b32 s61, s7, 0x7f8
	s_cmp_lg_u32 s59, 0
	s_mul_i32 s53, s30, s31
	v_readfirstlane_b32 s4, v2
	s_cselect_b32 s62, -1, 0
	s_sub_i32 s5, 0, s54
	v_lshlrev_b64 v[1:2], v23, -1
	v_mul_f32_e32 v2, 0x4f7ffffe, v3
	s_mul_i32 s5, s5, s4
	s_mov_b32 s52, 0
	s_mul_hi_u32 s5, s4, s5
	s_mov_b64 s[44:45], 0
	s_add_i32 s63, s4, s5
	v_cvt_u32_f32_e32 v6, v2
	s_mul_hi_u32 s4, s28, s63
	v_lshlrev_b64 v[2:3], 3, v[11:12]
	s_mul_i32 s4, s4, s54
	v_not_b32_e32 v28, v1
	s_sub_i32 s4, s28, s4
	v_add3_u32 v1, s31, s28, v0
	s_sub_i32 s5, s4, s54
	s_cmp_ge_u32 s4, s54
	v_add_co_u32 v15, vcc_lo, s48, v2
	s_cselect_b32 s4, s5, s4
	v_readfirstlane_b32 s5, v6
	s_sub_i32 s6, s4, s54
	s_cmp_ge_u32 s4, s54
	v_add_co_ci_u32_e32 v16, vcc_lo, s49, v3, vcc_lo
	s_cselect_b32 s4, s6, s4
	s_sub_i32 s6, 0, s31
	s_sub_i32 s64, s28, s4
	s_mul_i32 s6, s6, s5
	v_add_nc_u32_e32 v29, s64, v0
	s_mul_hi_u32 s6, s5, s6
	v_subrev_nc_u32_e32 v3, s4, v1
	s_add_i32 s65, s5, s6
	v_mov_b32_e32 v5, 0
	s_mul_hi_u32 s5, s8, s65
	v_mul_lo_u32 v12, v29, s30
	s_mul_i32 s5, s5, s31
	v_mul_lo_u32 v33, s30, v3
	s_sub_i32 s5, s8, s5
	v_cmp_gt_u32_e64 s4, s64, v24
	s_sub_i32 s6, s5, s31
	s_cmp_ge_u32 s5, s31
	v_mov_b32_e32 v6, 0
	s_cselect_b32 s6, s6, s5
	v_lshlrev_b64 v[1:2], 3, v[12:13]
	s_sub_i32 s7, s6, s31
	s_cmp_ge_u32 s6, s31
	v_cmp_gt_u32_e64 s5, s28, v29
	s_cselect_b32 s6, s7, s6
	s_lshl_b32 s66, s53, 2
	s_sub_i32 s67, s8, s6
	v_add_co_u32 v17, vcc_lo, s48, v1
	v_add_co_ci_u32_e32 v18, vcc_lo, s49, v2, vcc_lo
	v_cmp_gt_u32_e64 s6, s67, v0
	v_mov_b32_e32 v2, 0x3ff00000
	s_lshl_b32 s68, s31, 5
	s_lshl_b32 s69, s31, 3
	s_mov_b32 s73, 62
	s_mov_b32 s76, 0
	s_mov_b64 s[46:47], 0
                                        ; implicit-def: $sgpr70
                                        ; implicit-def: $sgpr72
                                        ; implicit-def: $sgpr71
                                        ; implicit-def: $sgpr75
                                        ; implicit-def: $sgpr77
                                        ; implicit-def: $sgpr74
	s_branch .LBB113_21
.LBB113_17:                             ;   in Loop: Header=BB113_21 Depth=1
	s_xor_b32 s76, s76, 1
	s_add_i32 s10, s73, -2
	s_cmp_eq_u32 s73, 0
	s_mov_b32 s7, 0
	s_cselect_b32 s9, -1, 0
	s_mov_b32 s73, s10
.LBB113_18:                             ;   in Loop: Header=BB113_21 Depth=1
	s_and_not1_b32 s10, s21, exec_lo
	s_and_b32 s7, s7, exec_lo
	s_and_not1_b32 s23, s23, exec_lo
	s_or_b32 s21, s10, s7
	s_and_not1_b32 s20, s20, exec_lo
	s_or_not1_b32 s18, s9, exec_lo
	s_mov_b32 s78, s26
.LBB113_19:                             ;   in Loop: Header=BB113_21 Depth=1
	s_or_b32 exec_lo, exec_lo, s8
	s_delay_alu instid0(SALU_CYCLE_1)
	s_and_not1_b32 s7, s74, exec_lo
	s_and_b32 s8, s21, exec_lo
	s_and_not1_b32 s9, s75, exec_lo
	s_or_b32 s74, s7, s8
	s_and_not1_b32 s7, s77, exec_lo
	s_and_b32 s8, s23, exec_lo
	s_and_b32 s10, s20, exec_lo
	s_or_b32 s77, s7, s8
	s_or_b32 s75, s9, s10
	s_or_not1_b32 s12, s18, exec_lo
.LBB113_20:                             ;   in Loop: Header=BB113_21 Depth=1
	s_or_b32 exec_lo, exec_lo, s17
	s_delay_alu instid0(SALU_CYCLE_1)
	s_and_b32 s7, exec_lo, s12
	v_dual_mov_b32 v3, s44 :: v_dual_mov_b32 v4, s45
	s_or_b32 s52, s7, s52
	s_and_not1_b32 s7, s71, exec_lo
	s_and_b32 s8, s74, exec_lo
	s_and_not1_b32 s9, s70, exec_lo
	s_or_b32 s71, s7, s8
	s_and_not1_b32 s7, s72, exec_lo
	s_and_b32 s8, s77, exec_lo
	s_and_b32 s10, s75, exec_lo
	s_or_b32 s72, s7, s8
	s_or_b32 s70, s9, s10
	s_and_not1_b32 exec_lo, exec_lo, s52
	s_cbranch_execz .LBB113_254
.LBB113_21:                             ; =>This Loop Header: Depth=1
                                        ;     Child Loop BB113_29 Depth 2
                                        ;     Child Loop BB113_44 Depth 2
	;; [unrolled: 1-line block ×16, first 2 shown]
	ds_load_b64 v[3:4], v13 offset:4104
	s_waitcnt lgkmcnt(0)
	v_readfirstlane_b32 s79, v3
	s_delay_alu instid0(VALU_DEP_1)
	s_cmp_lg_u32 s79, 0
	s_cbranch_scc1 .LBB113_51
; %bb.22:                               ;   in Loop: Header=BB113_21 Depth=1
	s_and_b32 vcc_lo, exec_lo, s57
	s_cbranch_vccz .LBB113_37
; %bb.23:                               ;   in Loop: Header=BB113_21 Depth=1
	v_cmp_gt_u32_e32 vcc_lo, 0x181, v4
	s_mov_b32 s79, 0
	s_mov_b32 s7, 0
	s_cbranch_vccz .LBB113_38
; %bb.24:                               ;   in Loop: Header=BB113_21 Depth=1
	v_mov_b32_e32 v3, 0
	v_mov_b32_e32 v4, 0
	s_and_saveexec_b32 s7, s0
	s_cbranch_execz .LBB113_26
; %bb.25:                               ;   in Loop: Header=BB113_21 Depth=1
	global_load_b64 v[3:4], v[15:16], off
.LBB113_26:                             ;   in Loop: Header=BB113_21 Depth=1
	s_or_b32 exec_lo, exec_lo, s7
	s_and_saveexec_b32 s9, s0
	s_cbranch_execz .LBB113_139
; %bb.27:                               ;   in Loop: Header=BB113_21 Depth=1
	global_load_u16 v1, v13, s[42:43]
	v_mov_b32_e32 v10, v0
	s_mov_b32 s10, 0
	s_waitcnt vmcnt(0)
	v_add_nc_u32_e32 v7, v0, v1
	v_mul_lo_u32 v9, s30, v1
	s_delay_alu instid0(VALU_DEP_2)
	v_mul_lo_u32 v12, s30, v7
	s_branch .LBB113_29
.LBB113_28:                             ;   in Loop: Header=BB113_29 Depth=2
	s_or_b32 exec_lo, exec_lo, s8
	s_waitcnt vmcnt(0)
	v_dual_mov_b32 v3, v7 :: v_dual_add_nc_u32 v12, v12, v9
	v_mov_b32_e32 v4, v8
	s_and_not1_b32 exec_lo, exec_lo, s10
	s_cbranch_execz .LBB113_139
.LBB113_29:                             ;   Parent Loop BB113_21 Depth=1
                                        ; =>  This Inner Loop Header: Depth=2
	v_dual_mov_b32 v7, 0 :: v_dual_add_nc_u32 v10, v10, v1
	v_mov_b32_e32 v8, 0
	s_mov_b32 s8, exec_lo
	s_delay_alu instid0(VALU_DEP_2)
	v_cmp_le_u32_e32 vcc_lo, s28, v10
	v_cmpx_gt_u32_e64 s28, v10
	s_cbranch_execz .LBB113_31
; %bb.30:                               ;   in Loop: Header=BB113_29 Depth=2
	v_lshlrev_b64 v[7:8], 3, v[12:13]
	s_delay_alu instid0(VALU_DEP_1) | instskip(NEXT) | instid1(VALU_DEP_1)
	v_add_co_u32 v7, s7, s48, v7
	v_add_co_ci_u32_e64 v8, s7, s49, v8, s7
	global_load_b64 v[7:8], v[7:8], off
.LBB113_31:                             ;   in Loop: Header=BB113_29 Depth=2
	s_or_b32 exec_lo, exec_lo, s8
	v_cmp_o_f64_e64 s7, v[3:4], v[3:4]
	s_waitcnt lgkmcnt(0)
	v_ashrrev_i32_e32 v19, 31, v4
	s_delay_alu instid0(VALU_DEP_1) | instskip(SKIP_1) | instid1(VALU_DEP_2)
	v_or_b32_e32 v20, 0x80000000, v19
	v_xor_b32_e32 v19, v19, v3
	v_xor_b32_e32 v20, v20, v4
	s_delay_alu instid0(VALU_DEP_1) | instskip(NEXT) | instid1(VALU_DEP_3)
	v_cndmask_b32_e64 v20, -1, v20, s7
	v_cndmask_b32_e64 v19, -1, v19, s7
	s_delay_alu instid0(VALU_DEP_2) | instskip(NEXT) | instid1(VALU_DEP_2)
	v_and_b32_e32 v20, s47, v20
	v_and_b32_e32 v19, s46, v19
	s_delay_alu instid0(VALU_DEP_1) | instskip(SKIP_1) | instid1(VALU_DEP_2)
	v_cmp_eq_u64_e64 s7, s[44:45], v[19:20]
	v_mov_b32_e32 v19, 0
	s_cmp_lg_u32 s7, 0
	s_cselect_b32 s8, -1, 0
	s_delay_alu instid0(SALU_CYCLE_1) | instskip(NEXT) | instid1(SALU_CYCLE_1)
	s_and_b32 s8, s3, s8
	s_and_saveexec_b32 s11, s8
	s_cbranch_execz .LBB113_35
; %bb.32:                               ;   in Loop: Header=BB113_29 Depth=2
	s_mov_b32 s14, exec_lo
	s_bcnt1_i32_b32 s12, s7
	v_mbcnt_lo_u32_b32 v19, s14, 0
	s_mov_b32 s13, exec_lo
                                        ; implicit-def: $vgpr20
	s_delay_alu instid0(VALU_DEP_1)
	v_cmpx_eq_u32_e32 0, v19
	s_cbranch_execz .LBB113_34
; %bb.33:                               ;   in Loop: Header=BB113_29 Depth=2
	s_bcnt1_i32_b32 s8, s14
	s_delay_alu instid0(SALU_CYCLE_1) | instskip(NEXT) | instid1(SALU_CYCLE_1)
	s_mul_i32 s8, s12, s8
	v_mov_b32_e32 v20, s8
	ds_add_rtn_u32 v20, v13, v20 offset:4112
.LBB113_34:                             ;   in Loop: Header=BB113_29 Depth=2
	s_or_b32 exec_lo, exec_lo, s13
	s_waitcnt lgkmcnt(0)
	v_readfirstlane_b32 s8, v20
	s_delay_alu instid0(VALU_DEP_1)
	v_mad_u32_u24 v19, s12, v19, s8
.LBB113_35:                             ;   in Loop: Header=BB113_29 Depth=2
	s_or_b32 exec_lo, exec_lo, s11
	ds_bpermute_b32 v19, v13, v19
	s_and_b32 s8, exec_lo, vcc_lo
	s_delay_alu instid0(SALU_CYCLE_1)
	s_or_b32 s10, s8, s10
	s_and_saveexec_b32 s8, s7
	s_cbranch_execz .LBB113_28
; %bb.36:                               ;   in Loop: Header=BB113_29 Depth=2
	v_and_b32_e32 v20, s7, v28
	s_delay_alu instid0(VALU_DEP_1) | instskip(NEXT) | instid1(VALU_DEP_1)
	v_bcnt_u32_b32 v20, v20, 0
	v_lshlrev_b32_e32 v20, 3, v20
	s_waitcnt lgkmcnt(0)
	s_delay_alu instid0(VALU_DEP_1)
	v_lshl_add_u32 v19, v19, 3, v20
	ds_store_b64 v19, v[3:4]
	s_branch .LBB113_28
.LBB113_37:                             ;   in Loop: Header=BB113_21 Depth=1
	s_mov_b32 s79, -1
	s_mov_b32 s7, 0
.LBB113_38:                             ;   in Loop: Header=BB113_21 Depth=1
	s_and_b32 vcc_lo, exec_lo, s79
	s_cbranch_vccz .LBB113_49
.LBB113_39:                             ;   in Loop: Header=BB113_21 Depth=1
	v_mov_b32_e32 v3, 0
	v_mov_b32_e32 v4, 0
	s_and_saveexec_b32 s7, s0
	s_cbranch_execz .LBB113_41
; %bb.40:                               ;   in Loop: Header=BB113_21 Depth=1
	global_load_b64 v[3:4], v[15:16], off
.LBB113_41:                             ;   in Loop: Header=BB113_21 Depth=1
	s_or_b32 exec_lo, exec_lo, s7
	s_and_saveexec_b32 s8, s0
	s_cbranch_execz .LBB113_46
; %bb.42:                               ;   in Loop: Header=BB113_21 Depth=1
	global_load_u16 v1, v13, s[42:43]
	v_mov_b32_e32 v20, v0
	s_mov_b32 s9, 0
	v_mov_b32_e32 v19, v25
	s_waitcnt vmcnt(0)
	v_add_nc_u32_e32 v7, v0, v1
	v_mul_lo_u32 v9, s30, v1
	v_lshlrev_b32_e32 v10, 3, v1
	s_delay_alu instid0(VALU_DEP_3)
	v_mul_lo_u32 v12, s30, v7
	s_set_inst_prefetch_distance 0x1
	s_branch .LBB113_44
	.p2align	6
.LBB113_43:                             ;   in Loop: Header=BB113_44 Depth=2
	s_or_b32 exec_lo, exec_lo, s10
	ds_store_b64 v19, v[3:4]
	s_waitcnt vmcnt(0)
	v_dual_mov_b32 v3, v7 :: v_dual_add_nc_u32 v12, v12, v9
	v_dual_mov_b32 v4, v8 :: v_dual_add_nc_u32 v19, v19, v10
	s_and_b32 s7, exec_lo, vcc_lo
	s_delay_alu instid0(SALU_CYCLE_1) | instskip(NEXT) | instid1(SALU_CYCLE_1)
	s_or_b32 s9, s7, s9
	s_and_not1_b32 exec_lo, exec_lo, s9
	s_cbranch_execz .LBB113_46
.LBB113_44:                             ;   Parent Loop BB113_21 Depth=1
                                        ; =>  This Inner Loop Header: Depth=2
	v_dual_mov_b32 v7, 0 :: v_dual_add_nc_u32 v20, v20, v1
	v_mov_b32_e32 v8, 0
	s_mov_b32 s10, exec_lo
	s_delay_alu instid0(VALU_DEP_2)
	v_cmp_le_u32_e32 vcc_lo, s28, v20
	v_cmpx_gt_u32_e64 s28, v20
	s_cbranch_execz .LBB113_43
; %bb.45:                               ;   in Loop: Header=BB113_44 Depth=2
	v_lshlrev_b64 v[7:8], 3, v[12:13]
	s_delay_alu instid0(VALU_DEP_1) | instskip(NEXT) | instid1(VALU_DEP_1)
	v_add_co_u32 v7, s7, s48, v7
	v_add_co_ci_u32_e64 v8, s7, s49, v8, s7
	global_load_b64 v[7:8], v[7:8], off
	s_branch .LBB113_43
.LBB113_46:                             ;   in Loop: Header=BB113_21 Depth=1
	s_set_inst_prefetch_distance 0x2
	s_or_b32 exec_lo, exec_lo, s8
	s_waitcnt vmcnt(0) lgkmcnt(0)
	s_barrier
	buffer_gl0_inv
	s_and_saveexec_b32 s7, s1
	s_cbranch_execz .LBB113_48
; %bb.47:                               ;   in Loop: Header=BB113_21 Depth=1
	v_mov_b32_e32 v1, s28
	ds_store_b32 v13, v1 offset:4104
.LBB113_48:                             ;   in Loop: Header=BB113_21 Depth=1
	s_or_b32 exec_lo, exec_lo, s7
	s_mov_b32 s7, -1
	s_waitcnt lgkmcnt(0)
	s_barrier
                                        ; implicit-def: $sgpr79
.LBB113_49:                             ;   in Loop: Header=BB113_21 Depth=1
	s_and_b32 vcc_lo, exec_lo, s7
	s_cbranch_vccz .LBB113_51
; %bb.50:                               ;   in Loop: Header=BB113_21 Depth=1
	buffer_gl0_inv
	ds_load_b32 v1, v13 offset:4104
	s_waitcnt lgkmcnt(0)
	v_readfirstlane_b32 s79, v1
.LBB113_51:                             ;   in Loop: Header=BB113_21 Depth=1
	s_delay_alu instid0(VALU_DEP_1)
	s_cmp_lt_i32 s79, 1
	s_cbranch_scc0 .LBB113_63
; %bb.52:                               ;   in Loop: Header=BB113_21 Depth=1
	v_dual_mov_b32 v7, 0 :: v_dual_mov_b32 v8, 0
	v_dual_mov_b32 v9, 0 :: v_dual_mov_b32 v10, 0
	s_mov_b32 s22, 0
	s_and_saveexec_b32 s21, s4
	s_cbranch_execz .LBB113_56
; %bb.53:                               ;   in Loop: Header=BB113_21 Depth=1
	v_mov_b32_e32 v1, v24
	s_and_b32 s23, s73, 0xfe
	s_mov_b32 s24, 0
	s_mov_b32 s25, 0
	;; [unrolled: 1-line block ×5, first 2 shown]
.LBB113_54:                             ;   Parent Loop BB113_21 Depth=1
                                        ; =>  This Inner Loop Header: Depth=2
	v_dual_mov_b32 v21, v13 :: v_dual_add_nc_u32 v12, s24, v32
	v_dual_mov_b32 v22, v13 :: v_dual_add_nc_u32 v1, s54, v1
	v_mov_b32_e32 v37, v13
	s_delay_alu instid0(VALU_DEP_3) | instskip(SKIP_1) | instid1(VALU_DEP_1)
	v_lshlrev_b64 v[3:4], 3, v[12:13]
	v_add_nc_u32_e32 v12, s24, v14
	v_lshlrev_b64 v[7:8], 3, v[12:13]
	v_add_nc_u32_e32 v12, s24, v30
	s_delay_alu instid0(VALU_DEP_4) | instskip(SKIP_1) | instid1(VALU_DEP_3)
	v_add_co_u32 v3, vcc_lo, s48, v3
	v_add_co_ci_u32_e32 v4, vcc_lo, s49, v4, vcc_lo
	v_lshlrev_b64 v[9:10], 3, v[12:13]
	v_add_nc_u32_e32 v12, s24, v31
	v_add_co_u32 v7, vcc_lo, s48, v7
	global_load_b64 v[3:4], v[3:4], off
	v_add_co_ci_u32_e32 v8, vcc_lo, s49, v8, vcc_lo
	v_lshlrev_b64 v[19:20], 3, v[12:13]
	v_add_co_u32 v9, vcc_lo, s48, v9
	v_add_co_ci_u32_e32 v10, vcc_lo, s49, v10, vcc_lo
	s_clause 0x1
	global_load_b64 v[7:8], v[7:8], off
	global_load_b64 v[9:10], v[9:10], off
	v_add_co_u32 v19, vcc_lo, s48, v19
	v_add_co_ci_u32_e32 v20, vcc_lo, s49, v20, vcc_lo
	v_cmp_le_u32_e32 vcc_lo, s64, v1
	s_add_i32 s24, s24, s66
	global_load_b64 v[19:20], v[19:20], off
	s_waitcnt vmcnt(3)
	v_cmp_o_f64_e64 s7, v[3:4], v[3:4]
	v_ashrrev_i32_e32 v12, 31, v4
	s_delay_alu instid0(VALU_DEP_1)
	v_or_b32_e32 v36, 0x80000000, v12
	v_xor_b32_e32 v12, v12, v3
	s_waitcnt vmcnt(2)
	v_cmp_o_f64_e64 s8, v[7:8], v[7:8]
	s_waitcnt vmcnt(1)
	v_cmp_o_f64_e64 s9, v[9:10], v[9:10]
	v_xor_b32_e32 v36, v36, v4
	v_ashrrev_i32_e32 v39, 31, v10
	v_ashrrev_i32_e32 v38, 31, v8
	s_delay_alu instid0(VALU_DEP_2) | instskip(SKIP_2) | instid1(VALU_DEP_3)
	v_or_b32_e32 v3, 0x80000000, v39
	s_waitcnt vmcnt(0)
	v_cmp_o_f64_e64 s10, v[19:20], v[19:20]
	v_or_b32_e32 v40, 0x80000000, v38
	v_xor_b32_e32 v38, v38, v7
	v_xor_b32_e32 v42, v39, v9
	v_xor_b32_e32 v3, v3, v10
	s_delay_alu instid0(VALU_DEP_4) | instskip(SKIP_2) | instid1(VALU_DEP_2)
	v_xor_b32_e32 v40, v40, v8
	v_cndmask_b32_e64 v4, -1, v36, s7
	v_ashrrev_i32_e32 v36, 31, v20
	v_and_b32_e32 v10, s47, v4
	s_delay_alu instid0(VALU_DEP_2) | instskip(SKIP_3) | instid1(VALU_DEP_4)
	v_or_b32_e32 v7, 0x80000000, v36
	v_xor_b32_e32 v36, v36, v19
	v_cndmask_b32_e64 v8, -1, v40, s8
	v_cndmask_b32_e64 v19, -1, v42, s9
	v_xor_b32_e32 v7, v7, v20
	v_cndmask_b32_e64 v20, -1, v3, s9
	v_cndmask_b32_e64 v3, -1, v12, s7
	v_and_b32_e32 v39, s47, v8
	v_and_b32_e32 v42, s46, v19
	s_delay_alu instid0(VALU_DEP_4) | instskip(NEXT) | instid1(VALU_DEP_4)
	v_and_b32_e32 v43, s47, v20
	v_and_b32_e32 v9, s46, v3
	v_lshrrev_b64 v[3:4], s23, v[3:4]
	v_cndmask_b32_e64 v41, -1, v7, s10
	v_cndmask_b32_e64 v7, -1, v38, s8
	;; [unrolled: 1-line block ×3, first 2 shown]
	v_cmp_eq_u64_e64 s7, s[44:45], v[9:10]
	v_cmp_eq_u64_e64 s13, s[44:45], v[42:43]
	v_and_b32_e32 v12, 3, v3
	v_and_b32_e32 v38, s46, v7
	v_lshrrev_b64 v[7:8], s23, v[7:8]
	v_lshrrev_b64 v[3:4], s23, v[19:20]
	v_and_b32_e32 v44, s47, v41
	v_cmp_eq_u64_e64 s9, 0, v[12:13]
	v_cmp_eq_u64_e64 s10, 1, v[12:13]
	;; [unrolled: 1-line block ×3, first 2 shown]
	v_and_b32_e32 v20, 3, v7
	v_cmp_eq_u64_e64 s12, 3, v[12:13]
	v_cmp_eq_u64_e64 s8, s[44:45], v[38:39]
	s_and_b32 s9, s7, s9
	v_and_b32_e32 v36, 3, v3
	v_cmp_eq_u64_e64 s14, 0, v[20:21]
	v_cmp_eq_u64_e64 s15, 1, v[20:21]
	;; [unrolled: 1-line block ×3, first 2 shown]
	v_lshrrev_b64 v[7:8], s23, v[40:41]
	v_cndmask_b32_e64 v3, 0, 1, s9
	s_and_b32 s9, s7, s10
	v_cmp_eq_u64_e64 s17, 3, v[20:21]
	v_cndmask_b32_e64 v4, 0, 1, s9
	s_and_b32 s9, s7, s11
	s_and_b32 s7, s7, s12
	v_cndmask_b32_e64 v8, 0, 1, s9
	v_cmp_eq_u64_e64 s9, 0, v[36:37]
	v_cmp_eq_u64_e64 s10, 1, v[36:37]
	v_cndmask_b32_e64 v9, 0, 1, s7
	s_and_b32 s14, s8, s14
	s_and_b32 s15, s8, s15
	s_and_b32 s16, s8, s16
	v_and_b32_e32 v43, s46, v40
	v_and_b32_e32 v21, 3, v7
	v_cmp_eq_u64_e64 s11, 2, v[36:37]
	v_cmp_eq_u64_e64 s12, 3, v[36:37]
	v_cmp_ne_u32_e64 s18, 0, v3
	v_cndmask_b32_e64 v3, 0, 1, s14
	v_cmp_ne_u32_e64 s14, 0, v4
	v_cndmask_b32_e64 v4, 0, 1, s15
	v_cndmask_b32_e64 v7, 0, 1, s16
	s_and_b32 s8, s8, s17
	v_cmp_ne_u32_e64 s15, 0, v8
	v_cndmask_b32_e64 v8, 0, 1, s8
	v_cmp_ne_u32_e64 s16, 0, v9
	s_and_b32 s9, s13, s9
	s_and_b32 s10, s13, s10
	v_cmp_eq_u64_e64 s7, s[44:45], v[43:44]
	v_cmp_eq_u64_e64 s8, 0, v[21:22]
	;; [unrolled: 1-line block ×5, first 2 shown]
	s_bcnt1_i32_b32 s82, s18
	v_cmp_ne_u32_e64 s18, 0, v3
	v_cndmask_b32_e64 v3, 0, 1, s9
	v_cmp_ne_u32_e64 s9, 0, v4
	v_cndmask_b32_e64 v4, 0, 1, s10
	v_cmp_ne_u32_e64 s10, 0, v7
	s_and_b32 s11, s13, s11
	s_and_b32 s12, s13, s12
	v_cndmask_b32_e64 v7, 0, 1, s11
	v_cmp_ne_u32_e64 s11, 0, v8
	v_cndmask_b32_e64 v8, 0, 1, s12
	s_bcnt1_i32_b32 s16, s16
	s_and_b32 s8, s7, s8
	s_add_i32 s16, s16, s25
	s_bcnt1_i32_b32 s25, s9
	s_and_b32 s9, s7, s17
	s_bcnt1_i32_b32 s17, s10
	s_and_b32 s10, s7, s19
	s_and_b32 s7, s7, s20
	v_cmp_ne_u32_e64 s12, 0, v3
	v_cndmask_b32_e64 v3, 0, 1, s8
	v_cmp_ne_u32_e64 s8, 0, v4
	v_cndmask_b32_e64 v4, 0, 1, s9
	;; [unrolled: 2-line block ×4, first 2 shown]
	s_bcnt1_i32_b32 s15, s15
	s_add_i32 s13, s82, s81
	s_add_i32 s15, s15, s26
	s_bcnt1_i32_b32 s18, s18
	s_bcnt1_i32_b32 s11, s11
	;; [unrolled: 1-line block ×3, first 2 shown]
	s_add_i32 s13, s13, s18
	s_add_i32 s15, s15, s17
	;; [unrolled: 1-line block ×3, first 2 shown]
	v_cmp_ne_u32_e64 s7, 0, v3
	s_bcnt1_i32_b32 s16, s8
	v_cmp_ne_u32_e64 s8, 0, v4
	s_bcnt1_i32_b32 s17, s9
	;; [unrolled: 2-line block ×3, first 2 shown]
	v_cmp_ne_u32_e64 s10, 0, v8
	s_add_i32 s14, s14, s80
	s_bcnt1_i32_b32 s12, s12
	s_add_i32 s14, s14, s25
	s_add_i32 s12, s13, s12
	;; [unrolled: 1-line block ×5, first 2 shown]
	s_bcnt1_i32_b32 s7, s7
	s_bcnt1_i32_b32 s8, s8
	s_bcnt1_i32_b32 s9, s9
	s_bcnt1_i32_b32 s10, s10
	s_add_i32 s81, s12, s7
	s_add_i32 s80, s13, s8
	;; [unrolled: 1-line block ×4, first 2 shown]
	s_delay_alu instid0(SALU_CYCLE_1) | instskip(SKIP_2) | instid1(SALU_CYCLE_1)
	v_dual_mov_b32 v7, s81 :: v_dual_mov_b32 v10, s25
	v_dual_mov_b32 v8, s80 :: v_dual_mov_b32 v9, s26
	s_or_b32 s22, vcc_lo, s22
	s_and_not1_b32 exec_lo, exec_lo, s22
	s_cbranch_execnz .LBB113_54
; %bb.55:                               ;   in Loop: Header=BB113_21 Depth=1
	s_or_b32 exec_lo, exec_lo, s22
.LBB113_56:                             ;   in Loop: Header=BB113_21 Depth=1
	s_delay_alu instid0(SALU_CYCLE_1)
	s_or_b32 exec_lo, exec_lo, s21
	v_mov_b32_e32 v21, 0
	v_mov_b32_e32 v22, 0
	s_and_saveexec_b32 s7, s5
	s_cbranch_execz .LBB113_58
; %bb.57:                               ;   in Loop: Header=BB113_21 Depth=1
	global_load_b64 v[21:22], v[17:18], off
.LBB113_58:                             ;   in Loop: Header=BB113_21 Depth=1
	s_or_b32 exec_lo, exec_lo, s7
	s_and_saveexec_b32 s11, s5
	s_cbranch_execz .LBB113_65
; %bb.59:                               ;   in Loop: Header=BB113_21 Depth=1
	v_mov_b32_e32 v3, v33
	v_mov_b32_e32 v1, v29
	s_and_b32 s13, s73, 0xfe
	s_mov_b32 s12, 0
	s_branch .LBB113_61
.LBB113_60:                             ;   in Loop: Header=BB113_61 Depth=2
	s_or_b32 exec_lo, exec_lo, s8
	s_waitcnt vmcnt(0)
	v_cmp_o_f64_e64 s7, v[21:22], v[21:22]
	v_ashrrev_i32_e32 v4, 31, v22
	s_and_b32 s9, exec_lo, vcc_lo
	v_add_nc_u32_e32 v3, s53, v3
	s_or_b32 s12, s9, s12
	s_delay_alu instid0(VALU_DEP_2) | instskip(SKIP_1) | instid1(VALU_DEP_2)
	v_or_b32_e32 v12, 0x80000000, v4
	v_xor_b32_e32 v4, v4, v21
	v_xor_b32_e32 v12, v12, v22
	s_delay_alu instid0(VALU_DEP_1) | instskip(NEXT) | instid1(VALU_DEP_3)
	v_cndmask_b32_e64 v22, -1, v12, s7
	v_cndmask_b32_e64 v21, -1, v4, s7
	s_delay_alu instid0(VALU_DEP_1) | instskip(SKIP_2) | instid1(VALU_DEP_3)
	v_lshrrev_b64 v[36:37], s13, v[21:22]
	v_and_b32_e32 v22, s47, v22
	v_and_b32_e32 v21, s46, v21
	;; [unrolled: 1-line block ×3, first 2 shown]
	s_delay_alu instid0(VALU_DEP_2) | instskip(NEXT) | instid1(VALU_DEP_2)
	v_cmp_eq_u64_e64 s7, s[44:45], v[21:22]
	v_cmp_eq_u64_e64 s8, 0, v[12:13]
	v_cmp_eq_u64_e32 vcc_lo, 1, v[12:13]
	v_cmp_eq_u64_e64 s9, 2, v[12:13]
	v_cmp_eq_u64_e64 s10, 3, v[12:13]
	s_delay_alu instid0(VALU_DEP_4) | instskip(NEXT) | instid1(SALU_CYCLE_1)
	s_and_b32 s8, s7, s8
	v_cndmask_b32_e64 v4, 0, 1, s8
	s_and_b32 s8, s7, vcc_lo
	s_delay_alu instid0(SALU_CYCLE_1)
	v_cndmask_b32_e64 v12, 0, 1, s8
	s_and_b32 s8, s7, s9
	s_and_b32 s7, s7, s10
	v_cndmask_b32_e64 v21, 0, 1, s8
	v_cndmask_b32_e64 v22, 0, 1, s7
	v_cmp_ne_u32_e32 vcc_lo, 0, v4
	v_cmp_ne_u32_e64 s7, 0, v12
	s_delay_alu instid0(VALU_DEP_4) | instskip(NEXT) | instid1(VALU_DEP_4)
	v_cmp_ne_u32_e64 s8, 0, v21
	v_cmp_ne_u32_e64 s9, 0, v22
	s_bcnt1_i32_b32 s10, vcc_lo
	s_delay_alu instid0(VALU_DEP_3)
	s_bcnt1_i32_b32 s7, s7
	v_dual_mov_b32 v22, v20 :: v_dual_mov_b32 v21, v19
	s_bcnt1_i32_b32 s8, s8
	s_bcnt1_i32_b32 s9, s9
	v_add_nc_u32_e32 v7, s10, v7
	v_add_nc_u32_e32 v8, s7, v8
	;; [unrolled: 1-line block ×4, first 2 shown]
	s_and_not1_b32 exec_lo, exec_lo, s12
	s_cbranch_execz .LBB113_64
.LBB113_61:                             ;   Parent Loop BB113_21 Depth=1
                                        ; =>  This Inner Loop Header: Depth=2
	s_delay_alu instid0(VALU_DEP_1) | instskip(SKIP_3) | instid1(VALU_DEP_3)
	v_add_nc_u32_e32 v1, s31, v1
	v_mov_b32_e32 v19, 0
	v_mov_b32_e32 v20, 0
	s_mov_b32 s8, exec_lo
	v_cmp_le_u32_e32 vcc_lo, s28, v1
	v_cmpx_gt_u32_e64 s28, v1
	s_cbranch_execz .LBB113_60
; %bb.62:                               ;   in Loop: Header=BB113_61 Depth=2
	v_mov_b32_e32 v4, v13
	s_delay_alu instid0(VALU_DEP_1) | instskip(NEXT) | instid1(VALU_DEP_1)
	v_lshlrev_b64 v[19:20], 3, v[3:4]
	v_add_co_u32 v19, s7, s48, v19
	s_delay_alu instid0(VALU_DEP_1)
	v_add_co_ci_u32_e64 v20, s7, s49, v20, s7
	global_load_b64 v[19:20], v[19:20], off
	s_branch .LBB113_60
.LBB113_63:                             ;   in Loop: Header=BB113_21 Depth=1
                                        ; implicit-def: $vgpr10
	s_cbranch_execnz .LBB113_66
	s_branch .LBB113_75
.LBB113_64:                             ;   in Loop: Header=BB113_21 Depth=1
	s_or_b32 exec_lo, exec_lo, s12
.LBB113_65:                             ;   in Loop: Header=BB113_21 Depth=1
	s_delay_alu instid0(SALU_CYCLE_1)
	s_or_b32 exec_lo, exec_lo, s11
	s_branch .LBB113_75
.LBB113_66:                             ;   in Loop: Header=BB113_21 Depth=1
	s_mul_hi_u32 s7, s79, s63
	v_dual_mov_b32 v7, 0 :: v_dual_mov_b32 v8, 0
	s_mul_i32 s7, s7, s54
	v_dual_mov_b32 v9, 0 :: v_dual_mov_b32 v10, 0
	s_sub_i32 s7, s79, s7
	s_mov_b32 s82, 0
	s_sub_i32 s8, s7, s54
	s_cmp_ge_u32 s7, s54
	s_mov_b32 s81, exec_lo
	s_cselect_b32 s7, s8, s7
	s_delay_alu instid0(SALU_CYCLE_1) | instskip(SKIP_2) | instid1(SALU_CYCLE_1)
	s_sub_i32 s8, s7, s54
	s_cmp_ge_u32 s7, s54
	s_cselect_b32 s7, s8, s7
	s_sub_i32 s80, s79, s7
	s_delay_alu instid0(SALU_CYCLE_1)
	v_cmpx_gt_u32_e64 s80, v24
	s_cbranch_execz .LBB113_70
; %bb.67:                               ;   in Loop: Header=BB113_21 Depth=1
	v_mov_b32_e32 v1, v34
	v_mov_b32_e32 v3, v24
	s_and_b32 s83, s73, 0xfe
	s_mov_b32 s84, 0
	s_mov_b32 s85, 0
	;; [unrolled: 1-line block ×4, first 2 shown]
.LBB113_68:                             ;   Parent Loop BB113_21 Depth=1
                                        ; =>  This Inner Loop Header: Depth=2
	ds_load_b128 v[7:10], v1
	s_waitcnt vmcnt(0)
	ds_load_b128 v[19:22], v1 offset:16
	s_waitcnt lgkmcnt(1)
	v_cmp_o_f64_e64 s8, v[7:8], v[7:8]
	s_waitcnt lgkmcnt(0)
	v_cmp_o_f64_e64 s10, v[21:22], v[21:22]
	v_cmp_o_f64_e64 s7, v[9:10], v[9:10]
	;; [unrolled: 1-line block ×3, first 2 shown]
	v_ashrrev_i32_e32 v4, 31, v8
	v_ashrrev_i32_e32 v38, 31, v22
	v_ashrrev_i32_e32 v12, 31, v10
	v_ashrrev_i32_e32 v36, 31, v20
	s_delay_alu instid0(VALU_DEP_4) | instskip(NEXT) | instid1(VALU_DEP_4)
	v_or_b32_e32 v40, 0x80000000, v4
	v_or_b32_e32 v44, 0x80000000, v38
	s_delay_alu instid0(VALU_DEP_4) | instskip(NEXT) | instid1(VALU_DEP_4)
	v_or_b32_e32 v42, 0x80000000, v12
	v_or_b32_e32 v43, 0x80000000, v36
	v_xor_b32_e32 v4, v4, v7
	v_xor_b32_e32 v40, v40, v8
	;; [unrolled: 1-line block ×8, first 2 shown]
	v_cndmask_b32_e64 v8, -1, v40, s8
	v_cndmask_b32_e64 v22, -1, v7, s10
	;; [unrolled: 1-line block ×7, first 2 shown]
	v_dual_mov_b32 v37, v13 :: v_dual_and_b32 v42, s46, v7
	v_and_b32_e32 v43, s47, v8
	v_lshrrev_b64 v[7:8], s83, v[7:8]
	v_cndmask_b32_e64 v21, -1, v38, s10
	v_dual_mov_b32 v39, v13 :: v_dual_and_b32 v44, s46, v9
	v_lshrrev_b64 v[8:9], s83, v[9:10]
	v_and_b32_e32 v45, s47, v10
	v_lshrrev_b64 v[9:10], s83, v[19:20]
	v_dual_mov_b32 v41, v13 :: v_dual_and_b32 v46, s46, v19
	v_and_b32_e32 v47, s47, v20
	v_lshrrev_b64 v[19:20], s83, v[21:22]
	v_and_b32_e32 v12, 3, v7
	v_and_b32_e32 v36, 3, v8
	;; [unrolled: 1-line block ×3, first 2 shown]
	v_cmp_eq_u64_e64 s7, s[44:45], v[42:43]
	v_and_b32_e32 v49, s47, v22
	v_cmp_eq_u64_e64 s11, 0, v[12:13]
	v_and_b32_e32 v48, s46, v21
	v_and_b32_e32 v40, 3, v19
	v_cmp_eq_u64_e64 s8, s[44:45], v[44:45]
	v_cmp_eq_u64_e64 s12, 0, v[36:37]
	;; [unrolled: 1-line block ×6, first 2 shown]
	s_and_b32 s11, s7, s11
	v_cmp_eq_u64_e64 s15, 1, v[12:13]
	v_cndmask_b32_e64 v4, 0, 1, s11
	s_and_b32 s11, s8, s12
	v_cmp_eq_u64_e64 s16, 1, v[36:37]
	v_cndmask_b32_e64 v7, 0, 1, s11
	;; [unrolled: 3-line block ×4, first 2 shown]
	s_and_b32 s11, s7, s15
	v_cmp_eq_u64_e64 s19, 2, v[12:13]
	v_cmp_eq_u64_e64 s23, 3, v[12:13]
	v_cndmask_b32_e64 v10, 0, 1, s11
	s_and_b32 s11, s8, s16
	v_cmp_eq_u64_e64 s20, 2, v[36:37]
	v_cmp_eq_u64_e64 s24, 3, v[36:37]
	v_cndmask_b32_e64 v12, 0, 1, s11
	;; [unrolled: 4-line block ×4, first 2 shown]
	s_and_b32 s11, s7, s19
	s_and_b32 s7, s7, s23
	v_cndmask_b32_e64 v21, 0, 1, s11
	s_and_b32 s11, s8, s20
	v_cndmask_b32_e64 v38, 0, 1, s7
	s_and_b32 s7, s8, s24
	v_cndmask_b32_e64 v22, 0, 1, s11
	s_and_b32 s11, s9, s21
	v_cndmask_b32_e64 v39, 0, 1, s7
	s_and_b32 s7, s9, s25
	v_cndmask_b32_e64 v36, 0, 1, s11
	s_and_b32 s11, s10, s22
	v_cndmask_b32_e64 v40, 0, 1, s7
	s_and_b32 s7, s10, s26
	v_cndmask_b32_e64 v37, 0, 1, s11
	v_cndmask_b32_e64 v41, 0, 1, s7
	v_cmp_ne_u32_e64 s7, 0, v4
	v_cmp_ne_u32_e64 s11, 0, v10
	;; [unrolled: 1-line block ×7, first 2 shown]
	s_bcnt1_i32_b32 s7, s7
	s_bcnt1_i32_b32 s11, s11
	v_cmp_ne_u32_e64 s14, 0, v20
	v_cmp_ne_u32_e64 s16, 0, v22
	;; [unrolled: 1-line block ×3, first 2 shown]
	s_bcnt1_i32_b32 s8, s8
	s_bcnt1_i32_b32 s12, s12
	s_add_i32 s7, s7, s87
	s_add_i32 s11, s11, s86
	v_cmp_ne_u32_e64 s9, 0, v8
	v_cmp_ne_u32_e64 s17, 0, v36
	;; [unrolled: 1-line block ×3, first 2 shown]
	s_bcnt1_i32_b32 s13, s13
	s_add_i32 s7, s7, s8
	s_add_i32 s8, s11, s12
	s_bcnt1_i32_b32 s15, s15
	s_bcnt1_i32_b32 s19, s19
	v_cmp_ne_u32_e64 s10, 0, v9
	v_cmp_ne_u32_e64 s18, 0, v37
	;; [unrolled: 1-line block ×3, first 2 shown]
	s_bcnt1_i32_b32 s14, s14
	s_add_i32 s8, s8, s13
	s_bcnt1_i32_b32 s16, s16
	s_bcnt1_i32_b32 s20, s20
	s_add_i32 s15, s15, s85
	s_add_i32 s19, s19, s84
	;; [unrolled: 1-line block ×3, first 2 shown]
	s_delay_alu instid0(SALU_CYCLE_1)
	v_dual_mov_b32 v8, s86 :: v_dual_add_nc_u32 v3, s54, v3
	s_bcnt1_i32_b32 s9, s9
	s_bcnt1_i32_b32 s17, s17
	;; [unrolled: 1-line block ×3, first 2 shown]
	s_add_i32 s11, s15, s16
	s_add_i32 s12, s19, s20
	s_bcnt1_i32_b32 s10, s10
	s_bcnt1_i32_b32 s18, s18
	;; [unrolled: 1-line block ×3, first 2 shown]
	s_add_i32 s7, s7, s9
	s_add_i32 s9, s11, s17
	;; [unrolled: 1-line block ×3, first 2 shown]
	v_cmp_le_u32_e32 vcc_lo, s80, v3
	s_add_i32 s87, s7, s10
	s_add_i32 s85, s9, s18
	;; [unrolled: 1-line block ×3, first 2 shown]
	s_delay_alu instid0(SALU_CYCLE_1) | instskip(SKIP_3) | instid1(SALU_CYCLE_1)
	v_dual_mov_b32 v10, s84 :: v_dual_add_nc_u32 v1, s68, v1
	v_mov_b32_e32 v7, s87
	v_mov_b32_e32 v9, s85
	s_or_b32 s82, vcc_lo, s82
	s_and_not1_b32 exec_lo, exec_lo, s82
	s_cbranch_execnz .LBB113_68
; %bb.69:                               ;   in Loop: Header=BB113_21 Depth=1
	s_or_b32 exec_lo, exec_lo, s82
.LBB113_70:                             ;   in Loop: Header=BB113_21 Depth=1
	s_delay_alu instid0(SALU_CYCLE_1) | instskip(SKIP_2) | instid1(VALU_DEP_1)
	s_or_b32 exec_lo, exec_lo, s81
	v_add_nc_u32_e32 v1, s80, v0
	s_mov_b32 s12, exec_lo
	v_cmpx_gt_u32_e64 s79, v1
	s_cbranch_execz .LBB113_74
; %bb.71:                               ;   in Loop: Header=BB113_21 Depth=1
	v_lshlrev_b32_e32 v3, 3, v1
	s_and_b32 s14, s73, 0xfe
	s_mov_b32 s13, 0
.LBB113_72:                             ;   Parent Loop BB113_21 Depth=1
                                        ; =>  This Inner Loop Header: Depth=2
	ds_load_b64 v[19:20], v3
	v_add_nc_u32_e32 v3, s69, v3
	s_waitcnt lgkmcnt(0)
	v_cmp_o_f64_e32 vcc_lo, v[19:20], v[19:20]
	v_ashrrev_i32_e32 v4, 31, v20
	s_delay_alu instid0(VALU_DEP_1) | instskip(SKIP_1) | instid1(VALU_DEP_2)
	v_or_b32_e32 v12, 0x80000000, v4
	v_xor_b32_e32 v4, v4, v19
	v_xor_b32_e32 v12, v12, v20
	s_delay_alu instid0(VALU_DEP_1) | instskip(NEXT) | instid1(VALU_DEP_3)
	v_dual_cndmask_b32 v20, -1, v12 :: v_dual_add_nc_u32 v1, s31, v1
	v_cndmask_b32_e32 v19, -1, v4, vcc_lo
	s_delay_alu instid0(VALU_DEP_2) | instskip(SKIP_1) | instid1(VALU_DEP_3)
	v_cmp_le_u32_e64 s7, s79, v1
	s_waitcnt vmcnt(0)
	v_and_b32_e32 v22, s47, v20
	s_delay_alu instid0(VALU_DEP_3) | instskip(SKIP_1) | instid1(VALU_DEP_2)
	v_and_b32_e32 v21, s46, v19
	v_lshrrev_b64 v[19:20], s14, v[19:20]
	v_cmp_eq_u64_e32 vcc_lo, s[44:45], v[21:22]
	s_delay_alu instid0(VALU_DEP_2) | instskip(NEXT) | instid1(VALU_DEP_1)
	v_and_b32_e32 v12, 3, v19
	v_cmp_eq_u64_e64 s8, 0, v[12:13]
	v_cmp_eq_u64_e64 s9, 1, v[12:13]
	;; [unrolled: 1-line block ×4, first 2 shown]
	s_delay_alu instid0(VALU_DEP_4) | instskip(NEXT) | instid1(SALU_CYCLE_1)
	s_and_b32 s8, vcc_lo, s8
	v_cndmask_b32_e64 v4, 0, 1, s8
	s_delay_alu instid0(VALU_DEP_4) | instskip(NEXT) | instid1(SALU_CYCLE_1)
	s_and_b32 s8, vcc_lo, s9
	v_cndmask_b32_e64 v12, 0, 1, s8
	s_and_b32 s8, vcc_lo, s10
	s_delay_alu instid0(SALU_CYCLE_1)
	v_cndmask_b32_e64 v19, 0, 1, s8
	s_and_b32 s8, vcc_lo, s11
	v_cmp_ne_u32_e32 vcc_lo, 0, v4
	v_cndmask_b32_e64 v20, 0, 1, s8
	v_cmp_ne_u32_e64 s8, 0, v12
	v_cmp_ne_u32_e64 s9, 0, v19
	s_bcnt1_i32_b32 s11, vcc_lo
	s_delay_alu instid0(VALU_DEP_3) | instskip(NEXT) | instid1(VALU_DEP_3)
	v_cmp_ne_u32_e64 s10, 0, v20
	s_bcnt1_i32_b32 s8, s8
	s_delay_alu instid0(VALU_DEP_2)
	s_bcnt1_i32_b32 s9, s9
	v_add_nc_u32_e32 v7, s11, v7
	v_add_nc_u32_e32 v8, s8, v8
	s_bcnt1_i32_b32 s10, s10
	v_add_nc_u32_e32 v9, s9, v9
	v_add_nc_u32_e32 v10, s10, v10
	s_or_b32 s13, s7, s13
	s_delay_alu instid0(SALU_CYCLE_1)
	s_and_not1_b32 exec_lo, exec_lo, s13
	s_cbranch_execnz .LBB113_72
; %bb.73:                               ;   in Loop: Header=BB113_21 Depth=1
	s_or_b32 exec_lo, exec_lo, s13
.LBB113_74:                             ;   in Loop: Header=BB113_21 Depth=1
	s_delay_alu instid0(SALU_CYCLE_1)
	s_or_b32 exec_lo, exec_lo, s12
.LBB113_75:                             ;   in Loop: Header=BB113_21 Depth=1
	s_lshl_b32 s7, s76, 7
	s_and_saveexec_b32 s8, s3
	s_cbranch_execz .LBB113_77
; %bb.76:                               ;   in Loop: Header=BB113_21 Depth=1
	v_or_b32_e32 v1, s7, v27
	s_delay_alu instid0(VALU_DEP_1)
	v_lshlrev_b32_e32 v1, 2, v1
	ds_store_b128 v1, v[7:10] offset:3072
.LBB113_77:                             ;   in Loop: Header=BB113_21 Depth=1
	s_or_b32 exec_lo, exec_lo, s8
	s_waitcnt vmcnt(0) lgkmcnt(0)
	s_barrier
	buffer_gl0_inv
	s_and_saveexec_b32 s8, s55
	s_cbranch_execz .LBB113_87
; %bb.78:                               ;   in Loop: Header=BB113_21 Depth=1
	v_mov_b32_e32 v1, 0
	s_and_not1_b32 vcc_lo, exec_lo, s58
	s_cbranch_vccnz .LBB113_86
; %bb.79:                               ;   in Loop: Header=BB113_21 Depth=1
	v_mov_b32_e32 v1, 0
	s_and_not1_b32 vcc_lo, exec_lo, s60
	s_mov_b32 s9, 0
	s_cbranch_vccnz .LBB113_83
; %bb.80:                               ;   in Loop: Header=BB113_21 Depth=1
	v_lshl_add_u32 v3, s76, 9, v35
	v_mov_b32_e32 v1, 0
	.p2align	6
.LBB113_81:                             ;   Parent Loop BB113_21 Depth=1
                                        ; =>  This Inner Loop Header: Depth=2
	ds_load_2addr_b32 v[7:8], v3 offset1:4
	ds_load_2addr_b32 v[9:10], v3 offset0:8 offset1:12
	ds_load_2addr_b32 v[19:20], v3 offset0:16 offset1:20
	;; [unrolled: 1-line block ×3, first 2 shown]
	v_add_nc_u32_e32 v3, 0x80, v3
	s_add_i32 s9, s9, 8
	s_delay_alu instid0(SALU_CYCLE_1) | instskip(SKIP_3) | instid1(VALU_DEP_1)
	s_cmp_eq_u32 s61, s9
	s_waitcnt lgkmcnt(3)
	v_add3_u32 v1, v7, v1, v8
	s_waitcnt lgkmcnt(2)
	v_add3_u32 v1, v9, v1, v10
	s_waitcnt lgkmcnt(1)
	s_delay_alu instid0(VALU_DEP_1) | instskip(SKIP_1) | instid1(VALU_DEP_1)
	v_add3_u32 v1, v19, v1, v20
	s_waitcnt lgkmcnt(0)
	v_add3_u32 v1, v21, v1, v22
	s_cbranch_scc0 .LBB113_81
; %bb.82:                               ;   in Loop: Header=BB113_21 Depth=1
	s_mov_b32 s9, s61
.LBB113_83:                             ;   in Loop: Header=BB113_21 Depth=1
	s_and_not1_b32 vcc_lo, exec_lo, s62
	s_cbranch_vccnz .LBB113_86
; %bb.84:                               ;   in Loop: Header=BB113_21 Depth=1
	s_lshl_b32 s10, s76, 9
	s_lshl_b32 s9, s9, 4
	s_delay_alu instid0(SALU_CYCLE_1)
	v_add3_u32 v3, s10, s9, v35
	s_mov_b32 s9, s59
.LBB113_85:                             ;   Parent Loop BB113_21 Depth=1
                                        ; =>  This Inner Loop Header: Depth=2
	ds_load_b32 v4, v3
	v_add_nc_u32_e32 v3, 16, v3
	s_add_i32 s9, s9, -1
	s_delay_alu instid0(SALU_CYCLE_1)
	s_cmp_lg_u32 s9, 0
	s_waitcnt lgkmcnt(0)
	v_add_nc_u32_e32 v1, v4, v1
	s_cbranch_scc1 .LBB113_85
.LBB113_86:                             ;   in Loop: Header=BB113_21 Depth=1
	v_add_lshl_u32 v3, s7, v23, 2
	ds_store_b32 v3, v1 offset:3072
.LBB113_87:                             ;   in Loop: Header=BB113_21 Depth=1
	s_or_b32 exec_lo, exec_lo, s8
	s_lshl_b32 s7, s7, 2
	s_waitcnt lgkmcnt(0)
	v_mov_b32_e32 v1, s7
	s_barrier
	buffer_gl0_inv
	s_and_b32 s22, s73, 0xfe
	s_delay_alu instid0(SALU_CYCLE_1)
	s_lshl_b64 s[8:9], 3, s22
	ds_load_b128 v[7:10], v1 offset:3072
	s_not_b64 s[10:11], s[8:9]
	s_waitcnt lgkmcnt(0)
	v_readfirstlane_b32 s18, v7
	v_readfirstlane_b32 s25, v8
	;; [unrolled: 1-line block ×4, first 2 shown]
	s_delay_alu instid0(VALU_DEP_4) | instskip(SKIP_3) | instid1(SALU_CYCLE_1)
	s_cmp_eq_u32 s18, 1
	s_cselect_b32 s7, -1, 0
	s_cmp_eq_u32 s78, 1
	s_cselect_b32 s12, -1, 0
	s_and_b32 s13, s7, s12
	s_mov_b32 s12, -1
	s_and_b32 vcc_lo, exec_lo, s13
	s_cbranch_vccz .LBB113_99
; %bb.88:                               ;   in Loop: Header=BB113_21 Depth=1
	ds_load_b32 v1, v13 offset:4104
	s_waitcnt lgkmcnt(0)
	s_barrier
	buffer_gl0_inv
	v_readfirstlane_b32 s14, v1
	s_and_saveexec_b32 s7, s2
	s_cbranch_execz .LBB113_90
; %bb.89:                               ;   in Loop: Header=BB113_21 Depth=1
	v_mov_b32_e32 v12, v13
	ds_store_b64 v26, v[12:13]
.LBB113_90:                             ;   in Loop: Header=BB113_21 Depth=1
	s_or_b32 exec_lo, exec_lo, s7
	s_and_b64 s[44:45], s[44:45], s[10:11]
	s_or_b64 s[46:47], s[46:47], s[8:9]
	s_cmp_eq_u32 s14, 0
	s_waitcnt lgkmcnt(0)
	s_barrier
	buffer_gl0_inv
	s_cbranch_scc1 .LBB113_100
; %bb.91:                               ;   in Loop: Header=BB113_21 Depth=1
	s_add_i32 s7, s14, s56
                                        ; implicit-def: $vgpr5_vgpr6
	s_delay_alu instid0(SALU_CYCLE_1) | instskip(NEXT) | instid1(SALU_CYCLE_1)
	s_mul_hi_u32 s15, s7, s65
	s_mul_i32 s15, s15, s31
	s_delay_alu instid0(SALU_CYCLE_1) | instskip(NEXT) | instid1(SALU_CYCLE_1)
	s_sub_i32 s15, s7, s15
	s_sub_i32 s17, s15, s31
	s_cmp_ge_u32 s15, s31
	s_cselect_b32 s15, s17, s15
	s_delay_alu instid0(SALU_CYCLE_1) | instskip(SKIP_2) | instid1(SALU_CYCLE_1)
	s_sub_i32 s17, s15, s31
	s_cmp_ge_u32 s15, s31
	s_cselect_b32 s15, s17, s15
	s_sub_i32 s17, s7, s15
	s_mov_b32 s7, 0
	s_mov_b32 s15, exec_lo
	v_cmpx_gt_u32_e64 s17, v0
	s_cbranch_execz .LBB113_102
; %bb.92:                               ;   in Loop: Header=BB113_21 Depth=1
	v_dual_mov_b32 v7, v25 :: v_dual_mov_b32 v8, v0
	s_mov_b32 s21, 0
                                        ; implicit-def: $sgpr20
	s_set_inst_prefetch_distance 0x1
	s_branch .LBB113_94
	.p2align	6
.LBB113_93:                             ;   in Loop: Header=BB113_94 Depth=2
	s_or_b32 exec_lo, exec_lo, s7
	s_waitcnt lgkmcnt(0)
	s_barrier
	buffer_gl0_inv
	ds_load_b128 v[3:6], v13 offset:3072
	v_add_nc_u32_e32 v8, s31, v8
	v_add_nc_u32_e32 v7, s69, v7
	s_waitcnt lgkmcnt(0)
	s_barrier
	buffer_gl0_inv
	v_cmp_le_u32_e64 s7, s17, v8
	v_cmp_neq_f64_e32 vcc_lo, 0, v[3:4]
	s_delay_alu instid0(VALU_DEP_2) | instskip(NEXT) | instid1(SALU_CYCLE_1)
	s_or_b32 s7, s7, vcc_lo
	s_and_b32 s7, exec_lo, s7
	s_delay_alu instid0(SALU_CYCLE_1) | instskip(SKIP_2) | instid1(SALU_CYCLE_1)
	s_or_b32 s21, s7, s21
	s_and_not1_b32 s7, s20, exec_lo
	s_and_b32 s20, vcc_lo, exec_lo
	s_or_b32 s20, s7, s20
	s_and_not1_b32 exec_lo, exec_lo, s21
	s_cbranch_execz .LBB113_101
.LBB113_94:                             ;   Parent Loop BB113_21 Depth=1
                                        ; =>  This Inner Loop Header: Depth=2
	v_mov_b32_e32 v3, 0
	v_mov_b32_e32 v4, 0
	v_cmp_gt_u32_e32 vcc_lo, s14, v8
	s_and_saveexec_b32 s7, vcc_lo
	s_cbranch_execz .LBB113_96
; %bb.95:                               ;   in Loop: Header=BB113_94 Depth=2
	ds_load_b64 v[3:4], v7
.LBB113_96:                             ;   in Loop: Header=BB113_94 Depth=2
	s_or_b32 exec_lo, exec_lo, s7
	s_and_saveexec_b32 s7, vcc_lo
	s_cbranch_execz .LBB113_93
; %bb.97:                               ;   in Loop: Header=BB113_94 Depth=2
	s_waitcnt lgkmcnt(0)
	v_cmp_o_f64_e32 vcc_lo, v[3:4], v[3:4]
	v_ashrrev_i32_e32 v1, 31, v4
	s_delay_alu instid0(VALU_DEP_1) | instskip(SKIP_1) | instid1(VALU_DEP_2)
	v_or_b32_e32 v5, 0x80000000, v1
	v_xor_b32_e32 v1, v1, v3
	v_xor_b32_e32 v5, v5, v4
	s_delay_alu instid0(VALU_DEP_1) | instskip(NEXT) | instid1(VALU_DEP_3)
	v_cndmask_b32_e32 v5, -1, v5, vcc_lo
	v_cndmask_b32_e32 v1, -1, v1, vcc_lo
	s_delay_alu instid0(VALU_DEP_2) | instskip(NEXT) | instid1(VALU_DEP_2)
	v_and_b32_e32 v6, s47, v5
	v_and_b32_e32 v5, s46, v1
	s_delay_alu instid0(VALU_DEP_1)
	v_cmp_eq_u64_e32 vcc_lo, s[44:45], v[5:6]
	s_and_b32 exec_lo, exec_lo, vcc_lo
	s_cbranch_execz .LBB113_93
; %bb.98:                               ;   in Loop: Header=BB113_94 Depth=2
	v_mov_b32_e32 v1, v13
	ds_store_b128 v13, v[1:4] offset:3072
	s_branch .LBB113_93
.LBB113_99:                             ;   in Loop: Header=BB113_21 Depth=1
	s_mov_b32 s7, -1
                                        ; implicit-def: $sgpr14
                                        ; implicit-def: $sgpr17
                                        ; implicit-def: $sgpr15
	s_branch .LBB113_113
.LBB113_100:                            ;   in Loop: Header=BB113_21 Depth=1
	s_mov_b32 s14, -1
	s_mov_b32 s7, 0
                                        ; implicit-def: $sgpr15
                                        ; implicit-def: $vgpr5_vgpr6
	s_mov_b32 s17, s14
	s_cbranch_execnz .LBB113_103
	s_branch .LBB113_113
.LBB113_101:                            ;   in Loop: Header=BB113_21 Depth=1
	s_set_inst_prefetch_distance 0x2
	s_or_b32 exec_lo, exec_lo, s21
	s_delay_alu instid0(SALU_CYCLE_1)
	s_and_b32 s7, s20, exec_lo
.LBB113_102:                            ;   in Loop: Header=BB113_21 Depth=1
	s_or_b32 exec_lo, exec_lo, s15
	s_mov_b32 s15, -1
	s_mov_b32 s14, 0
	s_delay_alu instid0(SALU_CYCLE_1)
	s_mov_b32 s17, s14
	s_branch .LBB113_113
.LBB113_103:                            ;   in Loop: Header=BB113_21 Depth=1
	s_mov_b32 s7, 0
                                        ; implicit-def: $vgpr5_vgpr6
	s_and_saveexec_b32 s14, s6
	s_cbranch_execz .LBB113_112
; %bb.104:                              ;   in Loop: Header=BB113_21 Depth=1
	v_dual_mov_b32 v12, v11 :: v_dual_mov_b32 v7, v0
	s_mov_b32 s17, 0
                                        ; implicit-def: $sgpr15
	s_branch .LBB113_106
.LBB113_105:                            ;   in Loop: Header=BB113_106 Depth=2
	s_or_b32 exec_lo, exec_lo, s7
	s_waitcnt vmcnt(0) lgkmcnt(0)
	s_barrier
	buffer_gl0_inv
	ds_load_b128 v[3:6], v13 offset:3072
	v_add_nc_u32_e32 v7, s31, v7
	v_add_nc_u32_e32 v12, s53, v12
	s_waitcnt lgkmcnt(0)
	s_barrier
	buffer_gl0_inv
	v_cmp_le_u32_e64 s7, s67, v7
	v_cmp_neq_f64_e32 vcc_lo, 0, v[3:4]
	s_delay_alu instid0(VALU_DEP_2) | instskip(NEXT) | instid1(SALU_CYCLE_1)
	s_or_b32 s7, s7, vcc_lo
	s_and_b32 s7, exec_lo, s7
	s_delay_alu instid0(SALU_CYCLE_1) | instskip(SKIP_2) | instid1(SALU_CYCLE_1)
	s_or_b32 s17, s7, s17
	s_and_not1_b32 s7, s15, exec_lo
	s_and_b32 s15, vcc_lo, exec_lo
	s_or_b32 s15, s7, s15
	s_and_not1_b32 exec_lo, exec_lo, s17
	s_cbranch_execz .LBB113_111
.LBB113_106:                            ;   Parent Loop BB113_21 Depth=1
                                        ; =>  This Inner Loop Header: Depth=2
	v_mov_b32_e32 v3, 0
	v_mov_b32_e32 v4, 0
	v_cmp_gt_u32_e32 vcc_lo, s28, v7
	s_and_saveexec_b32 s20, vcc_lo
	s_cbranch_execz .LBB113_108
; %bb.107:                              ;   in Loop: Header=BB113_106 Depth=2
	v_lshlrev_b64 v[3:4], 3, v[12:13]
	s_delay_alu instid0(VALU_DEP_1) | instskip(NEXT) | instid1(VALU_DEP_1)
	v_add_co_u32 v3, s7, s48, v3
	v_add_co_ci_u32_e64 v4, s7, s49, v4, s7
	global_load_b64 v[3:4], v[3:4], off
.LBB113_108:                            ;   in Loop: Header=BB113_106 Depth=2
	s_or_b32 exec_lo, exec_lo, s20
	s_and_saveexec_b32 s7, vcc_lo
	s_cbranch_execz .LBB113_105
; %bb.109:                              ;   in Loop: Header=BB113_106 Depth=2
	s_waitcnt vmcnt(0)
	v_cmp_o_f64_e32 vcc_lo, v[3:4], v[3:4]
	v_ashrrev_i32_e32 v1, 31, v4
	s_delay_alu instid0(VALU_DEP_1) | instskip(SKIP_1) | instid1(VALU_DEP_2)
	v_or_b32_e32 v5, 0x80000000, v1
	v_xor_b32_e32 v1, v1, v3
	v_xor_b32_e32 v5, v5, v4
	s_delay_alu instid0(VALU_DEP_1) | instskip(NEXT) | instid1(VALU_DEP_3)
	v_cndmask_b32_e32 v5, -1, v5, vcc_lo
	v_cndmask_b32_e32 v1, -1, v1, vcc_lo
	s_delay_alu instid0(VALU_DEP_2) | instskip(NEXT) | instid1(VALU_DEP_2)
	v_and_b32_e32 v6, s47, v5
	v_and_b32_e32 v5, s46, v1
	s_delay_alu instid0(VALU_DEP_1)
	v_cmp_eq_u64_e32 vcc_lo, s[44:45], v[5:6]
	s_and_b32 exec_lo, exec_lo, vcc_lo
	s_cbranch_execz .LBB113_105
; %bb.110:                              ;   in Loop: Header=BB113_106 Depth=2
	v_mov_b32_e32 v1, v13
	ds_store_b128 v13, v[1:4] offset:3072
	s_branch .LBB113_105
.LBB113_111:                            ;   in Loop: Header=BB113_21 Depth=1
	s_or_b32 exec_lo, exec_lo, s17
	s_delay_alu instid0(SALU_CYCLE_1)
	s_and_b32 s7, s15, exec_lo
.LBB113_112:                            ;   in Loop: Header=BB113_21 Depth=1
	s_or_b32 exec_lo, exec_lo, s14
	s_mov_b32 s17, -1
	s_mov_b32 s14, 0
	s_mov_b32 s15, 0
.LBB113_113:                            ;   in Loop: Header=BB113_21 Depth=1
	s_and_not1_b32 s20, s74, exec_lo
	s_and_b32 s14, s14, exec_lo
	s_and_b32 s17, s17, exec_lo
	s_or_b32 s74, s20, s14
	s_and_not1_b32 s14, s77, exec_lo
	s_and_not1_b32 s20, s75, exec_lo
	s_and_b32 s15, s15, exec_lo
	s_or_b32 s77, s14, s17
	s_or_b32 s75, s20, s15
	s_and_saveexec_b32 s17, s7
	s_cbranch_execz .LBB113_20
; %bb.114:                              ;   in Loop: Header=BB113_21 Depth=1
	s_xor_b32 s7, s13, -1
	s_mov_b32 s20, 0
	s_and_not1_b32 vcc_lo, exec_lo, s7
	s_mov_b32 s26, 1
	s_cbranch_vccnz .LBB113_125
; %bb.115:                              ;   in Loop: Header=BB113_21 Depth=1
	s_cmp_gt_u32 s78, s18
	s_mov_b32 s20, -1
                                        ; implicit-def: $sgpr7
                                        ; implicit-def: $sgpr12_sgpr13
                                        ; implicit-def: $sgpr14_sgpr15
	s_cbranch_scc1 .LBB113_121
; %bb.116:                              ;   in Loop: Header=BB113_21 Depth=1
	ds_load_b32 v1, v13 offset:4104
	s_waitcnt lgkmcnt(0)
	v_cmp_ne_u32_e32 vcc_lo, 0, v1
	s_cbranch_vccnz .LBB113_120
; %bb.117:                              ;   in Loop: Header=BB113_21 Depth=1
	s_and_saveexec_b32 s7, s1
	s_cbranch_execz .LBB113_119
; %bb.118:                              ;   in Loop: Header=BB113_21 Depth=1
	v_mov_b32_e32 v1, s18
	ds_store_b32 v13, v1 offset:4108
.LBB113_119:                            ;   in Loop: Header=BB113_21 Depth=1
	s_or_b32 exec_lo, exec_lo, s7
	s_waitcnt lgkmcnt(0)
	s_barrier
	buffer_gl0_inv
.LBB113_120:                            ;   in Loop: Header=BB113_21 Depth=1
	s_and_b64 s[12:13], s[44:45], s[10:11]
	s_or_b64 s[14:15], s[46:47], s[8:9]
	s_mov_b32 s20, 0
	s_mov_b32 s7, 8
.LBB113_121:                            ;   in Loop: Header=BB113_21 Depth=1
	s_and_not1_b32 vcc_lo, exec_lo, s20
	s_cbranch_vccnz .LBB113_123
; %bb.122:                              ;   in Loop: Header=BB113_21 Depth=1
	s_sub_i32 s78, s78, s18
	s_mov_b32 s20, -1
	s_mov_b32 s7, 0
	s_mov_b64 s[12:13], s[44:45]
	s_mov_b64 s[14:15], s[46:47]
.LBB113_123:                            ;   in Loop: Header=BB113_21 Depth=1
	s_delay_alu instid0(SALU_CYCLE_1)
	s_mov_b64 s[46:47], s[14:15]
	s_mov_b64 s[44:45], s[12:13]
	s_mov_b32 s26, s78
	s_and_b32 vcc_lo, exec_lo, s20
	s_mov_b32 s18, -1
	s_cbranch_vccnz .LBB113_126
.LBB113_124:                            ;   in Loop: Header=BB113_21 Depth=1
	s_mov_b32 s13, -1
                                        ; implicit-def: $sgpr20
                                        ; implicit-def: $sgpr23
                                        ; implicit-def: $sgpr21
                                        ; implicit-def: $sgpr78
	s_delay_alu instid0(SALU_CYCLE_1) | instskip(NEXT) | instid1(SALU_CYCLE_1)
	s_and_saveexec_b32 s8, s13
	s_xor_b32 s8, exec_lo, s8
	s_cbranch_execz .LBB113_19
	s_branch .LBB113_252
.LBB113_125:                            ;   in Loop: Header=BB113_21 Depth=1
	s_mov_b32 s7, 1
	s_and_b32 vcc_lo, exec_lo, s20
	s_mov_b32 s18, -1
	s_cbranch_vccz .LBB113_124
.LBB113_126:                            ;   in Loop: Header=BB113_21 Depth=1
	s_cmp_eq_u32 s25, 1
	s_mov_b32 s14, -1
	s_cselect_b32 s7, -1, 0
	s_cmp_eq_u32 s26, 1
	s_cselect_b32 s12, -1, 0
	s_delay_alu instid0(SALU_CYCLE_1) | instskip(NEXT) | instid1(SALU_CYCLE_1)
	s_and_b32 s12, s7, s12
	s_and_b32 vcc_lo, exec_lo, s12
	s_cbranch_vccz .LBB113_138
; %bb.127:                              ;   in Loop: Header=BB113_21 Depth=1
	ds_load_b32 v1, v13 offset:4104
	s_waitcnt lgkmcnt(0)
	s_barrier
	buffer_gl0_inv
	v_readfirstlane_b32 s13, v1
	s_and_saveexec_b32 s7, s2
	s_cbranch_execz .LBB113_129
; %bb.128:                              ;   in Loop: Header=BB113_21 Depth=1
	v_mov_b32_e32 v12, v13
	ds_store_b64 v26, v[12:13]
.LBB113_129:                            ;   in Loop: Header=BB113_21 Depth=1
	s_or_b32 exec_lo, exec_lo, s7
	s_lshl_b64 s[14:15], 1, s22
	s_and_b64 s[20:21], s[44:45], s[10:11]
	s_or_b64 s[46:47], s[46:47], s[8:9]
	s_or_b64 s[44:45], s[20:21], s[14:15]
	s_cmp_eq_u32 s13, 0
	s_waitcnt lgkmcnt(0)
	s_barrier
	buffer_gl0_inv
	s_cbranch_scc1 .LBB113_142
; %bb.130:                              ;   in Loop: Header=BB113_21 Depth=1
	s_add_i32 s7, s13, s56
                                        ; implicit-def: $vgpr5_vgpr6
	s_delay_alu instid0(SALU_CYCLE_1) | instskip(NEXT) | instid1(SALU_CYCLE_1)
	s_mul_hi_u32 s14, s7, s65
	s_mul_i32 s14, s14, s31
	s_delay_alu instid0(SALU_CYCLE_1) | instskip(NEXT) | instid1(SALU_CYCLE_1)
	s_sub_i32 s14, s7, s14
	s_sub_i32 s15, s14, s31
	s_cmp_ge_u32 s14, s31
	s_cselect_b32 s14, s15, s14
	s_delay_alu instid0(SALU_CYCLE_1)
	s_sub_i32 s15, s14, s31
	s_cmp_ge_u32 s14, s31
	s_cselect_b32 s14, s15, s14
	s_mov_b32 s15, exec_lo
	s_sub_i32 s20, s7, s14
	s_mov_b32 s14, 0
	v_cmpx_gt_u32_e64 s20, v0
	s_cbranch_execz .LBB113_144
; %bb.131:                              ;   in Loop: Header=BB113_21 Depth=1
	v_dual_mov_b32 v7, v25 :: v_dual_mov_b32 v8, v0
	s_mov_b32 s21, 0
                                        ; implicit-def: $sgpr14
	s_set_inst_prefetch_distance 0x1
	s_branch .LBB113_133
	.p2align	6
.LBB113_132:                            ;   in Loop: Header=BB113_133 Depth=2
	s_or_b32 exec_lo, exec_lo, s7
	s_waitcnt lgkmcnt(0)
	s_barrier
	buffer_gl0_inv
	ds_load_b128 v[3:6], v13 offset:3072
	v_add_nc_u32_e32 v8, s31, v8
	v_add_nc_u32_e32 v7, s69, v7
	s_waitcnt lgkmcnt(0)
	s_barrier
	buffer_gl0_inv
	v_cmp_le_u32_e64 s7, s20, v8
	v_cmp_neq_f64_e32 vcc_lo, 0, v[3:4]
	s_delay_alu instid0(VALU_DEP_2) | instskip(NEXT) | instid1(SALU_CYCLE_1)
	s_or_b32 s7, s7, vcc_lo
	s_and_b32 s7, exec_lo, s7
	s_delay_alu instid0(SALU_CYCLE_1) | instskip(SKIP_2) | instid1(SALU_CYCLE_1)
	s_or_b32 s21, s7, s21
	s_and_not1_b32 s7, s14, exec_lo
	s_and_b32 s14, vcc_lo, exec_lo
	s_or_b32 s14, s7, s14
	s_and_not1_b32 exec_lo, exec_lo, s21
	s_cbranch_execz .LBB113_143
.LBB113_133:                            ;   Parent Loop BB113_21 Depth=1
                                        ; =>  This Inner Loop Header: Depth=2
	v_mov_b32_e32 v3, 0
	v_mov_b32_e32 v4, 0
	v_cmp_gt_u32_e32 vcc_lo, s13, v8
	s_and_saveexec_b32 s7, vcc_lo
	s_cbranch_execz .LBB113_135
; %bb.134:                              ;   in Loop: Header=BB113_133 Depth=2
	ds_load_b64 v[3:4], v7
.LBB113_135:                            ;   in Loop: Header=BB113_133 Depth=2
	s_or_b32 exec_lo, exec_lo, s7
	s_and_saveexec_b32 s7, vcc_lo
	s_cbranch_execz .LBB113_132
; %bb.136:                              ;   in Loop: Header=BB113_133 Depth=2
	s_waitcnt lgkmcnt(0)
	v_cmp_o_f64_e32 vcc_lo, v[3:4], v[3:4]
	v_ashrrev_i32_e32 v1, 31, v4
	s_delay_alu instid0(VALU_DEP_1) | instskip(SKIP_1) | instid1(VALU_DEP_2)
	v_or_b32_e32 v5, 0x80000000, v1
	v_xor_b32_e32 v1, v1, v3
	v_xor_b32_e32 v5, v5, v4
	s_delay_alu instid0(VALU_DEP_1) | instskip(NEXT) | instid1(VALU_DEP_3)
	v_cndmask_b32_e32 v5, -1, v5, vcc_lo
	v_cndmask_b32_e32 v1, -1, v1, vcc_lo
	s_delay_alu instid0(VALU_DEP_2) | instskip(NEXT) | instid1(VALU_DEP_2)
	v_and_b32_e32 v6, s47, v5
	v_and_b32_e32 v5, s46, v1
	s_delay_alu instid0(VALU_DEP_1)
	v_cmp_eq_u64_e32 vcc_lo, s[44:45], v[5:6]
	s_and_b32 exec_lo, exec_lo, vcc_lo
	s_cbranch_execz .LBB113_132
; %bb.137:                              ;   in Loop: Header=BB113_133 Depth=2
	v_mov_b32_e32 v1, v13
	ds_store_b128 v13, v[1:4] offset:3072
	s_branch .LBB113_132
.LBB113_138:                            ;   in Loop: Header=BB113_21 Depth=1
                                        ; implicit-def: $sgpr21
                                        ; implicit-def: $sgpr23
                                        ; implicit-def: $sgpr20
	s_branch .LBB113_155
.LBB113_139:                            ;   in Loop: Header=BB113_21 Depth=1
	s_or_b32 exec_lo, exec_lo, s9
	s_waitcnt vmcnt(0) lgkmcnt(0)
	s_barrier
	buffer_gl0_inv
	s_and_saveexec_b32 s7, s1
	s_cbranch_execz .LBB113_141
; %bb.140:                              ;   in Loop: Header=BB113_21 Depth=1
	ds_load_b32 v1, v13 offset:4112
	s_waitcnt lgkmcnt(0)
	ds_store_b32 v13, v1 offset:4104
.LBB113_141:                            ;   in Loop: Header=BB113_21 Depth=1
	s_or_b32 exec_lo, exec_lo, s7
	s_waitcnt lgkmcnt(0)
	s_mov_b32 s7, -1
	s_barrier
	s_and_b32 vcc_lo, exec_lo, s79
	s_cbranch_vccnz .LBB113_39
	s_branch .LBB113_49
.LBB113_142:                            ;   in Loop: Header=BB113_21 Depth=1
	s_mov_b32 s21, -1
	s_mov_b32 s14, 0
                                        ; implicit-def: $sgpr20
                                        ; implicit-def: $vgpr5_vgpr6
	s_mov_b32 s23, s21
	s_cbranch_execnz .LBB113_145
	s_branch .LBB113_155
.LBB113_143:                            ;   in Loop: Header=BB113_21 Depth=1
	s_set_inst_prefetch_distance 0x2
	s_or_b32 exec_lo, exec_lo, s21
	s_delay_alu instid0(SALU_CYCLE_1)
	s_and_b32 s14, s14, exec_lo
.LBB113_144:                            ;   in Loop: Header=BB113_21 Depth=1
	s_or_b32 exec_lo, exec_lo, s15
	s_mov_b32 s20, -1
	s_mov_b32 s21, 0
	s_delay_alu instid0(SALU_CYCLE_1)
	s_mov_b32 s23, s21
	s_branch .LBB113_155
.LBB113_145:                            ;   in Loop: Header=BB113_21 Depth=1
	s_mov_b32 s14, 0
                                        ; implicit-def: $vgpr5_vgpr6
	s_and_saveexec_b32 s13, s6
	s_cbranch_execz .LBB113_154
; %bb.146:                              ;   in Loop: Header=BB113_21 Depth=1
	v_dual_mov_b32 v12, v11 :: v_dual_mov_b32 v7, v0
	s_mov_b32 s15, 0
                                        ; implicit-def: $sgpr14
	s_branch .LBB113_148
.LBB113_147:                            ;   in Loop: Header=BB113_148 Depth=2
	s_or_b32 exec_lo, exec_lo, s7
	s_waitcnt vmcnt(0) lgkmcnt(0)
	s_barrier
	buffer_gl0_inv
	ds_load_b128 v[3:6], v13 offset:3072
	v_add_nc_u32_e32 v7, s31, v7
	v_add_nc_u32_e32 v12, s53, v12
	s_waitcnt lgkmcnt(0)
	s_barrier
	buffer_gl0_inv
	v_cmp_le_u32_e64 s7, s67, v7
	v_cmp_neq_f64_e32 vcc_lo, 0, v[3:4]
	s_delay_alu instid0(VALU_DEP_2) | instskip(NEXT) | instid1(SALU_CYCLE_1)
	s_or_b32 s7, s7, vcc_lo
	s_and_b32 s7, exec_lo, s7
	s_delay_alu instid0(SALU_CYCLE_1) | instskip(SKIP_2) | instid1(SALU_CYCLE_1)
	s_or_b32 s15, s7, s15
	s_and_not1_b32 s7, s14, exec_lo
	s_and_b32 s14, vcc_lo, exec_lo
	s_or_b32 s14, s7, s14
	s_and_not1_b32 exec_lo, exec_lo, s15
	s_cbranch_execz .LBB113_153
.LBB113_148:                            ;   Parent Loop BB113_21 Depth=1
                                        ; =>  This Inner Loop Header: Depth=2
	v_mov_b32_e32 v3, 0
	v_mov_b32_e32 v4, 0
	v_cmp_gt_u32_e32 vcc_lo, s28, v7
	s_and_saveexec_b32 s20, vcc_lo
	s_cbranch_execz .LBB113_150
; %bb.149:                              ;   in Loop: Header=BB113_148 Depth=2
	v_lshlrev_b64 v[3:4], 3, v[12:13]
	s_delay_alu instid0(VALU_DEP_1) | instskip(NEXT) | instid1(VALU_DEP_1)
	v_add_co_u32 v3, s7, s48, v3
	v_add_co_ci_u32_e64 v4, s7, s49, v4, s7
	global_load_b64 v[3:4], v[3:4], off
.LBB113_150:                            ;   in Loop: Header=BB113_148 Depth=2
	s_or_b32 exec_lo, exec_lo, s20
	s_and_saveexec_b32 s7, vcc_lo
	s_cbranch_execz .LBB113_147
; %bb.151:                              ;   in Loop: Header=BB113_148 Depth=2
	s_waitcnt vmcnt(0)
	v_cmp_o_f64_e32 vcc_lo, v[3:4], v[3:4]
	v_ashrrev_i32_e32 v1, 31, v4
	s_delay_alu instid0(VALU_DEP_1) | instskip(SKIP_1) | instid1(VALU_DEP_2)
	v_or_b32_e32 v5, 0x80000000, v1
	v_xor_b32_e32 v1, v1, v3
	v_xor_b32_e32 v5, v5, v4
	s_delay_alu instid0(VALU_DEP_1) | instskip(NEXT) | instid1(VALU_DEP_3)
	v_cndmask_b32_e32 v5, -1, v5, vcc_lo
	v_cndmask_b32_e32 v1, -1, v1, vcc_lo
	s_delay_alu instid0(VALU_DEP_2) | instskip(NEXT) | instid1(VALU_DEP_2)
	v_and_b32_e32 v6, s47, v5
	v_and_b32_e32 v5, s46, v1
	s_delay_alu instid0(VALU_DEP_1)
	v_cmp_eq_u64_e32 vcc_lo, s[44:45], v[5:6]
	s_and_b32 exec_lo, exec_lo, vcc_lo
	s_cbranch_execz .LBB113_147
; %bb.152:                              ;   in Loop: Header=BB113_148 Depth=2
	v_mov_b32_e32 v1, v13
	ds_store_b128 v13, v[1:4] offset:3072
	s_branch .LBB113_147
.LBB113_153:                            ;   in Loop: Header=BB113_21 Depth=1
	s_or_b32 exec_lo, exec_lo, s15
	s_delay_alu instid0(SALU_CYCLE_1)
	s_and_b32 s14, s14, exec_lo
.LBB113_154:                            ;   in Loop: Header=BB113_21 Depth=1
	s_or_b32 exec_lo, exec_lo, s13
	s_mov_b32 s23, -1
	s_mov_b32 s21, 0
	s_mov_b32 s20, 0
.LBB113_155:                            ;   in Loop: Header=BB113_21 Depth=1
	s_mov_b32 s13, 0
                                        ; implicit-def: $sgpr7
	s_and_saveexec_b32 s24, s14
	s_cbranch_execz .LBB113_251
; %bb.156:                              ;   in Loop: Header=BB113_21 Depth=1
	s_xor_b32 s7, s12, -1
	s_mov_b32 s78, 0
	s_and_not1_b32 vcc_lo, exec_lo, s7
	s_mov_b32 s80, 1
	s_cbranch_vccnz .LBB113_167
; %bb.157:                              ;   in Loop: Header=BB113_21 Depth=1
	s_cmp_gt_u32 s26, s25
	s_mov_b32 s78, -1
                                        ; implicit-def: $sgpr7
                                        ; implicit-def: $sgpr12_sgpr13
                                        ; implicit-def: $sgpr14_sgpr15
	s_cbranch_scc1 .LBB113_163
; %bb.158:                              ;   in Loop: Header=BB113_21 Depth=1
	ds_load_b32 v1, v13 offset:4104
	s_waitcnt lgkmcnt(0)
	v_cmp_ne_u32_e32 vcc_lo, 0, v1
	s_cbranch_vccnz .LBB113_162
; %bb.159:                              ;   in Loop: Header=BB113_21 Depth=1
	s_and_saveexec_b32 s7, s1
	s_cbranch_execz .LBB113_161
; %bb.160:                              ;   in Loop: Header=BB113_21 Depth=1
	v_mov_b32_e32 v1, s25
	ds_store_b32 v13, v1 offset:4108
.LBB113_161:                            ;   in Loop: Header=BB113_21 Depth=1
	s_or_b32 exec_lo, exec_lo, s7
	s_waitcnt lgkmcnt(0)
	s_barrier
	buffer_gl0_inv
.LBB113_162:                            ;   in Loop: Header=BB113_21 Depth=1
	s_lshl_b64 s[12:13], 1, s22
	s_and_b64 s[14:15], s[44:45], s[10:11]
	s_mov_b32 s78, 0
	s_or_b64 s[12:13], s[14:15], s[12:13]
	s_or_b64 s[14:15], s[46:47], s[8:9]
	s_mov_b32 s7, 8
.LBB113_163:                            ;   in Loop: Header=BB113_21 Depth=1
	s_and_not1_b32 vcc_lo, exec_lo, s78
	s_cbranch_vccnz .LBB113_165
; %bb.164:                              ;   in Loop: Header=BB113_21 Depth=1
	s_sub_i32 s26, s26, s25
	s_mov_b32 s78, -1
	s_mov_b32 s7, 0
	s_mov_b64 s[12:13], s[44:45]
	s_mov_b64 s[14:15], s[46:47]
.LBB113_165:                            ;   in Loop: Header=BB113_21 Depth=1
	s_delay_alu instid0(SALU_CYCLE_1)
	s_mov_b64 s[46:47], s[14:15]
	s_mov_b64 s[44:45], s[12:13]
	s_mov_b32 s80, s26
	s_and_not1_b32 vcc_lo, exec_lo, s78
	s_mov_b32 s13, -1
	s_cbranch_vccz .LBB113_168
.LBB113_166:                            ;   in Loop: Header=BB113_21 Depth=1
                                        ; implicit-def: $sgpr26
                                        ; implicit-def: $sgpr78
                                        ; implicit-def: $sgpr25
	s_branch .LBB113_250
.LBB113_167:                            ;   in Loop: Header=BB113_21 Depth=1
	s_mov_b32 s7, 1
	s_and_not1_b32 vcc_lo, exec_lo, s78
	s_mov_b32 s13, -1
	s_cbranch_vccnz .LBB113_166
.LBB113_168:                            ;   in Loop: Header=BB113_21 Depth=1
	s_cmp_eq_u32 s19, 1
	s_mov_b32 s14, -1
	s_cselect_b32 s7, -1, 0
	s_cmp_eq_u32 s80, 1
	s_cselect_b32 s12, -1, 0
	s_delay_alu instid0(SALU_CYCLE_1) | instskip(NEXT) | instid1(SALU_CYCLE_1)
	s_and_b32 s12, s7, s12
	s_and_b32 vcc_lo, exec_lo, s12
	s_cbranch_vccz .LBB113_180
; %bb.169:                              ;   in Loop: Header=BB113_21 Depth=1
	ds_load_b32 v1, v13 offset:4104
	s_waitcnt lgkmcnt(0)
	s_barrier
	buffer_gl0_inv
	v_readfirstlane_b32 s13, v1
	s_and_saveexec_b32 s7, s2
	s_cbranch_execz .LBB113_171
; %bb.170:                              ;   in Loop: Header=BB113_21 Depth=1
	v_mov_b32_e32 v12, v13
	ds_store_b64 v26, v[12:13]
.LBB113_171:                            ;   in Loop: Header=BB113_21 Depth=1
	s_or_b32 exec_lo, exec_lo, s7
	s_lshl_b64 s[14:15], 2, s22
	s_and_b64 s[44:45], s[44:45], s[10:11]
	s_or_b64 s[46:47], s[46:47], s[8:9]
	s_or_b64 s[44:45], s[44:45], s[14:15]
	s_cmp_eq_u32 s13, 0
	s_waitcnt lgkmcnt(0)
	s_barrier
	buffer_gl0_inv
	s_cbranch_scc1 .LBB113_181
; %bb.172:                              ;   in Loop: Header=BB113_21 Depth=1
	s_add_i32 s7, s13, s56
                                        ; implicit-def: $vgpr5_vgpr6
	s_delay_alu instid0(SALU_CYCLE_1) | instskip(NEXT) | instid1(SALU_CYCLE_1)
	s_mul_hi_u32 s14, s7, s65
	s_mul_i32 s14, s14, s31
	s_delay_alu instid0(SALU_CYCLE_1) | instskip(NEXT) | instid1(SALU_CYCLE_1)
	s_sub_i32 s14, s7, s14
	s_sub_i32 s15, s14, s31
	s_cmp_ge_u32 s14, s31
	s_cselect_b32 s14, s15, s14
	s_delay_alu instid0(SALU_CYCLE_1)
	s_sub_i32 s15, s14, s31
	s_cmp_ge_u32 s14, s31
	s_cselect_b32 s14, s15, s14
	s_mov_b32 s15, exec_lo
	s_sub_i32 s25, s7, s14
	s_mov_b32 s14, 0
	v_cmpx_gt_u32_e64 s25, v0
	s_cbranch_execz .LBB113_183
; %bb.173:                              ;   in Loop: Header=BB113_21 Depth=1
	v_dual_mov_b32 v7, v25 :: v_dual_mov_b32 v8, v0
	s_mov_b32 s26, 0
                                        ; implicit-def: $sgpr14
	s_set_inst_prefetch_distance 0x1
	s_branch .LBB113_175
	.p2align	6
.LBB113_174:                            ;   in Loop: Header=BB113_175 Depth=2
	s_or_b32 exec_lo, exec_lo, s7
	s_waitcnt lgkmcnt(0)
	s_barrier
	buffer_gl0_inv
	ds_load_b128 v[3:6], v13 offset:3072
	v_add_nc_u32_e32 v8, s31, v8
	v_add_nc_u32_e32 v7, s69, v7
	s_waitcnt lgkmcnt(0)
	s_barrier
	buffer_gl0_inv
	v_cmp_le_u32_e64 s7, s25, v8
	v_cmp_neq_f64_e32 vcc_lo, 0, v[3:4]
	s_delay_alu instid0(VALU_DEP_2) | instskip(NEXT) | instid1(SALU_CYCLE_1)
	s_or_b32 s7, s7, vcc_lo
	s_and_b32 s7, exec_lo, s7
	s_delay_alu instid0(SALU_CYCLE_1) | instskip(SKIP_2) | instid1(SALU_CYCLE_1)
	s_or_b32 s26, s7, s26
	s_and_not1_b32 s7, s14, exec_lo
	s_and_b32 s14, vcc_lo, exec_lo
	s_or_b32 s14, s7, s14
	s_and_not1_b32 exec_lo, exec_lo, s26
	s_cbranch_execz .LBB113_182
.LBB113_175:                            ;   Parent Loop BB113_21 Depth=1
                                        ; =>  This Inner Loop Header: Depth=2
	v_mov_b32_e32 v3, 0
	v_mov_b32_e32 v4, 0
	v_cmp_gt_u32_e32 vcc_lo, s13, v8
	s_and_saveexec_b32 s7, vcc_lo
	s_cbranch_execz .LBB113_177
; %bb.176:                              ;   in Loop: Header=BB113_175 Depth=2
	ds_load_b64 v[3:4], v7
.LBB113_177:                            ;   in Loop: Header=BB113_175 Depth=2
	s_or_b32 exec_lo, exec_lo, s7
	s_and_saveexec_b32 s7, vcc_lo
	s_cbranch_execz .LBB113_174
; %bb.178:                              ;   in Loop: Header=BB113_175 Depth=2
	s_waitcnt lgkmcnt(0)
	v_cmp_o_f64_e32 vcc_lo, v[3:4], v[3:4]
	v_ashrrev_i32_e32 v1, 31, v4
	s_delay_alu instid0(VALU_DEP_1) | instskip(SKIP_1) | instid1(VALU_DEP_2)
	v_or_b32_e32 v5, 0x80000000, v1
	v_xor_b32_e32 v1, v1, v3
	v_xor_b32_e32 v5, v5, v4
	s_delay_alu instid0(VALU_DEP_1) | instskip(NEXT) | instid1(VALU_DEP_3)
	v_cndmask_b32_e32 v5, -1, v5, vcc_lo
	v_cndmask_b32_e32 v1, -1, v1, vcc_lo
	s_delay_alu instid0(VALU_DEP_2) | instskip(NEXT) | instid1(VALU_DEP_2)
	v_and_b32_e32 v6, s47, v5
	v_and_b32_e32 v5, s46, v1
	s_delay_alu instid0(VALU_DEP_1)
	v_cmp_eq_u64_e32 vcc_lo, s[44:45], v[5:6]
	s_and_b32 exec_lo, exec_lo, vcc_lo
	s_cbranch_execz .LBB113_174
; %bb.179:                              ;   in Loop: Header=BB113_175 Depth=2
	v_mov_b32_e32 v1, v13
	ds_store_b128 v13, v[1:4] offset:3072
	s_branch .LBB113_174
.LBB113_180:                            ;   in Loop: Header=BB113_21 Depth=1
                                        ; implicit-def: $sgpr25
                                        ; implicit-def: $sgpr78
                                        ; implicit-def: $sgpr26
	s_branch .LBB113_194
.LBB113_181:                            ;   in Loop: Header=BB113_21 Depth=1
	s_mov_b32 s25, -1
	s_mov_b32 s14, 0
                                        ; implicit-def: $sgpr26
                                        ; implicit-def: $vgpr5_vgpr6
	s_mov_b32 s78, s25
	s_cbranch_execnz .LBB113_184
	s_branch .LBB113_194
.LBB113_182:                            ;   in Loop: Header=BB113_21 Depth=1
	s_set_inst_prefetch_distance 0x2
	s_or_b32 exec_lo, exec_lo, s26
	s_delay_alu instid0(SALU_CYCLE_1)
	s_and_b32 s14, s14, exec_lo
.LBB113_183:                            ;   in Loop: Header=BB113_21 Depth=1
	s_or_b32 exec_lo, exec_lo, s15
	s_mov_b32 s26, -1
	s_mov_b32 s25, 0
	s_delay_alu instid0(SALU_CYCLE_1)
	s_mov_b32 s78, s25
	s_branch .LBB113_194
.LBB113_184:                            ;   in Loop: Header=BB113_21 Depth=1
	s_mov_b32 s14, 0
                                        ; implicit-def: $vgpr5_vgpr6
	s_and_saveexec_b32 s13, s6
	s_cbranch_execz .LBB113_193
; %bb.185:                              ;   in Loop: Header=BB113_21 Depth=1
	v_dual_mov_b32 v12, v11 :: v_dual_mov_b32 v7, v0
	s_mov_b32 s15, 0
                                        ; implicit-def: $sgpr14
	s_branch .LBB113_187
.LBB113_186:                            ;   in Loop: Header=BB113_187 Depth=2
	s_or_b32 exec_lo, exec_lo, s7
	s_waitcnt vmcnt(0) lgkmcnt(0)
	s_barrier
	buffer_gl0_inv
	ds_load_b128 v[3:6], v13 offset:3072
	v_add_nc_u32_e32 v7, s31, v7
	v_add_nc_u32_e32 v12, s53, v12
	s_waitcnt lgkmcnt(0)
	s_barrier
	buffer_gl0_inv
	v_cmp_le_u32_e64 s7, s67, v7
	v_cmp_neq_f64_e32 vcc_lo, 0, v[3:4]
	s_delay_alu instid0(VALU_DEP_2) | instskip(NEXT) | instid1(SALU_CYCLE_1)
	s_or_b32 s7, s7, vcc_lo
	s_and_b32 s7, exec_lo, s7
	s_delay_alu instid0(SALU_CYCLE_1) | instskip(SKIP_2) | instid1(SALU_CYCLE_1)
	s_or_b32 s15, s7, s15
	s_and_not1_b32 s7, s14, exec_lo
	s_and_b32 s14, vcc_lo, exec_lo
	s_or_b32 s14, s7, s14
	s_and_not1_b32 exec_lo, exec_lo, s15
	s_cbranch_execz .LBB113_192
.LBB113_187:                            ;   Parent Loop BB113_21 Depth=1
                                        ; =>  This Inner Loop Header: Depth=2
	v_mov_b32_e32 v3, 0
	v_mov_b32_e32 v4, 0
	v_cmp_gt_u32_e32 vcc_lo, s28, v7
	s_and_saveexec_b32 s25, vcc_lo
	s_cbranch_execz .LBB113_189
; %bb.188:                              ;   in Loop: Header=BB113_187 Depth=2
	v_lshlrev_b64 v[3:4], 3, v[12:13]
	s_delay_alu instid0(VALU_DEP_1) | instskip(NEXT) | instid1(VALU_DEP_1)
	v_add_co_u32 v3, s7, s48, v3
	v_add_co_ci_u32_e64 v4, s7, s49, v4, s7
	global_load_b64 v[3:4], v[3:4], off
.LBB113_189:                            ;   in Loop: Header=BB113_187 Depth=2
	s_or_b32 exec_lo, exec_lo, s25
	s_and_saveexec_b32 s7, vcc_lo
	s_cbranch_execz .LBB113_186
; %bb.190:                              ;   in Loop: Header=BB113_187 Depth=2
	s_waitcnt vmcnt(0)
	v_cmp_o_f64_e32 vcc_lo, v[3:4], v[3:4]
	v_ashrrev_i32_e32 v1, 31, v4
	s_delay_alu instid0(VALU_DEP_1) | instskip(SKIP_1) | instid1(VALU_DEP_2)
	v_or_b32_e32 v5, 0x80000000, v1
	v_xor_b32_e32 v1, v1, v3
	v_xor_b32_e32 v5, v5, v4
	s_delay_alu instid0(VALU_DEP_1) | instskip(NEXT) | instid1(VALU_DEP_3)
	v_cndmask_b32_e32 v5, -1, v5, vcc_lo
	v_cndmask_b32_e32 v1, -1, v1, vcc_lo
	s_delay_alu instid0(VALU_DEP_2) | instskip(NEXT) | instid1(VALU_DEP_2)
	v_and_b32_e32 v6, s47, v5
	v_and_b32_e32 v5, s46, v1
	s_delay_alu instid0(VALU_DEP_1)
	v_cmp_eq_u64_e32 vcc_lo, s[44:45], v[5:6]
	s_and_b32 exec_lo, exec_lo, vcc_lo
	s_cbranch_execz .LBB113_186
; %bb.191:                              ;   in Loop: Header=BB113_187 Depth=2
	v_mov_b32_e32 v1, v13
	ds_store_b128 v13, v[1:4] offset:3072
	s_branch .LBB113_186
.LBB113_192:                            ;   in Loop: Header=BB113_21 Depth=1
	s_or_b32 exec_lo, exec_lo, s15
	s_delay_alu instid0(SALU_CYCLE_1)
	s_and_b32 s14, s14, exec_lo
.LBB113_193:                            ;   in Loop: Header=BB113_21 Depth=1
	s_or_b32 exec_lo, exec_lo, s13
	s_mov_b32 s78, -1
	s_mov_b32 s25, 0
	s_mov_b32 s26, 0
.LBB113_194:                            ;   in Loop: Header=BB113_21 Depth=1
	s_mov_b32 s13, 0
                                        ; implicit-def: $sgpr7
	s_and_saveexec_b32 s79, s14
	s_cbranch_execz .LBB113_249
; %bb.195:                              ;   in Loop: Header=BB113_21 Depth=1
	s_xor_b32 s7, s12, -1
	s_mov_b32 s81, 0
	s_and_not1_b32 vcc_lo, exec_lo, s7
	s_mov_b32 s12, 1
	s_cbranch_vccnz .LBB113_206
; %bb.196:                              ;   in Loop: Header=BB113_21 Depth=1
	s_cmp_gt_u32 s80, s19
	s_mov_b32 s81, -1
                                        ; implicit-def: $sgpr7
                                        ; implicit-def: $sgpr12_sgpr13
                                        ; implicit-def: $sgpr14_sgpr15
	s_cbranch_scc1 .LBB113_202
; %bb.197:                              ;   in Loop: Header=BB113_21 Depth=1
	ds_load_b32 v1, v13 offset:4104
	s_waitcnt lgkmcnt(0)
	v_cmp_ne_u32_e32 vcc_lo, 0, v1
	s_cbranch_vccnz .LBB113_201
; %bb.198:                              ;   in Loop: Header=BB113_21 Depth=1
	s_and_saveexec_b32 s7, s1
	s_cbranch_execz .LBB113_200
; %bb.199:                              ;   in Loop: Header=BB113_21 Depth=1
	v_mov_b32_e32 v1, s19
	ds_store_b32 v13, v1 offset:4108
.LBB113_200:                            ;   in Loop: Header=BB113_21 Depth=1
	s_or_b32 exec_lo, exec_lo, s7
	s_waitcnt lgkmcnt(0)
	s_barrier
	buffer_gl0_inv
.LBB113_201:                            ;   in Loop: Header=BB113_21 Depth=1
	s_lshl_b64 s[12:13], 2, s22
	s_and_b64 s[10:11], s[44:45], s[10:11]
	s_or_b64 s[14:15], s[46:47], s[8:9]
	s_or_b64 s[12:13], s[10:11], s[12:13]
	s_mov_b32 s81, 0
	s_mov_b32 s7, 8
.LBB113_202:                            ;   in Loop: Header=BB113_21 Depth=1
	s_and_not1_b32 vcc_lo, exec_lo, s81
	s_cbranch_vccnz .LBB113_204
; %bb.203:                              ;   in Loop: Header=BB113_21 Depth=1
	s_sub_i32 s80, s80, s19
	s_mov_b32 s81, -1
	s_mov_b32 s7, 0
	s_mov_b64 s[12:13], s[44:45]
	s_mov_b64 s[14:15], s[46:47]
.LBB113_204:                            ;   in Loop: Header=BB113_21 Depth=1
	s_delay_alu instid0(SALU_CYCLE_1)
	s_mov_b64 s[46:47], s[14:15]
	s_mov_b64 s[44:45], s[12:13]
	s_mov_b32 s12, s80
	s_and_not1_b32 vcc_lo, exec_lo, s81
	s_mov_b32 s11, -1
	s_cbranch_vccz .LBB113_207
.LBB113_205:                            ;   in Loop: Header=BB113_21 Depth=1
                                        ; implicit-def: $sgpr13
                                        ; implicit-def: $sgpr15
                                        ; implicit-def: $sgpr14
	s_branch .LBB113_248
.LBB113_206:                            ;   in Loop: Header=BB113_21 Depth=1
	s_mov_b32 s7, 1
	s_and_not1_b32 vcc_lo, exec_lo, s81
	s_mov_b32 s11, -1
	s_cbranch_vccnz .LBB113_205
.LBB113_207:                            ;   in Loop: Header=BB113_21 Depth=1
	s_cmp_eq_u32 s16, 1
	s_mov_b32 s19, -1
	s_cselect_b32 s7, -1, 0
	s_cmp_eq_u32 s12, 1
	s_cselect_b32 s10, -1, 0
	s_delay_alu instid0(SALU_CYCLE_1) | instskip(NEXT) | instid1(SALU_CYCLE_1)
	s_and_b32 s10, s7, s10
	s_and_b32 vcc_lo, exec_lo, s10
	s_cbranch_vccz .LBB113_219
; %bb.208:                              ;   in Loop: Header=BB113_21 Depth=1
	ds_load_b32 v1, v13 offset:4104
	s_waitcnt lgkmcnt(0)
	s_barrier
	buffer_gl0_inv
	v_readfirstlane_b32 s11, v1
	s_and_saveexec_b32 s7, s2
	s_cbranch_execz .LBB113_210
; %bb.209:                              ;   in Loop: Header=BB113_21 Depth=1
	v_mov_b32_e32 v12, v13
	ds_store_b64 v26, v[12:13]
.LBB113_210:                            ;   in Loop: Header=BB113_21 Depth=1
	s_or_b32 exec_lo, exec_lo, s7
	s_or_b64 s[44:45], s[44:45], s[8:9]
	s_or_b64 s[46:47], s[46:47], s[8:9]
	s_cmp_eq_u32 s11, 0
	s_waitcnt lgkmcnt(0)
	s_barrier
	buffer_gl0_inv
	s_cbranch_scc1 .LBB113_220
; %bb.211:                              ;   in Loop: Header=BB113_21 Depth=1
	s_add_i32 s7, s11, s56
	s_mov_b32 s19, 0
	s_mul_hi_u32 s13, s7, s65
                                        ; implicit-def: $vgpr5_vgpr6
	s_delay_alu instid0(SALU_CYCLE_1) | instskip(NEXT) | instid1(SALU_CYCLE_1)
	s_mul_i32 s13, s13, s31
	s_sub_i32 s13, s7, s13
	s_delay_alu instid0(SALU_CYCLE_1) | instskip(SKIP_2) | instid1(SALU_CYCLE_1)
	s_sub_i32 s14, s13, s31
	s_cmp_ge_u32 s13, s31
	s_cselect_b32 s13, s14, s13
	s_sub_i32 s14, s13, s31
	s_cmp_ge_u32 s13, s31
	s_cselect_b32 s13, s14, s13
	s_delay_alu instid0(SALU_CYCLE_1)
	s_sub_i32 s14, s7, s13
	s_mov_b32 s13, exec_lo
	v_cmpx_gt_u32_e64 s14, v0
	s_cbranch_execz .LBB113_222
; %bb.212:                              ;   in Loop: Header=BB113_21 Depth=1
	v_dual_mov_b32 v7, v25 :: v_dual_mov_b32 v8, v0
                                        ; implicit-def: $sgpr15
	s_set_inst_prefetch_distance 0x1
	s_branch .LBB113_214
	.p2align	6
.LBB113_213:                            ;   in Loop: Header=BB113_214 Depth=2
	s_or_b32 exec_lo, exec_lo, s7
	s_waitcnt lgkmcnt(0)
	s_barrier
	buffer_gl0_inv
	ds_load_b128 v[3:6], v13 offset:3072
	v_add_nc_u32_e32 v8, s31, v8
	v_add_nc_u32_e32 v7, s69, v7
	s_waitcnt lgkmcnt(0)
	s_barrier
	buffer_gl0_inv
	v_cmp_le_u32_e64 s7, s14, v8
	v_cmp_neq_f64_e32 vcc_lo, 0, v[3:4]
	s_delay_alu instid0(VALU_DEP_2) | instskip(NEXT) | instid1(SALU_CYCLE_1)
	s_or_b32 s7, s7, vcc_lo
	s_and_b32 s7, exec_lo, s7
	s_delay_alu instid0(SALU_CYCLE_1) | instskip(SKIP_2) | instid1(SALU_CYCLE_1)
	s_or_b32 s19, s7, s19
	s_and_not1_b32 s7, s15, exec_lo
	s_and_b32 s15, vcc_lo, exec_lo
	s_or_b32 s15, s7, s15
	s_and_not1_b32 exec_lo, exec_lo, s19
	s_cbranch_execz .LBB113_221
.LBB113_214:                            ;   Parent Loop BB113_21 Depth=1
                                        ; =>  This Inner Loop Header: Depth=2
	v_mov_b32_e32 v3, 0
	v_mov_b32_e32 v4, 0
	v_cmp_gt_u32_e32 vcc_lo, s11, v8
	s_and_saveexec_b32 s7, vcc_lo
	s_cbranch_execz .LBB113_216
; %bb.215:                              ;   in Loop: Header=BB113_214 Depth=2
	ds_load_b64 v[3:4], v7
.LBB113_216:                            ;   in Loop: Header=BB113_214 Depth=2
	s_or_b32 exec_lo, exec_lo, s7
	s_and_saveexec_b32 s7, vcc_lo
	s_cbranch_execz .LBB113_213
; %bb.217:                              ;   in Loop: Header=BB113_214 Depth=2
	s_waitcnt lgkmcnt(0)
	v_cmp_o_f64_e32 vcc_lo, v[3:4], v[3:4]
	v_ashrrev_i32_e32 v1, 31, v4
	s_delay_alu instid0(VALU_DEP_1) | instskip(SKIP_1) | instid1(VALU_DEP_2)
	v_or_b32_e32 v5, 0x80000000, v1
	v_xor_b32_e32 v1, v1, v3
	v_xor_b32_e32 v5, v5, v4
	s_delay_alu instid0(VALU_DEP_1) | instskip(NEXT) | instid1(VALU_DEP_3)
	v_cndmask_b32_e32 v5, -1, v5, vcc_lo
	v_cndmask_b32_e32 v1, -1, v1, vcc_lo
	s_delay_alu instid0(VALU_DEP_2) | instskip(NEXT) | instid1(VALU_DEP_2)
	v_and_b32_e32 v6, s47, v5
	v_and_b32_e32 v5, s46, v1
	s_delay_alu instid0(VALU_DEP_1)
	v_cmp_eq_u64_e32 vcc_lo, s[44:45], v[5:6]
	s_and_b32 exec_lo, exec_lo, vcc_lo
	s_cbranch_execz .LBB113_213
; %bb.218:                              ;   in Loop: Header=BB113_214 Depth=2
	v_mov_b32_e32 v1, v13
	ds_store_b128 v13, v[1:4] offset:3072
	s_branch .LBB113_213
.LBB113_219:                            ;   in Loop: Header=BB113_21 Depth=1
                                        ; implicit-def: $sgpr13
                                        ; implicit-def: $sgpr15
                                        ; implicit-def: $sgpr14
	s_branch .LBB113_233
.LBB113_220:                            ;   in Loop: Header=BB113_21 Depth=1
	s_mov_b32 s13, -1
	s_mov_b32 s19, 0
                                        ; implicit-def: $sgpr14
                                        ; implicit-def: $vgpr5_vgpr6
	s_mov_b32 s15, s13
	s_cbranch_execnz .LBB113_223
	s_branch .LBB113_233
.LBB113_221:                            ;   in Loop: Header=BB113_21 Depth=1
	s_set_inst_prefetch_distance 0x2
	s_or_b32 exec_lo, exec_lo, s19
	s_delay_alu instid0(SALU_CYCLE_1)
	s_and_b32 s19, s15, exec_lo
.LBB113_222:                            ;   in Loop: Header=BB113_21 Depth=1
	s_or_b32 exec_lo, exec_lo, s13
	s_mov_b32 s14, -1
	s_mov_b32 s13, 0
	s_delay_alu instid0(SALU_CYCLE_1)
	s_mov_b32 s15, s13
	s_branch .LBB113_233
.LBB113_223:                            ;   in Loop: Header=BB113_21 Depth=1
	s_mov_b32 s19, 0
                                        ; implicit-def: $vgpr5_vgpr6
	s_and_saveexec_b32 s11, s6
	s_cbranch_execz .LBB113_232
; %bb.224:                              ;   in Loop: Header=BB113_21 Depth=1
	v_dual_mov_b32 v12, v11 :: v_dual_mov_b32 v7, v0
	s_mov_b32 s14, 0
                                        ; implicit-def: $sgpr13
	s_branch .LBB113_226
.LBB113_225:                            ;   in Loop: Header=BB113_226 Depth=2
	s_or_b32 exec_lo, exec_lo, s7
	s_waitcnt vmcnt(0) lgkmcnt(0)
	s_barrier
	buffer_gl0_inv
	ds_load_b128 v[3:6], v13 offset:3072
	v_add_nc_u32_e32 v7, s31, v7
	v_add_nc_u32_e32 v12, s53, v12
	s_waitcnt lgkmcnt(0)
	s_barrier
	buffer_gl0_inv
	v_cmp_le_u32_e64 s7, s67, v7
	v_cmp_neq_f64_e32 vcc_lo, 0, v[3:4]
	s_delay_alu instid0(VALU_DEP_2) | instskip(NEXT) | instid1(SALU_CYCLE_1)
	s_or_b32 s7, s7, vcc_lo
	s_and_b32 s7, exec_lo, s7
	s_delay_alu instid0(SALU_CYCLE_1) | instskip(SKIP_2) | instid1(SALU_CYCLE_1)
	s_or_b32 s14, s7, s14
	s_and_not1_b32 s7, s13, exec_lo
	s_and_b32 s13, vcc_lo, exec_lo
	s_or_b32 s13, s7, s13
	s_and_not1_b32 exec_lo, exec_lo, s14
	s_cbranch_execz .LBB113_231
.LBB113_226:                            ;   Parent Loop BB113_21 Depth=1
                                        ; =>  This Inner Loop Header: Depth=2
	v_mov_b32_e32 v3, 0
	v_mov_b32_e32 v4, 0
	v_cmp_gt_u32_e32 vcc_lo, s28, v7
	s_and_saveexec_b32 s15, vcc_lo
	s_cbranch_execz .LBB113_228
; %bb.227:                              ;   in Loop: Header=BB113_226 Depth=2
	v_lshlrev_b64 v[3:4], 3, v[12:13]
	s_delay_alu instid0(VALU_DEP_1) | instskip(NEXT) | instid1(VALU_DEP_1)
	v_add_co_u32 v3, s7, s48, v3
	v_add_co_ci_u32_e64 v4, s7, s49, v4, s7
	global_load_b64 v[3:4], v[3:4], off
.LBB113_228:                            ;   in Loop: Header=BB113_226 Depth=2
	s_or_b32 exec_lo, exec_lo, s15
	s_and_saveexec_b32 s7, vcc_lo
	s_cbranch_execz .LBB113_225
; %bb.229:                              ;   in Loop: Header=BB113_226 Depth=2
	s_waitcnt vmcnt(0)
	v_cmp_o_f64_e32 vcc_lo, v[3:4], v[3:4]
	v_ashrrev_i32_e32 v1, 31, v4
	s_delay_alu instid0(VALU_DEP_1) | instskip(SKIP_1) | instid1(VALU_DEP_2)
	v_or_b32_e32 v5, 0x80000000, v1
	v_xor_b32_e32 v1, v1, v3
	v_xor_b32_e32 v5, v5, v4
	s_delay_alu instid0(VALU_DEP_1) | instskip(NEXT) | instid1(VALU_DEP_3)
	v_cndmask_b32_e32 v5, -1, v5, vcc_lo
	v_cndmask_b32_e32 v1, -1, v1, vcc_lo
	s_delay_alu instid0(VALU_DEP_2) | instskip(NEXT) | instid1(VALU_DEP_2)
	v_and_b32_e32 v6, s47, v5
	v_and_b32_e32 v5, s46, v1
	s_delay_alu instid0(VALU_DEP_1)
	v_cmp_eq_u64_e32 vcc_lo, s[44:45], v[5:6]
	s_and_b32 exec_lo, exec_lo, vcc_lo
	s_cbranch_execz .LBB113_225
; %bb.230:                              ;   in Loop: Header=BB113_226 Depth=2
	v_mov_b32_e32 v1, v13
	ds_store_b128 v13, v[1:4] offset:3072
	s_branch .LBB113_225
.LBB113_231:                            ;   in Loop: Header=BB113_21 Depth=1
	s_or_b32 exec_lo, exec_lo, s14
	s_delay_alu instid0(SALU_CYCLE_1)
	s_and_b32 s19, s13, exec_lo
.LBB113_232:                            ;   in Loop: Header=BB113_21 Depth=1
	s_or_b32 exec_lo, exec_lo, s11
	s_mov_b32 s15, -1
	s_mov_b32 s13, 0
	s_mov_b32 s14, 0
.LBB113_233:                            ;   in Loop: Header=BB113_21 Depth=1
	s_mov_b32 s11, 0
                                        ; implicit-def: $sgpr7
	s_and_saveexec_b32 s22, s19
	s_cbranch_execz .LBB113_247
; %bb.234:                              ;   in Loop: Header=BB113_21 Depth=1
	s_xor_b32 s7, s10, -1
	s_delay_alu instid0(SALU_CYCLE_1)
	s_and_not1_b32 vcc_lo, exec_lo, s7
	s_mov_b32 s7, 1
	s_cbranch_vccnz .LBB113_241
; %bb.235:                              ;   in Loop: Header=BB113_21 Depth=1
	s_cmp_gt_u32 s12, s16
	s_cbranch_scc1 .LBB113_242
; %bb.236:                              ;   in Loop: Header=BB113_21 Depth=1
	ds_load_b32 v1, v13 offset:4104
	s_waitcnt lgkmcnt(0)
	v_cmp_ne_u32_e32 vcc_lo, 0, v1
	s_cbranch_vccnz .LBB113_240
; %bb.237:                              ;   in Loop: Header=BB113_21 Depth=1
	s_and_saveexec_b32 s7, s1
	s_cbranch_execz .LBB113_239
; %bb.238:                              ;   in Loop: Header=BB113_21 Depth=1
	v_mov_b32_e32 v1, s16
	ds_store_b32 v13, v1 offset:4108
.LBB113_239:                            ;   in Loop: Header=BB113_21 Depth=1
	s_or_b32 exec_lo, exec_lo, s7
	s_waitcnt lgkmcnt(0)
	s_barrier
	buffer_gl0_inv
.LBB113_240:                            ;   in Loop: Header=BB113_21 Depth=1
	s_or_b64 s[10:11], s[44:45], s[8:9]
	s_or_b64 s[8:9], s[46:47], s[8:9]
	s_mov_b32 s19, 0
	s_mov_b32 s7, 8
	s_branch .LBB113_243
.LBB113_241:                            ;   in Loop: Header=BB113_21 Depth=1
	s_mov_b32 s12, 1
	s_branch .LBB113_246
.LBB113_242:                            ;   in Loop: Header=BB113_21 Depth=1
	s_mov_b32 s19, -1
                                        ; implicit-def: $sgpr7
                                        ; implicit-def: $sgpr10_sgpr11
                                        ; implicit-def: $sgpr8_sgpr9
.LBB113_243:                            ;   in Loop: Header=BB113_21 Depth=1
	s_delay_alu instid0(SALU_CYCLE_1)
	s_and_not1_b32 vcc_lo, exec_lo, s19
	s_cbranch_vccnz .LBB113_245
; %bb.244:                              ;   in Loop: Header=BB113_21 Depth=1
	s_sub_i32 s12, s12, s16
	s_mov_b32 s7, 8
	s_mov_b64 s[10:11], s[44:45]
	s_mov_b64 s[8:9], s[46:47]
.LBB113_245:                            ;   in Loop: Header=BB113_21 Depth=1
	s_mov_b64 s[44:45], s[10:11]
	s_mov_b64 s[46:47], s[8:9]
.LBB113_246:                            ;   in Loop: Header=BB113_21 Depth=1
	s_mov_b32 s11, exec_lo
.LBB113_247:                            ;   in Loop: Header=BB113_21 Depth=1
	s_or_b32 exec_lo, exec_lo, s22
.LBB113_248:                            ;   in Loop: Header=BB113_21 Depth=1
	s_delay_alu instid0(SALU_CYCLE_1)
	s_and_not1_b32 s8, s25, exec_lo
	s_and_b32 s9, s13, exec_lo
	s_and_not1_b32 s10, s26, exec_lo
	s_or_b32 s25, s8, s9
	s_and_not1_b32 s8, s78, exec_lo
	s_and_b32 s9, s15, exec_lo
	s_and_b32 s13, s14, exec_lo
	s_or_b32 s78, s8, s9
	s_or_b32 s26, s10, s13
	s_and_b32 s13, s11, exec_lo
	s_mov_b32 s80, s12
.LBB113_249:                            ;   in Loop: Header=BB113_21 Depth=1
	s_or_b32 exec_lo, exec_lo, s79
.LBB113_250:                            ;   in Loop: Header=BB113_21 Depth=1
	s_delay_alu instid0(SALU_CYCLE_1)
	s_and_not1_b32 s8, s21, exec_lo
	s_and_b32 s9, s25, exec_lo
	s_and_not1_b32 s10, s20, exec_lo
	s_or_b32 s21, s8, s9
	s_and_not1_b32 s8, s23, exec_lo
	s_and_b32 s9, s78, exec_lo
	s_and_b32 s11, s26, exec_lo
	s_or_b32 s23, s8, s9
	s_or_b32 s20, s10, s11
	s_and_b32 s13, s13, exec_lo
	s_mov_b32 s26, s80
.LBB113_251:                            ;   in Loop: Header=BB113_21 Depth=1
	s_or_b32 exec_lo, exec_lo, s24
                                        ; implicit-def: $sgpr78
	s_and_saveexec_b32 s8, s13
	s_delay_alu instid0(SALU_CYCLE_1)
	s_xor_b32 s8, exec_lo, s8
	s_cbranch_execz .LBB113_19
.LBB113_252:                            ;   in Loop: Header=BB113_21 Depth=1
	s_and_b32 s7, s7, -9
	s_delay_alu instid0(SALU_CYCLE_1)
	s_cmp_eq_u32 s7, 0
	s_cbranch_scc1 .LBB113_17
; %bb.253:                              ;   in Loop: Header=BB113_21 Depth=1
	s_mov_b32 s7, -1
	s_mov_b32 s9, -1
                                        ; implicit-def: $sgpr46_sgpr47
                                        ; implicit-def: $sgpr26
                                        ; implicit-def: $sgpr73
                                        ; implicit-def: $sgpr76
	s_branch .LBB113_18
.LBB113_254:
	s_or_b32 exec_lo, exec_lo, s52
	s_xor_b32 s4, s72, -1
	s_xor_b32 s1, s70, -1
	;; [unrolled: 1-line block ×3, first 2 shown]
	s_mov_b32 s2, 0
	s_and_saveexec_b32 s5, s1
	s_delay_alu instid0(SALU_CYCLE_1)
	s_xor_b32 s1, exec_lo, s5
	s_cbranch_execz .LBB113_268
; %bb.255:
	s_and_saveexec_b32 s2, s4
	s_delay_alu instid0(SALU_CYCLE_1)
	s_xor_b32 s4, exec_lo, s2
	s_cbranch_execz .LBB113_266
; %bb.256:
	s_and_saveexec_b32 s2, s3
	s_delay_alu instid0(SALU_CYCLE_1)
	s_xor_b32 s2, exec_lo, s2
; %bb.257:
	v_lshrrev_b32_e32 v1, 31, v4
	s_delay_alu instid0(VALU_DEP_1) | instskip(NEXT) | instid1(VALU_DEP_1)
	v_add_co_u32 v1, s3, v1, -1
	v_add_co_ci_u32_e64 v2, null, 0, -1, s3
	s_delay_alu instid0(VALU_DEP_2) | instskip(NEXT) | instid1(VALU_DEP_2)
	v_xor_b32_e32 v5, v1, v3
	v_or_b32_e32 v2, 0x80000000, v2
	s_delay_alu instid0(VALU_DEP_1)
	v_xor_b32_e32 v6, v2, v4
; %bb.258:
	s_or_b32 exec_lo, exec_lo, s2
	s_mul_i32 s2, s51, s50
	s_add_i32 s3, s51, 1
	s_sub_i32 s2, s27, s2
	v_mov_b32_e32 v12, 0
	s_sub_i32 s5, s2, s50
	s_cmp_ge_u32 s2, s50
	s_cselect_b32 s3, s3, s51
	s_cselect_b32 s2, s5, s2
	s_add_i32 s5, s3, 1
	s_cmp_ge_u32 s2, s50
	s_cselect_b32 s2, s5, s3
	s_delay_alu instid0(SALU_CYCLE_1) | instskip(SKIP_2) | instid1(SALU_CYCLE_1)
	s_mul_i32 s3, s2, s50
	s_mul_i32 s2, s2, s38
	s_sub_i32 s3, s27, s3
	s_mul_i32 s5, s3, s39
	s_mov_b32 s3, 0
	s_add_i32 s2, s2, s5
	s_delay_alu instid0(SALU_CYCLE_1) | instskip(NEXT) | instid1(SALU_CYCLE_1)
	s_lshl_b64 s[6:7], s[2:3], 3
	s_add_u32 s6, s40, s6
	s_addc_u32 s7, s41, s7
	global_store_b64 v12, v[5:6], s[6:7]
	s_and_saveexec_b32 s2, s0
	s_cbranch_execz .LBB113_265
; %bb.259:
	v_cmp_u_f64_e32 vcc_lo, v[5:6], v[5:6]
                                        ; implicit-def: $sgpr5
                                        ; implicit-def: $sgpr8
                                        ; implicit-def: $sgpr7
	s_xor_b32 s6, vcc_lo, -1
	s_set_inst_prefetch_distance 0x1
	s_branch .LBB113_261
	.p2align	6
.LBB113_260:                            ;   in Loop: Header=BB113_261 Depth=1
	s_or_b32 exec_lo, exec_lo, s0
	s_delay_alu instid0(SALU_CYCLE_1) | instskip(NEXT) | instid1(SALU_CYCLE_1)
	s_and_b32 s0, exec_lo, s8
	s_or_b32 s3, s0, s3
	s_and_not1_b32 s0, s5, exec_lo
	s_and_b32 s5, s7, exec_lo
	s_delay_alu instid0(SALU_CYCLE_1)
	s_or_b32 s5, s0, s5
	s_and_not1_b32 exec_lo, exec_lo, s3
	s_cbranch_execz .LBB113_263
.LBB113_261:                            ; =>This Inner Loop Header: Depth=1
	v_lshlrev_b64 v[1:2], 3, v[11:12]
	s_or_b32 s7, s7, exec_lo
	s_or_b32 s8, s8, exec_lo
	s_delay_alu instid0(VALU_DEP_1) | instskip(NEXT) | instid1(VALU_DEP_2)
	v_add_co_u32 v1, vcc_lo, s48, v1
	v_add_co_ci_u32_e32 v2, vcc_lo, s49, v2, vcc_lo
	global_load_b64 v[1:2], v[1:2], off
	s_waitcnt vmcnt(0)
	v_cmp_o_f64_e32 vcc_lo, v[1:2], v[1:2]
	v_cmp_neq_f64_e64 s0, v[1:2], v[5:6]
	v_mov_b32_e32 v1, v0
                                        ; implicit-def: $vgpr0
	s_or_b32 s9, vcc_lo, s6
	s_delay_alu instid0(VALU_DEP_2) | instid1(SALU_CYCLE_1)
	s_and_b32 s9, s0, s9
	s_delay_alu instid0(SALU_CYCLE_1)
	s_and_saveexec_b32 s0, s9
	s_cbranch_execz .LBB113_260
; %bb.262:                              ;   in Loop: Header=BB113_261 Depth=1
	v_add_nc_u32_e32 v0, s31, v1
	s_and_not1_b32 s8, s8, exec_lo
	v_add_nc_u32_e32 v11, s53, v11
	s_and_not1_b32 s7, s7, exec_lo
	s_delay_alu instid0(VALU_DEP_2) | instskip(SKIP_1) | instid1(SALU_CYCLE_1)
	v_cmp_le_u32_e32 vcc_lo, s28, v0
	s_and_b32 s9, vcc_lo, exec_lo
	s_or_b32 s8, s8, s9
	s_branch .LBB113_260
.LBB113_263:
	s_set_inst_prefetch_distance 0x2
	s_or_b32 exec_lo, exec_lo, s3
	s_and_saveexec_b32 s0, s5
	s_delay_alu instid0(SALU_CYCLE_1)
	s_xor_b32 s0, exec_lo, s0
	s_cbranch_execz .LBB113_265
; %bb.264:
	s_mul_i32 s0, s33, s29
	s_add_i32 s3, s33, 1
	s_sub_i32 s0, s27, s0
	s_mov_b32 s7, 0
	s_sub_i32 s5, s0, s29
	s_cmp_ge_u32 s0, s29
	v_mov_b32_e32 v2, 0
	s_cselect_b32 s3, s3, s33
	s_cselect_b32 s0, s5, s0
	s_add_i32 s5, s3, 1
	s_cmp_ge_u32 s0, s29
	s_cselect_b32 s0, s5, s3
	s_delay_alu instid0(SALU_CYCLE_1) | instskip(SKIP_2) | instid1(SALU_CYCLE_1)
	s_mul_i32 s3, s0, s29
	s_mul_i32 s0, s0, s36
	s_sub_i32 s3, s27, s3
	s_mul_i32 s3, s3, s37
	s_delay_alu instid0(SALU_CYCLE_1) | instskip(NEXT) | instid1(SALU_CYCLE_1)
	s_add_i32 s6, s0, s3
	s_lshl_b64 s[6:7], s[6:7], 3
	s_delay_alu instid0(SALU_CYCLE_1)
	s_add_u32 s6, s34, s6
	s_addc_u32 s7, s35, s7
	global_store_b64 v2, v[1:2], s[6:7]
.LBB113_265:
	s_or_b32 exec_lo, exec_lo, s2
.LBB113_266:
	s_or_saveexec_b32 s0, s4
	s_mov_b32 s2, 0
	s_xor_b32 exec_lo, exec_lo, s0
	s_cbranch_execnz .LBB113_274
.LBB113_267:
	s_or_b32 exec_lo, exec_lo, s0
	s_delay_alu instid0(SALU_CYCLE_1)
	s_and_b32 s2, s2, exec_lo
.LBB113_268:
	s_and_not1_saveexec_b32 s0, s1
	s_cbranch_execnz .LBB113_272
; %bb.269:
	s_or_b32 exec_lo, exec_lo, s0
	s_and_saveexec_b32 s0, s2
.LBB113_270:
	; divergent unreachable
.LBB113_271:
	s_nop 0
	s_sendmsg sendmsg(MSG_DEALLOC_VGPRS)
	s_endpgm
.LBB113_272:
	s_cbranch_execnz .LBB113_276
; %bb.273:
	s_or_b32 s2, s2, exec_lo
	s_or_b32 exec_lo, exec_lo, s0
	s_and_saveexec_b32 s0, s2
	s_cbranch_execnz .LBB113_270
	s_branch .LBB113_271
.LBB113_274:
	s_cbranch_execnz .LBB113_278
; %bb.275:
	s_mov_b32 s2, exec_lo
	s_branch .LBB113_267
.LBB113_276:
	s_trap 2
	s_sendmsg_rtn_b32 s0, sendmsg(MSG_RTN_GET_DOORBELL)
	s_mov_b32 ttmp2, m0
	s_waitcnt lgkmcnt(0)
	s_and_b32 s0, s0, 0x3ff
	s_delay_alu instid0(SALU_CYCLE_1) | instskip(NEXT) | instid1(SALU_CYCLE_1)
	s_bitset1_b32 s0, 10
	s_mov_b32 m0, s0
	s_sendmsg sendmsg(MSG_INTERRUPT)
	s_mov_b32 m0, ttmp2
.LBB113_277:                            ; =>This Inner Loop Header: Depth=1
	s_sethalt 5
	s_branch .LBB113_277
.LBB113_278:
	s_trap 2
	s_sendmsg_rtn_b32 s0, sendmsg(MSG_RTN_GET_DOORBELL)
	s_mov_b32 ttmp2, m0
	s_waitcnt lgkmcnt(0)
	s_and_b32 s0, s0, 0x3ff
	s_delay_alu instid0(SALU_CYCLE_1) | instskip(NEXT) | instid1(SALU_CYCLE_1)
	s_bitset1_b32 s0, 10
	s_mov_b32 m0, s0
	s_sendmsg sendmsg(MSG_INTERRUPT)
	s_mov_b32 m0, ttmp2
.LBB113_279:                            ; =>This Inner Loop Header: Depth=1
	s_sethalt 5
	s_branch .LBB113_279
	.section	.rodata,"a",@progbits
	.p2align	6, 0x0
	.amdhsa_kernel _ZN2at6native12_GLOBAL__N_112gatherMedianIdjLi2EEEvNS_4cuda6detail10TensorInfoIT_T0_EENS5_IlS7_EENS5_IKS6_S7_EES7_S7_S7_b
		.amdhsa_group_segment_fixed_size 4120
		.amdhsa_private_segment_fixed_size 0
		.amdhsa_kernarg_size 920
		.amdhsa_user_sgpr_count 13
		.amdhsa_user_sgpr_dispatch_ptr 0
		.amdhsa_user_sgpr_queue_ptr 0
		.amdhsa_user_sgpr_kernarg_segment_ptr 1
		.amdhsa_user_sgpr_dispatch_id 0
		.amdhsa_user_sgpr_private_segment_size 0
		.amdhsa_wavefront_size32 1
		.amdhsa_uses_dynamic_stack 0
		.amdhsa_enable_private_segment 0
		.amdhsa_system_sgpr_workgroup_id_x 1
		.amdhsa_system_sgpr_workgroup_id_y 1
		.amdhsa_system_sgpr_workgroup_id_z 1
		.amdhsa_system_sgpr_workgroup_info 0
		.amdhsa_system_vgpr_workitem_id 0
		.amdhsa_next_free_vgpr 50
		.amdhsa_next_free_sgpr 88
		.amdhsa_reserve_vcc 1
		.amdhsa_float_round_mode_32 0
		.amdhsa_float_round_mode_16_64 0
		.amdhsa_float_denorm_mode_32 3
		.amdhsa_float_denorm_mode_16_64 3
		.amdhsa_dx10_clamp 1
		.amdhsa_ieee_mode 1
		.amdhsa_fp16_overflow 0
		.amdhsa_workgroup_processor_mode 1
		.amdhsa_memory_ordered 1
		.amdhsa_forward_progress 0
		.amdhsa_shared_vgpr_count 0
		.amdhsa_exception_fp_ieee_invalid_op 0
		.amdhsa_exception_fp_denorm_src 0
		.amdhsa_exception_fp_ieee_div_zero 0
		.amdhsa_exception_fp_ieee_overflow 0
		.amdhsa_exception_fp_ieee_underflow 0
		.amdhsa_exception_fp_ieee_inexact 0
		.amdhsa_exception_int_div_zero 0
	.end_amdhsa_kernel
	.section	.text._ZN2at6native12_GLOBAL__N_112gatherMedianIdjLi2EEEvNS_4cuda6detail10TensorInfoIT_T0_EENS5_IlS7_EENS5_IKS6_S7_EES7_S7_S7_b,"axG",@progbits,_ZN2at6native12_GLOBAL__N_112gatherMedianIdjLi2EEEvNS_4cuda6detail10TensorInfoIT_T0_EENS5_IlS7_EENS5_IKS6_S7_EES7_S7_S7_b,comdat
.Lfunc_end113:
	.size	_ZN2at6native12_GLOBAL__N_112gatherMedianIdjLi2EEEvNS_4cuda6detail10TensorInfoIT_T0_EENS5_IlS7_EENS5_IKS6_S7_EES7_S7_S7_b, .Lfunc_end113-_ZN2at6native12_GLOBAL__N_112gatherMedianIdjLi2EEEvNS_4cuda6detail10TensorInfoIT_T0_EENS5_IlS7_EENS5_IKS6_S7_EES7_S7_S7_b
                                        ; -- End function
	.section	.AMDGPU.csdata,"",@progbits
; Kernel info:
; codeLenInByte = 11032
; NumSgprs: 90
; NumVgprs: 50
; ScratchSize: 0
; MemoryBound: 0
; FloatMode: 240
; IeeeMode: 1
; LDSByteSize: 4120 bytes/workgroup (compile time only)
; SGPRBlocks: 11
; VGPRBlocks: 6
; NumSGPRsForWavesPerEU: 90
; NumVGPRsForWavesPerEU: 50
; Occupancy: 16
; WaveLimiterHint : 1
; COMPUTE_PGM_RSRC2:SCRATCH_EN: 0
; COMPUTE_PGM_RSRC2:USER_SGPR: 13
; COMPUTE_PGM_RSRC2:TRAP_HANDLER: 0
; COMPUTE_PGM_RSRC2:TGID_X_EN: 1
; COMPUTE_PGM_RSRC2:TGID_Y_EN: 1
; COMPUTE_PGM_RSRC2:TGID_Z_EN: 1
; COMPUTE_PGM_RSRC2:TIDIG_COMP_CNT: 0
	.section	.text._ZN2at6native12_GLOBAL__N_112gatherMedianIdjLi3EEEvNS_4cuda6detail10TensorInfoIT_T0_EENS5_IlS7_EENS5_IKS6_S7_EES7_S7_S7_b,"axG",@progbits,_ZN2at6native12_GLOBAL__N_112gatherMedianIdjLi3EEEvNS_4cuda6detail10TensorInfoIT_T0_EENS5_IlS7_EENS5_IKS6_S7_EES7_S7_S7_b,comdat
	.globl	_ZN2at6native12_GLOBAL__N_112gatherMedianIdjLi3EEEvNS_4cuda6detail10TensorInfoIT_T0_EENS5_IlS7_EENS5_IKS6_S7_EES7_S7_S7_b ; -- Begin function _ZN2at6native12_GLOBAL__N_112gatherMedianIdjLi3EEEvNS_4cuda6detail10TensorInfoIT_T0_EENS5_IlS7_EENS5_IKS6_S7_EES7_S7_S7_b
	.p2align	8
	.type	_ZN2at6native12_GLOBAL__N_112gatherMedianIdjLi3EEEvNS_4cuda6detail10TensorInfoIT_T0_EENS5_IlS7_EENS5_IKS6_S7_EES7_S7_S7_b,@function
_ZN2at6native12_GLOBAL__N_112gatherMedianIdjLi3EEEvNS_4cuda6detail10TensorInfoIT_T0_EENS5_IlS7_EENS5_IKS6_S7_EES7_S7_S7_b: ; @_ZN2at6native12_GLOBAL__N_112gatherMedianIdjLi3EEEvNS_4cuda6detail10TensorInfoIT_T0_EENS5_IlS7_EENS5_IKS6_S7_EES7_S7_S7_b
; %bb.0:
	s_clause 0x1
	s_load_b64 s[6:7], s[0:1], 0x298
	s_load_b128 s[28:31], s[0:1], 0x288
	s_add_u32 s4, s0, 0x298
	s_addc_u32 s5, s1, 0
	s_waitcnt lgkmcnt(0)
	s_mul_i32 s2, s7, s15
	s_delay_alu instid0(SALU_CYCLE_1) | instskip(NEXT) | instid1(SALU_CYCLE_1)
	s_add_i32 s2, s2, s14
	s_mul_i32 s27, s2, s6
	s_delay_alu instid0(SALU_CYCLE_1) | instskip(NEXT) | instid1(SALU_CYCLE_1)
	s_add_i32 s27, s27, s13
	s_cmp_ge_u32 s27, s29
	s_cbranch_scc1 .LBB114_271
; %bb.1:
	s_clause 0x7
	s_load_b64 s[44:45], s[0:1], 0xc
	s_load_b64 s[34:35], s[0:1], 0xe4
	;; [unrolled: 1-line block ×5, first 2 shown]
	s_load_b128 s[36:39], s[0:1], 0x144
	s_load_b64 s[46:47], s[0:1], 0xd8
	s_load_b128 s[40:43], s[0:1], 0x6c
	v_mul_lo_u32 v11, v0, s30
	s_waitcnt lgkmcnt(0)
	v_cvt_f32_u32_e32 v1, s45
	v_cvt_f32_u32_e32 v2, s44
	;; [unrolled: 1-line block ×4, first 2 shown]
	s_sub_i32 s10, 0, s45
	v_rcp_iflag_f32_e32 v1, v1
	v_rcp_iflag_f32_e32 v2, v2
	;; [unrolled: 1-line block ×4, first 2 shown]
	v_cvt_f32_u32_e32 v5, s9
	v_cvt_f32_u32_e32 v6, s8
	s_delay_alu instid0(VALU_DEP_2)
	v_rcp_iflag_f32_e32 v5, v5
	v_dual_mul_f32 v1, 0x4f7ffffe, v1 :: v_dual_mul_f32 v2, 0x4f7ffffe, v2
	s_waitcnt_depctr 0xfff
	v_dual_mul_f32 v3, 0x4f7ffffe, v3 :: v_dual_mul_f32 v4, 0x4f7ffffe, v4
	v_cvt_u32_f32_e32 v1, v1
	v_cvt_u32_f32_e32 v2, v2
	s_delay_alu instid0(VALU_DEP_3) | instskip(SKIP_1) | instid1(VALU_DEP_4)
	v_cvt_u32_f32_e32 v3, v3
	v_mul_f32_e32 v5, 0x4f7ffffe, v5
	v_readfirstlane_b32 s7, v1
	v_rcp_iflag_f32_e32 v1, v6
	s_delay_alu instid0(VALU_DEP_3) | instskip(SKIP_1) | instid1(VALU_DEP_3)
	v_readfirstlane_b32 s14, v3
	v_cvt_u32_f32_e32 v3, v4
	s_mul_i32 s10, s10, s7
	s_delay_alu instid0(SALU_CYCLE_1) | instskip(NEXT) | instid1(SALU_CYCLE_1)
	s_mul_hi_u32 s10, s7, s10
	s_add_i32 s7, s7, s10
	s_waitcnt_depctr 0xfff
	v_mul_f32_e32 v1, 0x4f7ffffe, v1
	s_mul_hi_u32 s7, s27, s7
	s_delay_alu instid0(SALU_CYCLE_1)
	s_mul_i32 s10, s7, s45
	s_add_i32 s11, s7, 1
	s_sub_i32 s10, s27, s10
	v_cvt_u32_f32_e32 v1, v1
	s_sub_i32 s12, s10, s45
	s_cmp_ge_u32 s10, s45
	s_cselect_b32 s7, s11, s7
	s_cselect_b32 s10, s12, s10
	s_add_i32 s11, s7, 1
	s_cmp_ge_u32 s10, s45
	v_readfirstlane_b32 s10, v2
	s_cselect_b32 s56, s11, s7
	s_sub_i32 s7, 0, s35
	s_sub_i32 s11, 0, s44
	s_mul_i32 s7, s7, s14
	s_mul_i32 s11, s11, s10
	s_mul_hi_u32 s7, s14, s7
	s_mul_hi_u32 s11, s10, s11
	s_add_i32 s14, s14, s7
	s_add_i32 s10, s10, s11
	s_mul_hi_u32 s7, s27, s14
	v_cvt_u32_f32_e32 v2, v5
	s_mul_i32 s12, s7, s35
	v_readfirstlane_b32 s16, v1
	s_sub_i32 s11, s27, s12
	s_add_i32 s12, s7, 1
	s_sub_i32 s14, s11, s35
	s_cmp_ge_u32 s11, s35
	v_readfirstlane_b32 s15, v2
	s_cselect_b32 s7, s12, s7
	s_cselect_b32 s11, s14, s11
	s_add_i32 s12, s7, 1
	s_cmp_ge_u32 s11, s35
	v_readfirstlane_b32 s11, v3
	s_cselect_b32 s29, s12, s7
	s_sub_i32 s7, 0, s9
	s_sub_i32 s12, 0, s34
	s_mul_i32 s7, s7, s15
	s_mul_i32 s12, s12, s11
	s_mul_hi_u32 s7, s15, s7
	s_mul_hi_u32 s12, s11, s12
	s_add_i32 s15, s15, s7
	s_add_i32 s12, s11, s12
	s_mul_hi_u32 s7, s27, s15
	s_mul_hi_u32 s57, s56, s10
	s_mul_i32 s14, s7, s9
	v_mov_b32_e32 v3, 0
	s_sub_i32 s11, s27, s14
	s_add_i32 s14, s7, 1
	s_sub_i32 s15, s11, s9
	s_cmp_ge_u32 s11, s9
	s_mul_hi_u32 s33, s29, s12
	s_cselect_b32 s7, s14, s7
	s_cselect_b32 s11, s15, s11
	s_add_i32 s14, s7, 1
	s_cmp_ge_u32 s11, s9
	s_cselect_b32 s7, s14, s7
	s_sub_i32 s11, 0, s8
	s_mul_i32 s9, s7, s9
	s_mul_i32 s11, s11, s16
	s_sub_i32 s15, s27, s9
	s_mul_hi_u32 s11, s16, s11
	s_delay_alu instid0(SALU_CYCLE_1) | instskip(SKIP_2) | instid1(SALU_CYCLE_1)
	s_add_i32 s11, s16, s11
	s_load_b128 s[16:19], s[0:1], 0x21c
	s_mul_hi_u32 s11, s7, s11
	s_mul_i32 s14, s11, s8
	s_delay_alu instid0(SALU_CYCLE_1)
	s_sub_i32 s9, s7, s14
	s_add_i32 s14, s11, 1
	s_waitcnt lgkmcnt(0)
	s_sub_i32 s19, s9, s8
	s_cmp_ge_u32 s9, s8
	s_cselect_b32 s0, s14, s11
	s_cselect_b32 s1, s19, s9
	s_add_i32 s9, s0, 1
	s_cmp_ge_u32 s1, s8
	s_cselect_b32 s1, s9, s0
	s_mov_b32 s9, 0
	s_mul_i32 s8, s1, s8
	v_cmp_gt_u32_e64 s0, s28, v0
	s_sub_i32 s7, s7, s8
	s_mul_i32 s15, s15, s18
	s_mul_i32 s7, s7, s17
	;; [unrolled: 1-line block ×3, first 2 shown]
	s_add_i32 s7, s7, s15
	s_delay_alu instid0(SALU_CYCLE_1) | instskip(NEXT) | instid1(SALU_CYCLE_1)
	s_add_i32 s8, s7, s1
	s_lshl_b64 s[10:11], s[8:9], 3
	s_delay_alu instid0(SALU_CYCLE_1)
	s_add_u32 s39, s2, s10
	s_addc_u32 s43, s3, s11
	s_and_saveexec_b32 s2, s0
	s_cbranch_execz .LBB114_5
; %bb.2:
	s_load_b32 s1, s[4:5], 0xc
	v_mul_lo_u32 v1, v0, s30
	v_dual_mov_b32 v3, 0 :: v_dual_mov_b32 v2, 0
	v_mov_b32_e32 v4, v0
	s_waitcnt lgkmcnt(0)
	s_and_b32 s3, s1, 0xffff
	s_delay_alu instid0(SALU_CYCLE_1)
	s_mul_i32 s7, s30, s3
	.p2align	6
.LBB114_3:                              ; =>This Inner Loop Header: Depth=1
	s_delay_alu instid0(VALU_DEP_3) | instskip(SKIP_2) | instid1(VALU_DEP_3)
	v_lshlrev_b64 v[5:6], 3, v[1:2]
	v_add_nc_u32_e32 v4, s3, v4
	v_add_nc_u32_e32 v1, s7, v1
	v_add_co_u32 v5, vcc_lo, s39, v5
	s_delay_alu instid0(VALU_DEP_4) | instskip(NEXT) | instid1(VALU_DEP_4)
	v_add_co_ci_u32_e32 v6, vcc_lo, s43, v6, vcc_lo
	v_cmp_le_u32_e32 vcc_lo, s28, v4
	global_load_b64 v[5:6], v[5:6], off
	s_or_b32 s9, vcc_lo, s9
	s_waitcnt vmcnt(0)
	v_cmp_u_f64_e64 s1, v[5:6], v[5:6]
	s_delay_alu instid0(VALU_DEP_1)
	v_add_co_ci_u32_e64 v3, s1, 0, v3, s1
	s_and_not1_b32 exec_lo, exec_lo, s9
	s_cbranch_execnz .LBB114_3
; %bb.4:
	s_or_b32 exec_lo, exec_lo, s9
.LBB114_5:
	s_delay_alu instid0(SALU_CYCLE_1) | instskip(SKIP_1) | instid1(VALU_DEP_1)
	s_or_b32 exec_lo, exec_lo, s2
	v_cmp_eq_u32_e64 s1, 0, v0
	s_and_saveexec_b32 s2, s1
	s_cbranch_execz .LBB114_7
; %bb.6:
	v_mov_b32_e32 v1, 0
	s_delay_alu instid0(VALU_DEP_1)
	v_mov_b32_e32 v2, v1
	ds_store_b64 v1, v[1:2] offset:4096
.LBB114_7:
	s_or_b32 exec_lo, exec_lo, s2
	s_delay_alu instid0(SALU_CYCLE_1)
	s_mov_b32 s7, exec_lo
	s_waitcnt lgkmcnt(0)
	s_barrier
	buffer_gl0_inv
	v_cmpx_ne_u32_e32 0, v3
	s_cbranch_execz .LBB114_12
; %bb.8:
	v_mov_b32_e32 v1, 0
	s_mov_b32 s8, exec_lo
	s_mov_b64 s[2:3], 0
.LBB114_9:                              ; =>This Inner Loop Header: Depth=1
	s_ctz_i32_b32 s9, s8
	s_delay_alu instid0(SALU_CYCLE_1) | instskip(SKIP_1) | instid1(VALU_DEP_2)
	v_readlane_b32 s10, v3, s9
	v_readlane_b32 s11, v1, s9
	s_add_u32 s2, s2, s10
	s_delay_alu instid0(VALU_DEP_1) | instskip(SKIP_1) | instid1(SALU_CYCLE_1)
	s_addc_u32 s3, s3, s11
	s_lshl_b32 s9, 1, s9
	s_and_not1_b32 s8, s8, s9
	s_delay_alu instid0(SALU_CYCLE_1)
	s_cmp_lg_u32 s8, 0
	s_cbranch_scc1 .LBB114_9
; %bb.10:
	v_mbcnt_lo_u32_b32 v1, exec_lo, 0
	s_mov_b32 s8, exec_lo
	s_delay_alu instid0(VALU_DEP_1)
	v_cmpx_eq_u32_e32 0, v1
	s_xor_b32 s8, exec_lo, s8
	s_cbranch_execz .LBB114_12
; %bb.11:
	v_mov_b32_e32 v1, s2
	v_dual_mov_b32 v3, 0 :: v_dual_mov_b32 v2, s3
	ds_add_u64 v3, v[1:2] offset:4096
.LBB114_12:
	s_or_b32 exec_lo, exec_lo, s7
	v_mov_b32_e32 v1, 0
	s_waitcnt lgkmcnt(0)
	s_barrier
	buffer_gl0_inv
	s_bitcmp1_b32 s31, 0
	ds_load_b64 v[1:2], v1 offset:4096
	s_cselect_b32 s2, -1, 0
	s_mov_b32 s84, s28
	s_waitcnt lgkmcnt(0)
	v_cmp_gt_i64_e32 vcc_lo, 1, v[1:2]
	s_or_b32 s2, s2, vcc_lo
	s_delay_alu instid0(SALU_CYCLE_1)
	s_and_not1_b32 vcc_lo, exec_lo, s2
	s_cbranch_vccnz .LBB114_14
; %bb.13:
	v_not_b32_e32 v1, v1
	v_not_b32_e32 v2, v2
	s_delay_alu instid0(VALU_DEP_2) | instskip(NEXT) | instid1(VALU_DEP_2)
	v_add_co_u32 v1, vcc_lo, v1, s28
	v_add_co_ci_u32_e32 v2, vcc_lo, 0, v2, vcc_lo
	s_delay_alu instid0(VALU_DEP_1) | instskip(NEXT) | instid1(VALU_DEP_1)
	v_lshrrev_b32_e32 v3, 31, v2
	v_add_co_u32 v1, vcc_lo, v1, v3
	v_add_co_ci_u32_e32 v2, vcc_lo, 0, v2, vcc_lo
	s_delay_alu instid0(VALU_DEP_1) | instskip(NEXT) | instid1(VALU_DEP_1)
	v_alignbit_b32 v1, v2, v1, 1
	v_readfirstlane_b32 s2, v1
	s_delay_alu instid0(VALU_DEP_1)
	s_add_i32 s84, s2, 1
.LBB114_14:
	s_and_saveexec_b32 s2, s1
	s_cbranch_execz .LBB114_16
; %bb.15:
	v_dual_mov_b32 v1, 0 :: v_dual_mov_b32 v2, s28
	ds_store_b32 v1, v1 offset:4112
	ds_store_b64 v1, v[1:2] offset:4104
.LBB114_16:
	s_or_b32 exec_lo, exec_lo, s2
	s_waitcnt lgkmcnt(0)
	s_barrier
	buffer_gl0_inv
	s_load_b32 s7, s[4:5], 0xc
	v_mbcnt_lo_u32_b32 v23, -1, 0
	v_cmp_gt_u32_e32 vcc_lo, 32, v0
	v_lshrrev_b32_e32 v1, 3, v0
	v_dual_mov_b32 v13, 0 :: v_dual_lshlrev_b32 v24, 2, v0
	s_delay_alu instid0(VALU_DEP_4) | instskip(SKIP_1) | instid1(VALU_DEP_4)
	v_cmp_gt_i32_e64 s3, 4, v23
	v_lshlrev_b32_e32 v25, 3, v0
	v_and_b32_e32 v27, 0x7c, v1
	s_delay_alu instid0(VALU_DEP_4)
	v_or_b32_e32 v4, 2, v24
	v_mov_b32_e32 v12, v13
	s_and_b32 s61, vcc_lo, s3
	v_or_b32_e32 v5, 3, v24
	v_add_nc_u32_e32 v26, 0xc00, v25
	v_mul_lo_u32 v30, s30, v4
	v_cmp_gt_u32_e64 s2, 2, v0
	v_cmp_eq_u32_e64 s3, 0, v23
	v_mul_lo_u32 v31, s30, v5
	v_lshlrev_b32_e32 v32, 2, v11
	v_lshlrev_b32_e32 v34, 5, v0
	s_waitcnt lgkmcnt(0)
	s_and_b32 s31, s7, 0xffff
	s_bfe_u32 s7, s7, 0xb0005
	s_lshl_b32 s60, s31, 2
	s_add_i32 s62, s31, -1
	v_cvt_f32_u32_e32 v2, s60
	s_add_i32 s8, s62, s28
	s_cmpk_gt_u32 s28, 0x180
	v_cvt_f32_u32_e32 v3, s31
	s_cselect_b32 s63, -1, 0
	v_rcp_iflag_f32_e32 v2, v2
	s_cmp_gt_u32 s31, 31
	v_mad_u64_u32 v[14:15], null, s30, v24, s[30:31]
	s_cselect_b32 s64, -1, 0
	s_cmp_lt_u32 s13, s6
	v_rcp_iflag_f32_e32 v3, v3
	s_cselect_b32 s6, 12, 18
	v_lshl_or_b32 v35, v23, 2, 0xc00
	s_add_u32 s50, s4, s6
	s_waitcnt_depctr 0xfff
	v_mul_f32_e32 v2, 0x4f7ffffe, v2
	s_addc_u32 s51, s5, 0
	s_add_i32 s4, s7, -1
	s_bfe_u32 s65, s31, 0x30005
	s_cmp_gt_u32 s4, 6
	v_cvt_u32_f32_e32 v2, v2
	s_cselect_b32 s66, -1, 0
	s_and_b32 s67, s7, 0x7f8
	s_cmp_lg_u32 s65, 0
	s_mul_i32 s59, s30, s31
	v_readfirstlane_b32 s4, v2
	s_cselect_b32 s68, -1, 0
	s_sub_i32 s5, 0, s60
	v_lshlrev_b64 v[1:2], v23, -1
	v_mul_f32_e32 v2, 0x4f7ffffe, v3
	s_mul_i32 s5, s5, s4
	s_mov_b32 s58, 0
	s_mul_hi_u32 s5, s4, s5
	s_mov_b64 s[52:53], 0
	s_add_i32 s69, s4, s5
	v_cvt_u32_f32_e32 v6, v2
	s_mul_hi_u32 s4, s28, s69
	v_lshlrev_b64 v[2:3], 3, v[11:12]
	s_mul_i32 s4, s4, s60
	v_not_b32_e32 v28, v1
	s_sub_i32 s4, s28, s4
	v_add3_u32 v1, s31, s28, v0
	s_sub_i32 s5, s4, s60
	s_cmp_ge_u32 s4, s60
	v_add_co_u32 v15, vcc_lo, s39, v2
	s_cselect_b32 s4, s5, s4
	v_readfirstlane_b32 s5, v6
	s_sub_i32 s6, s4, s60
	s_cmp_ge_u32 s4, s60
	v_add_co_ci_u32_e32 v16, vcc_lo, s43, v3, vcc_lo
	s_cselect_b32 s4, s6, s4
	s_sub_i32 s6, 0, s31
	s_sub_i32 s70, s28, s4
	s_mul_i32 s6, s6, s5
	v_add_nc_u32_e32 v29, s70, v0
	s_mul_hi_u32 s6, s5, s6
	v_subrev_nc_u32_e32 v3, s4, v1
	s_add_i32 s71, s5, s6
	v_mov_b32_e32 v5, 0
	s_mul_hi_u32 s5, s8, s71
	v_mul_lo_u32 v12, v29, s30
	s_mul_i32 s5, s5, s31
	v_mul_lo_u32 v33, s30, v3
	s_sub_i32 s5, s8, s5
	v_cmp_gt_u32_e64 s4, s70, v24
	s_sub_i32 s6, s5, s31
	s_cmp_ge_u32 s5, s31
	v_mov_b32_e32 v6, 0
	s_cselect_b32 s6, s6, s5
	v_lshlrev_b64 v[1:2], 3, v[12:13]
	s_sub_i32 s7, s6, s31
	s_cmp_ge_u32 s6, s31
	v_cmp_gt_u32_e64 s5, s28, v29
	s_cselect_b32 s6, s7, s6
	s_lshl_b32 s72, s59, 2
	s_sub_i32 s73, s8, s6
	v_add_co_u32 v17, vcc_lo, s39, v1
	v_add_co_ci_u32_e32 v18, vcc_lo, s43, v2, vcc_lo
	v_cmp_gt_u32_e64 s6, s73, v0
	v_mov_b32_e32 v2, 0x3ff00000
	s_lshl_b32 s74, s31, 5
	s_lshl_b32 s75, s31, 3
	s_mov_b32 s79, 62
	s_mov_b32 s82, 0
	s_mov_b64 s[54:55], 0
                                        ; implicit-def: $sgpr76
                                        ; implicit-def: $sgpr78
                                        ; implicit-def: $sgpr77
                                        ; implicit-def: $sgpr81
                                        ; implicit-def: $sgpr83
                                        ; implicit-def: $sgpr80
	s_branch .LBB114_21
.LBB114_17:                             ;   in Loop: Header=BB114_21 Depth=1
	s_xor_b32 s82, s82, 1
	s_add_i32 s10, s79, -2
	s_cmp_eq_u32 s79, 0
	s_mov_b32 s7, 0
	s_cselect_b32 s9, -1, 0
	s_mov_b32 s79, s10
.LBB114_18:                             ;   in Loop: Header=BB114_21 Depth=1
	s_and_not1_b32 s10, s21, exec_lo
	s_and_b32 s7, s7, exec_lo
	s_and_not1_b32 s23, s23, exec_lo
	s_or_b32 s21, s10, s7
	s_and_not1_b32 s20, s20, exec_lo
	s_or_not1_b32 s18, s9, exec_lo
	s_mov_b32 s84, s26
.LBB114_19:                             ;   in Loop: Header=BB114_21 Depth=1
	s_or_b32 exec_lo, exec_lo, s8
	s_delay_alu instid0(SALU_CYCLE_1)
	s_and_not1_b32 s7, s80, exec_lo
	s_and_b32 s8, s21, exec_lo
	s_and_not1_b32 s9, s81, exec_lo
	s_or_b32 s80, s7, s8
	s_and_not1_b32 s7, s83, exec_lo
	s_and_b32 s8, s23, exec_lo
	s_and_b32 s10, s20, exec_lo
	s_or_b32 s83, s7, s8
	s_or_b32 s81, s9, s10
	s_or_not1_b32 s12, s18, exec_lo
.LBB114_20:                             ;   in Loop: Header=BB114_21 Depth=1
	s_or_b32 exec_lo, exec_lo, s17
	s_delay_alu instid0(SALU_CYCLE_1)
	s_and_b32 s7, exec_lo, s12
	v_dual_mov_b32 v3, s52 :: v_dual_mov_b32 v4, s53
	s_or_b32 s58, s7, s58
	s_and_not1_b32 s7, s77, exec_lo
	s_and_b32 s8, s80, exec_lo
	s_and_not1_b32 s9, s76, exec_lo
	s_or_b32 s77, s7, s8
	s_and_not1_b32 s7, s78, exec_lo
	s_and_b32 s8, s83, exec_lo
	s_and_b32 s10, s81, exec_lo
	s_or_b32 s78, s7, s8
	s_or_b32 s76, s9, s10
	s_and_not1_b32 exec_lo, exec_lo, s58
	s_cbranch_execz .LBB114_254
.LBB114_21:                             ; =>This Loop Header: Depth=1
                                        ;     Child Loop BB114_29 Depth 2
                                        ;     Child Loop BB114_44 Depth 2
	;; [unrolled: 1-line block ×16, first 2 shown]
	ds_load_b64 v[3:4], v13 offset:4104
	s_waitcnt lgkmcnt(0)
	v_readfirstlane_b32 s85, v3
	s_delay_alu instid0(VALU_DEP_1)
	s_cmp_lg_u32 s85, 0
	s_cbranch_scc1 .LBB114_51
; %bb.22:                               ;   in Loop: Header=BB114_21 Depth=1
	s_and_b32 vcc_lo, exec_lo, s63
	s_cbranch_vccz .LBB114_37
; %bb.23:                               ;   in Loop: Header=BB114_21 Depth=1
	v_cmp_gt_u32_e32 vcc_lo, 0x181, v4
	s_mov_b32 s85, 0
	s_mov_b32 s7, 0
	s_cbranch_vccz .LBB114_38
; %bb.24:                               ;   in Loop: Header=BB114_21 Depth=1
	v_mov_b32_e32 v3, 0
	v_mov_b32_e32 v4, 0
	s_and_saveexec_b32 s7, s0
	s_cbranch_execz .LBB114_26
; %bb.25:                               ;   in Loop: Header=BB114_21 Depth=1
	global_load_b64 v[3:4], v[15:16], off
.LBB114_26:                             ;   in Loop: Header=BB114_21 Depth=1
	s_or_b32 exec_lo, exec_lo, s7
	s_and_saveexec_b32 s9, s0
	s_cbranch_execz .LBB114_139
; %bb.27:                               ;   in Loop: Header=BB114_21 Depth=1
	global_load_u16 v1, v13, s[50:51]
	v_mov_b32_e32 v10, v0
	s_mov_b32 s10, 0
	s_waitcnt vmcnt(0)
	v_add_nc_u32_e32 v7, v0, v1
	v_mul_lo_u32 v9, s30, v1
	s_delay_alu instid0(VALU_DEP_2)
	v_mul_lo_u32 v12, s30, v7
	s_branch .LBB114_29
.LBB114_28:                             ;   in Loop: Header=BB114_29 Depth=2
	s_or_b32 exec_lo, exec_lo, s8
	s_waitcnt vmcnt(0)
	v_dual_mov_b32 v3, v7 :: v_dual_add_nc_u32 v12, v12, v9
	v_mov_b32_e32 v4, v8
	s_and_not1_b32 exec_lo, exec_lo, s10
	s_cbranch_execz .LBB114_139
.LBB114_29:                             ;   Parent Loop BB114_21 Depth=1
                                        ; =>  This Inner Loop Header: Depth=2
	v_dual_mov_b32 v7, 0 :: v_dual_add_nc_u32 v10, v10, v1
	v_mov_b32_e32 v8, 0
	s_mov_b32 s8, exec_lo
	s_delay_alu instid0(VALU_DEP_2)
	v_cmp_le_u32_e32 vcc_lo, s28, v10
	v_cmpx_gt_u32_e64 s28, v10
	s_cbranch_execz .LBB114_31
; %bb.30:                               ;   in Loop: Header=BB114_29 Depth=2
	v_lshlrev_b64 v[7:8], 3, v[12:13]
	s_delay_alu instid0(VALU_DEP_1) | instskip(NEXT) | instid1(VALU_DEP_1)
	v_add_co_u32 v7, s7, s39, v7
	v_add_co_ci_u32_e64 v8, s7, s43, v8, s7
	global_load_b64 v[7:8], v[7:8], off
.LBB114_31:                             ;   in Loop: Header=BB114_29 Depth=2
	s_or_b32 exec_lo, exec_lo, s8
	v_cmp_o_f64_e64 s7, v[3:4], v[3:4]
	s_waitcnt lgkmcnt(0)
	v_ashrrev_i32_e32 v19, 31, v4
	s_delay_alu instid0(VALU_DEP_1) | instskip(SKIP_1) | instid1(VALU_DEP_2)
	v_or_b32_e32 v20, 0x80000000, v19
	v_xor_b32_e32 v19, v19, v3
	v_xor_b32_e32 v20, v20, v4
	s_delay_alu instid0(VALU_DEP_1) | instskip(NEXT) | instid1(VALU_DEP_3)
	v_cndmask_b32_e64 v20, -1, v20, s7
	v_cndmask_b32_e64 v19, -1, v19, s7
	s_delay_alu instid0(VALU_DEP_2) | instskip(NEXT) | instid1(VALU_DEP_2)
	v_and_b32_e32 v20, s55, v20
	v_and_b32_e32 v19, s54, v19
	s_delay_alu instid0(VALU_DEP_1) | instskip(SKIP_1) | instid1(VALU_DEP_2)
	v_cmp_eq_u64_e64 s7, s[52:53], v[19:20]
	v_mov_b32_e32 v19, 0
	s_cmp_lg_u32 s7, 0
	s_cselect_b32 s8, -1, 0
	s_delay_alu instid0(SALU_CYCLE_1) | instskip(NEXT) | instid1(SALU_CYCLE_1)
	s_and_b32 s8, s3, s8
	s_and_saveexec_b32 s11, s8
	s_cbranch_execz .LBB114_35
; %bb.32:                               ;   in Loop: Header=BB114_29 Depth=2
	s_mov_b32 s14, exec_lo
	s_bcnt1_i32_b32 s12, s7
	v_mbcnt_lo_u32_b32 v19, s14, 0
	s_mov_b32 s13, exec_lo
                                        ; implicit-def: $vgpr20
	s_delay_alu instid0(VALU_DEP_1)
	v_cmpx_eq_u32_e32 0, v19
	s_cbranch_execz .LBB114_34
; %bb.33:                               ;   in Loop: Header=BB114_29 Depth=2
	s_bcnt1_i32_b32 s8, s14
	s_delay_alu instid0(SALU_CYCLE_1) | instskip(NEXT) | instid1(SALU_CYCLE_1)
	s_mul_i32 s8, s12, s8
	v_mov_b32_e32 v20, s8
	ds_add_rtn_u32 v20, v13, v20 offset:4112
.LBB114_34:                             ;   in Loop: Header=BB114_29 Depth=2
	s_or_b32 exec_lo, exec_lo, s13
	s_waitcnt lgkmcnt(0)
	v_readfirstlane_b32 s8, v20
	s_delay_alu instid0(VALU_DEP_1)
	v_mad_u32_u24 v19, s12, v19, s8
.LBB114_35:                             ;   in Loop: Header=BB114_29 Depth=2
	s_or_b32 exec_lo, exec_lo, s11
	ds_bpermute_b32 v19, v13, v19
	s_and_b32 s8, exec_lo, vcc_lo
	s_delay_alu instid0(SALU_CYCLE_1)
	s_or_b32 s10, s8, s10
	s_and_saveexec_b32 s8, s7
	s_cbranch_execz .LBB114_28
; %bb.36:                               ;   in Loop: Header=BB114_29 Depth=2
	v_and_b32_e32 v20, s7, v28
	s_delay_alu instid0(VALU_DEP_1) | instskip(NEXT) | instid1(VALU_DEP_1)
	v_bcnt_u32_b32 v20, v20, 0
	v_lshlrev_b32_e32 v20, 3, v20
	s_waitcnt lgkmcnt(0)
	s_delay_alu instid0(VALU_DEP_1)
	v_lshl_add_u32 v19, v19, 3, v20
	ds_store_b64 v19, v[3:4]
	s_branch .LBB114_28
.LBB114_37:                             ;   in Loop: Header=BB114_21 Depth=1
	s_mov_b32 s85, -1
	s_mov_b32 s7, 0
.LBB114_38:                             ;   in Loop: Header=BB114_21 Depth=1
	s_and_b32 vcc_lo, exec_lo, s85
	s_cbranch_vccz .LBB114_49
.LBB114_39:                             ;   in Loop: Header=BB114_21 Depth=1
	v_mov_b32_e32 v3, 0
	v_mov_b32_e32 v4, 0
	s_and_saveexec_b32 s7, s0
	s_cbranch_execz .LBB114_41
; %bb.40:                               ;   in Loop: Header=BB114_21 Depth=1
	global_load_b64 v[3:4], v[15:16], off
.LBB114_41:                             ;   in Loop: Header=BB114_21 Depth=1
	s_or_b32 exec_lo, exec_lo, s7
	s_and_saveexec_b32 s8, s0
	s_cbranch_execz .LBB114_46
; %bb.42:                               ;   in Loop: Header=BB114_21 Depth=1
	global_load_u16 v1, v13, s[50:51]
	v_mov_b32_e32 v20, v0
	s_mov_b32 s9, 0
	v_mov_b32_e32 v19, v25
	s_waitcnt vmcnt(0)
	v_add_nc_u32_e32 v7, v0, v1
	v_mul_lo_u32 v9, s30, v1
	v_lshlrev_b32_e32 v10, 3, v1
	s_delay_alu instid0(VALU_DEP_3)
	v_mul_lo_u32 v12, s30, v7
	s_set_inst_prefetch_distance 0x1
	s_branch .LBB114_44
	.p2align	6
.LBB114_43:                             ;   in Loop: Header=BB114_44 Depth=2
	s_or_b32 exec_lo, exec_lo, s10
	ds_store_b64 v19, v[3:4]
	s_waitcnt vmcnt(0)
	v_dual_mov_b32 v3, v7 :: v_dual_add_nc_u32 v12, v12, v9
	v_dual_mov_b32 v4, v8 :: v_dual_add_nc_u32 v19, v19, v10
	s_and_b32 s7, exec_lo, vcc_lo
	s_delay_alu instid0(SALU_CYCLE_1) | instskip(NEXT) | instid1(SALU_CYCLE_1)
	s_or_b32 s9, s7, s9
	s_and_not1_b32 exec_lo, exec_lo, s9
	s_cbranch_execz .LBB114_46
.LBB114_44:                             ;   Parent Loop BB114_21 Depth=1
                                        ; =>  This Inner Loop Header: Depth=2
	v_dual_mov_b32 v7, 0 :: v_dual_add_nc_u32 v20, v20, v1
	v_mov_b32_e32 v8, 0
	s_mov_b32 s10, exec_lo
	s_delay_alu instid0(VALU_DEP_2)
	v_cmp_le_u32_e32 vcc_lo, s28, v20
	v_cmpx_gt_u32_e64 s28, v20
	s_cbranch_execz .LBB114_43
; %bb.45:                               ;   in Loop: Header=BB114_44 Depth=2
	v_lshlrev_b64 v[7:8], 3, v[12:13]
	s_delay_alu instid0(VALU_DEP_1) | instskip(NEXT) | instid1(VALU_DEP_1)
	v_add_co_u32 v7, s7, s39, v7
	v_add_co_ci_u32_e64 v8, s7, s43, v8, s7
	global_load_b64 v[7:8], v[7:8], off
	s_branch .LBB114_43
.LBB114_46:                             ;   in Loop: Header=BB114_21 Depth=1
	s_set_inst_prefetch_distance 0x2
	s_or_b32 exec_lo, exec_lo, s8
	s_waitcnt vmcnt(0) lgkmcnt(0)
	s_barrier
	buffer_gl0_inv
	s_and_saveexec_b32 s7, s1
	s_cbranch_execz .LBB114_48
; %bb.47:                               ;   in Loop: Header=BB114_21 Depth=1
	v_mov_b32_e32 v1, s28
	ds_store_b32 v13, v1 offset:4104
.LBB114_48:                             ;   in Loop: Header=BB114_21 Depth=1
	s_or_b32 exec_lo, exec_lo, s7
	s_mov_b32 s7, -1
	s_waitcnt lgkmcnt(0)
	s_barrier
                                        ; implicit-def: $sgpr85
.LBB114_49:                             ;   in Loop: Header=BB114_21 Depth=1
	s_and_b32 vcc_lo, exec_lo, s7
	s_cbranch_vccz .LBB114_51
; %bb.50:                               ;   in Loop: Header=BB114_21 Depth=1
	buffer_gl0_inv
	ds_load_b32 v1, v13 offset:4104
	s_waitcnt lgkmcnt(0)
	v_readfirstlane_b32 s85, v1
.LBB114_51:                             ;   in Loop: Header=BB114_21 Depth=1
	s_delay_alu instid0(VALU_DEP_1)
	s_cmp_lt_i32 s85, 1
	s_cbranch_scc0 .LBB114_63
; %bb.52:                               ;   in Loop: Header=BB114_21 Depth=1
	v_dual_mov_b32 v7, 0 :: v_dual_mov_b32 v8, 0
	v_dual_mov_b32 v9, 0 :: v_dual_mov_b32 v10, 0
	s_mov_b32 s22, 0
	s_and_saveexec_b32 s21, s4
	s_cbranch_execz .LBB114_56
; %bb.53:                               ;   in Loop: Header=BB114_21 Depth=1
	v_mov_b32_e32 v1, v24
	s_and_b32 s23, s79, 0xfe
	s_mov_b32 s24, 0
	s_mov_b32 s25, 0
	;; [unrolled: 1-line block ×5, first 2 shown]
.LBB114_54:                             ;   Parent Loop BB114_21 Depth=1
                                        ; =>  This Inner Loop Header: Depth=2
	v_dual_mov_b32 v21, v13 :: v_dual_add_nc_u32 v12, s24, v32
	v_dual_mov_b32 v22, v13 :: v_dual_add_nc_u32 v1, s60, v1
	v_mov_b32_e32 v37, v13
	s_delay_alu instid0(VALU_DEP_3) | instskip(SKIP_1) | instid1(VALU_DEP_1)
	v_lshlrev_b64 v[3:4], 3, v[12:13]
	v_add_nc_u32_e32 v12, s24, v14
	v_lshlrev_b64 v[7:8], 3, v[12:13]
	v_add_nc_u32_e32 v12, s24, v30
	s_delay_alu instid0(VALU_DEP_4) | instskip(SKIP_1) | instid1(VALU_DEP_3)
	v_add_co_u32 v3, vcc_lo, s39, v3
	v_add_co_ci_u32_e32 v4, vcc_lo, s43, v4, vcc_lo
	v_lshlrev_b64 v[9:10], 3, v[12:13]
	v_add_nc_u32_e32 v12, s24, v31
	v_add_co_u32 v7, vcc_lo, s39, v7
	global_load_b64 v[3:4], v[3:4], off
	v_add_co_ci_u32_e32 v8, vcc_lo, s43, v8, vcc_lo
	v_lshlrev_b64 v[19:20], 3, v[12:13]
	v_add_co_u32 v9, vcc_lo, s39, v9
	v_add_co_ci_u32_e32 v10, vcc_lo, s43, v10, vcc_lo
	s_clause 0x1
	global_load_b64 v[7:8], v[7:8], off
	global_load_b64 v[9:10], v[9:10], off
	v_add_co_u32 v19, vcc_lo, s39, v19
	v_add_co_ci_u32_e32 v20, vcc_lo, s43, v20, vcc_lo
	v_cmp_le_u32_e32 vcc_lo, s70, v1
	s_add_i32 s24, s24, s72
	global_load_b64 v[19:20], v[19:20], off
	s_waitcnt vmcnt(3)
	v_cmp_o_f64_e64 s7, v[3:4], v[3:4]
	v_ashrrev_i32_e32 v12, 31, v4
	s_delay_alu instid0(VALU_DEP_1)
	v_or_b32_e32 v36, 0x80000000, v12
	v_xor_b32_e32 v12, v12, v3
	s_waitcnt vmcnt(2)
	v_cmp_o_f64_e64 s8, v[7:8], v[7:8]
	s_waitcnt vmcnt(1)
	v_cmp_o_f64_e64 s9, v[9:10], v[9:10]
	v_xor_b32_e32 v36, v36, v4
	v_ashrrev_i32_e32 v39, 31, v10
	v_ashrrev_i32_e32 v38, 31, v8
	s_delay_alu instid0(VALU_DEP_2) | instskip(SKIP_2) | instid1(VALU_DEP_3)
	v_or_b32_e32 v3, 0x80000000, v39
	s_waitcnt vmcnt(0)
	v_cmp_o_f64_e64 s10, v[19:20], v[19:20]
	v_or_b32_e32 v40, 0x80000000, v38
	v_xor_b32_e32 v38, v38, v7
	v_xor_b32_e32 v42, v39, v9
	;; [unrolled: 1-line block ×3, first 2 shown]
	s_delay_alu instid0(VALU_DEP_4) | instskip(SKIP_2) | instid1(VALU_DEP_2)
	v_xor_b32_e32 v40, v40, v8
	v_cndmask_b32_e64 v4, -1, v36, s7
	v_ashrrev_i32_e32 v36, 31, v20
	v_and_b32_e32 v10, s55, v4
	s_delay_alu instid0(VALU_DEP_2) | instskip(SKIP_3) | instid1(VALU_DEP_4)
	v_or_b32_e32 v7, 0x80000000, v36
	v_xor_b32_e32 v36, v36, v19
	v_cndmask_b32_e64 v8, -1, v40, s8
	v_cndmask_b32_e64 v19, -1, v42, s9
	v_xor_b32_e32 v7, v7, v20
	v_cndmask_b32_e64 v20, -1, v3, s9
	v_cndmask_b32_e64 v3, -1, v12, s7
	v_and_b32_e32 v39, s55, v8
	v_and_b32_e32 v42, s54, v19
	s_delay_alu instid0(VALU_DEP_4) | instskip(NEXT) | instid1(VALU_DEP_4)
	v_and_b32_e32 v43, s55, v20
	v_and_b32_e32 v9, s54, v3
	v_lshrrev_b64 v[3:4], s23, v[3:4]
	v_cndmask_b32_e64 v41, -1, v7, s10
	v_cndmask_b32_e64 v7, -1, v38, s8
	;; [unrolled: 1-line block ×3, first 2 shown]
	v_cmp_eq_u64_e64 s7, s[52:53], v[9:10]
	v_cmp_eq_u64_e64 s13, s[52:53], v[42:43]
	v_and_b32_e32 v12, 3, v3
	v_and_b32_e32 v38, s54, v7
	v_lshrrev_b64 v[7:8], s23, v[7:8]
	v_lshrrev_b64 v[3:4], s23, v[19:20]
	v_and_b32_e32 v44, s55, v41
	v_cmp_eq_u64_e64 s9, 0, v[12:13]
	v_cmp_eq_u64_e64 s10, 1, v[12:13]
	;; [unrolled: 1-line block ×3, first 2 shown]
	v_and_b32_e32 v20, 3, v7
	v_cmp_eq_u64_e64 s12, 3, v[12:13]
	v_cmp_eq_u64_e64 s8, s[52:53], v[38:39]
	s_and_b32 s9, s7, s9
	v_and_b32_e32 v36, 3, v3
	v_cmp_eq_u64_e64 s14, 0, v[20:21]
	v_cmp_eq_u64_e64 s15, 1, v[20:21]
	;; [unrolled: 1-line block ×3, first 2 shown]
	v_lshrrev_b64 v[7:8], s23, v[40:41]
	v_cndmask_b32_e64 v3, 0, 1, s9
	s_and_b32 s9, s7, s10
	v_cmp_eq_u64_e64 s17, 3, v[20:21]
	v_cndmask_b32_e64 v4, 0, 1, s9
	s_and_b32 s9, s7, s11
	s_and_b32 s7, s7, s12
	v_cndmask_b32_e64 v8, 0, 1, s9
	v_cmp_eq_u64_e64 s9, 0, v[36:37]
	v_cmp_eq_u64_e64 s10, 1, v[36:37]
	v_cndmask_b32_e64 v9, 0, 1, s7
	s_and_b32 s14, s8, s14
	s_and_b32 s15, s8, s15
	;; [unrolled: 1-line block ×3, first 2 shown]
	v_and_b32_e32 v43, s54, v40
	v_and_b32_e32 v21, 3, v7
	v_cmp_eq_u64_e64 s11, 2, v[36:37]
	v_cmp_eq_u64_e64 s12, 3, v[36:37]
	v_cmp_ne_u32_e64 s18, 0, v3
	v_cndmask_b32_e64 v3, 0, 1, s14
	v_cmp_ne_u32_e64 s14, 0, v4
	v_cndmask_b32_e64 v4, 0, 1, s15
	v_cndmask_b32_e64 v7, 0, 1, s16
	s_and_b32 s8, s8, s17
	v_cmp_ne_u32_e64 s15, 0, v8
	v_cndmask_b32_e64 v8, 0, 1, s8
	v_cmp_ne_u32_e64 s16, 0, v9
	s_and_b32 s9, s13, s9
	s_and_b32 s10, s13, s10
	v_cmp_eq_u64_e64 s7, s[52:53], v[43:44]
	v_cmp_eq_u64_e64 s8, 0, v[21:22]
	v_cmp_eq_u64_e64 s17, 1, v[21:22]
	v_cmp_eq_u64_e64 s19, 2, v[21:22]
	v_cmp_eq_u64_e64 s20, 3, v[21:22]
	s_bcnt1_i32_b32 s88, s18
	v_cmp_ne_u32_e64 s18, 0, v3
	v_cndmask_b32_e64 v3, 0, 1, s9
	v_cmp_ne_u32_e64 s9, 0, v4
	v_cndmask_b32_e64 v4, 0, 1, s10
	v_cmp_ne_u32_e64 s10, 0, v7
	s_and_b32 s11, s13, s11
	s_and_b32 s12, s13, s12
	v_cndmask_b32_e64 v7, 0, 1, s11
	v_cmp_ne_u32_e64 s11, 0, v8
	v_cndmask_b32_e64 v8, 0, 1, s12
	s_bcnt1_i32_b32 s16, s16
	s_and_b32 s8, s7, s8
	s_add_i32 s16, s16, s25
	s_bcnt1_i32_b32 s25, s9
	s_and_b32 s9, s7, s17
	s_bcnt1_i32_b32 s17, s10
	s_and_b32 s10, s7, s19
	s_and_b32 s7, s7, s20
	v_cmp_ne_u32_e64 s12, 0, v3
	v_cndmask_b32_e64 v3, 0, 1, s8
	v_cmp_ne_u32_e64 s8, 0, v4
	v_cndmask_b32_e64 v4, 0, 1, s9
	;; [unrolled: 2-line block ×4, first 2 shown]
	s_bcnt1_i32_b32 s15, s15
	s_add_i32 s13, s88, s87
	s_add_i32 s15, s15, s26
	s_bcnt1_i32_b32 s18, s18
	s_bcnt1_i32_b32 s11, s11
	s_bcnt1_i32_b32 s14, s14
	s_add_i32 s13, s13, s18
	s_add_i32 s15, s15, s17
	;; [unrolled: 1-line block ×3, first 2 shown]
	v_cmp_ne_u32_e64 s7, 0, v3
	s_bcnt1_i32_b32 s16, s8
	v_cmp_ne_u32_e64 s8, 0, v4
	s_bcnt1_i32_b32 s17, s9
	;; [unrolled: 2-line block ×3, first 2 shown]
	v_cmp_ne_u32_e64 s10, 0, v8
	s_add_i32 s14, s14, s86
	s_bcnt1_i32_b32 s12, s12
	s_add_i32 s14, s14, s25
	s_add_i32 s12, s13, s12
	;; [unrolled: 1-line block ×5, first 2 shown]
	s_bcnt1_i32_b32 s7, s7
	s_bcnt1_i32_b32 s8, s8
	;; [unrolled: 1-line block ×4, first 2 shown]
	s_add_i32 s87, s12, s7
	s_add_i32 s86, s13, s8
	;; [unrolled: 1-line block ×4, first 2 shown]
	s_delay_alu instid0(SALU_CYCLE_1) | instskip(SKIP_2) | instid1(SALU_CYCLE_1)
	v_dual_mov_b32 v7, s87 :: v_dual_mov_b32 v10, s25
	v_dual_mov_b32 v8, s86 :: v_dual_mov_b32 v9, s26
	s_or_b32 s22, vcc_lo, s22
	s_and_not1_b32 exec_lo, exec_lo, s22
	s_cbranch_execnz .LBB114_54
; %bb.55:                               ;   in Loop: Header=BB114_21 Depth=1
	s_or_b32 exec_lo, exec_lo, s22
.LBB114_56:                             ;   in Loop: Header=BB114_21 Depth=1
	s_delay_alu instid0(SALU_CYCLE_1)
	s_or_b32 exec_lo, exec_lo, s21
	v_mov_b32_e32 v21, 0
	v_mov_b32_e32 v22, 0
	s_and_saveexec_b32 s7, s5
	s_cbranch_execz .LBB114_58
; %bb.57:                               ;   in Loop: Header=BB114_21 Depth=1
	global_load_b64 v[21:22], v[17:18], off
.LBB114_58:                             ;   in Loop: Header=BB114_21 Depth=1
	s_or_b32 exec_lo, exec_lo, s7
	s_and_saveexec_b32 s11, s5
	s_cbranch_execz .LBB114_65
; %bb.59:                               ;   in Loop: Header=BB114_21 Depth=1
	v_mov_b32_e32 v3, v33
	v_mov_b32_e32 v1, v29
	s_and_b32 s13, s79, 0xfe
	s_mov_b32 s12, 0
	s_branch .LBB114_61
.LBB114_60:                             ;   in Loop: Header=BB114_61 Depth=2
	s_or_b32 exec_lo, exec_lo, s8
	s_waitcnt vmcnt(0)
	v_cmp_o_f64_e64 s7, v[21:22], v[21:22]
	v_ashrrev_i32_e32 v4, 31, v22
	s_and_b32 s9, exec_lo, vcc_lo
	v_add_nc_u32_e32 v3, s59, v3
	s_or_b32 s12, s9, s12
	s_delay_alu instid0(VALU_DEP_2) | instskip(SKIP_1) | instid1(VALU_DEP_2)
	v_or_b32_e32 v12, 0x80000000, v4
	v_xor_b32_e32 v4, v4, v21
	v_xor_b32_e32 v12, v12, v22
	s_delay_alu instid0(VALU_DEP_1) | instskip(NEXT) | instid1(VALU_DEP_3)
	v_cndmask_b32_e64 v22, -1, v12, s7
	v_cndmask_b32_e64 v21, -1, v4, s7
	s_delay_alu instid0(VALU_DEP_1) | instskip(SKIP_2) | instid1(VALU_DEP_3)
	v_lshrrev_b64 v[36:37], s13, v[21:22]
	v_and_b32_e32 v22, s55, v22
	v_and_b32_e32 v21, s54, v21
	;; [unrolled: 1-line block ×3, first 2 shown]
	s_delay_alu instid0(VALU_DEP_2) | instskip(NEXT) | instid1(VALU_DEP_2)
	v_cmp_eq_u64_e64 s7, s[52:53], v[21:22]
	v_cmp_eq_u64_e64 s8, 0, v[12:13]
	v_cmp_eq_u64_e32 vcc_lo, 1, v[12:13]
	v_cmp_eq_u64_e64 s9, 2, v[12:13]
	v_cmp_eq_u64_e64 s10, 3, v[12:13]
	s_delay_alu instid0(VALU_DEP_4) | instskip(NEXT) | instid1(SALU_CYCLE_1)
	s_and_b32 s8, s7, s8
	v_cndmask_b32_e64 v4, 0, 1, s8
	s_and_b32 s8, s7, vcc_lo
	s_delay_alu instid0(SALU_CYCLE_1)
	v_cndmask_b32_e64 v12, 0, 1, s8
	s_and_b32 s8, s7, s9
	s_and_b32 s7, s7, s10
	v_cndmask_b32_e64 v21, 0, 1, s8
	v_cndmask_b32_e64 v22, 0, 1, s7
	v_cmp_ne_u32_e32 vcc_lo, 0, v4
	v_cmp_ne_u32_e64 s7, 0, v12
	s_delay_alu instid0(VALU_DEP_4) | instskip(NEXT) | instid1(VALU_DEP_4)
	v_cmp_ne_u32_e64 s8, 0, v21
	v_cmp_ne_u32_e64 s9, 0, v22
	s_bcnt1_i32_b32 s10, vcc_lo
	s_delay_alu instid0(VALU_DEP_3)
	s_bcnt1_i32_b32 s7, s7
	v_dual_mov_b32 v22, v20 :: v_dual_mov_b32 v21, v19
	s_bcnt1_i32_b32 s8, s8
	s_bcnt1_i32_b32 s9, s9
	v_add_nc_u32_e32 v7, s10, v7
	v_add_nc_u32_e32 v8, s7, v8
	;; [unrolled: 1-line block ×4, first 2 shown]
	s_and_not1_b32 exec_lo, exec_lo, s12
	s_cbranch_execz .LBB114_64
.LBB114_61:                             ;   Parent Loop BB114_21 Depth=1
                                        ; =>  This Inner Loop Header: Depth=2
	s_delay_alu instid0(VALU_DEP_1) | instskip(SKIP_3) | instid1(VALU_DEP_3)
	v_add_nc_u32_e32 v1, s31, v1
	v_mov_b32_e32 v19, 0
	v_mov_b32_e32 v20, 0
	s_mov_b32 s8, exec_lo
	v_cmp_le_u32_e32 vcc_lo, s28, v1
	v_cmpx_gt_u32_e64 s28, v1
	s_cbranch_execz .LBB114_60
; %bb.62:                               ;   in Loop: Header=BB114_61 Depth=2
	v_mov_b32_e32 v4, v13
	s_delay_alu instid0(VALU_DEP_1) | instskip(NEXT) | instid1(VALU_DEP_1)
	v_lshlrev_b64 v[19:20], 3, v[3:4]
	v_add_co_u32 v19, s7, s39, v19
	s_delay_alu instid0(VALU_DEP_1)
	v_add_co_ci_u32_e64 v20, s7, s43, v20, s7
	global_load_b64 v[19:20], v[19:20], off
	s_branch .LBB114_60
.LBB114_63:                             ;   in Loop: Header=BB114_21 Depth=1
                                        ; implicit-def: $vgpr10
	s_cbranch_execnz .LBB114_66
	s_branch .LBB114_75
.LBB114_64:                             ;   in Loop: Header=BB114_21 Depth=1
	s_or_b32 exec_lo, exec_lo, s12
.LBB114_65:                             ;   in Loop: Header=BB114_21 Depth=1
	s_delay_alu instid0(SALU_CYCLE_1)
	s_or_b32 exec_lo, exec_lo, s11
	s_branch .LBB114_75
.LBB114_66:                             ;   in Loop: Header=BB114_21 Depth=1
	s_mul_hi_u32 s7, s85, s69
	v_dual_mov_b32 v7, 0 :: v_dual_mov_b32 v8, 0
	s_mul_i32 s7, s7, s60
	v_dual_mov_b32 v9, 0 :: v_dual_mov_b32 v10, 0
	s_sub_i32 s7, s85, s7
	s_mov_b32 s88, 0
	s_sub_i32 s8, s7, s60
	s_cmp_ge_u32 s7, s60
	s_mov_b32 s87, exec_lo
	s_cselect_b32 s7, s8, s7
	s_delay_alu instid0(SALU_CYCLE_1) | instskip(SKIP_2) | instid1(SALU_CYCLE_1)
	s_sub_i32 s8, s7, s60
	s_cmp_ge_u32 s7, s60
	s_cselect_b32 s7, s8, s7
	s_sub_i32 s86, s85, s7
	s_delay_alu instid0(SALU_CYCLE_1)
	v_cmpx_gt_u32_e64 s86, v24
	s_cbranch_execz .LBB114_70
; %bb.67:                               ;   in Loop: Header=BB114_21 Depth=1
	v_mov_b32_e32 v1, v34
	v_mov_b32_e32 v3, v24
	s_and_b32 s89, s79, 0xfe
	s_mov_b32 s90, 0
	s_mov_b32 s91, 0
	;; [unrolled: 1-line block ×4, first 2 shown]
.LBB114_68:                             ;   Parent Loop BB114_21 Depth=1
                                        ; =>  This Inner Loop Header: Depth=2
	ds_load_b128 v[7:10], v1
	s_waitcnt vmcnt(0)
	ds_load_b128 v[19:22], v1 offset:16
	s_waitcnt lgkmcnt(1)
	v_cmp_o_f64_e64 s8, v[7:8], v[7:8]
	s_waitcnt lgkmcnt(0)
	v_cmp_o_f64_e64 s10, v[21:22], v[21:22]
	v_cmp_o_f64_e64 s7, v[9:10], v[9:10]
	;; [unrolled: 1-line block ×3, first 2 shown]
	v_ashrrev_i32_e32 v4, 31, v8
	v_ashrrev_i32_e32 v38, 31, v22
	;; [unrolled: 1-line block ×4, first 2 shown]
	s_delay_alu instid0(VALU_DEP_4) | instskip(NEXT) | instid1(VALU_DEP_4)
	v_or_b32_e32 v40, 0x80000000, v4
	v_or_b32_e32 v44, 0x80000000, v38
	s_delay_alu instid0(VALU_DEP_4) | instskip(NEXT) | instid1(VALU_DEP_4)
	v_or_b32_e32 v42, 0x80000000, v12
	v_or_b32_e32 v43, 0x80000000, v36
	v_xor_b32_e32 v4, v4, v7
	v_xor_b32_e32 v40, v40, v8
	;; [unrolled: 1-line block ×8, first 2 shown]
	v_cndmask_b32_e64 v8, -1, v40, s8
	v_cndmask_b32_e64 v22, -1, v7, s10
	;; [unrolled: 1-line block ×7, first 2 shown]
	v_dual_mov_b32 v37, v13 :: v_dual_and_b32 v42, s54, v7
	v_and_b32_e32 v43, s55, v8
	v_lshrrev_b64 v[7:8], s89, v[7:8]
	v_cndmask_b32_e64 v21, -1, v38, s10
	v_dual_mov_b32 v39, v13 :: v_dual_and_b32 v44, s54, v9
	v_lshrrev_b64 v[8:9], s89, v[9:10]
	v_and_b32_e32 v45, s55, v10
	v_lshrrev_b64 v[9:10], s89, v[19:20]
	v_dual_mov_b32 v41, v13 :: v_dual_and_b32 v46, s54, v19
	v_and_b32_e32 v47, s55, v20
	v_lshrrev_b64 v[19:20], s89, v[21:22]
	v_and_b32_e32 v12, 3, v7
	v_and_b32_e32 v36, 3, v8
	;; [unrolled: 1-line block ×3, first 2 shown]
	v_cmp_eq_u64_e64 s7, s[52:53], v[42:43]
	v_and_b32_e32 v49, s55, v22
	v_cmp_eq_u64_e64 s11, 0, v[12:13]
	v_and_b32_e32 v48, s54, v21
	v_and_b32_e32 v40, 3, v19
	v_cmp_eq_u64_e64 s8, s[52:53], v[44:45]
	v_cmp_eq_u64_e64 s12, 0, v[36:37]
	;; [unrolled: 1-line block ×6, first 2 shown]
	s_and_b32 s11, s7, s11
	v_cmp_eq_u64_e64 s15, 1, v[12:13]
	v_cndmask_b32_e64 v4, 0, 1, s11
	s_and_b32 s11, s8, s12
	v_cmp_eq_u64_e64 s16, 1, v[36:37]
	v_cndmask_b32_e64 v7, 0, 1, s11
	;; [unrolled: 3-line block ×4, first 2 shown]
	s_and_b32 s11, s7, s15
	v_cmp_eq_u64_e64 s19, 2, v[12:13]
	v_cmp_eq_u64_e64 s23, 3, v[12:13]
	v_cndmask_b32_e64 v10, 0, 1, s11
	s_and_b32 s11, s8, s16
	v_cmp_eq_u64_e64 s20, 2, v[36:37]
	v_cmp_eq_u64_e64 s24, 3, v[36:37]
	v_cndmask_b32_e64 v12, 0, 1, s11
	;; [unrolled: 4-line block ×4, first 2 shown]
	s_and_b32 s11, s7, s19
	s_and_b32 s7, s7, s23
	v_cndmask_b32_e64 v21, 0, 1, s11
	s_and_b32 s11, s8, s20
	v_cndmask_b32_e64 v38, 0, 1, s7
	;; [unrolled: 2-line block ×7, first 2 shown]
	v_cndmask_b32_e64 v41, 0, 1, s7
	v_cmp_ne_u32_e64 s7, 0, v4
	v_cmp_ne_u32_e64 s11, 0, v10
	;; [unrolled: 1-line block ×7, first 2 shown]
	s_bcnt1_i32_b32 s7, s7
	s_bcnt1_i32_b32 s11, s11
	v_cmp_ne_u32_e64 s14, 0, v20
	v_cmp_ne_u32_e64 s16, 0, v22
	v_cmp_ne_u32_e64 s20, 0, v39
	s_bcnt1_i32_b32 s8, s8
	s_bcnt1_i32_b32 s12, s12
	s_add_i32 s7, s7, s93
	s_add_i32 s11, s11, s92
	v_cmp_ne_u32_e64 s9, 0, v8
	v_cmp_ne_u32_e64 s17, 0, v36
	;; [unrolled: 1-line block ×3, first 2 shown]
	s_bcnt1_i32_b32 s13, s13
	s_add_i32 s7, s7, s8
	s_add_i32 s8, s11, s12
	s_bcnt1_i32_b32 s15, s15
	s_bcnt1_i32_b32 s19, s19
	v_cmp_ne_u32_e64 s10, 0, v9
	v_cmp_ne_u32_e64 s18, 0, v37
	;; [unrolled: 1-line block ×3, first 2 shown]
	s_bcnt1_i32_b32 s14, s14
	s_add_i32 s8, s8, s13
	s_bcnt1_i32_b32 s16, s16
	s_bcnt1_i32_b32 s20, s20
	s_add_i32 s15, s15, s91
	s_add_i32 s19, s19, s90
	s_add_i32 s92, s8, s14
	s_delay_alu instid0(SALU_CYCLE_1)
	v_dual_mov_b32 v8, s92 :: v_dual_add_nc_u32 v3, s60, v3
	s_bcnt1_i32_b32 s9, s9
	s_bcnt1_i32_b32 s17, s17
	;; [unrolled: 1-line block ×3, first 2 shown]
	s_add_i32 s11, s15, s16
	s_add_i32 s12, s19, s20
	s_bcnt1_i32_b32 s10, s10
	s_bcnt1_i32_b32 s18, s18
	;; [unrolled: 1-line block ×3, first 2 shown]
	s_add_i32 s7, s7, s9
	s_add_i32 s9, s11, s17
	;; [unrolled: 1-line block ×3, first 2 shown]
	v_cmp_le_u32_e32 vcc_lo, s86, v3
	s_add_i32 s93, s7, s10
	s_add_i32 s91, s9, s18
	;; [unrolled: 1-line block ×3, first 2 shown]
	s_delay_alu instid0(SALU_CYCLE_1) | instskip(SKIP_3) | instid1(SALU_CYCLE_1)
	v_dual_mov_b32 v10, s90 :: v_dual_add_nc_u32 v1, s74, v1
	v_mov_b32_e32 v7, s93
	v_mov_b32_e32 v9, s91
	s_or_b32 s88, vcc_lo, s88
	s_and_not1_b32 exec_lo, exec_lo, s88
	s_cbranch_execnz .LBB114_68
; %bb.69:                               ;   in Loop: Header=BB114_21 Depth=1
	s_or_b32 exec_lo, exec_lo, s88
.LBB114_70:                             ;   in Loop: Header=BB114_21 Depth=1
	s_delay_alu instid0(SALU_CYCLE_1) | instskip(SKIP_2) | instid1(VALU_DEP_1)
	s_or_b32 exec_lo, exec_lo, s87
	v_add_nc_u32_e32 v1, s86, v0
	s_mov_b32 s12, exec_lo
	v_cmpx_gt_u32_e64 s85, v1
	s_cbranch_execz .LBB114_74
; %bb.71:                               ;   in Loop: Header=BB114_21 Depth=1
	v_lshlrev_b32_e32 v3, 3, v1
	s_and_b32 s14, s79, 0xfe
	s_mov_b32 s13, 0
.LBB114_72:                             ;   Parent Loop BB114_21 Depth=1
                                        ; =>  This Inner Loop Header: Depth=2
	ds_load_b64 v[19:20], v3
	v_add_nc_u32_e32 v3, s75, v3
	s_waitcnt lgkmcnt(0)
	v_cmp_o_f64_e32 vcc_lo, v[19:20], v[19:20]
	v_ashrrev_i32_e32 v4, 31, v20
	s_delay_alu instid0(VALU_DEP_1) | instskip(SKIP_1) | instid1(VALU_DEP_2)
	v_or_b32_e32 v12, 0x80000000, v4
	v_xor_b32_e32 v4, v4, v19
	v_xor_b32_e32 v12, v12, v20
	s_delay_alu instid0(VALU_DEP_1) | instskip(NEXT) | instid1(VALU_DEP_3)
	v_dual_cndmask_b32 v20, -1, v12 :: v_dual_add_nc_u32 v1, s31, v1
	v_cndmask_b32_e32 v19, -1, v4, vcc_lo
	s_delay_alu instid0(VALU_DEP_2) | instskip(SKIP_1) | instid1(VALU_DEP_3)
	v_cmp_le_u32_e64 s7, s85, v1
	s_waitcnt vmcnt(0)
	v_and_b32_e32 v22, s55, v20
	s_delay_alu instid0(VALU_DEP_3) | instskip(SKIP_1) | instid1(VALU_DEP_2)
	v_and_b32_e32 v21, s54, v19
	v_lshrrev_b64 v[19:20], s14, v[19:20]
	v_cmp_eq_u64_e32 vcc_lo, s[52:53], v[21:22]
	s_delay_alu instid0(VALU_DEP_2) | instskip(NEXT) | instid1(VALU_DEP_1)
	v_and_b32_e32 v12, 3, v19
	v_cmp_eq_u64_e64 s8, 0, v[12:13]
	v_cmp_eq_u64_e64 s9, 1, v[12:13]
	;; [unrolled: 1-line block ×4, first 2 shown]
	s_delay_alu instid0(VALU_DEP_4) | instskip(NEXT) | instid1(SALU_CYCLE_1)
	s_and_b32 s8, vcc_lo, s8
	v_cndmask_b32_e64 v4, 0, 1, s8
	s_delay_alu instid0(VALU_DEP_4) | instskip(NEXT) | instid1(SALU_CYCLE_1)
	s_and_b32 s8, vcc_lo, s9
	v_cndmask_b32_e64 v12, 0, 1, s8
	s_and_b32 s8, vcc_lo, s10
	s_delay_alu instid0(SALU_CYCLE_1)
	v_cndmask_b32_e64 v19, 0, 1, s8
	s_and_b32 s8, vcc_lo, s11
	v_cmp_ne_u32_e32 vcc_lo, 0, v4
	v_cndmask_b32_e64 v20, 0, 1, s8
	v_cmp_ne_u32_e64 s8, 0, v12
	v_cmp_ne_u32_e64 s9, 0, v19
	s_bcnt1_i32_b32 s11, vcc_lo
	s_delay_alu instid0(VALU_DEP_3) | instskip(NEXT) | instid1(VALU_DEP_3)
	v_cmp_ne_u32_e64 s10, 0, v20
	s_bcnt1_i32_b32 s8, s8
	s_delay_alu instid0(VALU_DEP_2)
	s_bcnt1_i32_b32 s9, s9
	v_add_nc_u32_e32 v7, s11, v7
	v_add_nc_u32_e32 v8, s8, v8
	s_bcnt1_i32_b32 s10, s10
	v_add_nc_u32_e32 v9, s9, v9
	v_add_nc_u32_e32 v10, s10, v10
	s_or_b32 s13, s7, s13
	s_delay_alu instid0(SALU_CYCLE_1)
	s_and_not1_b32 exec_lo, exec_lo, s13
	s_cbranch_execnz .LBB114_72
; %bb.73:                               ;   in Loop: Header=BB114_21 Depth=1
	s_or_b32 exec_lo, exec_lo, s13
.LBB114_74:                             ;   in Loop: Header=BB114_21 Depth=1
	s_delay_alu instid0(SALU_CYCLE_1)
	s_or_b32 exec_lo, exec_lo, s12
.LBB114_75:                             ;   in Loop: Header=BB114_21 Depth=1
	s_lshl_b32 s7, s82, 7
	s_and_saveexec_b32 s8, s3
	s_cbranch_execz .LBB114_77
; %bb.76:                               ;   in Loop: Header=BB114_21 Depth=1
	v_or_b32_e32 v1, s7, v27
	s_delay_alu instid0(VALU_DEP_1)
	v_lshlrev_b32_e32 v1, 2, v1
	ds_store_b128 v1, v[7:10] offset:3072
.LBB114_77:                             ;   in Loop: Header=BB114_21 Depth=1
	s_or_b32 exec_lo, exec_lo, s8
	s_waitcnt vmcnt(0) lgkmcnt(0)
	s_barrier
	buffer_gl0_inv
	s_and_saveexec_b32 s8, s61
	s_cbranch_execz .LBB114_87
; %bb.78:                               ;   in Loop: Header=BB114_21 Depth=1
	v_mov_b32_e32 v1, 0
	s_and_not1_b32 vcc_lo, exec_lo, s64
	s_cbranch_vccnz .LBB114_86
; %bb.79:                               ;   in Loop: Header=BB114_21 Depth=1
	v_mov_b32_e32 v1, 0
	s_and_not1_b32 vcc_lo, exec_lo, s66
	s_mov_b32 s9, 0
	s_cbranch_vccnz .LBB114_83
; %bb.80:                               ;   in Loop: Header=BB114_21 Depth=1
	v_lshl_add_u32 v3, s82, 9, v35
	v_mov_b32_e32 v1, 0
	.p2align	6
.LBB114_81:                             ;   Parent Loop BB114_21 Depth=1
                                        ; =>  This Inner Loop Header: Depth=2
	ds_load_2addr_b32 v[7:8], v3 offset1:4
	ds_load_2addr_b32 v[9:10], v3 offset0:8 offset1:12
	ds_load_2addr_b32 v[19:20], v3 offset0:16 offset1:20
	;; [unrolled: 1-line block ×3, first 2 shown]
	v_add_nc_u32_e32 v3, 0x80, v3
	s_add_i32 s9, s9, 8
	s_delay_alu instid0(SALU_CYCLE_1) | instskip(SKIP_3) | instid1(VALU_DEP_1)
	s_cmp_eq_u32 s67, s9
	s_waitcnt lgkmcnt(3)
	v_add3_u32 v1, v7, v1, v8
	s_waitcnt lgkmcnt(2)
	v_add3_u32 v1, v9, v1, v10
	s_waitcnt lgkmcnt(1)
	s_delay_alu instid0(VALU_DEP_1) | instskip(SKIP_1) | instid1(VALU_DEP_1)
	v_add3_u32 v1, v19, v1, v20
	s_waitcnt lgkmcnt(0)
	v_add3_u32 v1, v21, v1, v22
	s_cbranch_scc0 .LBB114_81
; %bb.82:                               ;   in Loop: Header=BB114_21 Depth=1
	s_mov_b32 s9, s67
.LBB114_83:                             ;   in Loop: Header=BB114_21 Depth=1
	s_and_not1_b32 vcc_lo, exec_lo, s68
	s_cbranch_vccnz .LBB114_86
; %bb.84:                               ;   in Loop: Header=BB114_21 Depth=1
	s_lshl_b32 s10, s82, 9
	s_lshl_b32 s9, s9, 4
	s_delay_alu instid0(SALU_CYCLE_1)
	v_add3_u32 v3, s10, s9, v35
	s_mov_b32 s9, s65
.LBB114_85:                             ;   Parent Loop BB114_21 Depth=1
                                        ; =>  This Inner Loop Header: Depth=2
	ds_load_b32 v4, v3
	v_add_nc_u32_e32 v3, 16, v3
	s_add_i32 s9, s9, -1
	s_delay_alu instid0(SALU_CYCLE_1)
	s_cmp_lg_u32 s9, 0
	s_waitcnt lgkmcnt(0)
	v_add_nc_u32_e32 v1, v4, v1
	s_cbranch_scc1 .LBB114_85
.LBB114_86:                             ;   in Loop: Header=BB114_21 Depth=1
	v_add_lshl_u32 v3, s7, v23, 2
	ds_store_b32 v3, v1 offset:3072
.LBB114_87:                             ;   in Loop: Header=BB114_21 Depth=1
	s_or_b32 exec_lo, exec_lo, s8
	s_lshl_b32 s7, s7, 2
	s_waitcnt lgkmcnt(0)
	v_mov_b32_e32 v1, s7
	s_barrier
	buffer_gl0_inv
	s_and_b32 s22, s79, 0xfe
	s_delay_alu instid0(SALU_CYCLE_1)
	s_lshl_b64 s[8:9], 3, s22
	ds_load_b128 v[7:10], v1 offset:3072
	s_not_b64 s[10:11], s[8:9]
	s_waitcnt lgkmcnt(0)
	v_readfirstlane_b32 s18, v7
	v_readfirstlane_b32 s25, v8
	;; [unrolled: 1-line block ×4, first 2 shown]
	s_delay_alu instid0(VALU_DEP_4) | instskip(SKIP_3) | instid1(SALU_CYCLE_1)
	s_cmp_eq_u32 s18, 1
	s_cselect_b32 s7, -1, 0
	s_cmp_eq_u32 s84, 1
	s_cselect_b32 s12, -1, 0
	s_and_b32 s13, s7, s12
	s_mov_b32 s12, -1
	s_and_b32 vcc_lo, exec_lo, s13
	s_cbranch_vccz .LBB114_99
; %bb.88:                               ;   in Loop: Header=BB114_21 Depth=1
	ds_load_b32 v1, v13 offset:4104
	s_waitcnt lgkmcnt(0)
	s_barrier
	buffer_gl0_inv
	v_readfirstlane_b32 s14, v1
	s_and_saveexec_b32 s7, s2
	s_cbranch_execz .LBB114_90
; %bb.89:                               ;   in Loop: Header=BB114_21 Depth=1
	v_mov_b32_e32 v12, v13
	ds_store_b64 v26, v[12:13]
.LBB114_90:                             ;   in Loop: Header=BB114_21 Depth=1
	s_or_b32 exec_lo, exec_lo, s7
	s_and_b64 s[52:53], s[52:53], s[10:11]
	s_or_b64 s[54:55], s[54:55], s[8:9]
	s_cmp_eq_u32 s14, 0
	s_waitcnt lgkmcnt(0)
	s_barrier
	buffer_gl0_inv
	s_cbranch_scc1 .LBB114_100
; %bb.91:                               ;   in Loop: Header=BB114_21 Depth=1
	s_add_i32 s7, s14, s62
                                        ; implicit-def: $vgpr5_vgpr6
	s_delay_alu instid0(SALU_CYCLE_1) | instskip(NEXT) | instid1(SALU_CYCLE_1)
	s_mul_hi_u32 s15, s7, s71
	s_mul_i32 s15, s15, s31
	s_delay_alu instid0(SALU_CYCLE_1) | instskip(NEXT) | instid1(SALU_CYCLE_1)
	s_sub_i32 s15, s7, s15
	s_sub_i32 s17, s15, s31
	s_cmp_ge_u32 s15, s31
	s_cselect_b32 s15, s17, s15
	s_delay_alu instid0(SALU_CYCLE_1) | instskip(SKIP_2) | instid1(SALU_CYCLE_1)
	s_sub_i32 s17, s15, s31
	s_cmp_ge_u32 s15, s31
	s_cselect_b32 s15, s17, s15
	s_sub_i32 s17, s7, s15
	s_mov_b32 s7, 0
	s_mov_b32 s15, exec_lo
	v_cmpx_gt_u32_e64 s17, v0
	s_cbranch_execz .LBB114_102
; %bb.92:                               ;   in Loop: Header=BB114_21 Depth=1
	v_dual_mov_b32 v7, v25 :: v_dual_mov_b32 v8, v0
	s_mov_b32 s21, 0
                                        ; implicit-def: $sgpr20
	s_set_inst_prefetch_distance 0x1
	s_branch .LBB114_94
	.p2align	6
.LBB114_93:                             ;   in Loop: Header=BB114_94 Depth=2
	s_or_b32 exec_lo, exec_lo, s7
	s_waitcnt lgkmcnt(0)
	s_barrier
	buffer_gl0_inv
	ds_load_b128 v[3:6], v13 offset:3072
	v_add_nc_u32_e32 v8, s31, v8
	v_add_nc_u32_e32 v7, s75, v7
	s_waitcnt lgkmcnt(0)
	s_barrier
	buffer_gl0_inv
	v_cmp_le_u32_e64 s7, s17, v8
	v_cmp_neq_f64_e32 vcc_lo, 0, v[3:4]
	s_delay_alu instid0(VALU_DEP_2) | instskip(NEXT) | instid1(SALU_CYCLE_1)
	s_or_b32 s7, s7, vcc_lo
	s_and_b32 s7, exec_lo, s7
	s_delay_alu instid0(SALU_CYCLE_1) | instskip(SKIP_2) | instid1(SALU_CYCLE_1)
	s_or_b32 s21, s7, s21
	s_and_not1_b32 s7, s20, exec_lo
	s_and_b32 s20, vcc_lo, exec_lo
	s_or_b32 s20, s7, s20
	s_and_not1_b32 exec_lo, exec_lo, s21
	s_cbranch_execz .LBB114_101
.LBB114_94:                             ;   Parent Loop BB114_21 Depth=1
                                        ; =>  This Inner Loop Header: Depth=2
	v_mov_b32_e32 v3, 0
	v_mov_b32_e32 v4, 0
	v_cmp_gt_u32_e32 vcc_lo, s14, v8
	s_and_saveexec_b32 s7, vcc_lo
	s_cbranch_execz .LBB114_96
; %bb.95:                               ;   in Loop: Header=BB114_94 Depth=2
	ds_load_b64 v[3:4], v7
.LBB114_96:                             ;   in Loop: Header=BB114_94 Depth=2
	s_or_b32 exec_lo, exec_lo, s7
	s_and_saveexec_b32 s7, vcc_lo
	s_cbranch_execz .LBB114_93
; %bb.97:                               ;   in Loop: Header=BB114_94 Depth=2
	s_waitcnt lgkmcnt(0)
	v_cmp_o_f64_e32 vcc_lo, v[3:4], v[3:4]
	v_ashrrev_i32_e32 v1, 31, v4
	s_delay_alu instid0(VALU_DEP_1) | instskip(SKIP_1) | instid1(VALU_DEP_2)
	v_or_b32_e32 v5, 0x80000000, v1
	v_xor_b32_e32 v1, v1, v3
	v_xor_b32_e32 v5, v5, v4
	s_delay_alu instid0(VALU_DEP_1) | instskip(NEXT) | instid1(VALU_DEP_3)
	v_cndmask_b32_e32 v5, -1, v5, vcc_lo
	v_cndmask_b32_e32 v1, -1, v1, vcc_lo
	s_delay_alu instid0(VALU_DEP_2) | instskip(NEXT) | instid1(VALU_DEP_2)
	v_and_b32_e32 v6, s55, v5
	v_and_b32_e32 v5, s54, v1
	s_delay_alu instid0(VALU_DEP_1)
	v_cmp_eq_u64_e32 vcc_lo, s[52:53], v[5:6]
	s_and_b32 exec_lo, exec_lo, vcc_lo
	s_cbranch_execz .LBB114_93
; %bb.98:                               ;   in Loop: Header=BB114_94 Depth=2
	v_mov_b32_e32 v1, v13
	ds_store_b128 v13, v[1:4] offset:3072
	s_branch .LBB114_93
.LBB114_99:                             ;   in Loop: Header=BB114_21 Depth=1
	s_mov_b32 s7, -1
                                        ; implicit-def: $sgpr14
                                        ; implicit-def: $sgpr17
                                        ; implicit-def: $sgpr15
	s_branch .LBB114_113
.LBB114_100:                            ;   in Loop: Header=BB114_21 Depth=1
	s_mov_b32 s14, -1
	s_mov_b32 s7, 0
                                        ; implicit-def: $sgpr15
                                        ; implicit-def: $vgpr5_vgpr6
	s_mov_b32 s17, s14
	s_cbranch_execnz .LBB114_103
	s_branch .LBB114_113
.LBB114_101:                            ;   in Loop: Header=BB114_21 Depth=1
	s_set_inst_prefetch_distance 0x2
	s_or_b32 exec_lo, exec_lo, s21
	s_delay_alu instid0(SALU_CYCLE_1)
	s_and_b32 s7, s20, exec_lo
.LBB114_102:                            ;   in Loop: Header=BB114_21 Depth=1
	s_or_b32 exec_lo, exec_lo, s15
	s_mov_b32 s15, -1
	s_mov_b32 s14, 0
	s_delay_alu instid0(SALU_CYCLE_1)
	s_mov_b32 s17, s14
	s_branch .LBB114_113
.LBB114_103:                            ;   in Loop: Header=BB114_21 Depth=1
	s_mov_b32 s7, 0
                                        ; implicit-def: $vgpr5_vgpr6
	s_and_saveexec_b32 s14, s6
	s_cbranch_execz .LBB114_112
; %bb.104:                              ;   in Loop: Header=BB114_21 Depth=1
	v_dual_mov_b32 v12, v11 :: v_dual_mov_b32 v7, v0
	s_mov_b32 s17, 0
                                        ; implicit-def: $sgpr15
	s_branch .LBB114_106
.LBB114_105:                            ;   in Loop: Header=BB114_106 Depth=2
	s_or_b32 exec_lo, exec_lo, s7
	s_waitcnt vmcnt(0) lgkmcnt(0)
	s_barrier
	buffer_gl0_inv
	ds_load_b128 v[3:6], v13 offset:3072
	v_add_nc_u32_e32 v7, s31, v7
	v_add_nc_u32_e32 v12, s59, v12
	s_waitcnt lgkmcnt(0)
	s_barrier
	buffer_gl0_inv
	v_cmp_le_u32_e64 s7, s73, v7
	v_cmp_neq_f64_e32 vcc_lo, 0, v[3:4]
	s_delay_alu instid0(VALU_DEP_2) | instskip(NEXT) | instid1(SALU_CYCLE_1)
	s_or_b32 s7, s7, vcc_lo
	s_and_b32 s7, exec_lo, s7
	s_delay_alu instid0(SALU_CYCLE_1) | instskip(SKIP_2) | instid1(SALU_CYCLE_1)
	s_or_b32 s17, s7, s17
	s_and_not1_b32 s7, s15, exec_lo
	s_and_b32 s15, vcc_lo, exec_lo
	s_or_b32 s15, s7, s15
	s_and_not1_b32 exec_lo, exec_lo, s17
	s_cbranch_execz .LBB114_111
.LBB114_106:                            ;   Parent Loop BB114_21 Depth=1
                                        ; =>  This Inner Loop Header: Depth=2
	v_mov_b32_e32 v3, 0
	v_mov_b32_e32 v4, 0
	v_cmp_gt_u32_e32 vcc_lo, s28, v7
	s_and_saveexec_b32 s20, vcc_lo
	s_cbranch_execz .LBB114_108
; %bb.107:                              ;   in Loop: Header=BB114_106 Depth=2
	v_lshlrev_b64 v[3:4], 3, v[12:13]
	s_delay_alu instid0(VALU_DEP_1) | instskip(NEXT) | instid1(VALU_DEP_1)
	v_add_co_u32 v3, s7, s39, v3
	v_add_co_ci_u32_e64 v4, s7, s43, v4, s7
	global_load_b64 v[3:4], v[3:4], off
.LBB114_108:                            ;   in Loop: Header=BB114_106 Depth=2
	s_or_b32 exec_lo, exec_lo, s20
	s_and_saveexec_b32 s7, vcc_lo
	s_cbranch_execz .LBB114_105
; %bb.109:                              ;   in Loop: Header=BB114_106 Depth=2
	s_waitcnt vmcnt(0)
	v_cmp_o_f64_e32 vcc_lo, v[3:4], v[3:4]
	v_ashrrev_i32_e32 v1, 31, v4
	s_delay_alu instid0(VALU_DEP_1) | instskip(SKIP_1) | instid1(VALU_DEP_2)
	v_or_b32_e32 v5, 0x80000000, v1
	v_xor_b32_e32 v1, v1, v3
	v_xor_b32_e32 v5, v5, v4
	s_delay_alu instid0(VALU_DEP_1) | instskip(NEXT) | instid1(VALU_DEP_3)
	v_cndmask_b32_e32 v5, -1, v5, vcc_lo
	v_cndmask_b32_e32 v1, -1, v1, vcc_lo
	s_delay_alu instid0(VALU_DEP_2) | instskip(NEXT) | instid1(VALU_DEP_2)
	v_and_b32_e32 v6, s55, v5
	v_and_b32_e32 v5, s54, v1
	s_delay_alu instid0(VALU_DEP_1)
	v_cmp_eq_u64_e32 vcc_lo, s[52:53], v[5:6]
	s_and_b32 exec_lo, exec_lo, vcc_lo
	s_cbranch_execz .LBB114_105
; %bb.110:                              ;   in Loop: Header=BB114_106 Depth=2
	v_mov_b32_e32 v1, v13
	ds_store_b128 v13, v[1:4] offset:3072
	s_branch .LBB114_105
.LBB114_111:                            ;   in Loop: Header=BB114_21 Depth=1
	s_or_b32 exec_lo, exec_lo, s17
	s_delay_alu instid0(SALU_CYCLE_1)
	s_and_b32 s7, s15, exec_lo
.LBB114_112:                            ;   in Loop: Header=BB114_21 Depth=1
	s_or_b32 exec_lo, exec_lo, s14
	s_mov_b32 s17, -1
	s_mov_b32 s14, 0
	s_mov_b32 s15, 0
.LBB114_113:                            ;   in Loop: Header=BB114_21 Depth=1
	s_and_not1_b32 s20, s80, exec_lo
	s_and_b32 s14, s14, exec_lo
	s_and_b32 s17, s17, exec_lo
	s_or_b32 s80, s20, s14
	s_and_not1_b32 s14, s83, exec_lo
	s_and_not1_b32 s20, s81, exec_lo
	s_and_b32 s15, s15, exec_lo
	s_or_b32 s83, s14, s17
	s_or_b32 s81, s20, s15
	s_and_saveexec_b32 s17, s7
	s_cbranch_execz .LBB114_20
; %bb.114:                              ;   in Loop: Header=BB114_21 Depth=1
	s_xor_b32 s7, s13, -1
	s_mov_b32 s20, 0
	s_and_not1_b32 vcc_lo, exec_lo, s7
	s_mov_b32 s26, 1
	s_cbranch_vccnz .LBB114_125
; %bb.115:                              ;   in Loop: Header=BB114_21 Depth=1
	s_cmp_gt_u32 s84, s18
	s_mov_b32 s20, -1
                                        ; implicit-def: $sgpr7
                                        ; implicit-def: $sgpr12_sgpr13
                                        ; implicit-def: $sgpr14_sgpr15
	s_cbranch_scc1 .LBB114_121
; %bb.116:                              ;   in Loop: Header=BB114_21 Depth=1
	ds_load_b32 v1, v13 offset:4104
	s_waitcnt lgkmcnt(0)
	v_cmp_ne_u32_e32 vcc_lo, 0, v1
	s_cbranch_vccnz .LBB114_120
; %bb.117:                              ;   in Loop: Header=BB114_21 Depth=1
	s_and_saveexec_b32 s7, s1
	s_cbranch_execz .LBB114_119
; %bb.118:                              ;   in Loop: Header=BB114_21 Depth=1
	v_mov_b32_e32 v1, s18
	ds_store_b32 v13, v1 offset:4108
.LBB114_119:                            ;   in Loop: Header=BB114_21 Depth=1
	s_or_b32 exec_lo, exec_lo, s7
	s_waitcnt lgkmcnt(0)
	s_barrier
	buffer_gl0_inv
.LBB114_120:                            ;   in Loop: Header=BB114_21 Depth=1
	s_and_b64 s[12:13], s[52:53], s[10:11]
	s_or_b64 s[14:15], s[54:55], s[8:9]
	s_mov_b32 s20, 0
	s_mov_b32 s7, 8
.LBB114_121:                            ;   in Loop: Header=BB114_21 Depth=1
	s_and_not1_b32 vcc_lo, exec_lo, s20
	s_cbranch_vccnz .LBB114_123
; %bb.122:                              ;   in Loop: Header=BB114_21 Depth=1
	s_sub_i32 s84, s84, s18
	s_mov_b32 s20, -1
	s_mov_b32 s7, 0
	s_mov_b64 s[12:13], s[52:53]
	s_mov_b64 s[14:15], s[54:55]
.LBB114_123:                            ;   in Loop: Header=BB114_21 Depth=1
	s_delay_alu instid0(SALU_CYCLE_1)
	s_mov_b64 s[54:55], s[14:15]
	s_mov_b64 s[52:53], s[12:13]
	s_mov_b32 s26, s84
	s_and_b32 vcc_lo, exec_lo, s20
	s_mov_b32 s18, -1
	s_cbranch_vccnz .LBB114_126
.LBB114_124:                            ;   in Loop: Header=BB114_21 Depth=1
	s_mov_b32 s13, -1
                                        ; implicit-def: $sgpr20
                                        ; implicit-def: $sgpr23
                                        ; implicit-def: $sgpr21
                                        ; implicit-def: $sgpr84
	s_delay_alu instid0(SALU_CYCLE_1) | instskip(NEXT) | instid1(SALU_CYCLE_1)
	s_and_saveexec_b32 s8, s13
	s_xor_b32 s8, exec_lo, s8
	s_cbranch_execz .LBB114_19
	s_branch .LBB114_252
.LBB114_125:                            ;   in Loop: Header=BB114_21 Depth=1
	s_mov_b32 s7, 1
	s_and_b32 vcc_lo, exec_lo, s20
	s_mov_b32 s18, -1
	s_cbranch_vccz .LBB114_124
.LBB114_126:                            ;   in Loop: Header=BB114_21 Depth=1
	s_cmp_eq_u32 s25, 1
	s_mov_b32 s14, -1
	s_cselect_b32 s7, -1, 0
	s_cmp_eq_u32 s26, 1
	s_cselect_b32 s12, -1, 0
	s_delay_alu instid0(SALU_CYCLE_1) | instskip(NEXT) | instid1(SALU_CYCLE_1)
	s_and_b32 s12, s7, s12
	s_and_b32 vcc_lo, exec_lo, s12
	s_cbranch_vccz .LBB114_138
; %bb.127:                              ;   in Loop: Header=BB114_21 Depth=1
	ds_load_b32 v1, v13 offset:4104
	s_waitcnt lgkmcnt(0)
	s_barrier
	buffer_gl0_inv
	v_readfirstlane_b32 s13, v1
	s_and_saveexec_b32 s7, s2
	s_cbranch_execz .LBB114_129
; %bb.128:                              ;   in Loop: Header=BB114_21 Depth=1
	v_mov_b32_e32 v12, v13
	ds_store_b64 v26, v[12:13]
.LBB114_129:                            ;   in Loop: Header=BB114_21 Depth=1
	s_or_b32 exec_lo, exec_lo, s7
	s_lshl_b64 s[14:15], 1, s22
	s_and_b64 s[20:21], s[52:53], s[10:11]
	s_or_b64 s[54:55], s[54:55], s[8:9]
	s_or_b64 s[52:53], s[20:21], s[14:15]
	s_cmp_eq_u32 s13, 0
	s_waitcnt lgkmcnt(0)
	s_barrier
	buffer_gl0_inv
	s_cbranch_scc1 .LBB114_142
; %bb.130:                              ;   in Loop: Header=BB114_21 Depth=1
	s_add_i32 s7, s13, s62
                                        ; implicit-def: $vgpr5_vgpr6
	s_delay_alu instid0(SALU_CYCLE_1) | instskip(NEXT) | instid1(SALU_CYCLE_1)
	s_mul_hi_u32 s14, s7, s71
	s_mul_i32 s14, s14, s31
	s_delay_alu instid0(SALU_CYCLE_1) | instskip(NEXT) | instid1(SALU_CYCLE_1)
	s_sub_i32 s14, s7, s14
	s_sub_i32 s15, s14, s31
	s_cmp_ge_u32 s14, s31
	s_cselect_b32 s14, s15, s14
	s_delay_alu instid0(SALU_CYCLE_1)
	s_sub_i32 s15, s14, s31
	s_cmp_ge_u32 s14, s31
	s_cselect_b32 s14, s15, s14
	s_mov_b32 s15, exec_lo
	s_sub_i32 s20, s7, s14
	s_mov_b32 s14, 0
	v_cmpx_gt_u32_e64 s20, v0
	s_cbranch_execz .LBB114_144
; %bb.131:                              ;   in Loop: Header=BB114_21 Depth=1
	v_dual_mov_b32 v7, v25 :: v_dual_mov_b32 v8, v0
	s_mov_b32 s21, 0
                                        ; implicit-def: $sgpr14
	s_set_inst_prefetch_distance 0x1
	s_branch .LBB114_133
	.p2align	6
.LBB114_132:                            ;   in Loop: Header=BB114_133 Depth=2
	s_or_b32 exec_lo, exec_lo, s7
	s_waitcnt lgkmcnt(0)
	s_barrier
	buffer_gl0_inv
	ds_load_b128 v[3:6], v13 offset:3072
	v_add_nc_u32_e32 v8, s31, v8
	v_add_nc_u32_e32 v7, s75, v7
	s_waitcnt lgkmcnt(0)
	s_barrier
	buffer_gl0_inv
	v_cmp_le_u32_e64 s7, s20, v8
	v_cmp_neq_f64_e32 vcc_lo, 0, v[3:4]
	s_delay_alu instid0(VALU_DEP_2) | instskip(NEXT) | instid1(SALU_CYCLE_1)
	s_or_b32 s7, s7, vcc_lo
	s_and_b32 s7, exec_lo, s7
	s_delay_alu instid0(SALU_CYCLE_1) | instskip(SKIP_2) | instid1(SALU_CYCLE_1)
	s_or_b32 s21, s7, s21
	s_and_not1_b32 s7, s14, exec_lo
	s_and_b32 s14, vcc_lo, exec_lo
	s_or_b32 s14, s7, s14
	s_and_not1_b32 exec_lo, exec_lo, s21
	s_cbranch_execz .LBB114_143
.LBB114_133:                            ;   Parent Loop BB114_21 Depth=1
                                        ; =>  This Inner Loop Header: Depth=2
	v_mov_b32_e32 v3, 0
	v_mov_b32_e32 v4, 0
	v_cmp_gt_u32_e32 vcc_lo, s13, v8
	s_and_saveexec_b32 s7, vcc_lo
	s_cbranch_execz .LBB114_135
; %bb.134:                              ;   in Loop: Header=BB114_133 Depth=2
	ds_load_b64 v[3:4], v7
.LBB114_135:                            ;   in Loop: Header=BB114_133 Depth=2
	s_or_b32 exec_lo, exec_lo, s7
	s_and_saveexec_b32 s7, vcc_lo
	s_cbranch_execz .LBB114_132
; %bb.136:                              ;   in Loop: Header=BB114_133 Depth=2
	s_waitcnt lgkmcnt(0)
	v_cmp_o_f64_e32 vcc_lo, v[3:4], v[3:4]
	v_ashrrev_i32_e32 v1, 31, v4
	s_delay_alu instid0(VALU_DEP_1) | instskip(SKIP_1) | instid1(VALU_DEP_2)
	v_or_b32_e32 v5, 0x80000000, v1
	v_xor_b32_e32 v1, v1, v3
	v_xor_b32_e32 v5, v5, v4
	s_delay_alu instid0(VALU_DEP_1) | instskip(NEXT) | instid1(VALU_DEP_3)
	v_cndmask_b32_e32 v5, -1, v5, vcc_lo
	v_cndmask_b32_e32 v1, -1, v1, vcc_lo
	s_delay_alu instid0(VALU_DEP_2) | instskip(NEXT) | instid1(VALU_DEP_2)
	v_and_b32_e32 v6, s55, v5
	v_and_b32_e32 v5, s54, v1
	s_delay_alu instid0(VALU_DEP_1)
	v_cmp_eq_u64_e32 vcc_lo, s[52:53], v[5:6]
	s_and_b32 exec_lo, exec_lo, vcc_lo
	s_cbranch_execz .LBB114_132
; %bb.137:                              ;   in Loop: Header=BB114_133 Depth=2
	v_mov_b32_e32 v1, v13
	ds_store_b128 v13, v[1:4] offset:3072
	s_branch .LBB114_132
.LBB114_138:                            ;   in Loop: Header=BB114_21 Depth=1
                                        ; implicit-def: $sgpr21
                                        ; implicit-def: $sgpr23
                                        ; implicit-def: $sgpr20
	s_branch .LBB114_155
.LBB114_139:                            ;   in Loop: Header=BB114_21 Depth=1
	s_or_b32 exec_lo, exec_lo, s9
	s_waitcnt vmcnt(0) lgkmcnt(0)
	s_barrier
	buffer_gl0_inv
	s_and_saveexec_b32 s7, s1
	s_cbranch_execz .LBB114_141
; %bb.140:                              ;   in Loop: Header=BB114_21 Depth=1
	ds_load_b32 v1, v13 offset:4112
	s_waitcnt lgkmcnt(0)
	ds_store_b32 v13, v1 offset:4104
.LBB114_141:                            ;   in Loop: Header=BB114_21 Depth=1
	s_or_b32 exec_lo, exec_lo, s7
	s_waitcnt lgkmcnt(0)
	s_mov_b32 s7, -1
	s_barrier
	s_and_b32 vcc_lo, exec_lo, s85
	s_cbranch_vccnz .LBB114_39
	s_branch .LBB114_49
.LBB114_142:                            ;   in Loop: Header=BB114_21 Depth=1
	s_mov_b32 s21, -1
	s_mov_b32 s14, 0
                                        ; implicit-def: $sgpr20
                                        ; implicit-def: $vgpr5_vgpr6
	s_mov_b32 s23, s21
	s_cbranch_execnz .LBB114_145
	s_branch .LBB114_155
.LBB114_143:                            ;   in Loop: Header=BB114_21 Depth=1
	s_set_inst_prefetch_distance 0x2
	s_or_b32 exec_lo, exec_lo, s21
	s_delay_alu instid0(SALU_CYCLE_1)
	s_and_b32 s14, s14, exec_lo
.LBB114_144:                            ;   in Loop: Header=BB114_21 Depth=1
	s_or_b32 exec_lo, exec_lo, s15
	s_mov_b32 s20, -1
	s_mov_b32 s21, 0
	s_delay_alu instid0(SALU_CYCLE_1)
	s_mov_b32 s23, s21
	s_branch .LBB114_155
.LBB114_145:                            ;   in Loop: Header=BB114_21 Depth=1
	s_mov_b32 s14, 0
                                        ; implicit-def: $vgpr5_vgpr6
	s_and_saveexec_b32 s13, s6
	s_cbranch_execz .LBB114_154
; %bb.146:                              ;   in Loop: Header=BB114_21 Depth=1
	v_dual_mov_b32 v12, v11 :: v_dual_mov_b32 v7, v0
	s_mov_b32 s15, 0
                                        ; implicit-def: $sgpr14
	s_branch .LBB114_148
.LBB114_147:                            ;   in Loop: Header=BB114_148 Depth=2
	s_or_b32 exec_lo, exec_lo, s7
	s_waitcnt vmcnt(0) lgkmcnt(0)
	s_barrier
	buffer_gl0_inv
	ds_load_b128 v[3:6], v13 offset:3072
	v_add_nc_u32_e32 v7, s31, v7
	v_add_nc_u32_e32 v12, s59, v12
	s_waitcnt lgkmcnt(0)
	s_barrier
	buffer_gl0_inv
	v_cmp_le_u32_e64 s7, s73, v7
	v_cmp_neq_f64_e32 vcc_lo, 0, v[3:4]
	s_delay_alu instid0(VALU_DEP_2) | instskip(NEXT) | instid1(SALU_CYCLE_1)
	s_or_b32 s7, s7, vcc_lo
	s_and_b32 s7, exec_lo, s7
	s_delay_alu instid0(SALU_CYCLE_1) | instskip(SKIP_2) | instid1(SALU_CYCLE_1)
	s_or_b32 s15, s7, s15
	s_and_not1_b32 s7, s14, exec_lo
	s_and_b32 s14, vcc_lo, exec_lo
	s_or_b32 s14, s7, s14
	s_and_not1_b32 exec_lo, exec_lo, s15
	s_cbranch_execz .LBB114_153
.LBB114_148:                            ;   Parent Loop BB114_21 Depth=1
                                        ; =>  This Inner Loop Header: Depth=2
	v_mov_b32_e32 v3, 0
	v_mov_b32_e32 v4, 0
	v_cmp_gt_u32_e32 vcc_lo, s28, v7
	s_and_saveexec_b32 s20, vcc_lo
	s_cbranch_execz .LBB114_150
; %bb.149:                              ;   in Loop: Header=BB114_148 Depth=2
	v_lshlrev_b64 v[3:4], 3, v[12:13]
	s_delay_alu instid0(VALU_DEP_1) | instskip(NEXT) | instid1(VALU_DEP_1)
	v_add_co_u32 v3, s7, s39, v3
	v_add_co_ci_u32_e64 v4, s7, s43, v4, s7
	global_load_b64 v[3:4], v[3:4], off
.LBB114_150:                            ;   in Loop: Header=BB114_148 Depth=2
	s_or_b32 exec_lo, exec_lo, s20
	s_and_saveexec_b32 s7, vcc_lo
	s_cbranch_execz .LBB114_147
; %bb.151:                              ;   in Loop: Header=BB114_148 Depth=2
	s_waitcnt vmcnt(0)
	v_cmp_o_f64_e32 vcc_lo, v[3:4], v[3:4]
	v_ashrrev_i32_e32 v1, 31, v4
	s_delay_alu instid0(VALU_DEP_1) | instskip(SKIP_1) | instid1(VALU_DEP_2)
	v_or_b32_e32 v5, 0x80000000, v1
	v_xor_b32_e32 v1, v1, v3
	v_xor_b32_e32 v5, v5, v4
	s_delay_alu instid0(VALU_DEP_1) | instskip(NEXT) | instid1(VALU_DEP_3)
	v_cndmask_b32_e32 v5, -1, v5, vcc_lo
	v_cndmask_b32_e32 v1, -1, v1, vcc_lo
	s_delay_alu instid0(VALU_DEP_2) | instskip(NEXT) | instid1(VALU_DEP_2)
	v_and_b32_e32 v6, s55, v5
	v_and_b32_e32 v5, s54, v1
	s_delay_alu instid0(VALU_DEP_1)
	v_cmp_eq_u64_e32 vcc_lo, s[52:53], v[5:6]
	s_and_b32 exec_lo, exec_lo, vcc_lo
	s_cbranch_execz .LBB114_147
; %bb.152:                              ;   in Loop: Header=BB114_148 Depth=2
	v_mov_b32_e32 v1, v13
	ds_store_b128 v13, v[1:4] offset:3072
	s_branch .LBB114_147
.LBB114_153:                            ;   in Loop: Header=BB114_21 Depth=1
	s_or_b32 exec_lo, exec_lo, s15
	s_delay_alu instid0(SALU_CYCLE_1)
	s_and_b32 s14, s14, exec_lo
.LBB114_154:                            ;   in Loop: Header=BB114_21 Depth=1
	s_or_b32 exec_lo, exec_lo, s13
	s_mov_b32 s23, -1
	s_mov_b32 s21, 0
	s_mov_b32 s20, 0
.LBB114_155:                            ;   in Loop: Header=BB114_21 Depth=1
	s_mov_b32 s13, 0
                                        ; implicit-def: $sgpr7
	s_and_saveexec_b32 s24, s14
	s_cbranch_execz .LBB114_251
; %bb.156:                              ;   in Loop: Header=BB114_21 Depth=1
	s_xor_b32 s7, s12, -1
	s_mov_b32 s84, 0
	s_and_not1_b32 vcc_lo, exec_lo, s7
	s_mov_b32 s86, 1
	s_cbranch_vccnz .LBB114_167
; %bb.157:                              ;   in Loop: Header=BB114_21 Depth=1
	s_cmp_gt_u32 s26, s25
	s_mov_b32 s84, -1
                                        ; implicit-def: $sgpr7
                                        ; implicit-def: $sgpr12_sgpr13
                                        ; implicit-def: $sgpr14_sgpr15
	s_cbranch_scc1 .LBB114_163
; %bb.158:                              ;   in Loop: Header=BB114_21 Depth=1
	ds_load_b32 v1, v13 offset:4104
	s_waitcnt lgkmcnt(0)
	v_cmp_ne_u32_e32 vcc_lo, 0, v1
	s_cbranch_vccnz .LBB114_162
; %bb.159:                              ;   in Loop: Header=BB114_21 Depth=1
	s_and_saveexec_b32 s7, s1
	s_cbranch_execz .LBB114_161
; %bb.160:                              ;   in Loop: Header=BB114_21 Depth=1
	v_mov_b32_e32 v1, s25
	ds_store_b32 v13, v1 offset:4108
.LBB114_161:                            ;   in Loop: Header=BB114_21 Depth=1
	s_or_b32 exec_lo, exec_lo, s7
	s_waitcnt lgkmcnt(0)
	s_barrier
	buffer_gl0_inv
.LBB114_162:                            ;   in Loop: Header=BB114_21 Depth=1
	s_lshl_b64 s[12:13], 1, s22
	s_and_b64 s[14:15], s[52:53], s[10:11]
	s_mov_b32 s84, 0
	s_or_b64 s[12:13], s[14:15], s[12:13]
	s_or_b64 s[14:15], s[54:55], s[8:9]
	s_mov_b32 s7, 8
.LBB114_163:                            ;   in Loop: Header=BB114_21 Depth=1
	s_and_not1_b32 vcc_lo, exec_lo, s84
	s_cbranch_vccnz .LBB114_165
; %bb.164:                              ;   in Loop: Header=BB114_21 Depth=1
	s_sub_i32 s26, s26, s25
	s_mov_b32 s84, -1
	s_mov_b32 s7, 0
	s_mov_b64 s[12:13], s[52:53]
	s_mov_b64 s[14:15], s[54:55]
.LBB114_165:                            ;   in Loop: Header=BB114_21 Depth=1
	s_delay_alu instid0(SALU_CYCLE_1)
	s_mov_b64 s[54:55], s[14:15]
	s_mov_b64 s[52:53], s[12:13]
	s_mov_b32 s86, s26
	s_and_not1_b32 vcc_lo, exec_lo, s84
	s_mov_b32 s13, -1
	s_cbranch_vccz .LBB114_168
.LBB114_166:                            ;   in Loop: Header=BB114_21 Depth=1
                                        ; implicit-def: $sgpr26
                                        ; implicit-def: $sgpr84
                                        ; implicit-def: $sgpr25
	s_branch .LBB114_250
.LBB114_167:                            ;   in Loop: Header=BB114_21 Depth=1
	s_mov_b32 s7, 1
	s_and_not1_b32 vcc_lo, exec_lo, s84
	s_mov_b32 s13, -1
	s_cbranch_vccnz .LBB114_166
.LBB114_168:                            ;   in Loop: Header=BB114_21 Depth=1
	s_cmp_eq_u32 s19, 1
	s_mov_b32 s14, -1
	s_cselect_b32 s7, -1, 0
	s_cmp_eq_u32 s86, 1
	s_cselect_b32 s12, -1, 0
	s_delay_alu instid0(SALU_CYCLE_1) | instskip(NEXT) | instid1(SALU_CYCLE_1)
	s_and_b32 s12, s7, s12
	s_and_b32 vcc_lo, exec_lo, s12
	s_cbranch_vccz .LBB114_180
; %bb.169:                              ;   in Loop: Header=BB114_21 Depth=1
	ds_load_b32 v1, v13 offset:4104
	s_waitcnt lgkmcnt(0)
	s_barrier
	buffer_gl0_inv
	v_readfirstlane_b32 s13, v1
	s_and_saveexec_b32 s7, s2
	s_cbranch_execz .LBB114_171
; %bb.170:                              ;   in Loop: Header=BB114_21 Depth=1
	v_mov_b32_e32 v12, v13
	ds_store_b64 v26, v[12:13]
.LBB114_171:                            ;   in Loop: Header=BB114_21 Depth=1
	s_or_b32 exec_lo, exec_lo, s7
	s_lshl_b64 s[14:15], 2, s22
	s_and_b64 s[52:53], s[52:53], s[10:11]
	s_or_b64 s[54:55], s[54:55], s[8:9]
	s_or_b64 s[52:53], s[52:53], s[14:15]
	s_cmp_eq_u32 s13, 0
	s_waitcnt lgkmcnt(0)
	s_barrier
	buffer_gl0_inv
	s_cbranch_scc1 .LBB114_181
; %bb.172:                              ;   in Loop: Header=BB114_21 Depth=1
	s_add_i32 s7, s13, s62
                                        ; implicit-def: $vgpr5_vgpr6
	s_delay_alu instid0(SALU_CYCLE_1) | instskip(NEXT) | instid1(SALU_CYCLE_1)
	s_mul_hi_u32 s14, s7, s71
	s_mul_i32 s14, s14, s31
	s_delay_alu instid0(SALU_CYCLE_1) | instskip(NEXT) | instid1(SALU_CYCLE_1)
	s_sub_i32 s14, s7, s14
	s_sub_i32 s15, s14, s31
	s_cmp_ge_u32 s14, s31
	s_cselect_b32 s14, s15, s14
	s_delay_alu instid0(SALU_CYCLE_1)
	s_sub_i32 s15, s14, s31
	s_cmp_ge_u32 s14, s31
	s_cselect_b32 s14, s15, s14
	s_mov_b32 s15, exec_lo
	s_sub_i32 s25, s7, s14
	s_mov_b32 s14, 0
	v_cmpx_gt_u32_e64 s25, v0
	s_cbranch_execz .LBB114_183
; %bb.173:                              ;   in Loop: Header=BB114_21 Depth=1
	v_dual_mov_b32 v7, v25 :: v_dual_mov_b32 v8, v0
	s_mov_b32 s26, 0
                                        ; implicit-def: $sgpr14
	s_set_inst_prefetch_distance 0x1
	s_branch .LBB114_175
	.p2align	6
.LBB114_174:                            ;   in Loop: Header=BB114_175 Depth=2
	s_or_b32 exec_lo, exec_lo, s7
	s_waitcnt lgkmcnt(0)
	s_barrier
	buffer_gl0_inv
	ds_load_b128 v[3:6], v13 offset:3072
	v_add_nc_u32_e32 v8, s31, v8
	v_add_nc_u32_e32 v7, s75, v7
	s_waitcnt lgkmcnt(0)
	s_barrier
	buffer_gl0_inv
	v_cmp_le_u32_e64 s7, s25, v8
	v_cmp_neq_f64_e32 vcc_lo, 0, v[3:4]
	s_delay_alu instid0(VALU_DEP_2) | instskip(NEXT) | instid1(SALU_CYCLE_1)
	s_or_b32 s7, s7, vcc_lo
	s_and_b32 s7, exec_lo, s7
	s_delay_alu instid0(SALU_CYCLE_1) | instskip(SKIP_2) | instid1(SALU_CYCLE_1)
	s_or_b32 s26, s7, s26
	s_and_not1_b32 s7, s14, exec_lo
	s_and_b32 s14, vcc_lo, exec_lo
	s_or_b32 s14, s7, s14
	s_and_not1_b32 exec_lo, exec_lo, s26
	s_cbranch_execz .LBB114_182
.LBB114_175:                            ;   Parent Loop BB114_21 Depth=1
                                        ; =>  This Inner Loop Header: Depth=2
	v_mov_b32_e32 v3, 0
	v_mov_b32_e32 v4, 0
	v_cmp_gt_u32_e32 vcc_lo, s13, v8
	s_and_saveexec_b32 s7, vcc_lo
	s_cbranch_execz .LBB114_177
; %bb.176:                              ;   in Loop: Header=BB114_175 Depth=2
	ds_load_b64 v[3:4], v7
.LBB114_177:                            ;   in Loop: Header=BB114_175 Depth=2
	s_or_b32 exec_lo, exec_lo, s7
	s_and_saveexec_b32 s7, vcc_lo
	s_cbranch_execz .LBB114_174
; %bb.178:                              ;   in Loop: Header=BB114_175 Depth=2
	s_waitcnt lgkmcnt(0)
	v_cmp_o_f64_e32 vcc_lo, v[3:4], v[3:4]
	v_ashrrev_i32_e32 v1, 31, v4
	s_delay_alu instid0(VALU_DEP_1) | instskip(SKIP_1) | instid1(VALU_DEP_2)
	v_or_b32_e32 v5, 0x80000000, v1
	v_xor_b32_e32 v1, v1, v3
	v_xor_b32_e32 v5, v5, v4
	s_delay_alu instid0(VALU_DEP_1) | instskip(NEXT) | instid1(VALU_DEP_3)
	v_cndmask_b32_e32 v5, -1, v5, vcc_lo
	v_cndmask_b32_e32 v1, -1, v1, vcc_lo
	s_delay_alu instid0(VALU_DEP_2) | instskip(NEXT) | instid1(VALU_DEP_2)
	v_and_b32_e32 v6, s55, v5
	v_and_b32_e32 v5, s54, v1
	s_delay_alu instid0(VALU_DEP_1)
	v_cmp_eq_u64_e32 vcc_lo, s[52:53], v[5:6]
	s_and_b32 exec_lo, exec_lo, vcc_lo
	s_cbranch_execz .LBB114_174
; %bb.179:                              ;   in Loop: Header=BB114_175 Depth=2
	v_mov_b32_e32 v1, v13
	ds_store_b128 v13, v[1:4] offset:3072
	s_branch .LBB114_174
.LBB114_180:                            ;   in Loop: Header=BB114_21 Depth=1
                                        ; implicit-def: $sgpr25
                                        ; implicit-def: $sgpr84
                                        ; implicit-def: $sgpr26
	s_branch .LBB114_194
.LBB114_181:                            ;   in Loop: Header=BB114_21 Depth=1
	s_mov_b32 s25, -1
	s_mov_b32 s14, 0
                                        ; implicit-def: $sgpr26
                                        ; implicit-def: $vgpr5_vgpr6
	s_mov_b32 s84, s25
	s_cbranch_execnz .LBB114_184
	s_branch .LBB114_194
.LBB114_182:                            ;   in Loop: Header=BB114_21 Depth=1
	s_set_inst_prefetch_distance 0x2
	s_or_b32 exec_lo, exec_lo, s26
	s_delay_alu instid0(SALU_CYCLE_1)
	s_and_b32 s14, s14, exec_lo
.LBB114_183:                            ;   in Loop: Header=BB114_21 Depth=1
	s_or_b32 exec_lo, exec_lo, s15
	s_mov_b32 s26, -1
	s_mov_b32 s25, 0
	s_delay_alu instid0(SALU_CYCLE_1)
	s_mov_b32 s84, s25
	s_branch .LBB114_194
.LBB114_184:                            ;   in Loop: Header=BB114_21 Depth=1
	s_mov_b32 s14, 0
                                        ; implicit-def: $vgpr5_vgpr6
	s_and_saveexec_b32 s13, s6
	s_cbranch_execz .LBB114_193
; %bb.185:                              ;   in Loop: Header=BB114_21 Depth=1
	v_dual_mov_b32 v12, v11 :: v_dual_mov_b32 v7, v0
	s_mov_b32 s15, 0
                                        ; implicit-def: $sgpr14
	s_branch .LBB114_187
.LBB114_186:                            ;   in Loop: Header=BB114_187 Depth=2
	s_or_b32 exec_lo, exec_lo, s7
	s_waitcnt vmcnt(0) lgkmcnt(0)
	s_barrier
	buffer_gl0_inv
	ds_load_b128 v[3:6], v13 offset:3072
	v_add_nc_u32_e32 v7, s31, v7
	v_add_nc_u32_e32 v12, s59, v12
	s_waitcnt lgkmcnt(0)
	s_barrier
	buffer_gl0_inv
	v_cmp_le_u32_e64 s7, s73, v7
	v_cmp_neq_f64_e32 vcc_lo, 0, v[3:4]
	s_delay_alu instid0(VALU_DEP_2) | instskip(NEXT) | instid1(SALU_CYCLE_1)
	s_or_b32 s7, s7, vcc_lo
	s_and_b32 s7, exec_lo, s7
	s_delay_alu instid0(SALU_CYCLE_1) | instskip(SKIP_2) | instid1(SALU_CYCLE_1)
	s_or_b32 s15, s7, s15
	s_and_not1_b32 s7, s14, exec_lo
	s_and_b32 s14, vcc_lo, exec_lo
	s_or_b32 s14, s7, s14
	s_and_not1_b32 exec_lo, exec_lo, s15
	s_cbranch_execz .LBB114_192
.LBB114_187:                            ;   Parent Loop BB114_21 Depth=1
                                        ; =>  This Inner Loop Header: Depth=2
	v_mov_b32_e32 v3, 0
	v_mov_b32_e32 v4, 0
	v_cmp_gt_u32_e32 vcc_lo, s28, v7
	s_and_saveexec_b32 s25, vcc_lo
	s_cbranch_execz .LBB114_189
; %bb.188:                              ;   in Loop: Header=BB114_187 Depth=2
	v_lshlrev_b64 v[3:4], 3, v[12:13]
	s_delay_alu instid0(VALU_DEP_1) | instskip(NEXT) | instid1(VALU_DEP_1)
	v_add_co_u32 v3, s7, s39, v3
	v_add_co_ci_u32_e64 v4, s7, s43, v4, s7
	global_load_b64 v[3:4], v[3:4], off
.LBB114_189:                            ;   in Loop: Header=BB114_187 Depth=2
	s_or_b32 exec_lo, exec_lo, s25
	s_and_saveexec_b32 s7, vcc_lo
	s_cbranch_execz .LBB114_186
; %bb.190:                              ;   in Loop: Header=BB114_187 Depth=2
	s_waitcnt vmcnt(0)
	v_cmp_o_f64_e32 vcc_lo, v[3:4], v[3:4]
	v_ashrrev_i32_e32 v1, 31, v4
	s_delay_alu instid0(VALU_DEP_1) | instskip(SKIP_1) | instid1(VALU_DEP_2)
	v_or_b32_e32 v5, 0x80000000, v1
	v_xor_b32_e32 v1, v1, v3
	v_xor_b32_e32 v5, v5, v4
	s_delay_alu instid0(VALU_DEP_1) | instskip(NEXT) | instid1(VALU_DEP_3)
	v_cndmask_b32_e32 v5, -1, v5, vcc_lo
	v_cndmask_b32_e32 v1, -1, v1, vcc_lo
	s_delay_alu instid0(VALU_DEP_2) | instskip(NEXT) | instid1(VALU_DEP_2)
	v_and_b32_e32 v6, s55, v5
	v_and_b32_e32 v5, s54, v1
	s_delay_alu instid0(VALU_DEP_1)
	v_cmp_eq_u64_e32 vcc_lo, s[52:53], v[5:6]
	s_and_b32 exec_lo, exec_lo, vcc_lo
	s_cbranch_execz .LBB114_186
; %bb.191:                              ;   in Loop: Header=BB114_187 Depth=2
	v_mov_b32_e32 v1, v13
	ds_store_b128 v13, v[1:4] offset:3072
	s_branch .LBB114_186
.LBB114_192:                            ;   in Loop: Header=BB114_21 Depth=1
	s_or_b32 exec_lo, exec_lo, s15
	s_delay_alu instid0(SALU_CYCLE_1)
	s_and_b32 s14, s14, exec_lo
.LBB114_193:                            ;   in Loop: Header=BB114_21 Depth=1
	s_or_b32 exec_lo, exec_lo, s13
	s_mov_b32 s84, -1
	s_mov_b32 s25, 0
	s_mov_b32 s26, 0
.LBB114_194:                            ;   in Loop: Header=BB114_21 Depth=1
	s_mov_b32 s13, 0
                                        ; implicit-def: $sgpr7
	s_and_saveexec_b32 s85, s14
	s_cbranch_execz .LBB114_249
; %bb.195:                              ;   in Loop: Header=BB114_21 Depth=1
	s_xor_b32 s7, s12, -1
	s_mov_b32 s87, 0
	s_and_not1_b32 vcc_lo, exec_lo, s7
	s_mov_b32 s12, 1
	s_cbranch_vccnz .LBB114_206
; %bb.196:                              ;   in Loop: Header=BB114_21 Depth=1
	s_cmp_gt_u32 s86, s19
	s_mov_b32 s87, -1
                                        ; implicit-def: $sgpr7
                                        ; implicit-def: $sgpr12_sgpr13
                                        ; implicit-def: $sgpr14_sgpr15
	s_cbranch_scc1 .LBB114_202
; %bb.197:                              ;   in Loop: Header=BB114_21 Depth=1
	ds_load_b32 v1, v13 offset:4104
	s_waitcnt lgkmcnt(0)
	v_cmp_ne_u32_e32 vcc_lo, 0, v1
	s_cbranch_vccnz .LBB114_201
; %bb.198:                              ;   in Loop: Header=BB114_21 Depth=1
	s_and_saveexec_b32 s7, s1
	s_cbranch_execz .LBB114_200
; %bb.199:                              ;   in Loop: Header=BB114_21 Depth=1
	v_mov_b32_e32 v1, s19
	ds_store_b32 v13, v1 offset:4108
.LBB114_200:                            ;   in Loop: Header=BB114_21 Depth=1
	s_or_b32 exec_lo, exec_lo, s7
	s_waitcnt lgkmcnt(0)
	s_barrier
	buffer_gl0_inv
.LBB114_201:                            ;   in Loop: Header=BB114_21 Depth=1
	s_lshl_b64 s[12:13], 2, s22
	s_and_b64 s[10:11], s[52:53], s[10:11]
	s_or_b64 s[14:15], s[54:55], s[8:9]
	s_or_b64 s[12:13], s[10:11], s[12:13]
	s_mov_b32 s87, 0
	s_mov_b32 s7, 8
.LBB114_202:                            ;   in Loop: Header=BB114_21 Depth=1
	s_and_not1_b32 vcc_lo, exec_lo, s87
	s_cbranch_vccnz .LBB114_204
; %bb.203:                              ;   in Loop: Header=BB114_21 Depth=1
	s_sub_i32 s86, s86, s19
	s_mov_b32 s87, -1
	s_mov_b32 s7, 0
	s_mov_b64 s[12:13], s[52:53]
	s_mov_b64 s[14:15], s[54:55]
.LBB114_204:                            ;   in Loop: Header=BB114_21 Depth=1
	s_delay_alu instid0(SALU_CYCLE_1)
	s_mov_b64 s[54:55], s[14:15]
	s_mov_b64 s[52:53], s[12:13]
	s_mov_b32 s12, s86
	s_and_not1_b32 vcc_lo, exec_lo, s87
	s_mov_b32 s11, -1
	s_cbranch_vccz .LBB114_207
.LBB114_205:                            ;   in Loop: Header=BB114_21 Depth=1
                                        ; implicit-def: $sgpr13
                                        ; implicit-def: $sgpr15
                                        ; implicit-def: $sgpr14
	s_branch .LBB114_248
.LBB114_206:                            ;   in Loop: Header=BB114_21 Depth=1
	s_mov_b32 s7, 1
	s_and_not1_b32 vcc_lo, exec_lo, s87
	s_mov_b32 s11, -1
	s_cbranch_vccnz .LBB114_205
.LBB114_207:                            ;   in Loop: Header=BB114_21 Depth=1
	s_cmp_eq_u32 s16, 1
	s_mov_b32 s19, -1
	s_cselect_b32 s7, -1, 0
	s_cmp_eq_u32 s12, 1
	s_cselect_b32 s10, -1, 0
	s_delay_alu instid0(SALU_CYCLE_1) | instskip(NEXT) | instid1(SALU_CYCLE_1)
	s_and_b32 s10, s7, s10
	s_and_b32 vcc_lo, exec_lo, s10
	s_cbranch_vccz .LBB114_219
; %bb.208:                              ;   in Loop: Header=BB114_21 Depth=1
	ds_load_b32 v1, v13 offset:4104
	s_waitcnt lgkmcnt(0)
	s_barrier
	buffer_gl0_inv
	v_readfirstlane_b32 s11, v1
	s_and_saveexec_b32 s7, s2
	s_cbranch_execz .LBB114_210
; %bb.209:                              ;   in Loop: Header=BB114_21 Depth=1
	v_mov_b32_e32 v12, v13
	ds_store_b64 v26, v[12:13]
.LBB114_210:                            ;   in Loop: Header=BB114_21 Depth=1
	s_or_b32 exec_lo, exec_lo, s7
	s_or_b64 s[52:53], s[52:53], s[8:9]
	s_or_b64 s[54:55], s[54:55], s[8:9]
	s_cmp_eq_u32 s11, 0
	s_waitcnt lgkmcnt(0)
	s_barrier
	buffer_gl0_inv
	s_cbranch_scc1 .LBB114_220
; %bb.211:                              ;   in Loop: Header=BB114_21 Depth=1
	s_add_i32 s7, s11, s62
	s_mov_b32 s19, 0
	s_mul_hi_u32 s13, s7, s71
                                        ; implicit-def: $vgpr5_vgpr6
	s_delay_alu instid0(SALU_CYCLE_1) | instskip(NEXT) | instid1(SALU_CYCLE_1)
	s_mul_i32 s13, s13, s31
	s_sub_i32 s13, s7, s13
	s_delay_alu instid0(SALU_CYCLE_1) | instskip(SKIP_2) | instid1(SALU_CYCLE_1)
	s_sub_i32 s14, s13, s31
	s_cmp_ge_u32 s13, s31
	s_cselect_b32 s13, s14, s13
	s_sub_i32 s14, s13, s31
	s_cmp_ge_u32 s13, s31
	s_cselect_b32 s13, s14, s13
	s_delay_alu instid0(SALU_CYCLE_1)
	s_sub_i32 s14, s7, s13
	s_mov_b32 s13, exec_lo
	v_cmpx_gt_u32_e64 s14, v0
	s_cbranch_execz .LBB114_222
; %bb.212:                              ;   in Loop: Header=BB114_21 Depth=1
	v_dual_mov_b32 v7, v25 :: v_dual_mov_b32 v8, v0
                                        ; implicit-def: $sgpr15
	s_set_inst_prefetch_distance 0x1
	s_branch .LBB114_214
	.p2align	6
.LBB114_213:                            ;   in Loop: Header=BB114_214 Depth=2
	s_or_b32 exec_lo, exec_lo, s7
	s_waitcnt lgkmcnt(0)
	s_barrier
	buffer_gl0_inv
	ds_load_b128 v[3:6], v13 offset:3072
	v_add_nc_u32_e32 v8, s31, v8
	v_add_nc_u32_e32 v7, s75, v7
	s_waitcnt lgkmcnt(0)
	s_barrier
	buffer_gl0_inv
	v_cmp_le_u32_e64 s7, s14, v8
	v_cmp_neq_f64_e32 vcc_lo, 0, v[3:4]
	s_delay_alu instid0(VALU_DEP_2) | instskip(NEXT) | instid1(SALU_CYCLE_1)
	s_or_b32 s7, s7, vcc_lo
	s_and_b32 s7, exec_lo, s7
	s_delay_alu instid0(SALU_CYCLE_1) | instskip(SKIP_2) | instid1(SALU_CYCLE_1)
	s_or_b32 s19, s7, s19
	s_and_not1_b32 s7, s15, exec_lo
	s_and_b32 s15, vcc_lo, exec_lo
	s_or_b32 s15, s7, s15
	s_and_not1_b32 exec_lo, exec_lo, s19
	s_cbranch_execz .LBB114_221
.LBB114_214:                            ;   Parent Loop BB114_21 Depth=1
                                        ; =>  This Inner Loop Header: Depth=2
	v_mov_b32_e32 v3, 0
	v_mov_b32_e32 v4, 0
	v_cmp_gt_u32_e32 vcc_lo, s11, v8
	s_and_saveexec_b32 s7, vcc_lo
	s_cbranch_execz .LBB114_216
; %bb.215:                              ;   in Loop: Header=BB114_214 Depth=2
	ds_load_b64 v[3:4], v7
.LBB114_216:                            ;   in Loop: Header=BB114_214 Depth=2
	s_or_b32 exec_lo, exec_lo, s7
	s_and_saveexec_b32 s7, vcc_lo
	s_cbranch_execz .LBB114_213
; %bb.217:                              ;   in Loop: Header=BB114_214 Depth=2
	s_waitcnt lgkmcnt(0)
	v_cmp_o_f64_e32 vcc_lo, v[3:4], v[3:4]
	v_ashrrev_i32_e32 v1, 31, v4
	s_delay_alu instid0(VALU_DEP_1) | instskip(SKIP_1) | instid1(VALU_DEP_2)
	v_or_b32_e32 v5, 0x80000000, v1
	v_xor_b32_e32 v1, v1, v3
	v_xor_b32_e32 v5, v5, v4
	s_delay_alu instid0(VALU_DEP_1) | instskip(NEXT) | instid1(VALU_DEP_3)
	v_cndmask_b32_e32 v5, -1, v5, vcc_lo
	v_cndmask_b32_e32 v1, -1, v1, vcc_lo
	s_delay_alu instid0(VALU_DEP_2) | instskip(NEXT) | instid1(VALU_DEP_2)
	v_and_b32_e32 v6, s55, v5
	v_and_b32_e32 v5, s54, v1
	s_delay_alu instid0(VALU_DEP_1)
	v_cmp_eq_u64_e32 vcc_lo, s[52:53], v[5:6]
	s_and_b32 exec_lo, exec_lo, vcc_lo
	s_cbranch_execz .LBB114_213
; %bb.218:                              ;   in Loop: Header=BB114_214 Depth=2
	v_mov_b32_e32 v1, v13
	ds_store_b128 v13, v[1:4] offset:3072
	s_branch .LBB114_213
.LBB114_219:                            ;   in Loop: Header=BB114_21 Depth=1
                                        ; implicit-def: $sgpr13
                                        ; implicit-def: $sgpr15
                                        ; implicit-def: $sgpr14
	s_branch .LBB114_233
.LBB114_220:                            ;   in Loop: Header=BB114_21 Depth=1
	s_mov_b32 s13, -1
	s_mov_b32 s19, 0
                                        ; implicit-def: $sgpr14
                                        ; implicit-def: $vgpr5_vgpr6
	s_mov_b32 s15, s13
	s_cbranch_execnz .LBB114_223
	s_branch .LBB114_233
.LBB114_221:                            ;   in Loop: Header=BB114_21 Depth=1
	s_set_inst_prefetch_distance 0x2
	s_or_b32 exec_lo, exec_lo, s19
	s_delay_alu instid0(SALU_CYCLE_1)
	s_and_b32 s19, s15, exec_lo
.LBB114_222:                            ;   in Loop: Header=BB114_21 Depth=1
	s_or_b32 exec_lo, exec_lo, s13
	s_mov_b32 s14, -1
	s_mov_b32 s13, 0
	s_delay_alu instid0(SALU_CYCLE_1)
	s_mov_b32 s15, s13
	s_branch .LBB114_233
.LBB114_223:                            ;   in Loop: Header=BB114_21 Depth=1
	s_mov_b32 s19, 0
                                        ; implicit-def: $vgpr5_vgpr6
	s_and_saveexec_b32 s11, s6
	s_cbranch_execz .LBB114_232
; %bb.224:                              ;   in Loop: Header=BB114_21 Depth=1
	v_dual_mov_b32 v12, v11 :: v_dual_mov_b32 v7, v0
	s_mov_b32 s14, 0
                                        ; implicit-def: $sgpr13
	s_branch .LBB114_226
.LBB114_225:                            ;   in Loop: Header=BB114_226 Depth=2
	s_or_b32 exec_lo, exec_lo, s7
	s_waitcnt vmcnt(0) lgkmcnt(0)
	s_barrier
	buffer_gl0_inv
	ds_load_b128 v[3:6], v13 offset:3072
	v_add_nc_u32_e32 v7, s31, v7
	v_add_nc_u32_e32 v12, s59, v12
	s_waitcnt lgkmcnt(0)
	s_barrier
	buffer_gl0_inv
	v_cmp_le_u32_e64 s7, s73, v7
	v_cmp_neq_f64_e32 vcc_lo, 0, v[3:4]
	s_delay_alu instid0(VALU_DEP_2) | instskip(NEXT) | instid1(SALU_CYCLE_1)
	s_or_b32 s7, s7, vcc_lo
	s_and_b32 s7, exec_lo, s7
	s_delay_alu instid0(SALU_CYCLE_1) | instskip(SKIP_2) | instid1(SALU_CYCLE_1)
	s_or_b32 s14, s7, s14
	s_and_not1_b32 s7, s13, exec_lo
	s_and_b32 s13, vcc_lo, exec_lo
	s_or_b32 s13, s7, s13
	s_and_not1_b32 exec_lo, exec_lo, s14
	s_cbranch_execz .LBB114_231
.LBB114_226:                            ;   Parent Loop BB114_21 Depth=1
                                        ; =>  This Inner Loop Header: Depth=2
	v_mov_b32_e32 v3, 0
	v_mov_b32_e32 v4, 0
	v_cmp_gt_u32_e32 vcc_lo, s28, v7
	s_and_saveexec_b32 s15, vcc_lo
	s_cbranch_execz .LBB114_228
; %bb.227:                              ;   in Loop: Header=BB114_226 Depth=2
	v_lshlrev_b64 v[3:4], 3, v[12:13]
	s_delay_alu instid0(VALU_DEP_1) | instskip(NEXT) | instid1(VALU_DEP_1)
	v_add_co_u32 v3, s7, s39, v3
	v_add_co_ci_u32_e64 v4, s7, s43, v4, s7
	global_load_b64 v[3:4], v[3:4], off
.LBB114_228:                            ;   in Loop: Header=BB114_226 Depth=2
	s_or_b32 exec_lo, exec_lo, s15
	s_and_saveexec_b32 s7, vcc_lo
	s_cbranch_execz .LBB114_225
; %bb.229:                              ;   in Loop: Header=BB114_226 Depth=2
	s_waitcnt vmcnt(0)
	v_cmp_o_f64_e32 vcc_lo, v[3:4], v[3:4]
	v_ashrrev_i32_e32 v1, 31, v4
	s_delay_alu instid0(VALU_DEP_1) | instskip(SKIP_1) | instid1(VALU_DEP_2)
	v_or_b32_e32 v5, 0x80000000, v1
	v_xor_b32_e32 v1, v1, v3
	v_xor_b32_e32 v5, v5, v4
	s_delay_alu instid0(VALU_DEP_1) | instskip(NEXT) | instid1(VALU_DEP_3)
	v_cndmask_b32_e32 v5, -1, v5, vcc_lo
	v_cndmask_b32_e32 v1, -1, v1, vcc_lo
	s_delay_alu instid0(VALU_DEP_2) | instskip(NEXT) | instid1(VALU_DEP_2)
	v_and_b32_e32 v6, s55, v5
	v_and_b32_e32 v5, s54, v1
	s_delay_alu instid0(VALU_DEP_1)
	v_cmp_eq_u64_e32 vcc_lo, s[52:53], v[5:6]
	s_and_b32 exec_lo, exec_lo, vcc_lo
	s_cbranch_execz .LBB114_225
; %bb.230:                              ;   in Loop: Header=BB114_226 Depth=2
	v_mov_b32_e32 v1, v13
	ds_store_b128 v13, v[1:4] offset:3072
	s_branch .LBB114_225
.LBB114_231:                            ;   in Loop: Header=BB114_21 Depth=1
	s_or_b32 exec_lo, exec_lo, s14
	s_delay_alu instid0(SALU_CYCLE_1)
	s_and_b32 s19, s13, exec_lo
.LBB114_232:                            ;   in Loop: Header=BB114_21 Depth=1
	s_or_b32 exec_lo, exec_lo, s11
	s_mov_b32 s15, -1
	s_mov_b32 s13, 0
	s_mov_b32 s14, 0
.LBB114_233:                            ;   in Loop: Header=BB114_21 Depth=1
	s_mov_b32 s11, 0
                                        ; implicit-def: $sgpr7
	s_and_saveexec_b32 s22, s19
	s_cbranch_execz .LBB114_247
; %bb.234:                              ;   in Loop: Header=BB114_21 Depth=1
	s_xor_b32 s7, s10, -1
	s_delay_alu instid0(SALU_CYCLE_1)
	s_and_not1_b32 vcc_lo, exec_lo, s7
	s_mov_b32 s7, 1
	s_cbranch_vccnz .LBB114_241
; %bb.235:                              ;   in Loop: Header=BB114_21 Depth=1
	s_cmp_gt_u32 s12, s16
	s_cbranch_scc1 .LBB114_242
; %bb.236:                              ;   in Loop: Header=BB114_21 Depth=1
	ds_load_b32 v1, v13 offset:4104
	s_waitcnt lgkmcnt(0)
	v_cmp_ne_u32_e32 vcc_lo, 0, v1
	s_cbranch_vccnz .LBB114_240
; %bb.237:                              ;   in Loop: Header=BB114_21 Depth=1
	s_and_saveexec_b32 s7, s1
	s_cbranch_execz .LBB114_239
; %bb.238:                              ;   in Loop: Header=BB114_21 Depth=1
	v_mov_b32_e32 v1, s16
	ds_store_b32 v13, v1 offset:4108
.LBB114_239:                            ;   in Loop: Header=BB114_21 Depth=1
	s_or_b32 exec_lo, exec_lo, s7
	s_waitcnt lgkmcnt(0)
	s_barrier
	buffer_gl0_inv
.LBB114_240:                            ;   in Loop: Header=BB114_21 Depth=1
	s_or_b64 s[10:11], s[52:53], s[8:9]
	s_or_b64 s[8:9], s[54:55], s[8:9]
	s_mov_b32 s19, 0
	s_mov_b32 s7, 8
	s_branch .LBB114_243
.LBB114_241:                            ;   in Loop: Header=BB114_21 Depth=1
	s_mov_b32 s12, 1
	s_branch .LBB114_246
.LBB114_242:                            ;   in Loop: Header=BB114_21 Depth=1
	s_mov_b32 s19, -1
                                        ; implicit-def: $sgpr7
                                        ; implicit-def: $sgpr10_sgpr11
                                        ; implicit-def: $sgpr8_sgpr9
.LBB114_243:                            ;   in Loop: Header=BB114_21 Depth=1
	s_delay_alu instid0(SALU_CYCLE_1)
	s_and_not1_b32 vcc_lo, exec_lo, s19
	s_cbranch_vccnz .LBB114_245
; %bb.244:                              ;   in Loop: Header=BB114_21 Depth=1
	s_sub_i32 s12, s12, s16
	s_mov_b32 s7, 8
	s_mov_b64 s[10:11], s[52:53]
	s_mov_b64 s[8:9], s[54:55]
.LBB114_245:                            ;   in Loop: Header=BB114_21 Depth=1
	s_mov_b64 s[52:53], s[10:11]
	s_mov_b64 s[54:55], s[8:9]
.LBB114_246:                            ;   in Loop: Header=BB114_21 Depth=1
	s_mov_b32 s11, exec_lo
.LBB114_247:                            ;   in Loop: Header=BB114_21 Depth=1
	s_or_b32 exec_lo, exec_lo, s22
.LBB114_248:                            ;   in Loop: Header=BB114_21 Depth=1
	s_delay_alu instid0(SALU_CYCLE_1)
	s_and_not1_b32 s8, s25, exec_lo
	s_and_b32 s9, s13, exec_lo
	s_and_not1_b32 s10, s26, exec_lo
	s_or_b32 s25, s8, s9
	s_and_not1_b32 s8, s84, exec_lo
	s_and_b32 s9, s15, exec_lo
	s_and_b32 s13, s14, exec_lo
	s_or_b32 s84, s8, s9
	s_or_b32 s26, s10, s13
	s_and_b32 s13, s11, exec_lo
	s_mov_b32 s86, s12
.LBB114_249:                            ;   in Loop: Header=BB114_21 Depth=1
	s_or_b32 exec_lo, exec_lo, s85
.LBB114_250:                            ;   in Loop: Header=BB114_21 Depth=1
	s_delay_alu instid0(SALU_CYCLE_1)
	s_and_not1_b32 s8, s21, exec_lo
	s_and_b32 s9, s25, exec_lo
	s_and_not1_b32 s10, s20, exec_lo
	s_or_b32 s21, s8, s9
	s_and_not1_b32 s8, s23, exec_lo
	s_and_b32 s9, s84, exec_lo
	s_and_b32 s11, s26, exec_lo
	s_or_b32 s23, s8, s9
	s_or_b32 s20, s10, s11
	s_and_b32 s13, s13, exec_lo
	s_mov_b32 s26, s86
.LBB114_251:                            ;   in Loop: Header=BB114_21 Depth=1
	s_or_b32 exec_lo, exec_lo, s24
                                        ; implicit-def: $sgpr84
	s_and_saveexec_b32 s8, s13
	s_delay_alu instid0(SALU_CYCLE_1)
	s_xor_b32 s8, exec_lo, s8
	s_cbranch_execz .LBB114_19
.LBB114_252:                            ;   in Loop: Header=BB114_21 Depth=1
	s_and_b32 s7, s7, -9
	s_delay_alu instid0(SALU_CYCLE_1)
	s_cmp_eq_u32 s7, 0
	s_cbranch_scc1 .LBB114_17
; %bb.253:                              ;   in Loop: Header=BB114_21 Depth=1
	s_mov_b32 s7, -1
	s_mov_b32 s9, -1
                                        ; implicit-def: $sgpr54_sgpr55
                                        ; implicit-def: $sgpr26
                                        ; implicit-def: $sgpr79
                                        ; implicit-def: $sgpr82
	s_branch .LBB114_18
.LBB114_254:
	s_or_b32 exec_lo, exec_lo, s58
	s_xor_b32 s4, s78, -1
	s_xor_b32 s1, s76, -1
	;; [unrolled: 1-line block ×3, first 2 shown]
	s_mov_b32 s2, 0
	s_and_saveexec_b32 s5, s1
	s_delay_alu instid0(SALU_CYCLE_1)
	s_xor_b32 s1, exec_lo, s5
	s_cbranch_execz .LBB114_268
; %bb.255:
	s_and_saveexec_b32 s2, s4
	s_delay_alu instid0(SALU_CYCLE_1)
	s_xor_b32 s4, exec_lo, s2
	s_cbranch_execz .LBB114_266
; %bb.256:
	s_and_saveexec_b32 s2, s3
	s_delay_alu instid0(SALU_CYCLE_1)
	s_xor_b32 s2, exec_lo, s2
; %bb.257:
	v_lshrrev_b32_e32 v1, 31, v4
	s_delay_alu instid0(VALU_DEP_1) | instskip(NEXT) | instid1(VALU_DEP_1)
	v_add_co_u32 v1, s3, v1, -1
	v_add_co_ci_u32_e64 v2, null, 0, -1, s3
	s_delay_alu instid0(VALU_DEP_2) | instskip(NEXT) | instid1(VALU_DEP_2)
	v_xor_b32_e32 v5, v1, v3
	v_or_b32_e32 v2, 0x80000000, v2
	s_delay_alu instid0(VALU_DEP_1)
	v_xor_b32_e32 v6, v2, v4
; %bb.258:
	s_or_b32 exec_lo, exec_lo, s2
	s_mul_i32 s3, s57, s44
	s_mul_i32 s2, s56, s45
	s_sub_i32 s3, s56, s3
	s_sub_i32 s2, s27, s2
	s_add_i32 s5, s57, 1
	s_sub_i32 s6, s3, s44
	s_cmp_ge_u32 s3, s44
	s_mul_i32 s2, s2, s42
	s_cselect_b32 s5, s5, s57
	s_cselect_b32 s3, s6, s3
	s_add_i32 s6, s5, 1
	s_cmp_ge_u32 s3, s44
	v_mov_b32_e32 v12, 0
	s_cselect_b32 s3, s6, s5
	s_delay_alu instid0(SALU_CYCLE_1) | instskip(SKIP_4) | instid1(SALU_CYCLE_1)
	s_mul_i32 s5, s3, s44
	s_mul_i32 s6, s3, s40
	s_sub_i32 s5, s56, s5
	s_mov_b32 s3, 0
	s_mul_i32 s5, s5, s41
	s_add_i32 s2, s5, s2
	s_delay_alu instid0(SALU_CYCLE_1) | instskip(NEXT) | instid1(SALU_CYCLE_1)
	s_add_i32 s2, s2, s6
	s_lshl_b64 s[6:7], s[2:3], 3
	s_delay_alu instid0(SALU_CYCLE_1)
	s_add_u32 s6, s48, s6
	s_addc_u32 s7, s49, s7
	global_store_b64 v12, v[5:6], s[6:7]
	s_and_saveexec_b32 s2, s0
	s_cbranch_execz .LBB114_265
; %bb.259:
	v_cmp_u_f64_e32 vcc_lo, v[5:6], v[5:6]
                                        ; implicit-def: $sgpr5
                                        ; implicit-def: $sgpr8
                                        ; implicit-def: $sgpr7
	s_xor_b32 s6, vcc_lo, -1
	s_set_inst_prefetch_distance 0x1
	s_branch .LBB114_261
	.p2align	6
.LBB114_260:                            ;   in Loop: Header=BB114_261 Depth=1
	s_or_b32 exec_lo, exec_lo, s0
	s_delay_alu instid0(SALU_CYCLE_1) | instskip(NEXT) | instid1(SALU_CYCLE_1)
	s_and_b32 s0, exec_lo, s8
	s_or_b32 s3, s0, s3
	s_and_not1_b32 s0, s5, exec_lo
	s_and_b32 s5, s7, exec_lo
	s_delay_alu instid0(SALU_CYCLE_1)
	s_or_b32 s5, s0, s5
	s_and_not1_b32 exec_lo, exec_lo, s3
	s_cbranch_execz .LBB114_263
.LBB114_261:                            ; =>This Inner Loop Header: Depth=1
	v_lshlrev_b64 v[1:2], 3, v[11:12]
	s_or_b32 s7, s7, exec_lo
	s_or_b32 s8, s8, exec_lo
	s_delay_alu instid0(VALU_DEP_1) | instskip(NEXT) | instid1(VALU_DEP_2)
	v_add_co_u32 v1, vcc_lo, s39, v1
	v_add_co_ci_u32_e32 v2, vcc_lo, s43, v2, vcc_lo
	global_load_b64 v[1:2], v[1:2], off
	s_waitcnt vmcnt(0)
	v_cmp_o_f64_e32 vcc_lo, v[1:2], v[1:2]
	v_cmp_neq_f64_e64 s0, v[1:2], v[5:6]
	v_mov_b32_e32 v1, v0
                                        ; implicit-def: $vgpr0
	s_or_b32 s9, vcc_lo, s6
	s_delay_alu instid0(VALU_DEP_2) | instid1(SALU_CYCLE_1)
	s_and_b32 s9, s0, s9
	s_delay_alu instid0(SALU_CYCLE_1)
	s_and_saveexec_b32 s0, s9
	s_cbranch_execz .LBB114_260
; %bb.262:                              ;   in Loop: Header=BB114_261 Depth=1
	v_add_nc_u32_e32 v0, s31, v1
	s_and_not1_b32 s8, s8, exec_lo
	v_add_nc_u32_e32 v11, s59, v11
	s_and_not1_b32 s7, s7, exec_lo
	s_delay_alu instid0(VALU_DEP_2) | instskip(SKIP_1) | instid1(SALU_CYCLE_1)
	v_cmp_le_u32_e32 vcc_lo, s28, v0
	s_and_b32 s9, vcc_lo, exec_lo
	s_or_b32 s8, s8, s9
	s_branch .LBB114_260
.LBB114_263:
	s_set_inst_prefetch_distance 0x2
	s_or_b32 exec_lo, exec_lo, s3
	s_and_saveexec_b32 s0, s5
	s_delay_alu instid0(SALU_CYCLE_1)
	s_xor_b32 s0, exec_lo, s0
	s_cbranch_execz .LBB114_265
; %bb.264:
	s_mul_i32 s3, s33, s34
	s_mul_i32 s0, s29, s35
	s_sub_i32 s3, s29, s3
	s_sub_i32 s0, s27, s0
	s_add_i32 s5, s33, 1
	s_sub_i32 s6, s3, s34
	s_cmp_ge_u32 s3, s34
	s_mul_i32 s0, s0, s38
	s_cselect_b32 s5, s5, s33
	s_cselect_b32 s3, s6, s3
	s_add_i32 s6, s5, 1
	s_cmp_ge_u32 s3, s34
	s_mov_b32 s7, 0
	s_cselect_b32 s3, s6, s5
	v_mov_b32_e32 v2, 0
	s_mul_i32 s5, s3, s34
	s_mul_i32 s3, s3, s36
	s_sub_i32 s5, s29, s5
	s_delay_alu instid0(SALU_CYCLE_1) | instskip(NEXT) | instid1(SALU_CYCLE_1)
	s_mul_i32 s5, s5, s37
	s_add_i32 s0, s5, s0
	s_delay_alu instid0(SALU_CYCLE_1) | instskip(NEXT) | instid1(SALU_CYCLE_1)
	s_add_i32 s6, s0, s3
	s_lshl_b64 s[6:7], s[6:7], 3
	s_delay_alu instid0(SALU_CYCLE_1)
	s_add_u32 s6, s46, s6
	s_addc_u32 s7, s47, s7
	global_store_b64 v2, v[1:2], s[6:7]
.LBB114_265:
	s_or_b32 exec_lo, exec_lo, s2
.LBB114_266:
	s_or_saveexec_b32 s0, s4
	s_mov_b32 s2, 0
	s_xor_b32 exec_lo, exec_lo, s0
	s_cbranch_execnz .LBB114_274
.LBB114_267:
	s_or_b32 exec_lo, exec_lo, s0
	s_delay_alu instid0(SALU_CYCLE_1)
	s_and_b32 s2, s2, exec_lo
.LBB114_268:
	s_and_not1_saveexec_b32 s0, s1
	s_cbranch_execnz .LBB114_272
; %bb.269:
	s_or_b32 exec_lo, exec_lo, s0
	s_and_saveexec_b32 s0, s2
.LBB114_270:
	; divergent unreachable
.LBB114_271:
	s_nop 0
	s_sendmsg sendmsg(MSG_DEALLOC_VGPRS)
	s_endpgm
.LBB114_272:
	s_cbranch_execnz .LBB114_276
; %bb.273:
	s_or_b32 s2, s2, exec_lo
	s_or_b32 exec_lo, exec_lo, s0
	s_and_saveexec_b32 s0, s2
	s_cbranch_execnz .LBB114_270
	s_branch .LBB114_271
.LBB114_274:
	s_cbranch_execnz .LBB114_278
; %bb.275:
	s_mov_b32 s2, exec_lo
	s_branch .LBB114_267
.LBB114_276:
	s_trap 2
	s_sendmsg_rtn_b32 s0, sendmsg(MSG_RTN_GET_DOORBELL)
	s_mov_b32 ttmp2, m0
	s_waitcnt lgkmcnt(0)
	s_and_b32 s0, s0, 0x3ff
	s_delay_alu instid0(SALU_CYCLE_1) | instskip(NEXT) | instid1(SALU_CYCLE_1)
	s_bitset1_b32 s0, 10
	s_mov_b32 m0, s0
	s_sendmsg sendmsg(MSG_INTERRUPT)
	s_mov_b32 m0, ttmp2
.LBB114_277:                            ; =>This Inner Loop Header: Depth=1
	s_sethalt 5
	s_branch .LBB114_277
.LBB114_278:
	s_trap 2
	s_sendmsg_rtn_b32 s0, sendmsg(MSG_RTN_GET_DOORBELL)
	s_mov_b32 ttmp2, m0
	s_waitcnt lgkmcnt(0)
	s_and_b32 s0, s0, 0x3ff
	s_delay_alu instid0(SALU_CYCLE_1) | instskip(NEXT) | instid1(SALU_CYCLE_1)
	s_bitset1_b32 s0, 10
	s_mov_b32 m0, s0
	s_sendmsg sendmsg(MSG_INTERRUPT)
	s_mov_b32 m0, ttmp2
.LBB114_279:                            ; =>This Inner Loop Header: Depth=1
	s_sethalt 5
	s_branch .LBB114_279
	.section	.rodata,"a",@progbits
	.p2align	6, 0x0
	.amdhsa_kernel _ZN2at6native12_GLOBAL__N_112gatherMedianIdjLi3EEEvNS_4cuda6detail10TensorInfoIT_T0_EENS5_IlS7_EENS5_IKS6_S7_EES7_S7_S7_b
		.amdhsa_group_segment_fixed_size 4120
		.amdhsa_private_segment_fixed_size 0
		.amdhsa_kernarg_size 920
		.amdhsa_user_sgpr_count 13
		.amdhsa_user_sgpr_dispatch_ptr 0
		.amdhsa_user_sgpr_queue_ptr 0
		.amdhsa_user_sgpr_kernarg_segment_ptr 1
		.amdhsa_user_sgpr_dispatch_id 0
		.amdhsa_user_sgpr_private_segment_size 0
		.amdhsa_wavefront_size32 1
		.amdhsa_uses_dynamic_stack 0
		.amdhsa_enable_private_segment 0
		.amdhsa_system_sgpr_workgroup_id_x 1
		.amdhsa_system_sgpr_workgroup_id_y 1
		.amdhsa_system_sgpr_workgroup_id_z 1
		.amdhsa_system_sgpr_workgroup_info 0
		.amdhsa_system_vgpr_workitem_id 0
		.amdhsa_next_free_vgpr 50
		.amdhsa_next_free_sgpr 94
		.amdhsa_reserve_vcc 1
		.amdhsa_float_round_mode_32 0
		.amdhsa_float_round_mode_16_64 0
		.amdhsa_float_denorm_mode_32 3
		.amdhsa_float_denorm_mode_16_64 3
		.amdhsa_dx10_clamp 1
		.amdhsa_ieee_mode 1
		.amdhsa_fp16_overflow 0
		.amdhsa_workgroup_processor_mode 1
		.amdhsa_memory_ordered 1
		.amdhsa_forward_progress 0
		.amdhsa_shared_vgpr_count 0
		.amdhsa_exception_fp_ieee_invalid_op 0
		.amdhsa_exception_fp_denorm_src 0
		.amdhsa_exception_fp_ieee_div_zero 0
		.amdhsa_exception_fp_ieee_overflow 0
		.amdhsa_exception_fp_ieee_underflow 0
		.amdhsa_exception_fp_ieee_inexact 0
		.amdhsa_exception_int_div_zero 0
	.end_amdhsa_kernel
	.section	.text._ZN2at6native12_GLOBAL__N_112gatherMedianIdjLi3EEEvNS_4cuda6detail10TensorInfoIT_T0_EENS5_IlS7_EENS5_IKS6_S7_EES7_S7_S7_b,"axG",@progbits,_ZN2at6native12_GLOBAL__N_112gatherMedianIdjLi3EEEvNS_4cuda6detail10TensorInfoIT_T0_EENS5_IlS7_EENS5_IKS6_S7_EES7_S7_S7_b,comdat
.Lfunc_end114:
	.size	_ZN2at6native12_GLOBAL__N_112gatherMedianIdjLi3EEEvNS_4cuda6detail10TensorInfoIT_T0_EENS5_IlS7_EENS5_IKS6_S7_EES7_S7_S7_b, .Lfunc_end114-_ZN2at6native12_GLOBAL__N_112gatherMedianIdjLi3EEEvNS_4cuda6detail10TensorInfoIT_T0_EENS5_IlS7_EENS5_IKS6_S7_EES7_S7_S7_b
                                        ; -- End function
	.section	.AMDGPU.csdata,"",@progbits
; Kernel info:
; codeLenInByte = 11352
; NumSgprs: 96
; NumVgprs: 50
; ScratchSize: 0
; MemoryBound: 0
; FloatMode: 240
; IeeeMode: 1
; LDSByteSize: 4120 bytes/workgroup (compile time only)
; SGPRBlocks: 11
; VGPRBlocks: 6
; NumSGPRsForWavesPerEU: 96
; NumVGPRsForWavesPerEU: 50
; Occupancy: 16
; WaveLimiterHint : 1
; COMPUTE_PGM_RSRC2:SCRATCH_EN: 0
; COMPUTE_PGM_RSRC2:USER_SGPR: 13
; COMPUTE_PGM_RSRC2:TRAP_HANDLER: 0
; COMPUTE_PGM_RSRC2:TGID_X_EN: 1
; COMPUTE_PGM_RSRC2:TGID_Y_EN: 1
; COMPUTE_PGM_RSRC2:TGID_Z_EN: 1
; COMPUTE_PGM_RSRC2:TIDIG_COMP_CNT: 0
	.section	.text._ZN2at6native12_GLOBAL__N_112gatherMedianIdjLin1EEEvNS_4cuda6detail10TensorInfoIT_T0_EENS5_IlS7_EENS5_IKS6_S7_EES7_S7_S7_b,"axG",@progbits,_ZN2at6native12_GLOBAL__N_112gatherMedianIdjLin1EEEvNS_4cuda6detail10TensorInfoIT_T0_EENS5_IlS7_EENS5_IKS6_S7_EES7_S7_S7_b,comdat
	.globl	_ZN2at6native12_GLOBAL__N_112gatherMedianIdjLin1EEEvNS_4cuda6detail10TensorInfoIT_T0_EENS5_IlS7_EENS5_IKS6_S7_EES7_S7_S7_b ; -- Begin function _ZN2at6native12_GLOBAL__N_112gatherMedianIdjLin1EEEvNS_4cuda6detail10TensorInfoIT_T0_EENS5_IlS7_EENS5_IKS6_S7_EES7_S7_S7_b
	.p2align	8
	.type	_ZN2at6native12_GLOBAL__N_112gatherMedianIdjLin1EEEvNS_4cuda6detail10TensorInfoIT_T0_EENS5_IlS7_EENS5_IKS6_S7_EES7_S7_S7_b,@function
_ZN2at6native12_GLOBAL__N_112gatherMedianIdjLin1EEEvNS_4cuda6detail10TensorInfoIT_T0_EENS5_IlS7_EENS5_IKS6_S7_EES7_S7_S7_b: ; @_ZN2at6native12_GLOBAL__N_112gatherMedianIdjLin1EEEvNS_4cuda6detail10TensorInfoIT_T0_EENS5_IlS7_EENS5_IKS6_S7_EES7_S7_S7_b
; %bb.0:
	s_clause 0x1
	s_load_b64 s[6:7], s[0:1], 0x298
	s_load_b128 s[28:31], s[0:1], 0x288
	s_add_u32 s4, s0, 0x298
	s_addc_u32 s5, s1, 0
	s_waitcnt lgkmcnt(0)
	s_mul_i32 s2, s7, s15
	s_delay_alu instid0(SALU_CYCLE_1) | instskip(NEXT) | instid1(SALU_CYCLE_1)
	s_add_i32 s2, s2, s14
	s_mul_i32 s2, s2, s6
	s_delay_alu instid0(SALU_CYCLE_1) | instskip(NEXT) | instid1(SALU_CYCLE_1)
	s_add_i32 s7, s2, s13
	s_cmp_ge_u32 s7, s29
	s_cbranch_scc1 .LBB115_280
; %bb.1:
	s_load_b32 s2, s[0:1], 0xd0
	s_mov_b32 s27, 0
	s_mov_b32 s29, s7
	s_waitcnt lgkmcnt(0)
	s_cmp_lt_i32 s2, 2
	s_cbranch_scc1 .LBB115_4
; %bb.2:
	s_add_i32 s26, s2, -1
	s_add_i32 s8, s2, 1
	s_lshl_b64 s[10:11], s[26:27], 2
	s_mov_b32 s29, s7
	s_add_u32 s2, s10, s0
	s_addc_u32 s3, s11, s1
	s_add_u32 s2, s2, 8
	s_addc_u32 s3, s3, 0
	s_set_inst_prefetch_distance 0x1
	.p2align	6
.LBB115_3:                              ; =>This Inner Loop Header: Depth=1
	s_clause 0x1
	s_load_b32 s9, s[2:3], 0x0
	s_load_b32 s10, s[2:3], 0x64
	s_mov_b32 s14, s29
	s_waitcnt lgkmcnt(0)
	v_cvt_f32_u32_e32 v1, s9
	s_sub_i32 s12, 0, s9
	s_waitcnt_depctr 0xfff
	v_rcp_iflag_f32_e32 v1, v1
	s_waitcnt_depctr 0xfff
	v_mul_f32_e32 v1, 0x4f7ffffe, v1
	s_delay_alu instid0(VALU_DEP_1) | instskip(NEXT) | instid1(VALU_DEP_1)
	v_cvt_u32_f32_e32 v1, v1
	v_readfirstlane_b32 s11, v1
	s_delay_alu instid0(VALU_DEP_1) | instskip(NEXT) | instid1(SALU_CYCLE_1)
	s_mul_i32 s12, s12, s11
	s_mul_hi_u32 s12, s11, s12
	s_delay_alu instid0(SALU_CYCLE_1) | instskip(NEXT) | instid1(SALU_CYCLE_1)
	s_add_i32 s11, s11, s12
	s_mul_hi_u32 s11, s29, s11
	s_delay_alu instid0(SALU_CYCLE_1) | instskip(SKIP_2) | instid1(SALU_CYCLE_1)
	s_mul_i32 s12, s11, s9
	s_add_i32 s15, s11, 1
	s_sub_i32 s12, s29, s12
	s_sub_i32 s16, s12, s9
	s_cmp_ge_u32 s12, s9
	s_cselect_b32 s11, s15, s11
	s_cselect_b32 s12, s16, s12
	s_add_i32 s15, s11, 1
	s_cmp_ge_u32 s12, s9
	s_cselect_b32 s29, s15, s11
	s_add_i32 s8, s8, -1
	s_mul_i32 s9, s29, s9
	s_delay_alu instid0(SALU_CYCLE_1) | instskip(NEXT) | instid1(SALU_CYCLE_1)
	s_sub_i32 s9, s14, s9
	s_mul_i32 s9, s10, s9
	s_delay_alu instid0(SALU_CYCLE_1)
	s_add_i32 s27, s9, s27
	s_add_u32 s2, s2, -4
	s_addc_u32 s3, s3, -1
	s_cmp_gt_u32 s8, 2
	s_cbranch_scc1 .LBB115_3
.LBB115_4:
	s_set_inst_prefetch_distance 0x2
	s_load_b32 s8, s[0:1], 0x1a8
	s_add_u32 s2, s0, 0xd8
	s_addc_u32 s3, s1, 0
	s_mov_b32 s35, 0
	s_mov_b32 s33, s7
	s_waitcnt lgkmcnt(0)
	s_cmp_lt_i32 s8, 2
	s_cbranch_scc1 .LBB115_7
; %bb.5:
	s_add_i32 s34, s8, -1
	s_add_i32 s10, s8, 1
	s_lshl_b64 s[14:15], s[34:35], 2
	s_mov_b32 s33, s7
	s_add_u32 s8, s14, s2
	s_addc_u32 s9, s15, s3
	s_add_u32 s8, s8, 8
	s_addc_u32 s9, s9, 0
	s_set_inst_prefetch_distance 0x1
	.p2align	6
.LBB115_6:                              ; =>This Inner Loop Header: Depth=1
	s_clause 0x1
	s_load_b32 s11, s[8:9], 0x0
	s_load_b32 s12, s[8:9], 0x64
	s_mov_b32 s16, s33
	s_waitcnt lgkmcnt(0)
	v_cvt_f32_u32_e32 v1, s11
	s_sub_i32 s15, 0, s11
	s_waitcnt_depctr 0xfff
	v_rcp_iflag_f32_e32 v1, v1
	s_waitcnt_depctr 0xfff
	v_mul_f32_e32 v1, 0x4f7ffffe, v1
	s_delay_alu instid0(VALU_DEP_1) | instskip(NEXT) | instid1(VALU_DEP_1)
	v_cvt_u32_f32_e32 v1, v1
	v_readfirstlane_b32 s14, v1
	s_delay_alu instid0(VALU_DEP_1) | instskip(NEXT) | instid1(SALU_CYCLE_1)
	s_mul_i32 s15, s15, s14
	s_mul_hi_u32 s15, s14, s15
	s_delay_alu instid0(SALU_CYCLE_1) | instskip(NEXT) | instid1(SALU_CYCLE_1)
	s_add_i32 s14, s14, s15
	s_mul_hi_u32 s14, s33, s14
	s_delay_alu instid0(SALU_CYCLE_1) | instskip(SKIP_2) | instid1(SALU_CYCLE_1)
	s_mul_i32 s15, s14, s11
	s_add_i32 s17, s14, 1
	s_sub_i32 s15, s33, s15
	s_sub_i32 s18, s15, s11
	s_cmp_ge_u32 s15, s11
	s_cselect_b32 s14, s17, s14
	s_cselect_b32 s15, s18, s15
	s_add_i32 s17, s14, 1
	s_cmp_ge_u32 s15, s11
	s_cselect_b32 s33, s17, s14
	s_add_i32 s10, s10, -1
	s_mul_i32 s11, s33, s11
	s_delay_alu instid0(SALU_CYCLE_1) | instskip(NEXT) | instid1(SALU_CYCLE_1)
	s_sub_i32 s11, s16, s11
	s_mul_i32 s11, s12, s11
	s_delay_alu instid0(SALU_CYCLE_1)
	s_add_i32 s35, s11, s35
	s_add_u32 s8, s8, -4
	s_addc_u32 s9, s9, -1
	s_cmp_gt_u32 s10, 2
	s_cbranch_scc1 .LBB115_6
.LBB115_7:
	s_set_inst_prefetch_distance 0x2
	s_clause 0x1
	s_load_b32 s34, s[0:1], 0x6c
	s_load_b32 s10, s[0:1], 0x280
	s_add_u32 s11, s0, 0x1b0
	s_addc_u32 s12, s1, 0
	s_mov_b32 s9, 0
	s_waitcnt lgkmcnt(0)
	s_cmp_lt_i32 s10, 2
	s_cbranch_scc1 .LBB115_10
; %bb.8:
	s_add_i32 s8, s10, -1
	s_delay_alu instid0(SALU_CYCLE_1)
	s_lshl_b64 s[14:15], s[8:9], 2
	s_add_i32 s8, s10, 1
	s_add_u32 s10, s14, s11
	s_addc_u32 s11, s15, s12
	s_add_u32 s10, s10, 8
	s_addc_u32 s11, s11, 0
	s_set_inst_prefetch_distance 0x1
	.p2align	6
.LBB115_9:                              ; =>This Inner Loop Header: Depth=1
	s_clause 0x1
	s_load_b32 s12, s[10:11], 0x0
	s_load_b32 s14, s[10:11], 0x64
	s_mov_b32 s17, s7
	s_waitcnt lgkmcnt(0)
	v_cvt_f32_u32_e32 v1, s12
	s_sub_i32 s16, 0, s12
	s_waitcnt_depctr 0xfff
	v_rcp_iflag_f32_e32 v1, v1
	s_waitcnt_depctr 0xfff
	v_mul_f32_e32 v1, 0x4f7ffffe, v1
	s_delay_alu instid0(VALU_DEP_1) | instskip(NEXT) | instid1(VALU_DEP_1)
	v_cvt_u32_f32_e32 v1, v1
	v_readfirstlane_b32 s15, v1
	s_delay_alu instid0(VALU_DEP_1) | instskip(NEXT) | instid1(SALU_CYCLE_1)
	s_mul_i32 s16, s16, s15
	s_mul_hi_u32 s16, s15, s16
	s_delay_alu instid0(SALU_CYCLE_1) | instskip(NEXT) | instid1(SALU_CYCLE_1)
	s_add_i32 s15, s15, s16
	s_mul_hi_u32 s7, s7, s15
	s_delay_alu instid0(SALU_CYCLE_1) | instskip(SKIP_2) | instid1(SALU_CYCLE_1)
	s_mul_i32 s15, s7, s12
	s_add_i32 s16, s7, 1
	s_sub_i32 s15, s17, s15
	s_sub_i32 s18, s15, s12
	s_cmp_ge_u32 s15, s12
	s_cselect_b32 s7, s16, s7
	s_cselect_b32 s15, s18, s15
	s_add_i32 s16, s7, 1
	s_cmp_ge_u32 s15, s12
	s_cselect_b32 s7, s16, s7
	s_add_i32 s8, s8, -1
	s_mul_i32 s12, s7, s12
	s_delay_alu instid0(SALU_CYCLE_1) | instskip(NEXT) | instid1(SALU_CYCLE_1)
	s_sub_i32 s12, s17, s12
	s_mul_i32 s12, s14, s12
	s_delay_alu instid0(SALU_CYCLE_1)
	s_add_i32 s9, s12, s9
	s_add_u32 s10, s10, -4
	s_addc_u32 s11, s11, -1
	s_cmp_gt_u32 s8, 2
	s_cbranch_scc1 .LBB115_9
.LBB115_10:
	s_set_inst_prefetch_distance 0x2
	s_clause 0x4
	s_load_b32 s46, s[2:3], 0x6c
	s_load_b32 s2, s[0:1], 0x21c
	s_load_b64 s[10:11], s[0:1], 0x1b0
	s_load_b64 s[38:39], s[0:1], 0x0
	;; [unrolled: 1-line block ×3, first 2 shown]
	v_mul_lo_u32 v11, v0, s30
	s_mov_b32 s3, 0
	v_mov_b32_e32 v3, 0
	s_waitcnt lgkmcnt(0)
	s_mul_i32 s0, s2, s7
	s_delay_alu instid0(SALU_CYCLE_1) | instskip(SKIP_2) | instid1(SALU_CYCLE_1)
	s_add_i32 s2, s0, s9
	v_cmp_gt_u32_e64 s0, s28, v0
	s_lshl_b64 s[8:9], s[2:3], 3
	s_add_u32 s47, s10, s8
	s_addc_u32 s48, s11, s9
	s_delay_alu instid0(VALU_DEP_1)
	s_and_saveexec_b32 s2, s0
	s_cbranch_execz .LBB115_14
; %bb.11:
	s_load_b32 s1, s[4:5], 0xc
	v_mul_lo_u32 v1, v0, s30
	v_dual_mov_b32 v3, 0 :: v_dual_mov_b32 v2, 0
	v_mov_b32_e32 v4, v0
	s_waitcnt lgkmcnt(0)
	s_and_b32 s7, s1, 0xffff
	s_delay_alu instid0(SALU_CYCLE_1)
	s_mul_i32 s8, s30, s7
	.p2align	6
.LBB115_12:                             ; =>This Inner Loop Header: Depth=1
	s_delay_alu instid0(VALU_DEP_3) | instskip(SKIP_2) | instid1(VALU_DEP_3)
	v_lshlrev_b64 v[5:6], 3, v[1:2]
	v_add_nc_u32_e32 v4, s7, v4
	v_add_nc_u32_e32 v1, s8, v1
	v_add_co_u32 v5, vcc_lo, s47, v5
	s_delay_alu instid0(VALU_DEP_4) | instskip(NEXT) | instid1(VALU_DEP_4)
	v_add_co_ci_u32_e32 v6, vcc_lo, s48, v6, vcc_lo
	v_cmp_le_u32_e32 vcc_lo, s28, v4
	global_load_b64 v[5:6], v[5:6], off
	s_or_b32 s3, vcc_lo, s3
	s_waitcnt vmcnt(0)
	v_cmp_u_f64_e64 s1, v[5:6], v[5:6]
	s_delay_alu instid0(VALU_DEP_1)
	v_add_co_ci_u32_e64 v3, s1, 0, v3, s1
	s_and_not1_b32 exec_lo, exec_lo, s3
	s_cbranch_execnz .LBB115_12
; %bb.13:
	s_or_b32 exec_lo, exec_lo, s3
.LBB115_14:
	s_delay_alu instid0(SALU_CYCLE_1) | instskip(SKIP_1) | instid1(VALU_DEP_1)
	s_or_b32 exec_lo, exec_lo, s2
	v_cmp_eq_u32_e64 s1, 0, v0
	s_and_saveexec_b32 s2, s1
	s_cbranch_execz .LBB115_16
; %bb.15:
	v_mov_b32_e32 v1, 0
	s_delay_alu instid0(VALU_DEP_1)
	v_mov_b32_e32 v2, v1
	ds_store_b64 v1, v[1:2] offset:4096
.LBB115_16:
	s_or_b32 exec_lo, exec_lo, s2
	s_delay_alu instid0(SALU_CYCLE_1)
	s_mov_b32 s7, exec_lo
	s_waitcnt lgkmcnt(0)
	s_barrier
	buffer_gl0_inv
	v_cmpx_ne_u32_e32 0, v3
	s_cbranch_execz .LBB115_21
; %bb.17:
	v_mov_b32_e32 v1, 0
	s_mov_b32 s8, exec_lo
	s_mov_b64 s[2:3], 0
.LBB115_18:                             ; =>This Inner Loop Header: Depth=1
	s_ctz_i32_b32 s9, s8
	s_delay_alu instid0(SALU_CYCLE_1) | instskip(SKIP_1) | instid1(VALU_DEP_2)
	v_readlane_b32 s10, v3, s9
	v_readlane_b32 s11, v1, s9
	s_add_u32 s2, s2, s10
	s_delay_alu instid0(VALU_DEP_1) | instskip(SKIP_1) | instid1(SALU_CYCLE_1)
	s_addc_u32 s3, s3, s11
	s_lshl_b32 s9, 1, s9
	s_and_not1_b32 s8, s8, s9
	s_delay_alu instid0(SALU_CYCLE_1)
	s_cmp_lg_u32 s8, 0
	s_cbranch_scc1 .LBB115_18
; %bb.19:
	v_mbcnt_lo_u32_b32 v1, exec_lo, 0
	s_mov_b32 s8, exec_lo
	s_delay_alu instid0(VALU_DEP_1)
	v_cmpx_eq_u32_e32 0, v1
	s_xor_b32 s8, exec_lo, s8
	s_cbranch_execz .LBB115_21
; %bb.20:
	v_mov_b32_e32 v1, s2
	v_dual_mov_b32 v3, 0 :: v_dual_mov_b32 v2, s3
	ds_add_u64 v3, v[1:2] offset:4096
.LBB115_21:
	s_or_b32 exec_lo, exec_lo, s7
	v_mov_b32_e32 v1, 0
	s_waitcnt lgkmcnt(0)
	s_barrier
	buffer_gl0_inv
	s_bitcmp1_b32 s31, 0
	ds_load_b64 v[1:2], v1 offset:4096
	s_cselect_b32 s2, -1, 0
	s_mov_b32 s75, s28
	s_waitcnt lgkmcnt(0)
	v_cmp_gt_i64_e32 vcc_lo, 1, v[1:2]
	s_or_b32 s2, s2, vcc_lo
	s_delay_alu instid0(SALU_CYCLE_1)
	s_and_not1_b32 vcc_lo, exec_lo, s2
	s_cbranch_vccnz .LBB115_23
; %bb.22:
	v_not_b32_e32 v1, v1
	v_not_b32_e32 v2, v2
	s_delay_alu instid0(VALU_DEP_2) | instskip(NEXT) | instid1(VALU_DEP_2)
	v_add_co_u32 v1, vcc_lo, v1, s28
	v_add_co_ci_u32_e32 v2, vcc_lo, 0, v2, vcc_lo
	s_delay_alu instid0(VALU_DEP_1) | instskip(NEXT) | instid1(VALU_DEP_1)
	v_lshrrev_b32_e32 v3, 31, v2
	v_add_co_u32 v1, vcc_lo, v1, v3
	v_add_co_ci_u32_e32 v2, vcc_lo, 0, v2, vcc_lo
	s_delay_alu instid0(VALU_DEP_1) | instskip(NEXT) | instid1(VALU_DEP_1)
	v_alignbit_b32 v1, v2, v1, 1
	v_readfirstlane_b32 s2, v1
	s_delay_alu instid0(VALU_DEP_1)
	s_add_i32 s75, s2, 1
.LBB115_23:
	s_and_saveexec_b32 s2, s1
	s_cbranch_execz .LBB115_25
; %bb.24:
	v_dual_mov_b32 v1, 0 :: v_dual_mov_b32 v2, s28
	ds_store_b32 v1, v1 offset:4112
	ds_store_b64 v1, v[1:2] offset:4104
.LBB115_25:
	s_or_b32 exec_lo, exec_lo, s2
	s_waitcnt lgkmcnt(0)
	s_barrier
	buffer_gl0_inv
	s_load_b32 s7, s[4:5], 0xc
	v_mbcnt_lo_u32_b32 v23, -1, 0
	v_cmp_gt_u32_e32 vcc_lo, 32, v0
	v_lshrrev_b32_e32 v1, 3, v0
	v_dual_mov_b32 v13, 0 :: v_dual_lshlrev_b32 v24, 2, v0
	s_delay_alu instid0(VALU_DEP_4) | instskip(SKIP_1) | instid1(VALU_DEP_4)
	v_cmp_gt_i32_e64 s3, 4, v23
	v_lshlrev_b32_e32 v25, 3, v0
	v_and_b32_e32 v27, 0x7c, v1
	s_delay_alu instid0(VALU_DEP_4)
	v_or_b32_e32 v4, 2, v24
	v_mov_b32_e32 v12, v13
	s_and_b32 s52, vcc_lo, s3
	v_or_b32_e32 v5, 3, v24
	v_add_nc_u32_e32 v26, 0xc00, v25
	v_mul_lo_u32 v30, s30, v4
	v_cmp_gt_u32_e64 s2, 2, v0
	v_cmp_eq_u32_e64 s3, 0, v23
	v_mul_lo_u32 v31, s30, v5
	v_lshlrev_b32_e32 v32, 2, v11
	v_lshlrev_b32_e32 v34, 5, v0
	s_waitcnt lgkmcnt(0)
	s_and_b32 s31, s7, 0xffff
	s_bfe_u32 s7, s7, 0xb0005
	s_lshl_b32 s51, s31, 2
	s_add_i32 s53, s31, -1
	v_cvt_f32_u32_e32 v2, s51
	s_add_i32 s8, s53, s28
	s_cmpk_gt_u32 s28, 0x180
	v_cvt_f32_u32_e32 v3, s31
	s_cselect_b32 s54, -1, 0
	v_rcp_iflag_f32_e32 v2, v2
	s_cmp_gt_u32 s31, 31
	v_mad_u64_u32 v[14:15], null, s30, v24, s[30:31]
	s_cselect_b32 s55, -1, 0
	s_cmp_lt_u32 s13, s6
	v_rcp_iflag_f32_e32 v3, v3
	s_cselect_b32 s6, 12, 18
	v_lshl_or_b32 v35, v23, 2, 0xc00
	s_add_u32 s40, s4, s6
	s_waitcnt_depctr 0xfff
	v_mul_f32_e32 v2, 0x4f7ffffe, v2
	s_addc_u32 s41, s5, 0
	s_add_i32 s4, s7, -1
	s_bfe_u32 s56, s31, 0x30005
	s_cmp_gt_u32 s4, 6
	v_cvt_u32_f32_e32 v2, v2
	s_cselect_b32 s57, -1, 0
	s_and_b32 s58, s7, 0x7f8
	s_cmp_lg_u32 s56, 0
	s_mul_i32 s50, s30, s31
	v_readfirstlane_b32 s4, v2
	s_cselect_b32 s59, -1, 0
	s_sub_i32 s5, 0, s51
	v_lshlrev_b64 v[1:2], v23, -1
	v_mul_f32_e32 v2, 0x4f7ffffe, v3
	s_mul_i32 s5, s5, s4
	s_mov_b32 s49, 0
	s_mul_hi_u32 s5, s4, s5
	s_mov_b64 s[42:43], 0
	s_add_i32 s60, s4, s5
	v_cvt_u32_f32_e32 v6, v2
	s_mul_hi_u32 s4, s28, s60
	v_lshlrev_b64 v[2:3], 3, v[11:12]
	s_mul_i32 s4, s4, s51
	v_not_b32_e32 v28, v1
	s_sub_i32 s4, s28, s4
	v_add3_u32 v1, s31, s28, v0
	s_sub_i32 s5, s4, s51
	s_cmp_ge_u32 s4, s51
	v_add_co_u32 v15, vcc_lo, s47, v2
	s_cselect_b32 s4, s5, s4
	v_readfirstlane_b32 s5, v6
	s_sub_i32 s6, s4, s51
	s_cmp_ge_u32 s4, s51
	v_add_co_ci_u32_e32 v16, vcc_lo, s48, v3, vcc_lo
	s_cselect_b32 s4, s6, s4
	s_sub_i32 s6, 0, s31
	s_sub_i32 s61, s28, s4
	s_mul_i32 s6, s6, s5
	v_add_nc_u32_e32 v29, s61, v0
	s_mul_hi_u32 s6, s5, s6
	v_subrev_nc_u32_e32 v3, s4, v1
	s_add_i32 s62, s5, s6
	v_mov_b32_e32 v5, 0
	s_mul_hi_u32 s5, s8, s62
	v_mul_lo_u32 v12, v29, s30
	s_mul_i32 s5, s5, s31
	v_mul_lo_u32 v33, s30, v3
	s_sub_i32 s5, s8, s5
	v_cmp_gt_u32_e64 s4, s61, v24
	s_sub_i32 s6, s5, s31
	s_cmp_ge_u32 s5, s31
	v_mov_b32_e32 v6, 0
	s_cselect_b32 s6, s6, s5
	v_lshlrev_b64 v[1:2], 3, v[12:13]
	s_sub_i32 s7, s6, s31
	s_cmp_ge_u32 s6, s31
	v_cmp_gt_u32_e64 s5, s28, v29
	s_cselect_b32 s6, s7, s6
	s_lshl_b32 s63, s50, 2
	s_sub_i32 s64, s8, s6
	v_add_co_u32 v17, vcc_lo, s47, v1
	v_add_co_ci_u32_e32 v18, vcc_lo, s48, v2, vcc_lo
	v_cmp_gt_u32_e64 s6, s64, v0
	v_mov_b32_e32 v2, 0x3ff00000
	s_lshl_b32 s65, s31, 5
	s_lshl_b32 s66, s31, 3
	s_mov_b32 s70, 62
	s_mov_b32 s73, 0
	s_mov_b64 s[44:45], 0
                                        ; implicit-def: $sgpr67
                                        ; implicit-def: $sgpr69
                                        ; implicit-def: $sgpr68
                                        ; implicit-def: $sgpr72
                                        ; implicit-def: $sgpr74
                                        ; implicit-def: $sgpr71
	s_branch .LBB115_30
.LBB115_26:                             ;   in Loop: Header=BB115_30 Depth=1
	s_xor_b32 s73, s73, 1
	s_add_i32 s10, s70, -2
	s_cmp_eq_u32 s70, 0
	s_mov_b32 s7, 0
	s_cselect_b32 s9, -1, 0
	s_mov_b32 s70, s10
.LBB115_27:                             ;   in Loop: Header=BB115_30 Depth=1
	s_and_not1_b32 s10, s21, exec_lo
	s_and_b32 s7, s7, exec_lo
	s_and_not1_b32 s23, s23, exec_lo
	s_or_b32 s21, s10, s7
	s_and_not1_b32 s20, s20, exec_lo
	s_or_not1_b32 s18, s9, exec_lo
	s_mov_b32 s75, s26
.LBB115_28:                             ;   in Loop: Header=BB115_30 Depth=1
	s_or_b32 exec_lo, exec_lo, s8
	s_delay_alu instid0(SALU_CYCLE_1)
	s_and_not1_b32 s7, s71, exec_lo
	s_and_b32 s8, s21, exec_lo
	s_and_not1_b32 s9, s72, exec_lo
	s_or_b32 s71, s7, s8
	s_and_not1_b32 s7, s74, exec_lo
	s_and_b32 s8, s23, exec_lo
	s_and_b32 s10, s20, exec_lo
	s_or_b32 s74, s7, s8
	s_or_b32 s72, s9, s10
	s_or_not1_b32 s12, s18, exec_lo
.LBB115_29:                             ;   in Loop: Header=BB115_30 Depth=1
	s_or_b32 exec_lo, exec_lo, s17
	s_delay_alu instid0(SALU_CYCLE_1)
	s_and_b32 s7, exec_lo, s12
	v_dual_mov_b32 v3, s42 :: v_dual_mov_b32 v4, s43
	s_or_b32 s49, s7, s49
	s_and_not1_b32 s7, s68, exec_lo
	s_and_b32 s8, s71, exec_lo
	s_and_not1_b32 s9, s67, exec_lo
	s_or_b32 s68, s7, s8
	s_and_not1_b32 s7, s69, exec_lo
	s_and_b32 s8, s74, exec_lo
	s_and_b32 s10, s72, exec_lo
	s_or_b32 s69, s7, s8
	s_or_b32 s67, s9, s10
	s_and_not1_b32 exec_lo, exec_lo, s49
	s_cbranch_execz .LBB115_263
.LBB115_30:                             ; =>This Loop Header: Depth=1
                                        ;     Child Loop BB115_38 Depth 2
                                        ;     Child Loop BB115_53 Depth 2
	;; [unrolled: 1-line block ×16, first 2 shown]
	ds_load_b64 v[3:4], v13 offset:4104
	s_waitcnt lgkmcnt(0)
	v_readfirstlane_b32 s76, v3
	s_delay_alu instid0(VALU_DEP_1)
	s_cmp_lg_u32 s76, 0
	s_cbranch_scc1 .LBB115_60
; %bb.31:                               ;   in Loop: Header=BB115_30 Depth=1
	s_and_b32 vcc_lo, exec_lo, s54
	s_cbranch_vccz .LBB115_46
; %bb.32:                               ;   in Loop: Header=BB115_30 Depth=1
	v_cmp_gt_u32_e32 vcc_lo, 0x181, v4
	s_mov_b32 s76, 0
	s_mov_b32 s7, 0
	s_cbranch_vccz .LBB115_47
; %bb.33:                               ;   in Loop: Header=BB115_30 Depth=1
	v_mov_b32_e32 v3, 0
	v_mov_b32_e32 v4, 0
	s_and_saveexec_b32 s7, s0
	s_cbranch_execz .LBB115_35
; %bb.34:                               ;   in Loop: Header=BB115_30 Depth=1
	global_load_b64 v[3:4], v[15:16], off
.LBB115_35:                             ;   in Loop: Header=BB115_30 Depth=1
	s_or_b32 exec_lo, exec_lo, s7
	s_and_saveexec_b32 s9, s0
	s_cbranch_execz .LBB115_148
; %bb.36:                               ;   in Loop: Header=BB115_30 Depth=1
	global_load_u16 v1, v13, s[40:41]
	v_mov_b32_e32 v10, v0
	s_mov_b32 s10, 0
	s_waitcnt vmcnt(0)
	v_add_nc_u32_e32 v7, v0, v1
	v_mul_lo_u32 v9, s30, v1
	s_delay_alu instid0(VALU_DEP_2)
	v_mul_lo_u32 v12, s30, v7
	s_branch .LBB115_38
.LBB115_37:                             ;   in Loop: Header=BB115_38 Depth=2
	s_or_b32 exec_lo, exec_lo, s8
	s_waitcnt vmcnt(0)
	v_dual_mov_b32 v3, v7 :: v_dual_add_nc_u32 v12, v12, v9
	v_mov_b32_e32 v4, v8
	s_and_not1_b32 exec_lo, exec_lo, s10
	s_cbranch_execz .LBB115_148
.LBB115_38:                             ;   Parent Loop BB115_30 Depth=1
                                        ; =>  This Inner Loop Header: Depth=2
	v_dual_mov_b32 v7, 0 :: v_dual_add_nc_u32 v10, v10, v1
	v_mov_b32_e32 v8, 0
	s_mov_b32 s8, exec_lo
	s_delay_alu instid0(VALU_DEP_2)
	v_cmp_le_u32_e32 vcc_lo, s28, v10
	v_cmpx_gt_u32_e64 s28, v10
	s_cbranch_execz .LBB115_40
; %bb.39:                               ;   in Loop: Header=BB115_38 Depth=2
	v_lshlrev_b64 v[7:8], 3, v[12:13]
	s_delay_alu instid0(VALU_DEP_1) | instskip(NEXT) | instid1(VALU_DEP_1)
	v_add_co_u32 v7, s7, s47, v7
	v_add_co_ci_u32_e64 v8, s7, s48, v8, s7
	global_load_b64 v[7:8], v[7:8], off
.LBB115_40:                             ;   in Loop: Header=BB115_38 Depth=2
	s_or_b32 exec_lo, exec_lo, s8
	v_cmp_o_f64_e64 s7, v[3:4], v[3:4]
	s_waitcnt lgkmcnt(0)
	v_ashrrev_i32_e32 v19, 31, v4
	s_delay_alu instid0(VALU_DEP_1) | instskip(SKIP_1) | instid1(VALU_DEP_2)
	v_or_b32_e32 v20, 0x80000000, v19
	v_xor_b32_e32 v19, v19, v3
	v_xor_b32_e32 v20, v20, v4
	s_delay_alu instid0(VALU_DEP_1) | instskip(NEXT) | instid1(VALU_DEP_3)
	v_cndmask_b32_e64 v20, -1, v20, s7
	v_cndmask_b32_e64 v19, -1, v19, s7
	s_delay_alu instid0(VALU_DEP_2) | instskip(NEXT) | instid1(VALU_DEP_2)
	v_and_b32_e32 v20, s45, v20
	v_and_b32_e32 v19, s44, v19
	s_delay_alu instid0(VALU_DEP_1) | instskip(SKIP_1) | instid1(VALU_DEP_2)
	v_cmp_eq_u64_e64 s7, s[42:43], v[19:20]
	v_mov_b32_e32 v19, 0
	s_cmp_lg_u32 s7, 0
	s_cselect_b32 s8, -1, 0
	s_delay_alu instid0(SALU_CYCLE_1) | instskip(NEXT) | instid1(SALU_CYCLE_1)
	s_and_b32 s8, s3, s8
	s_and_saveexec_b32 s11, s8
	s_cbranch_execz .LBB115_44
; %bb.41:                               ;   in Loop: Header=BB115_38 Depth=2
	s_mov_b32 s14, exec_lo
	s_bcnt1_i32_b32 s12, s7
	v_mbcnt_lo_u32_b32 v19, s14, 0
	s_mov_b32 s13, exec_lo
                                        ; implicit-def: $vgpr20
	s_delay_alu instid0(VALU_DEP_1)
	v_cmpx_eq_u32_e32 0, v19
	s_cbranch_execz .LBB115_43
; %bb.42:                               ;   in Loop: Header=BB115_38 Depth=2
	s_bcnt1_i32_b32 s8, s14
	s_delay_alu instid0(SALU_CYCLE_1) | instskip(NEXT) | instid1(SALU_CYCLE_1)
	s_mul_i32 s8, s12, s8
	v_mov_b32_e32 v20, s8
	ds_add_rtn_u32 v20, v13, v20 offset:4112
.LBB115_43:                             ;   in Loop: Header=BB115_38 Depth=2
	s_or_b32 exec_lo, exec_lo, s13
	s_waitcnt lgkmcnt(0)
	v_readfirstlane_b32 s8, v20
	s_delay_alu instid0(VALU_DEP_1)
	v_mad_u32_u24 v19, s12, v19, s8
.LBB115_44:                             ;   in Loop: Header=BB115_38 Depth=2
	s_or_b32 exec_lo, exec_lo, s11
	ds_bpermute_b32 v19, v13, v19
	s_and_b32 s8, exec_lo, vcc_lo
	s_delay_alu instid0(SALU_CYCLE_1)
	s_or_b32 s10, s8, s10
	s_and_saveexec_b32 s8, s7
	s_cbranch_execz .LBB115_37
; %bb.45:                               ;   in Loop: Header=BB115_38 Depth=2
	v_and_b32_e32 v20, s7, v28
	s_delay_alu instid0(VALU_DEP_1) | instskip(NEXT) | instid1(VALU_DEP_1)
	v_bcnt_u32_b32 v20, v20, 0
	v_lshlrev_b32_e32 v20, 3, v20
	s_waitcnt lgkmcnt(0)
	s_delay_alu instid0(VALU_DEP_1)
	v_lshl_add_u32 v19, v19, 3, v20
	ds_store_b64 v19, v[3:4]
	s_branch .LBB115_37
.LBB115_46:                             ;   in Loop: Header=BB115_30 Depth=1
	s_mov_b32 s76, -1
	s_mov_b32 s7, 0
.LBB115_47:                             ;   in Loop: Header=BB115_30 Depth=1
	s_and_b32 vcc_lo, exec_lo, s76
	s_cbranch_vccz .LBB115_58
.LBB115_48:                             ;   in Loop: Header=BB115_30 Depth=1
	v_mov_b32_e32 v3, 0
	v_mov_b32_e32 v4, 0
	s_and_saveexec_b32 s7, s0
	s_cbranch_execz .LBB115_50
; %bb.49:                               ;   in Loop: Header=BB115_30 Depth=1
	global_load_b64 v[3:4], v[15:16], off
.LBB115_50:                             ;   in Loop: Header=BB115_30 Depth=1
	s_or_b32 exec_lo, exec_lo, s7
	s_and_saveexec_b32 s8, s0
	s_cbranch_execz .LBB115_55
; %bb.51:                               ;   in Loop: Header=BB115_30 Depth=1
	global_load_u16 v1, v13, s[40:41]
	v_mov_b32_e32 v20, v0
	s_mov_b32 s9, 0
	v_mov_b32_e32 v19, v25
	s_waitcnt vmcnt(0)
	v_add_nc_u32_e32 v7, v0, v1
	v_mul_lo_u32 v9, s30, v1
	v_lshlrev_b32_e32 v10, 3, v1
	s_delay_alu instid0(VALU_DEP_3)
	v_mul_lo_u32 v12, s30, v7
	s_set_inst_prefetch_distance 0x1
	s_branch .LBB115_53
	.p2align	6
.LBB115_52:                             ;   in Loop: Header=BB115_53 Depth=2
	s_or_b32 exec_lo, exec_lo, s10
	ds_store_b64 v19, v[3:4]
	s_waitcnt vmcnt(0)
	v_dual_mov_b32 v3, v7 :: v_dual_add_nc_u32 v12, v12, v9
	v_dual_mov_b32 v4, v8 :: v_dual_add_nc_u32 v19, v19, v10
	s_and_b32 s7, exec_lo, vcc_lo
	s_delay_alu instid0(SALU_CYCLE_1) | instskip(NEXT) | instid1(SALU_CYCLE_1)
	s_or_b32 s9, s7, s9
	s_and_not1_b32 exec_lo, exec_lo, s9
	s_cbranch_execz .LBB115_55
.LBB115_53:                             ;   Parent Loop BB115_30 Depth=1
                                        ; =>  This Inner Loop Header: Depth=2
	v_dual_mov_b32 v7, 0 :: v_dual_add_nc_u32 v20, v20, v1
	v_mov_b32_e32 v8, 0
	s_mov_b32 s10, exec_lo
	s_delay_alu instid0(VALU_DEP_2)
	v_cmp_le_u32_e32 vcc_lo, s28, v20
	v_cmpx_gt_u32_e64 s28, v20
	s_cbranch_execz .LBB115_52
; %bb.54:                               ;   in Loop: Header=BB115_53 Depth=2
	v_lshlrev_b64 v[7:8], 3, v[12:13]
	s_delay_alu instid0(VALU_DEP_1) | instskip(NEXT) | instid1(VALU_DEP_1)
	v_add_co_u32 v7, s7, s47, v7
	v_add_co_ci_u32_e64 v8, s7, s48, v8, s7
	global_load_b64 v[7:8], v[7:8], off
	s_branch .LBB115_52
.LBB115_55:                             ;   in Loop: Header=BB115_30 Depth=1
	s_set_inst_prefetch_distance 0x2
	s_or_b32 exec_lo, exec_lo, s8
	s_waitcnt vmcnt(0) lgkmcnt(0)
	s_barrier
	buffer_gl0_inv
	s_and_saveexec_b32 s7, s1
	s_cbranch_execz .LBB115_57
; %bb.56:                               ;   in Loop: Header=BB115_30 Depth=1
	v_mov_b32_e32 v1, s28
	ds_store_b32 v13, v1 offset:4104
.LBB115_57:                             ;   in Loop: Header=BB115_30 Depth=1
	s_or_b32 exec_lo, exec_lo, s7
	s_mov_b32 s7, -1
	s_waitcnt lgkmcnt(0)
	s_barrier
                                        ; implicit-def: $sgpr76
.LBB115_58:                             ;   in Loop: Header=BB115_30 Depth=1
	s_and_b32 vcc_lo, exec_lo, s7
	s_cbranch_vccz .LBB115_60
; %bb.59:                               ;   in Loop: Header=BB115_30 Depth=1
	buffer_gl0_inv
	ds_load_b32 v1, v13 offset:4104
	s_waitcnt lgkmcnt(0)
	v_readfirstlane_b32 s76, v1
.LBB115_60:                             ;   in Loop: Header=BB115_30 Depth=1
	s_delay_alu instid0(VALU_DEP_1)
	s_cmp_lt_i32 s76, 1
	s_cbranch_scc0 .LBB115_72
; %bb.61:                               ;   in Loop: Header=BB115_30 Depth=1
	v_dual_mov_b32 v7, 0 :: v_dual_mov_b32 v8, 0
	v_dual_mov_b32 v9, 0 :: v_dual_mov_b32 v10, 0
	s_mov_b32 s22, 0
	s_and_saveexec_b32 s21, s4
	s_cbranch_execz .LBB115_65
; %bb.62:                               ;   in Loop: Header=BB115_30 Depth=1
	v_mov_b32_e32 v1, v24
	s_and_b32 s23, s70, 0xfe
	s_mov_b32 s24, 0
	s_mov_b32 s25, 0
	;; [unrolled: 1-line block ×5, first 2 shown]
.LBB115_63:                             ;   Parent Loop BB115_30 Depth=1
                                        ; =>  This Inner Loop Header: Depth=2
	v_dual_mov_b32 v21, v13 :: v_dual_add_nc_u32 v12, s24, v32
	v_dual_mov_b32 v22, v13 :: v_dual_add_nc_u32 v1, s51, v1
	v_mov_b32_e32 v37, v13
	s_delay_alu instid0(VALU_DEP_3) | instskip(SKIP_1) | instid1(VALU_DEP_1)
	v_lshlrev_b64 v[3:4], 3, v[12:13]
	v_add_nc_u32_e32 v12, s24, v14
	v_lshlrev_b64 v[7:8], 3, v[12:13]
	v_add_nc_u32_e32 v12, s24, v30
	s_delay_alu instid0(VALU_DEP_4) | instskip(SKIP_1) | instid1(VALU_DEP_3)
	v_add_co_u32 v3, vcc_lo, s47, v3
	v_add_co_ci_u32_e32 v4, vcc_lo, s48, v4, vcc_lo
	v_lshlrev_b64 v[9:10], 3, v[12:13]
	v_add_nc_u32_e32 v12, s24, v31
	v_add_co_u32 v7, vcc_lo, s47, v7
	global_load_b64 v[3:4], v[3:4], off
	v_add_co_ci_u32_e32 v8, vcc_lo, s48, v8, vcc_lo
	v_lshlrev_b64 v[19:20], 3, v[12:13]
	v_add_co_u32 v9, vcc_lo, s47, v9
	v_add_co_ci_u32_e32 v10, vcc_lo, s48, v10, vcc_lo
	s_clause 0x1
	global_load_b64 v[7:8], v[7:8], off
	global_load_b64 v[9:10], v[9:10], off
	v_add_co_u32 v19, vcc_lo, s47, v19
	v_add_co_ci_u32_e32 v20, vcc_lo, s48, v20, vcc_lo
	v_cmp_le_u32_e32 vcc_lo, s61, v1
	s_add_i32 s24, s24, s63
	global_load_b64 v[19:20], v[19:20], off
	s_waitcnt vmcnt(3)
	v_cmp_o_f64_e64 s7, v[3:4], v[3:4]
	v_ashrrev_i32_e32 v12, 31, v4
	s_delay_alu instid0(VALU_DEP_1)
	v_or_b32_e32 v36, 0x80000000, v12
	v_xor_b32_e32 v12, v12, v3
	s_waitcnt vmcnt(2)
	v_cmp_o_f64_e64 s8, v[7:8], v[7:8]
	s_waitcnt vmcnt(1)
	v_cmp_o_f64_e64 s9, v[9:10], v[9:10]
	v_xor_b32_e32 v36, v36, v4
	v_ashrrev_i32_e32 v39, 31, v10
	v_ashrrev_i32_e32 v38, 31, v8
	s_delay_alu instid0(VALU_DEP_2) | instskip(SKIP_2) | instid1(VALU_DEP_3)
	v_or_b32_e32 v3, 0x80000000, v39
	s_waitcnt vmcnt(0)
	v_cmp_o_f64_e64 s10, v[19:20], v[19:20]
	v_or_b32_e32 v40, 0x80000000, v38
	v_xor_b32_e32 v38, v38, v7
	v_xor_b32_e32 v42, v39, v9
	;; [unrolled: 1-line block ×3, first 2 shown]
	s_delay_alu instid0(VALU_DEP_4) | instskip(SKIP_2) | instid1(VALU_DEP_2)
	v_xor_b32_e32 v40, v40, v8
	v_cndmask_b32_e64 v4, -1, v36, s7
	v_ashrrev_i32_e32 v36, 31, v20
	v_and_b32_e32 v10, s45, v4
	s_delay_alu instid0(VALU_DEP_2) | instskip(SKIP_3) | instid1(VALU_DEP_4)
	v_or_b32_e32 v7, 0x80000000, v36
	v_xor_b32_e32 v36, v36, v19
	v_cndmask_b32_e64 v8, -1, v40, s8
	v_cndmask_b32_e64 v19, -1, v42, s9
	v_xor_b32_e32 v7, v7, v20
	v_cndmask_b32_e64 v20, -1, v3, s9
	v_cndmask_b32_e64 v3, -1, v12, s7
	v_and_b32_e32 v39, s45, v8
	v_and_b32_e32 v42, s44, v19
	s_delay_alu instid0(VALU_DEP_4) | instskip(NEXT) | instid1(VALU_DEP_4)
	v_and_b32_e32 v43, s45, v20
	v_and_b32_e32 v9, s44, v3
	v_lshrrev_b64 v[3:4], s23, v[3:4]
	v_cndmask_b32_e64 v41, -1, v7, s10
	v_cndmask_b32_e64 v7, -1, v38, s8
	;; [unrolled: 1-line block ×3, first 2 shown]
	v_cmp_eq_u64_e64 s7, s[42:43], v[9:10]
	v_cmp_eq_u64_e64 s13, s[42:43], v[42:43]
	v_and_b32_e32 v12, 3, v3
	v_and_b32_e32 v38, s44, v7
	v_lshrrev_b64 v[7:8], s23, v[7:8]
	v_lshrrev_b64 v[3:4], s23, v[19:20]
	v_and_b32_e32 v44, s45, v41
	v_cmp_eq_u64_e64 s9, 0, v[12:13]
	v_cmp_eq_u64_e64 s10, 1, v[12:13]
	;; [unrolled: 1-line block ×3, first 2 shown]
	v_and_b32_e32 v20, 3, v7
	v_cmp_eq_u64_e64 s12, 3, v[12:13]
	v_cmp_eq_u64_e64 s8, s[42:43], v[38:39]
	s_and_b32 s9, s7, s9
	v_and_b32_e32 v36, 3, v3
	v_cmp_eq_u64_e64 s14, 0, v[20:21]
	v_cmp_eq_u64_e64 s15, 1, v[20:21]
	;; [unrolled: 1-line block ×3, first 2 shown]
	v_lshrrev_b64 v[7:8], s23, v[40:41]
	v_cndmask_b32_e64 v3, 0, 1, s9
	s_and_b32 s9, s7, s10
	v_cmp_eq_u64_e64 s17, 3, v[20:21]
	v_cndmask_b32_e64 v4, 0, 1, s9
	s_and_b32 s9, s7, s11
	s_and_b32 s7, s7, s12
	v_cndmask_b32_e64 v8, 0, 1, s9
	v_cmp_eq_u64_e64 s9, 0, v[36:37]
	v_cmp_eq_u64_e64 s10, 1, v[36:37]
	v_cndmask_b32_e64 v9, 0, 1, s7
	s_and_b32 s14, s8, s14
	s_and_b32 s15, s8, s15
	;; [unrolled: 1-line block ×3, first 2 shown]
	v_and_b32_e32 v43, s44, v40
	v_and_b32_e32 v21, 3, v7
	v_cmp_eq_u64_e64 s11, 2, v[36:37]
	v_cmp_eq_u64_e64 s12, 3, v[36:37]
	v_cmp_ne_u32_e64 s18, 0, v3
	v_cndmask_b32_e64 v3, 0, 1, s14
	v_cmp_ne_u32_e64 s14, 0, v4
	v_cndmask_b32_e64 v4, 0, 1, s15
	v_cndmask_b32_e64 v7, 0, 1, s16
	s_and_b32 s8, s8, s17
	v_cmp_ne_u32_e64 s15, 0, v8
	v_cndmask_b32_e64 v8, 0, 1, s8
	v_cmp_ne_u32_e64 s16, 0, v9
	s_and_b32 s9, s13, s9
	s_and_b32 s10, s13, s10
	v_cmp_eq_u64_e64 s7, s[42:43], v[43:44]
	v_cmp_eq_u64_e64 s8, 0, v[21:22]
	;; [unrolled: 1-line block ×5, first 2 shown]
	s_bcnt1_i32_b32 s79, s18
	v_cmp_ne_u32_e64 s18, 0, v3
	v_cndmask_b32_e64 v3, 0, 1, s9
	v_cmp_ne_u32_e64 s9, 0, v4
	v_cndmask_b32_e64 v4, 0, 1, s10
	v_cmp_ne_u32_e64 s10, 0, v7
	s_and_b32 s11, s13, s11
	s_and_b32 s12, s13, s12
	v_cndmask_b32_e64 v7, 0, 1, s11
	v_cmp_ne_u32_e64 s11, 0, v8
	v_cndmask_b32_e64 v8, 0, 1, s12
	s_bcnt1_i32_b32 s16, s16
	s_and_b32 s8, s7, s8
	s_add_i32 s16, s16, s25
	s_bcnt1_i32_b32 s25, s9
	s_and_b32 s9, s7, s17
	s_bcnt1_i32_b32 s17, s10
	s_and_b32 s10, s7, s19
	s_and_b32 s7, s7, s20
	v_cmp_ne_u32_e64 s12, 0, v3
	v_cndmask_b32_e64 v3, 0, 1, s8
	v_cmp_ne_u32_e64 s8, 0, v4
	v_cndmask_b32_e64 v4, 0, 1, s9
	;; [unrolled: 2-line block ×4, first 2 shown]
	s_bcnt1_i32_b32 s15, s15
	s_add_i32 s13, s79, s78
	s_add_i32 s15, s15, s26
	s_bcnt1_i32_b32 s18, s18
	s_bcnt1_i32_b32 s11, s11
	;; [unrolled: 1-line block ×3, first 2 shown]
	s_add_i32 s13, s13, s18
	s_add_i32 s15, s15, s17
	s_add_i32 s11, s16, s11
	v_cmp_ne_u32_e64 s7, 0, v3
	s_bcnt1_i32_b32 s16, s8
	v_cmp_ne_u32_e64 s8, 0, v4
	s_bcnt1_i32_b32 s17, s9
	;; [unrolled: 2-line block ×3, first 2 shown]
	v_cmp_ne_u32_e64 s10, 0, v8
	s_add_i32 s14, s14, s77
	s_bcnt1_i32_b32 s12, s12
	s_add_i32 s14, s14, s25
	s_add_i32 s12, s13, s12
	;; [unrolled: 1-line block ×5, first 2 shown]
	s_bcnt1_i32_b32 s7, s7
	s_bcnt1_i32_b32 s8, s8
	;; [unrolled: 1-line block ×4, first 2 shown]
	s_add_i32 s78, s12, s7
	s_add_i32 s77, s13, s8
	;; [unrolled: 1-line block ×4, first 2 shown]
	s_delay_alu instid0(SALU_CYCLE_1) | instskip(SKIP_2) | instid1(SALU_CYCLE_1)
	v_dual_mov_b32 v7, s78 :: v_dual_mov_b32 v10, s25
	v_dual_mov_b32 v8, s77 :: v_dual_mov_b32 v9, s26
	s_or_b32 s22, vcc_lo, s22
	s_and_not1_b32 exec_lo, exec_lo, s22
	s_cbranch_execnz .LBB115_63
; %bb.64:                               ;   in Loop: Header=BB115_30 Depth=1
	s_or_b32 exec_lo, exec_lo, s22
.LBB115_65:                             ;   in Loop: Header=BB115_30 Depth=1
	s_delay_alu instid0(SALU_CYCLE_1)
	s_or_b32 exec_lo, exec_lo, s21
	v_mov_b32_e32 v21, 0
	v_mov_b32_e32 v22, 0
	s_and_saveexec_b32 s7, s5
	s_cbranch_execz .LBB115_67
; %bb.66:                               ;   in Loop: Header=BB115_30 Depth=1
	global_load_b64 v[21:22], v[17:18], off
.LBB115_67:                             ;   in Loop: Header=BB115_30 Depth=1
	s_or_b32 exec_lo, exec_lo, s7
	s_and_saveexec_b32 s11, s5
	s_cbranch_execz .LBB115_74
; %bb.68:                               ;   in Loop: Header=BB115_30 Depth=1
	v_mov_b32_e32 v3, v33
	v_mov_b32_e32 v1, v29
	s_and_b32 s13, s70, 0xfe
	s_mov_b32 s12, 0
	s_branch .LBB115_70
.LBB115_69:                             ;   in Loop: Header=BB115_70 Depth=2
	s_or_b32 exec_lo, exec_lo, s8
	s_waitcnt vmcnt(0)
	v_cmp_o_f64_e64 s7, v[21:22], v[21:22]
	v_ashrrev_i32_e32 v4, 31, v22
	s_and_b32 s9, exec_lo, vcc_lo
	v_add_nc_u32_e32 v3, s50, v3
	s_or_b32 s12, s9, s12
	s_delay_alu instid0(VALU_DEP_2) | instskip(SKIP_1) | instid1(VALU_DEP_2)
	v_or_b32_e32 v12, 0x80000000, v4
	v_xor_b32_e32 v4, v4, v21
	v_xor_b32_e32 v12, v12, v22
	s_delay_alu instid0(VALU_DEP_1) | instskip(NEXT) | instid1(VALU_DEP_3)
	v_cndmask_b32_e64 v22, -1, v12, s7
	v_cndmask_b32_e64 v21, -1, v4, s7
	s_delay_alu instid0(VALU_DEP_1) | instskip(SKIP_2) | instid1(VALU_DEP_3)
	v_lshrrev_b64 v[36:37], s13, v[21:22]
	v_and_b32_e32 v22, s45, v22
	v_and_b32_e32 v21, s44, v21
	;; [unrolled: 1-line block ×3, first 2 shown]
	s_delay_alu instid0(VALU_DEP_2) | instskip(NEXT) | instid1(VALU_DEP_2)
	v_cmp_eq_u64_e64 s7, s[42:43], v[21:22]
	v_cmp_eq_u64_e64 s8, 0, v[12:13]
	v_cmp_eq_u64_e32 vcc_lo, 1, v[12:13]
	v_cmp_eq_u64_e64 s9, 2, v[12:13]
	v_cmp_eq_u64_e64 s10, 3, v[12:13]
	s_delay_alu instid0(VALU_DEP_4) | instskip(NEXT) | instid1(SALU_CYCLE_1)
	s_and_b32 s8, s7, s8
	v_cndmask_b32_e64 v4, 0, 1, s8
	s_and_b32 s8, s7, vcc_lo
	s_delay_alu instid0(SALU_CYCLE_1)
	v_cndmask_b32_e64 v12, 0, 1, s8
	s_and_b32 s8, s7, s9
	s_and_b32 s7, s7, s10
	v_cndmask_b32_e64 v21, 0, 1, s8
	v_cndmask_b32_e64 v22, 0, 1, s7
	v_cmp_ne_u32_e32 vcc_lo, 0, v4
	v_cmp_ne_u32_e64 s7, 0, v12
	s_delay_alu instid0(VALU_DEP_4) | instskip(NEXT) | instid1(VALU_DEP_4)
	v_cmp_ne_u32_e64 s8, 0, v21
	v_cmp_ne_u32_e64 s9, 0, v22
	s_bcnt1_i32_b32 s10, vcc_lo
	s_delay_alu instid0(VALU_DEP_3)
	s_bcnt1_i32_b32 s7, s7
	v_dual_mov_b32 v22, v20 :: v_dual_mov_b32 v21, v19
	s_bcnt1_i32_b32 s8, s8
	s_bcnt1_i32_b32 s9, s9
	v_add_nc_u32_e32 v7, s10, v7
	v_add_nc_u32_e32 v8, s7, v8
	;; [unrolled: 1-line block ×4, first 2 shown]
	s_and_not1_b32 exec_lo, exec_lo, s12
	s_cbranch_execz .LBB115_73
.LBB115_70:                             ;   Parent Loop BB115_30 Depth=1
                                        ; =>  This Inner Loop Header: Depth=2
	s_delay_alu instid0(VALU_DEP_1) | instskip(SKIP_3) | instid1(VALU_DEP_3)
	v_add_nc_u32_e32 v1, s31, v1
	v_mov_b32_e32 v19, 0
	v_mov_b32_e32 v20, 0
	s_mov_b32 s8, exec_lo
	v_cmp_le_u32_e32 vcc_lo, s28, v1
	v_cmpx_gt_u32_e64 s28, v1
	s_cbranch_execz .LBB115_69
; %bb.71:                               ;   in Loop: Header=BB115_70 Depth=2
	v_mov_b32_e32 v4, v13
	s_delay_alu instid0(VALU_DEP_1) | instskip(NEXT) | instid1(VALU_DEP_1)
	v_lshlrev_b64 v[19:20], 3, v[3:4]
	v_add_co_u32 v19, s7, s47, v19
	s_delay_alu instid0(VALU_DEP_1)
	v_add_co_ci_u32_e64 v20, s7, s48, v20, s7
	global_load_b64 v[19:20], v[19:20], off
	s_branch .LBB115_69
.LBB115_72:                             ;   in Loop: Header=BB115_30 Depth=1
                                        ; implicit-def: $vgpr10
	s_cbranch_execnz .LBB115_75
	s_branch .LBB115_84
.LBB115_73:                             ;   in Loop: Header=BB115_30 Depth=1
	s_or_b32 exec_lo, exec_lo, s12
.LBB115_74:                             ;   in Loop: Header=BB115_30 Depth=1
	s_delay_alu instid0(SALU_CYCLE_1)
	s_or_b32 exec_lo, exec_lo, s11
	s_branch .LBB115_84
.LBB115_75:                             ;   in Loop: Header=BB115_30 Depth=1
	s_mul_hi_u32 s7, s76, s60
	v_dual_mov_b32 v7, 0 :: v_dual_mov_b32 v8, 0
	s_mul_i32 s7, s7, s51
	v_dual_mov_b32 v9, 0 :: v_dual_mov_b32 v10, 0
	s_sub_i32 s7, s76, s7
	s_mov_b32 s79, 0
	s_sub_i32 s8, s7, s51
	s_cmp_ge_u32 s7, s51
	s_mov_b32 s78, exec_lo
	s_cselect_b32 s7, s8, s7
	s_delay_alu instid0(SALU_CYCLE_1) | instskip(SKIP_2) | instid1(SALU_CYCLE_1)
	s_sub_i32 s8, s7, s51
	s_cmp_ge_u32 s7, s51
	s_cselect_b32 s7, s8, s7
	s_sub_i32 s77, s76, s7
	s_delay_alu instid0(SALU_CYCLE_1)
	v_cmpx_gt_u32_e64 s77, v24
	s_cbranch_execz .LBB115_79
; %bb.76:                               ;   in Loop: Header=BB115_30 Depth=1
	v_mov_b32_e32 v1, v34
	v_mov_b32_e32 v3, v24
	s_and_b32 s80, s70, 0xfe
	s_mov_b32 s81, 0
	s_mov_b32 s82, 0
	;; [unrolled: 1-line block ×4, first 2 shown]
.LBB115_77:                             ;   Parent Loop BB115_30 Depth=1
                                        ; =>  This Inner Loop Header: Depth=2
	ds_load_b128 v[7:10], v1
	s_waitcnt vmcnt(0)
	ds_load_b128 v[19:22], v1 offset:16
	s_waitcnt lgkmcnt(1)
	v_cmp_o_f64_e64 s8, v[7:8], v[7:8]
	s_waitcnt lgkmcnt(0)
	v_cmp_o_f64_e64 s10, v[21:22], v[21:22]
	v_cmp_o_f64_e64 s7, v[9:10], v[9:10]
	;; [unrolled: 1-line block ×3, first 2 shown]
	v_ashrrev_i32_e32 v4, 31, v8
	v_ashrrev_i32_e32 v38, 31, v22
	;; [unrolled: 1-line block ×4, first 2 shown]
	s_delay_alu instid0(VALU_DEP_4) | instskip(NEXT) | instid1(VALU_DEP_4)
	v_or_b32_e32 v40, 0x80000000, v4
	v_or_b32_e32 v44, 0x80000000, v38
	s_delay_alu instid0(VALU_DEP_4) | instskip(NEXT) | instid1(VALU_DEP_4)
	v_or_b32_e32 v42, 0x80000000, v12
	v_or_b32_e32 v43, 0x80000000, v36
	v_xor_b32_e32 v4, v4, v7
	v_xor_b32_e32 v40, v40, v8
	;; [unrolled: 1-line block ×8, first 2 shown]
	v_cndmask_b32_e64 v8, -1, v40, s8
	v_cndmask_b32_e64 v22, -1, v7, s10
	;; [unrolled: 1-line block ×7, first 2 shown]
	v_dual_mov_b32 v37, v13 :: v_dual_and_b32 v42, s44, v7
	v_and_b32_e32 v43, s45, v8
	v_lshrrev_b64 v[7:8], s80, v[7:8]
	v_cndmask_b32_e64 v21, -1, v38, s10
	v_dual_mov_b32 v39, v13 :: v_dual_and_b32 v44, s44, v9
	v_lshrrev_b64 v[8:9], s80, v[9:10]
	v_and_b32_e32 v45, s45, v10
	v_lshrrev_b64 v[9:10], s80, v[19:20]
	v_dual_mov_b32 v41, v13 :: v_dual_and_b32 v46, s44, v19
	v_and_b32_e32 v47, s45, v20
	v_lshrrev_b64 v[19:20], s80, v[21:22]
	v_and_b32_e32 v12, 3, v7
	v_and_b32_e32 v36, 3, v8
	;; [unrolled: 1-line block ×3, first 2 shown]
	v_cmp_eq_u64_e64 s7, s[42:43], v[42:43]
	v_and_b32_e32 v49, s45, v22
	v_cmp_eq_u64_e64 s11, 0, v[12:13]
	v_and_b32_e32 v48, s44, v21
	v_and_b32_e32 v40, 3, v19
	v_cmp_eq_u64_e64 s8, s[42:43], v[44:45]
	v_cmp_eq_u64_e64 s12, 0, v[36:37]
	;; [unrolled: 1-line block ×6, first 2 shown]
	s_and_b32 s11, s7, s11
	v_cmp_eq_u64_e64 s15, 1, v[12:13]
	v_cndmask_b32_e64 v4, 0, 1, s11
	s_and_b32 s11, s8, s12
	v_cmp_eq_u64_e64 s16, 1, v[36:37]
	v_cndmask_b32_e64 v7, 0, 1, s11
	;; [unrolled: 3-line block ×4, first 2 shown]
	s_and_b32 s11, s7, s15
	v_cmp_eq_u64_e64 s19, 2, v[12:13]
	v_cmp_eq_u64_e64 s23, 3, v[12:13]
	v_cndmask_b32_e64 v10, 0, 1, s11
	s_and_b32 s11, s8, s16
	v_cmp_eq_u64_e64 s20, 2, v[36:37]
	v_cmp_eq_u64_e64 s24, 3, v[36:37]
	v_cndmask_b32_e64 v12, 0, 1, s11
	;; [unrolled: 4-line block ×4, first 2 shown]
	s_and_b32 s11, s7, s19
	s_and_b32 s7, s7, s23
	v_cndmask_b32_e64 v21, 0, 1, s11
	s_and_b32 s11, s8, s20
	v_cndmask_b32_e64 v38, 0, 1, s7
	;; [unrolled: 2-line block ×7, first 2 shown]
	v_cndmask_b32_e64 v41, 0, 1, s7
	v_cmp_ne_u32_e64 s7, 0, v4
	v_cmp_ne_u32_e64 s11, 0, v10
	;; [unrolled: 1-line block ×7, first 2 shown]
	s_bcnt1_i32_b32 s7, s7
	s_bcnt1_i32_b32 s11, s11
	v_cmp_ne_u32_e64 s14, 0, v20
	v_cmp_ne_u32_e64 s16, 0, v22
	;; [unrolled: 1-line block ×3, first 2 shown]
	s_bcnt1_i32_b32 s8, s8
	s_bcnt1_i32_b32 s12, s12
	s_add_i32 s7, s7, s84
	s_add_i32 s11, s11, s83
	v_cmp_ne_u32_e64 s9, 0, v8
	v_cmp_ne_u32_e64 s17, 0, v36
	;; [unrolled: 1-line block ×3, first 2 shown]
	s_bcnt1_i32_b32 s13, s13
	s_add_i32 s7, s7, s8
	s_add_i32 s8, s11, s12
	s_bcnt1_i32_b32 s15, s15
	s_bcnt1_i32_b32 s19, s19
	v_cmp_ne_u32_e64 s10, 0, v9
	v_cmp_ne_u32_e64 s18, 0, v37
	v_cmp_ne_u32_e64 s22, 0, v41
	s_bcnt1_i32_b32 s14, s14
	s_add_i32 s8, s8, s13
	s_bcnt1_i32_b32 s16, s16
	s_bcnt1_i32_b32 s20, s20
	s_add_i32 s15, s15, s82
	s_add_i32 s19, s19, s81
	s_add_i32 s83, s8, s14
	s_delay_alu instid0(SALU_CYCLE_1)
	v_dual_mov_b32 v8, s83 :: v_dual_add_nc_u32 v3, s51, v3
	s_bcnt1_i32_b32 s9, s9
	s_bcnt1_i32_b32 s17, s17
	;; [unrolled: 1-line block ×3, first 2 shown]
	s_add_i32 s11, s15, s16
	s_add_i32 s12, s19, s20
	s_bcnt1_i32_b32 s10, s10
	s_bcnt1_i32_b32 s18, s18
	;; [unrolled: 1-line block ×3, first 2 shown]
	s_add_i32 s7, s7, s9
	s_add_i32 s9, s11, s17
	;; [unrolled: 1-line block ×3, first 2 shown]
	v_cmp_le_u32_e32 vcc_lo, s77, v3
	s_add_i32 s84, s7, s10
	s_add_i32 s82, s9, s18
	;; [unrolled: 1-line block ×3, first 2 shown]
	s_delay_alu instid0(SALU_CYCLE_1) | instskip(SKIP_3) | instid1(SALU_CYCLE_1)
	v_dual_mov_b32 v10, s81 :: v_dual_add_nc_u32 v1, s65, v1
	v_mov_b32_e32 v7, s84
	v_mov_b32_e32 v9, s82
	s_or_b32 s79, vcc_lo, s79
	s_and_not1_b32 exec_lo, exec_lo, s79
	s_cbranch_execnz .LBB115_77
; %bb.78:                               ;   in Loop: Header=BB115_30 Depth=1
	s_or_b32 exec_lo, exec_lo, s79
.LBB115_79:                             ;   in Loop: Header=BB115_30 Depth=1
	s_delay_alu instid0(SALU_CYCLE_1) | instskip(SKIP_2) | instid1(VALU_DEP_1)
	s_or_b32 exec_lo, exec_lo, s78
	v_add_nc_u32_e32 v1, s77, v0
	s_mov_b32 s12, exec_lo
	v_cmpx_gt_u32_e64 s76, v1
	s_cbranch_execz .LBB115_83
; %bb.80:                               ;   in Loop: Header=BB115_30 Depth=1
	v_lshlrev_b32_e32 v3, 3, v1
	s_and_b32 s14, s70, 0xfe
	s_mov_b32 s13, 0
.LBB115_81:                             ;   Parent Loop BB115_30 Depth=1
                                        ; =>  This Inner Loop Header: Depth=2
	ds_load_b64 v[19:20], v3
	v_add_nc_u32_e32 v3, s66, v3
	s_waitcnt lgkmcnt(0)
	v_cmp_o_f64_e32 vcc_lo, v[19:20], v[19:20]
	v_ashrrev_i32_e32 v4, 31, v20
	s_delay_alu instid0(VALU_DEP_1) | instskip(SKIP_1) | instid1(VALU_DEP_2)
	v_or_b32_e32 v12, 0x80000000, v4
	v_xor_b32_e32 v4, v4, v19
	v_xor_b32_e32 v12, v12, v20
	s_delay_alu instid0(VALU_DEP_1) | instskip(NEXT) | instid1(VALU_DEP_3)
	v_dual_cndmask_b32 v20, -1, v12 :: v_dual_add_nc_u32 v1, s31, v1
	v_cndmask_b32_e32 v19, -1, v4, vcc_lo
	s_delay_alu instid0(VALU_DEP_2) | instskip(SKIP_1) | instid1(VALU_DEP_3)
	v_cmp_le_u32_e64 s7, s76, v1
	s_waitcnt vmcnt(0)
	v_and_b32_e32 v22, s45, v20
	s_delay_alu instid0(VALU_DEP_3) | instskip(SKIP_1) | instid1(VALU_DEP_2)
	v_and_b32_e32 v21, s44, v19
	v_lshrrev_b64 v[19:20], s14, v[19:20]
	v_cmp_eq_u64_e32 vcc_lo, s[42:43], v[21:22]
	s_delay_alu instid0(VALU_DEP_2) | instskip(NEXT) | instid1(VALU_DEP_1)
	v_and_b32_e32 v12, 3, v19
	v_cmp_eq_u64_e64 s8, 0, v[12:13]
	v_cmp_eq_u64_e64 s9, 1, v[12:13]
	;; [unrolled: 1-line block ×4, first 2 shown]
	s_delay_alu instid0(VALU_DEP_4) | instskip(NEXT) | instid1(SALU_CYCLE_1)
	s_and_b32 s8, vcc_lo, s8
	v_cndmask_b32_e64 v4, 0, 1, s8
	s_delay_alu instid0(VALU_DEP_4) | instskip(NEXT) | instid1(SALU_CYCLE_1)
	s_and_b32 s8, vcc_lo, s9
	v_cndmask_b32_e64 v12, 0, 1, s8
	s_and_b32 s8, vcc_lo, s10
	s_delay_alu instid0(SALU_CYCLE_1)
	v_cndmask_b32_e64 v19, 0, 1, s8
	s_and_b32 s8, vcc_lo, s11
	v_cmp_ne_u32_e32 vcc_lo, 0, v4
	v_cndmask_b32_e64 v20, 0, 1, s8
	v_cmp_ne_u32_e64 s8, 0, v12
	v_cmp_ne_u32_e64 s9, 0, v19
	s_bcnt1_i32_b32 s11, vcc_lo
	s_delay_alu instid0(VALU_DEP_3) | instskip(NEXT) | instid1(VALU_DEP_3)
	v_cmp_ne_u32_e64 s10, 0, v20
	s_bcnt1_i32_b32 s8, s8
	s_delay_alu instid0(VALU_DEP_2)
	s_bcnt1_i32_b32 s9, s9
	v_add_nc_u32_e32 v7, s11, v7
	v_add_nc_u32_e32 v8, s8, v8
	s_bcnt1_i32_b32 s10, s10
	v_add_nc_u32_e32 v9, s9, v9
	v_add_nc_u32_e32 v10, s10, v10
	s_or_b32 s13, s7, s13
	s_delay_alu instid0(SALU_CYCLE_1)
	s_and_not1_b32 exec_lo, exec_lo, s13
	s_cbranch_execnz .LBB115_81
; %bb.82:                               ;   in Loop: Header=BB115_30 Depth=1
	s_or_b32 exec_lo, exec_lo, s13
.LBB115_83:                             ;   in Loop: Header=BB115_30 Depth=1
	s_delay_alu instid0(SALU_CYCLE_1)
	s_or_b32 exec_lo, exec_lo, s12
.LBB115_84:                             ;   in Loop: Header=BB115_30 Depth=1
	s_lshl_b32 s7, s73, 7
	s_and_saveexec_b32 s8, s3
	s_cbranch_execz .LBB115_86
; %bb.85:                               ;   in Loop: Header=BB115_30 Depth=1
	v_or_b32_e32 v1, s7, v27
	s_delay_alu instid0(VALU_DEP_1)
	v_lshlrev_b32_e32 v1, 2, v1
	ds_store_b128 v1, v[7:10] offset:3072
.LBB115_86:                             ;   in Loop: Header=BB115_30 Depth=1
	s_or_b32 exec_lo, exec_lo, s8
	s_waitcnt vmcnt(0) lgkmcnt(0)
	s_barrier
	buffer_gl0_inv
	s_and_saveexec_b32 s8, s52
	s_cbranch_execz .LBB115_96
; %bb.87:                               ;   in Loop: Header=BB115_30 Depth=1
	v_mov_b32_e32 v1, 0
	s_and_not1_b32 vcc_lo, exec_lo, s55
	s_cbranch_vccnz .LBB115_95
; %bb.88:                               ;   in Loop: Header=BB115_30 Depth=1
	v_mov_b32_e32 v1, 0
	s_and_not1_b32 vcc_lo, exec_lo, s57
	s_mov_b32 s9, 0
	s_cbranch_vccnz .LBB115_92
; %bb.89:                               ;   in Loop: Header=BB115_30 Depth=1
	v_lshl_add_u32 v3, s73, 9, v35
	v_mov_b32_e32 v1, 0
	.p2align	6
.LBB115_90:                             ;   Parent Loop BB115_30 Depth=1
                                        ; =>  This Inner Loop Header: Depth=2
	ds_load_2addr_b32 v[7:8], v3 offset1:4
	ds_load_2addr_b32 v[9:10], v3 offset0:8 offset1:12
	ds_load_2addr_b32 v[19:20], v3 offset0:16 offset1:20
	;; [unrolled: 1-line block ×3, first 2 shown]
	v_add_nc_u32_e32 v3, 0x80, v3
	s_add_i32 s9, s9, 8
	s_delay_alu instid0(SALU_CYCLE_1) | instskip(SKIP_3) | instid1(VALU_DEP_1)
	s_cmp_eq_u32 s58, s9
	s_waitcnt lgkmcnt(3)
	v_add3_u32 v1, v7, v1, v8
	s_waitcnt lgkmcnt(2)
	v_add3_u32 v1, v9, v1, v10
	s_waitcnt lgkmcnt(1)
	s_delay_alu instid0(VALU_DEP_1) | instskip(SKIP_1) | instid1(VALU_DEP_1)
	v_add3_u32 v1, v19, v1, v20
	s_waitcnt lgkmcnt(0)
	v_add3_u32 v1, v21, v1, v22
	s_cbranch_scc0 .LBB115_90
; %bb.91:                               ;   in Loop: Header=BB115_30 Depth=1
	s_mov_b32 s9, s58
.LBB115_92:                             ;   in Loop: Header=BB115_30 Depth=1
	s_and_not1_b32 vcc_lo, exec_lo, s59
	s_cbranch_vccnz .LBB115_95
; %bb.93:                               ;   in Loop: Header=BB115_30 Depth=1
	s_lshl_b32 s10, s73, 9
	s_lshl_b32 s9, s9, 4
	s_delay_alu instid0(SALU_CYCLE_1)
	v_add3_u32 v3, s10, s9, v35
	s_mov_b32 s9, s56
.LBB115_94:                             ;   Parent Loop BB115_30 Depth=1
                                        ; =>  This Inner Loop Header: Depth=2
	ds_load_b32 v4, v3
	v_add_nc_u32_e32 v3, 16, v3
	s_add_i32 s9, s9, -1
	s_delay_alu instid0(SALU_CYCLE_1)
	s_cmp_lg_u32 s9, 0
	s_waitcnt lgkmcnt(0)
	v_add_nc_u32_e32 v1, v4, v1
	s_cbranch_scc1 .LBB115_94
.LBB115_95:                             ;   in Loop: Header=BB115_30 Depth=1
	v_add_lshl_u32 v3, s7, v23, 2
	ds_store_b32 v3, v1 offset:3072
.LBB115_96:                             ;   in Loop: Header=BB115_30 Depth=1
	s_or_b32 exec_lo, exec_lo, s8
	s_lshl_b32 s7, s7, 2
	s_waitcnt lgkmcnt(0)
	v_mov_b32_e32 v1, s7
	s_barrier
	buffer_gl0_inv
	s_and_b32 s22, s70, 0xfe
	s_delay_alu instid0(SALU_CYCLE_1)
	s_lshl_b64 s[8:9], 3, s22
	ds_load_b128 v[7:10], v1 offset:3072
	s_not_b64 s[10:11], s[8:9]
	s_waitcnt lgkmcnt(0)
	v_readfirstlane_b32 s18, v7
	v_readfirstlane_b32 s25, v8
	;; [unrolled: 1-line block ×4, first 2 shown]
	s_delay_alu instid0(VALU_DEP_4) | instskip(SKIP_3) | instid1(SALU_CYCLE_1)
	s_cmp_eq_u32 s18, 1
	s_cselect_b32 s7, -1, 0
	s_cmp_eq_u32 s75, 1
	s_cselect_b32 s12, -1, 0
	s_and_b32 s13, s7, s12
	s_mov_b32 s12, -1
	s_and_b32 vcc_lo, exec_lo, s13
	s_cbranch_vccz .LBB115_108
; %bb.97:                               ;   in Loop: Header=BB115_30 Depth=1
	ds_load_b32 v1, v13 offset:4104
	s_waitcnt lgkmcnt(0)
	s_barrier
	buffer_gl0_inv
	v_readfirstlane_b32 s14, v1
	s_and_saveexec_b32 s7, s2
	s_cbranch_execz .LBB115_99
; %bb.98:                               ;   in Loop: Header=BB115_30 Depth=1
	v_mov_b32_e32 v12, v13
	ds_store_b64 v26, v[12:13]
.LBB115_99:                             ;   in Loop: Header=BB115_30 Depth=1
	s_or_b32 exec_lo, exec_lo, s7
	s_and_b64 s[42:43], s[42:43], s[10:11]
	s_or_b64 s[44:45], s[44:45], s[8:9]
	s_cmp_eq_u32 s14, 0
	s_waitcnt lgkmcnt(0)
	s_barrier
	buffer_gl0_inv
	s_cbranch_scc1 .LBB115_109
; %bb.100:                              ;   in Loop: Header=BB115_30 Depth=1
	s_add_i32 s7, s14, s53
                                        ; implicit-def: $vgpr5_vgpr6
	s_delay_alu instid0(SALU_CYCLE_1) | instskip(NEXT) | instid1(SALU_CYCLE_1)
	s_mul_hi_u32 s15, s7, s62
	s_mul_i32 s15, s15, s31
	s_delay_alu instid0(SALU_CYCLE_1) | instskip(NEXT) | instid1(SALU_CYCLE_1)
	s_sub_i32 s15, s7, s15
	s_sub_i32 s17, s15, s31
	s_cmp_ge_u32 s15, s31
	s_cselect_b32 s15, s17, s15
	s_delay_alu instid0(SALU_CYCLE_1) | instskip(SKIP_2) | instid1(SALU_CYCLE_1)
	s_sub_i32 s17, s15, s31
	s_cmp_ge_u32 s15, s31
	s_cselect_b32 s15, s17, s15
	s_sub_i32 s17, s7, s15
	s_mov_b32 s7, 0
	s_mov_b32 s15, exec_lo
	v_cmpx_gt_u32_e64 s17, v0
	s_cbranch_execz .LBB115_111
; %bb.101:                              ;   in Loop: Header=BB115_30 Depth=1
	v_dual_mov_b32 v7, v25 :: v_dual_mov_b32 v8, v0
	s_mov_b32 s21, 0
                                        ; implicit-def: $sgpr20
	s_set_inst_prefetch_distance 0x1
	s_branch .LBB115_103
	.p2align	6
.LBB115_102:                            ;   in Loop: Header=BB115_103 Depth=2
	s_or_b32 exec_lo, exec_lo, s7
	s_waitcnt lgkmcnt(0)
	s_barrier
	buffer_gl0_inv
	ds_load_b128 v[3:6], v13 offset:3072
	v_add_nc_u32_e32 v8, s31, v8
	v_add_nc_u32_e32 v7, s66, v7
	s_waitcnt lgkmcnt(0)
	s_barrier
	buffer_gl0_inv
	v_cmp_le_u32_e64 s7, s17, v8
	v_cmp_neq_f64_e32 vcc_lo, 0, v[3:4]
	s_delay_alu instid0(VALU_DEP_2) | instskip(NEXT) | instid1(SALU_CYCLE_1)
	s_or_b32 s7, s7, vcc_lo
	s_and_b32 s7, exec_lo, s7
	s_delay_alu instid0(SALU_CYCLE_1) | instskip(SKIP_2) | instid1(SALU_CYCLE_1)
	s_or_b32 s21, s7, s21
	s_and_not1_b32 s7, s20, exec_lo
	s_and_b32 s20, vcc_lo, exec_lo
	s_or_b32 s20, s7, s20
	s_and_not1_b32 exec_lo, exec_lo, s21
	s_cbranch_execz .LBB115_110
.LBB115_103:                            ;   Parent Loop BB115_30 Depth=1
                                        ; =>  This Inner Loop Header: Depth=2
	v_mov_b32_e32 v3, 0
	v_mov_b32_e32 v4, 0
	v_cmp_gt_u32_e32 vcc_lo, s14, v8
	s_and_saveexec_b32 s7, vcc_lo
	s_cbranch_execz .LBB115_105
; %bb.104:                              ;   in Loop: Header=BB115_103 Depth=2
	ds_load_b64 v[3:4], v7
.LBB115_105:                            ;   in Loop: Header=BB115_103 Depth=2
	s_or_b32 exec_lo, exec_lo, s7
	s_and_saveexec_b32 s7, vcc_lo
	s_cbranch_execz .LBB115_102
; %bb.106:                              ;   in Loop: Header=BB115_103 Depth=2
	s_waitcnt lgkmcnt(0)
	v_cmp_o_f64_e32 vcc_lo, v[3:4], v[3:4]
	v_ashrrev_i32_e32 v1, 31, v4
	s_delay_alu instid0(VALU_DEP_1) | instskip(SKIP_1) | instid1(VALU_DEP_2)
	v_or_b32_e32 v5, 0x80000000, v1
	v_xor_b32_e32 v1, v1, v3
	v_xor_b32_e32 v5, v5, v4
	s_delay_alu instid0(VALU_DEP_1) | instskip(NEXT) | instid1(VALU_DEP_3)
	v_cndmask_b32_e32 v5, -1, v5, vcc_lo
	v_cndmask_b32_e32 v1, -1, v1, vcc_lo
	s_delay_alu instid0(VALU_DEP_2) | instskip(NEXT) | instid1(VALU_DEP_2)
	v_and_b32_e32 v6, s45, v5
	v_and_b32_e32 v5, s44, v1
	s_delay_alu instid0(VALU_DEP_1)
	v_cmp_eq_u64_e32 vcc_lo, s[42:43], v[5:6]
	s_and_b32 exec_lo, exec_lo, vcc_lo
	s_cbranch_execz .LBB115_102
; %bb.107:                              ;   in Loop: Header=BB115_103 Depth=2
	v_mov_b32_e32 v1, v13
	ds_store_b128 v13, v[1:4] offset:3072
	s_branch .LBB115_102
.LBB115_108:                            ;   in Loop: Header=BB115_30 Depth=1
	s_mov_b32 s7, -1
                                        ; implicit-def: $sgpr14
                                        ; implicit-def: $sgpr17
                                        ; implicit-def: $sgpr15
	s_branch .LBB115_122
.LBB115_109:                            ;   in Loop: Header=BB115_30 Depth=1
	s_mov_b32 s14, -1
	s_mov_b32 s7, 0
                                        ; implicit-def: $sgpr15
                                        ; implicit-def: $vgpr5_vgpr6
	s_mov_b32 s17, s14
	s_cbranch_execnz .LBB115_112
	s_branch .LBB115_122
.LBB115_110:                            ;   in Loop: Header=BB115_30 Depth=1
	s_set_inst_prefetch_distance 0x2
	s_or_b32 exec_lo, exec_lo, s21
	s_delay_alu instid0(SALU_CYCLE_1)
	s_and_b32 s7, s20, exec_lo
.LBB115_111:                            ;   in Loop: Header=BB115_30 Depth=1
	s_or_b32 exec_lo, exec_lo, s15
	s_mov_b32 s15, -1
	s_mov_b32 s14, 0
	s_delay_alu instid0(SALU_CYCLE_1)
	s_mov_b32 s17, s14
	s_branch .LBB115_122
.LBB115_112:                            ;   in Loop: Header=BB115_30 Depth=1
	s_mov_b32 s7, 0
                                        ; implicit-def: $vgpr5_vgpr6
	s_and_saveexec_b32 s14, s6
	s_cbranch_execz .LBB115_121
; %bb.113:                              ;   in Loop: Header=BB115_30 Depth=1
	v_dual_mov_b32 v12, v11 :: v_dual_mov_b32 v7, v0
	s_mov_b32 s17, 0
                                        ; implicit-def: $sgpr15
	s_branch .LBB115_115
.LBB115_114:                            ;   in Loop: Header=BB115_115 Depth=2
	s_or_b32 exec_lo, exec_lo, s7
	s_waitcnt vmcnt(0) lgkmcnt(0)
	s_barrier
	buffer_gl0_inv
	ds_load_b128 v[3:6], v13 offset:3072
	v_add_nc_u32_e32 v7, s31, v7
	v_add_nc_u32_e32 v12, s50, v12
	s_waitcnt lgkmcnt(0)
	s_barrier
	buffer_gl0_inv
	v_cmp_le_u32_e64 s7, s64, v7
	v_cmp_neq_f64_e32 vcc_lo, 0, v[3:4]
	s_delay_alu instid0(VALU_DEP_2) | instskip(NEXT) | instid1(SALU_CYCLE_1)
	s_or_b32 s7, s7, vcc_lo
	s_and_b32 s7, exec_lo, s7
	s_delay_alu instid0(SALU_CYCLE_1) | instskip(SKIP_2) | instid1(SALU_CYCLE_1)
	s_or_b32 s17, s7, s17
	s_and_not1_b32 s7, s15, exec_lo
	s_and_b32 s15, vcc_lo, exec_lo
	s_or_b32 s15, s7, s15
	s_and_not1_b32 exec_lo, exec_lo, s17
	s_cbranch_execz .LBB115_120
.LBB115_115:                            ;   Parent Loop BB115_30 Depth=1
                                        ; =>  This Inner Loop Header: Depth=2
	v_mov_b32_e32 v3, 0
	v_mov_b32_e32 v4, 0
	v_cmp_gt_u32_e32 vcc_lo, s28, v7
	s_and_saveexec_b32 s20, vcc_lo
	s_cbranch_execz .LBB115_117
; %bb.116:                              ;   in Loop: Header=BB115_115 Depth=2
	v_lshlrev_b64 v[3:4], 3, v[12:13]
	s_delay_alu instid0(VALU_DEP_1) | instskip(NEXT) | instid1(VALU_DEP_1)
	v_add_co_u32 v3, s7, s47, v3
	v_add_co_ci_u32_e64 v4, s7, s48, v4, s7
	global_load_b64 v[3:4], v[3:4], off
.LBB115_117:                            ;   in Loop: Header=BB115_115 Depth=2
	s_or_b32 exec_lo, exec_lo, s20
	s_and_saveexec_b32 s7, vcc_lo
	s_cbranch_execz .LBB115_114
; %bb.118:                              ;   in Loop: Header=BB115_115 Depth=2
	s_waitcnt vmcnt(0)
	v_cmp_o_f64_e32 vcc_lo, v[3:4], v[3:4]
	v_ashrrev_i32_e32 v1, 31, v4
	s_delay_alu instid0(VALU_DEP_1) | instskip(SKIP_1) | instid1(VALU_DEP_2)
	v_or_b32_e32 v5, 0x80000000, v1
	v_xor_b32_e32 v1, v1, v3
	v_xor_b32_e32 v5, v5, v4
	s_delay_alu instid0(VALU_DEP_1) | instskip(NEXT) | instid1(VALU_DEP_3)
	v_cndmask_b32_e32 v5, -1, v5, vcc_lo
	v_cndmask_b32_e32 v1, -1, v1, vcc_lo
	s_delay_alu instid0(VALU_DEP_2) | instskip(NEXT) | instid1(VALU_DEP_2)
	v_and_b32_e32 v6, s45, v5
	v_and_b32_e32 v5, s44, v1
	s_delay_alu instid0(VALU_DEP_1)
	v_cmp_eq_u64_e32 vcc_lo, s[42:43], v[5:6]
	s_and_b32 exec_lo, exec_lo, vcc_lo
	s_cbranch_execz .LBB115_114
; %bb.119:                              ;   in Loop: Header=BB115_115 Depth=2
	v_mov_b32_e32 v1, v13
	ds_store_b128 v13, v[1:4] offset:3072
	s_branch .LBB115_114
.LBB115_120:                            ;   in Loop: Header=BB115_30 Depth=1
	s_or_b32 exec_lo, exec_lo, s17
	s_delay_alu instid0(SALU_CYCLE_1)
	s_and_b32 s7, s15, exec_lo
.LBB115_121:                            ;   in Loop: Header=BB115_30 Depth=1
	s_or_b32 exec_lo, exec_lo, s14
	s_mov_b32 s17, -1
	s_mov_b32 s14, 0
	s_mov_b32 s15, 0
.LBB115_122:                            ;   in Loop: Header=BB115_30 Depth=1
	s_and_not1_b32 s20, s71, exec_lo
	s_and_b32 s14, s14, exec_lo
	s_and_b32 s17, s17, exec_lo
	s_or_b32 s71, s20, s14
	s_and_not1_b32 s14, s74, exec_lo
	s_and_not1_b32 s20, s72, exec_lo
	s_and_b32 s15, s15, exec_lo
	s_or_b32 s74, s14, s17
	s_or_b32 s72, s20, s15
	s_and_saveexec_b32 s17, s7
	s_cbranch_execz .LBB115_29
; %bb.123:                              ;   in Loop: Header=BB115_30 Depth=1
	s_xor_b32 s7, s13, -1
	s_mov_b32 s20, 0
	s_and_not1_b32 vcc_lo, exec_lo, s7
	s_mov_b32 s26, 1
	s_cbranch_vccnz .LBB115_134
; %bb.124:                              ;   in Loop: Header=BB115_30 Depth=1
	s_cmp_gt_u32 s75, s18
	s_mov_b32 s20, -1
                                        ; implicit-def: $sgpr7
                                        ; implicit-def: $sgpr12_sgpr13
                                        ; implicit-def: $sgpr14_sgpr15
	s_cbranch_scc1 .LBB115_130
; %bb.125:                              ;   in Loop: Header=BB115_30 Depth=1
	ds_load_b32 v1, v13 offset:4104
	s_waitcnt lgkmcnt(0)
	v_cmp_ne_u32_e32 vcc_lo, 0, v1
	s_cbranch_vccnz .LBB115_129
; %bb.126:                              ;   in Loop: Header=BB115_30 Depth=1
	s_and_saveexec_b32 s7, s1
	s_cbranch_execz .LBB115_128
; %bb.127:                              ;   in Loop: Header=BB115_30 Depth=1
	v_mov_b32_e32 v1, s18
	ds_store_b32 v13, v1 offset:4108
.LBB115_128:                            ;   in Loop: Header=BB115_30 Depth=1
	s_or_b32 exec_lo, exec_lo, s7
	s_waitcnt lgkmcnt(0)
	s_barrier
	buffer_gl0_inv
.LBB115_129:                            ;   in Loop: Header=BB115_30 Depth=1
	s_and_b64 s[12:13], s[42:43], s[10:11]
	s_or_b64 s[14:15], s[44:45], s[8:9]
	s_mov_b32 s20, 0
	s_mov_b32 s7, 8
.LBB115_130:                            ;   in Loop: Header=BB115_30 Depth=1
	s_and_not1_b32 vcc_lo, exec_lo, s20
	s_cbranch_vccnz .LBB115_132
; %bb.131:                              ;   in Loop: Header=BB115_30 Depth=1
	s_sub_i32 s75, s75, s18
	s_mov_b32 s20, -1
	s_mov_b32 s7, 0
	s_mov_b64 s[12:13], s[42:43]
	s_mov_b64 s[14:15], s[44:45]
.LBB115_132:                            ;   in Loop: Header=BB115_30 Depth=1
	s_delay_alu instid0(SALU_CYCLE_1)
	s_mov_b64 s[44:45], s[14:15]
	s_mov_b64 s[42:43], s[12:13]
	s_mov_b32 s26, s75
	s_and_b32 vcc_lo, exec_lo, s20
	s_mov_b32 s18, -1
	s_cbranch_vccnz .LBB115_135
.LBB115_133:                            ;   in Loop: Header=BB115_30 Depth=1
	s_mov_b32 s13, -1
                                        ; implicit-def: $sgpr20
                                        ; implicit-def: $sgpr23
                                        ; implicit-def: $sgpr21
                                        ; implicit-def: $sgpr75
	s_delay_alu instid0(SALU_CYCLE_1) | instskip(NEXT) | instid1(SALU_CYCLE_1)
	s_and_saveexec_b32 s8, s13
	s_xor_b32 s8, exec_lo, s8
	s_cbranch_execz .LBB115_28
	s_branch .LBB115_261
.LBB115_134:                            ;   in Loop: Header=BB115_30 Depth=1
	s_mov_b32 s7, 1
	s_and_b32 vcc_lo, exec_lo, s20
	s_mov_b32 s18, -1
	s_cbranch_vccz .LBB115_133
.LBB115_135:                            ;   in Loop: Header=BB115_30 Depth=1
	s_cmp_eq_u32 s25, 1
	s_mov_b32 s14, -1
	s_cselect_b32 s7, -1, 0
	s_cmp_eq_u32 s26, 1
	s_cselect_b32 s12, -1, 0
	s_delay_alu instid0(SALU_CYCLE_1) | instskip(NEXT) | instid1(SALU_CYCLE_1)
	s_and_b32 s12, s7, s12
	s_and_b32 vcc_lo, exec_lo, s12
	s_cbranch_vccz .LBB115_147
; %bb.136:                              ;   in Loop: Header=BB115_30 Depth=1
	ds_load_b32 v1, v13 offset:4104
	s_waitcnt lgkmcnt(0)
	s_barrier
	buffer_gl0_inv
	v_readfirstlane_b32 s13, v1
	s_and_saveexec_b32 s7, s2
	s_cbranch_execz .LBB115_138
; %bb.137:                              ;   in Loop: Header=BB115_30 Depth=1
	v_mov_b32_e32 v12, v13
	ds_store_b64 v26, v[12:13]
.LBB115_138:                            ;   in Loop: Header=BB115_30 Depth=1
	s_or_b32 exec_lo, exec_lo, s7
	s_lshl_b64 s[14:15], 1, s22
	s_and_b64 s[20:21], s[42:43], s[10:11]
	s_or_b64 s[44:45], s[44:45], s[8:9]
	s_or_b64 s[42:43], s[20:21], s[14:15]
	s_cmp_eq_u32 s13, 0
	s_waitcnt lgkmcnt(0)
	s_barrier
	buffer_gl0_inv
	s_cbranch_scc1 .LBB115_151
; %bb.139:                              ;   in Loop: Header=BB115_30 Depth=1
	s_add_i32 s7, s13, s53
                                        ; implicit-def: $vgpr5_vgpr6
	s_delay_alu instid0(SALU_CYCLE_1) | instskip(NEXT) | instid1(SALU_CYCLE_1)
	s_mul_hi_u32 s14, s7, s62
	s_mul_i32 s14, s14, s31
	s_delay_alu instid0(SALU_CYCLE_1) | instskip(NEXT) | instid1(SALU_CYCLE_1)
	s_sub_i32 s14, s7, s14
	s_sub_i32 s15, s14, s31
	s_cmp_ge_u32 s14, s31
	s_cselect_b32 s14, s15, s14
	s_delay_alu instid0(SALU_CYCLE_1)
	s_sub_i32 s15, s14, s31
	s_cmp_ge_u32 s14, s31
	s_cselect_b32 s14, s15, s14
	s_mov_b32 s15, exec_lo
	s_sub_i32 s20, s7, s14
	s_mov_b32 s14, 0
	v_cmpx_gt_u32_e64 s20, v0
	s_cbranch_execz .LBB115_153
; %bb.140:                              ;   in Loop: Header=BB115_30 Depth=1
	v_dual_mov_b32 v7, v25 :: v_dual_mov_b32 v8, v0
	s_mov_b32 s21, 0
                                        ; implicit-def: $sgpr14
	s_set_inst_prefetch_distance 0x1
	s_branch .LBB115_142
	.p2align	6
.LBB115_141:                            ;   in Loop: Header=BB115_142 Depth=2
	s_or_b32 exec_lo, exec_lo, s7
	s_waitcnt lgkmcnt(0)
	s_barrier
	buffer_gl0_inv
	ds_load_b128 v[3:6], v13 offset:3072
	v_add_nc_u32_e32 v8, s31, v8
	v_add_nc_u32_e32 v7, s66, v7
	s_waitcnt lgkmcnt(0)
	s_barrier
	buffer_gl0_inv
	v_cmp_le_u32_e64 s7, s20, v8
	v_cmp_neq_f64_e32 vcc_lo, 0, v[3:4]
	s_delay_alu instid0(VALU_DEP_2) | instskip(NEXT) | instid1(SALU_CYCLE_1)
	s_or_b32 s7, s7, vcc_lo
	s_and_b32 s7, exec_lo, s7
	s_delay_alu instid0(SALU_CYCLE_1) | instskip(SKIP_2) | instid1(SALU_CYCLE_1)
	s_or_b32 s21, s7, s21
	s_and_not1_b32 s7, s14, exec_lo
	s_and_b32 s14, vcc_lo, exec_lo
	s_or_b32 s14, s7, s14
	s_and_not1_b32 exec_lo, exec_lo, s21
	s_cbranch_execz .LBB115_152
.LBB115_142:                            ;   Parent Loop BB115_30 Depth=1
                                        ; =>  This Inner Loop Header: Depth=2
	v_mov_b32_e32 v3, 0
	v_mov_b32_e32 v4, 0
	v_cmp_gt_u32_e32 vcc_lo, s13, v8
	s_and_saveexec_b32 s7, vcc_lo
	s_cbranch_execz .LBB115_144
; %bb.143:                              ;   in Loop: Header=BB115_142 Depth=2
	ds_load_b64 v[3:4], v7
.LBB115_144:                            ;   in Loop: Header=BB115_142 Depth=2
	s_or_b32 exec_lo, exec_lo, s7
	s_and_saveexec_b32 s7, vcc_lo
	s_cbranch_execz .LBB115_141
; %bb.145:                              ;   in Loop: Header=BB115_142 Depth=2
	s_waitcnt lgkmcnt(0)
	v_cmp_o_f64_e32 vcc_lo, v[3:4], v[3:4]
	v_ashrrev_i32_e32 v1, 31, v4
	s_delay_alu instid0(VALU_DEP_1) | instskip(SKIP_1) | instid1(VALU_DEP_2)
	v_or_b32_e32 v5, 0x80000000, v1
	v_xor_b32_e32 v1, v1, v3
	v_xor_b32_e32 v5, v5, v4
	s_delay_alu instid0(VALU_DEP_1) | instskip(NEXT) | instid1(VALU_DEP_3)
	v_cndmask_b32_e32 v5, -1, v5, vcc_lo
	v_cndmask_b32_e32 v1, -1, v1, vcc_lo
	s_delay_alu instid0(VALU_DEP_2) | instskip(NEXT) | instid1(VALU_DEP_2)
	v_and_b32_e32 v6, s45, v5
	v_and_b32_e32 v5, s44, v1
	s_delay_alu instid0(VALU_DEP_1)
	v_cmp_eq_u64_e32 vcc_lo, s[42:43], v[5:6]
	s_and_b32 exec_lo, exec_lo, vcc_lo
	s_cbranch_execz .LBB115_141
; %bb.146:                              ;   in Loop: Header=BB115_142 Depth=2
	v_mov_b32_e32 v1, v13
	ds_store_b128 v13, v[1:4] offset:3072
	s_branch .LBB115_141
.LBB115_147:                            ;   in Loop: Header=BB115_30 Depth=1
                                        ; implicit-def: $sgpr21
                                        ; implicit-def: $sgpr23
                                        ; implicit-def: $sgpr20
	s_branch .LBB115_164
.LBB115_148:                            ;   in Loop: Header=BB115_30 Depth=1
	s_or_b32 exec_lo, exec_lo, s9
	s_waitcnt vmcnt(0) lgkmcnt(0)
	s_barrier
	buffer_gl0_inv
	s_and_saveexec_b32 s7, s1
	s_cbranch_execz .LBB115_150
; %bb.149:                              ;   in Loop: Header=BB115_30 Depth=1
	ds_load_b32 v1, v13 offset:4112
	s_waitcnt lgkmcnt(0)
	ds_store_b32 v13, v1 offset:4104
.LBB115_150:                            ;   in Loop: Header=BB115_30 Depth=1
	s_or_b32 exec_lo, exec_lo, s7
	s_waitcnt lgkmcnt(0)
	s_mov_b32 s7, -1
	s_barrier
	s_and_b32 vcc_lo, exec_lo, s76
	s_cbranch_vccnz .LBB115_48
	s_branch .LBB115_58
.LBB115_151:                            ;   in Loop: Header=BB115_30 Depth=1
	s_mov_b32 s21, -1
	s_mov_b32 s14, 0
                                        ; implicit-def: $sgpr20
                                        ; implicit-def: $vgpr5_vgpr6
	s_mov_b32 s23, s21
	s_cbranch_execnz .LBB115_154
	s_branch .LBB115_164
.LBB115_152:                            ;   in Loop: Header=BB115_30 Depth=1
	s_set_inst_prefetch_distance 0x2
	s_or_b32 exec_lo, exec_lo, s21
	s_delay_alu instid0(SALU_CYCLE_1)
	s_and_b32 s14, s14, exec_lo
.LBB115_153:                            ;   in Loop: Header=BB115_30 Depth=1
	s_or_b32 exec_lo, exec_lo, s15
	s_mov_b32 s20, -1
	s_mov_b32 s21, 0
	s_delay_alu instid0(SALU_CYCLE_1)
	s_mov_b32 s23, s21
	s_branch .LBB115_164
.LBB115_154:                            ;   in Loop: Header=BB115_30 Depth=1
	s_mov_b32 s14, 0
                                        ; implicit-def: $vgpr5_vgpr6
	s_and_saveexec_b32 s13, s6
	s_cbranch_execz .LBB115_163
; %bb.155:                              ;   in Loop: Header=BB115_30 Depth=1
	v_dual_mov_b32 v12, v11 :: v_dual_mov_b32 v7, v0
	s_mov_b32 s15, 0
                                        ; implicit-def: $sgpr14
	s_branch .LBB115_157
.LBB115_156:                            ;   in Loop: Header=BB115_157 Depth=2
	s_or_b32 exec_lo, exec_lo, s7
	s_waitcnt vmcnt(0) lgkmcnt(0)
	s_barrier
	buffer_gl0_inv
	ds_load_b128 v[3:6], v13 offset:3072
	v_add_nc_u32_e32 v7, s31, v7
	v_add_nc_u32_e32 v12, s50, v12
	s_waitcnt lgkmcnt(0)
	s_barrier
	buffer_gl0_inv
	v_cmp_le_u32_e64 s7, s64, v7
	v_cmp_neq_f64_e32 vcc_lo, 0, v[3:4]
	s_delay_alu instid0(VALU_DEP_2) | instskip(NEXT) | instid1(SALU_CYCLE_1)
	s_or_b32 s7, s7, vcc_lo
	s_and_b32 s7, exec_lo, s7
	s_delay_alu instid0(SALU_CYCLE_1) | instskip(SKIP_2) | instid1(SALU_CYCLE_1)
	s_or_b32 s15, s7, s15
	s_and_not1_b32 s7, s14, exec_lo
	s_and_b32 s14, vcc_lo, exec_lo
	s_or_b32 s14, s7, s14
	s_and_not1_b32 exec_lo, exec_lo, s15
	s_cbranch_execz .LBB115_162
.LBB115_157:                            ;   Parent Loop BB115_30 Depth=1
                                        ; =>  This Inner Loop Header: Depth=2
	v_mov_b32_e32 v3, 0
	v_mov_b32_e32 v4, 0
	v_cmp_gt_u32_e32 vcc_lo, s28, v7
	s_and_saveexec_b32 s20, vcc_lo
	s_cbranch_execz .LBB115_159
; %bb.158:                              ;   in Loop: Header=BB115_157 Depth=2
	v_lshlrev_b64 v[3:4], 3, v[12:13]
	s_delay_alu instid0(VALU_DEP_1) | instskip(NEXT) | instid1(VALU_DEP_1)
	v_add_co_u32 v3, s7, s47, v3
	v_add_co_ci_u32_e64 v4, s7, s48, v4, s7
	global_load_b64 v[3:4], v[3:4], off
.LBB115_159:                            ;   in Loop: Header=BB115_157 Depth=2
	s_or_b32 exec_lo, exec_lo, s20
	s_and_saveexec_b32 s7, vcc_lo
	s_cbranch_execz .LBB115_156
; %bb.160:                              ;   in Loop: Header=BB115_157 Depth=2
	s_waitcnt vmcnt(0)
	v_cmp_o_f64_e32 vcc_lo, v[3:4], v[3:4]
	v_ashrrev_i32_e32 v1, 31, v4
	s_delay_alu instid0(VALU_DEP_1) | instskip(SKIP_1) | instid1(VALU_DEP_2)
	v_or_b32_e32 v5, 0x80000000, v1
	v_xor_b32_e32 v1, v1, v3
	v_xor_b32_e32 v5, v5, v4
	s_delay_alu instid0(VALU_DEP_1) | instskip(NEXT) | instid1(VALU_DEP_3)
	v_cndmask_b32_e32 v5, -1, v5, vcc_lo
	v_cndmask_b32_e32 v1, -1, v1, vcc_lo
	s_delay_alu instid0(VALU_DEP_2) | instskip(NEXT) | instid1(VALU_DEP_2)
	v_and_b32_e32 v6, s45, v5
	v_and_b32_e32 v5, s44, v1
	s_delay_alu instid0(VALU_DEP_1)
	v_cmp_eq_u64_e32 vcc_lo, s[42:43], v[5:6]
	s_and_b32 exec_lo, exec_lo, vcc_lo
	s_cbranch_execz .LBB115_156
; %bb.161:                              ;   in Loop: Header=BB115_157 Depth=2
	v_mov_b32_e32 v1, v13
	ds_store_b128 v13, v[1:4] offset:3072
	s_branch .LBB115_156
.LBB115_162:                            ;   in Loop: Header=BB115_30 Depth=1
	s_or_b32 exec_lo, exec_lo, s15
	s_delay_alu instid0(SALU_CYCLE_1)
	s_and_b32 s14, s14, exec_lo
.LBB115_163:                            ;   in Loop: Header=BB115_30 Depth=1
	s_or_b32 exec_lo, exec_lo, s13
	s_mov_b32 s23, -1
	s_mov_b32 s21, 0
	s_mov_b32 s20, 0
.LBB115_164:                            ;   in Loop: Header=BB115_30 Depth=1
	s_mov_b32 s13, 0
                                        ; implicit-def: $sgpr7
	s_and_saveexec_b32 s24, s14
	s_cbranch_execz .LBB115_260
; %bb.165:                              ;   in Loop: Header=BB115_30 Depth=1
	s_xor_b32 s7, s12, -1
	s_mov_b32 s75, 0
	s_and_not1_b32 vcc_lo, exec_lo, s7
	s_mov_b32 s77, 1
	s_cbranch_vccnz .LBB115_176
; %bb.166:                              ;   in Loop: Header=BB115_30 Depth=1
	s_cmp_gt_u32 s26, s25
	s_mov_b32 s75, -1
                                        ; implicit-def: $sgpr7
                                        ; implicit-def: $sgpr12_sgpr13
                                        ; implicit-def: $sgpr14_sgpr15
	s_cbranch_scc1 .LBB115_172
; %bb.167:                              ;   in Loop: Header=BB115_30 Depth=1
	ds_load_b32 v1, v13 offset:4104
	s_waitcnt lgkmcnt(0)
	v_cmp_ne_u32_e32 vcc_lo, 0, v1
	s_cbranch_vccnz .LBB115_171
; %bb.168:                              ;   in Loop: Header=BB115_30 Depth=1
	s_and_saveexec_b32 s7, s1
	s_cbranch_execz .LBB115_170
; %bb.169:                              ;   in Loop: Header=BB115_30 Depth=1
	v_mov_b32_e32 v1, s25
	ds_store_b32 v13, v1 offset:4108
.LBB115_170:                            ;   in Loop: Header=BB115_30 Depth=1
	s_or_b32 exec_lo, exec_lo, s7
	s_waitcnt lgkmcnt(0)
	s_barrier
	buffer_gl0_inv
.LBB115_171:                            ;   in Loop: Header=BB115_30 Depth=1
	s_lshl_b64 s[12:13], 1, s22
	s_and_b64 s[14:15], s[42:43], s[10:11]
	s_mov_b32 s75, 0
	s_or_b64 s[12:13], s[14:15], s[12:13]
	s_or_b64 s[14:15], s[44:45], s[8:9]
	s_mov_b32 s7, 8
.LBB115_172:                            ;   in Loop: Header=BB115_30 Depth=1
	s_and_not1_b32 vcc_lo, exec_lo, s75
	s_cbranch_vccnz .LBB115_174
; %bb.173:                              ;   in Loop: Header=BB115_30 Depth=1
	s_sub_i32 s26, s26, s25
	s_mov_b32 s75, -1
	s_mov_b32 s7, 0
	s_mov_b64 s[12:13], s[42:43]
	s_mov_b64 s[14:15], s[44:45]
.LBB115_174:                            ;   in Loop: Header=BB115_30 Depth=1
	s_delay_alu instid0(SALU_CYCLE_1)
	s_mov_b64 s[44:45], s[14:15]
	s_mov_b64 s[42:43], s[12:13]
	s_mov_b32 s77, s26
	s_and_not1_b32 vcc_lo, exec_lo, s75
	s_mov_b32 s13, -1
	s_cbranch_vccz .LBB115_177
.LBB115_175:                            ;   in Loop: Header=BB115_30 Depth=1
                                        ; implicit-def: $sgpr26
                                        ; implicit-def: $sgpr75
                                        ; implicit-def: $sgpr25
	s_branch .LBB115_259
.LBB115_176:                            ;   in Loop: Header=BB115_30 Depth=1
	s_mov_b32 s7, 1
	s_and_not1_b32 vcc_lo, exec_lo, s75
	s_mov_b32 s13, -1
	s_cbranch_vccnz .LBB115_175
.LBB115_177:                            ;   in Loop: Header=BB115_30 Depth=1
	s_cmp_eq_u32 s19, 1
	s_mov_b32 s14, -1
	s_cselect_b32 s7, -1, 0
	s_cmp_eq_u32 s77, 1
	s_cselect_b32 s12, -1, 0
	s_delay_alu instid0(SALU_CYCLE_1) | instskip(NEXT) | instid1(SALU_CYCLE_1)
	s_and_b32 s12, s7, s12
	s_and_b32 vcc_lo, exec_lo, s12
	s_cbranch_vccz .LBB115_189
; %bb.178:                              ;   in Loop: Header=BB115_30 Depth=1
	ds_load_b32 v1, v13 offset:4104
	s_waitcnt lgkmcnt(0)
	s_barrier
	buffer_gl0_inv
	v_readfirstlane_b32 s13, v1
	s_and_saveexec_b32 s7, s2
	s_cbranch_execz .LBB115_180
; %bb.179:                              ;   in Loop: Header=BB115_30 Depth=1
	v_mov_b32_e32 v12, v13
	ds_store_b64 v26, v[12:13]
.LBB115_180:                            ;   in Loop: Header=BB115_30 Depth=1
	s_or_b32 exec_lo, exec_lo, s7
	s_lshl_b64 s[14:15], 2, s22
	s_and_b64 s[42:43], s[42:43], s[10:11]
	s_or_b64 s[44:45], s[44:45], s[8:9]
	s_or_b64 s[42:43], s[42:43], s[14:15]
	s_cmp_eq_u32 s13, 0
	s_waitcnt lgkmcnt(0)
	s_barrier
	buffer_gl0_inv
	s_cbranch_scc1 .LBB115_190
; %bb.181:                              ;   in Loop: Header=BB115_30 Depth=1
	s_add_i32 s7, s13, s53
                                        ; implicit-def: $vgpr5_vgpr6
	s_delay_alu instid0(SALU_CYCLE_1) | instskip(NEXT) | instid1(SALU_CYCLE_1)
	s_mul_hi_u32 s14, s7, s62
	s_mul_i32 s14, s14, s31
	s_delay_alu instid0(SALU_CYCLE_1) | instskip(NEXT) | instid1(SALU_CYCLE_1)
	s_sub_i32 s14, s7, s14
	s_sub_i32 s15, s14, s31
	s_cmp_ge_u32 s14, s31
	s_cselect_b32 s14, s15, s14
	s_delay_alu instid0(SALU_CYCLE_1)
	s_sub_i32 s15, s14, s31
	s_cmp_ge_u32 s14, s31
	s_cselect_b32 s14, s15, s14
	s_mov_b32 s15, exec_lo
	s_sub_i32 s25, s7, s14
	s_mov_b32 s14, 0
	v_cmpx_gt_u32_e64 s25, v0
	s_cbranch_execz .LBB115_192
; %bb.182:                              ;   in Loop: Header=BB115_30 Depth=1
	v_dual_mov_b32 v7, v25 :: v_dual_mov_b32 v8, v0
	s_mov_b32 s26, 0
                                        ; implicit-def: $sgpr14
	s_set_inst_prefetch_distance 0x1
	s_branch .LBB115_184
	.p2align	6
.LBB115_183:                            ;   in Loop: Header=BB115_184 Depth=2
	s_or_b32 exec_lo, exec_lo, s7
	s_waitcnt lgkmcnt(0)
	s_barrier
	buffer_gl0_inv
	ds_load_b128 v[3:6], v13 offset:3072
	v_add_nc_u32_e32 v8, s31, v8
	v_add_nc_u32_e32 v7, s66, v7
	s_waitcnt lgkmcnt(0)
	s_barrier
	buffer_gl0_inv
	v_cmp_le_u32_e64 s7, s25, v8
	v_cmp_neq_f64_e32 vcc_lo, 0, v[3:4]
	s_delay_alu instid0(VALU_DEP_2) | instskip(NEXT) | instid1(SALU_CYCLE_1)
	s_or_b32 s7, s7, vcc_lo
	s_and_b32 s7, exec_lo, s7
	s_delay_alu instid0(SALU_CYCLE_1) | instskip(SKIP_2) | instid1(SALU_CYCLE_1)
	s_or_b32 s26, s7, s26
	s_and_not1_b32 s7, s14, exec_lo
	s_and_b32 s14, vcc_lo, exec_lo
	s_or_b32 s14, s7, s14
	s_and_not1_b32 exec_lo, exec_lo, s26
	s_cbranch_execz .LBB115_191
.LBB115_184:                            ;   Parent Loop BB115_30 Depth=1
                                        ; =>  This Inner Loop Header: Depth=2
	v_mov_b32_e32 v3, 0
	v_mov_b32_e32 v4, 0
	v_cmp_gt_u32_e32 vcc_lo, s13, v8
	s_and_saveexec_b32 s7, vcc_lo
	s_cbranch_execz .LBB115_186
; %bb.185:                              ;   in Loop: Header=BB115_184 Depth=2
	ds_load_b64 v[3:4], v7
.LBB115_186:                            ;   in Loop: Header=BB115_184 Depth=2
	s_or_b32 exec_lo, exec_lo, s7
	s_and_saveexec_b32 s7, vcc_lo
	s_cbranch_execz .LBB115_183
; %bb.187:                              ;   in Loop: Header=BB115_184 Depth=2
	s_waitcnt lgkmcnt(0)
	v_cmp_o_f64_e32 vcc_lo, v[3:4], v[3:4]
	v_ashrrev_i32_e32 v1, 31, v4
	s_delay_alu instid0(VALU_DEP_1) | instskip(SKIP_1) | instid1(VALU_DEP_2)
	v_or_b32_e32 v5, 0x80000000, v1
	v_xor_b32_e32 v1, v1, v3
	v_xor_b32_e32 v5, v5, v4
	s_delay_alu instid0(VALU_DEP_1) | instskip(NEXT) | instid1(VALU_DEP_3)
	v_cndmask_b32_e32 v5, -1, v5, vcc_lo
	v_cndmask_b32_e32 v1, -1, v1, vcc_lo
	s_delay_alu instid0(VALU_DEP_2) | instskip(NEXT) | instid1(VALU_DEP_2)
	v_and_b32_e32 v6, s45, v5
	v_and_b32_e32 v5, s44, v1
	s_delay_alu instid0(VALU_DEP_1)
	v_cmp_eq_u64_e32 vcc_lo, s[42:43], v[5:6]
	s_and_b32 exec_lo, exec_lo, vcc_lo
	s_cbranch_execz .LBB115_183
; %bb.188:                              ;   in Loop: Header=BB115_184 Depth=2
	v_mov_b32_e32 v1, v13
	ds_store_b128 v13, v[1:4] offset:3072
	s_branch .LBB115_183
.LBB115_189:                            ;   in Loop: Header=BB115_30 Depth=1
                                        ; implicit-def: $sgpr25
                                        ; implicit-def: $sgpr75
                                        ; implicit-def: $sgpr26
	s_branch .LBB115_203
.LBB115_190:                            ;   in Loop: Header=BB115_30 Depth=1
	s_mov_b32 s25, -1
	s_mov_b32 s14, 0
                                        ; implicit-def: $sgpr26
                                        ; implicit-def: $vgpr5_vgpr6
	s_mov_b32 s75, s25
	s_cbranch_execnz .LBB115_193
	s_branch .LBB115_203
.LBB115_191:                            ;   in Loop: Header=BB115_30 Depth=1
	s_set_inst_prefetch_distance 0x2
	s_or_b32 exec_lo, exec_lo, s26
	s_delay_alu instid0(SALU_CYCLE_1)
	s_and_b32 s14, s14, exec_lo
.LBB115_192:                            ;   in Loop: Header=BB115_30 Depth=1
	s_or_b32 exec_lo, exec_lo, s15
	s_mov_b32 s26, -1
	s_mov_b32 s25, 0
	s_delay_alu instid0(SALU_CYCLE_1)
	s_mov_b32 s75, s25
	s_branch .LBB115_203
.LBB115_193:                            ;   in Loop: Header=BB115_30 Depth=1
	s_mov_b32 s14, 0
                                        ; implicit-def: $vgpr5_vgpr6
	s_and_saveexec_b32 s13, s6
	s_cbranch_execz .LBB115_202
; %bb.194:                              ;   in Loop: Header=BB115_30 Depth=1
	v_dual_mov_b32 v12, v11 :: v_dual_mov_b32 v7, v0
	s_mov_b32 s15, 0
                                        ; implicit-def: $sgpr14
	s_branch .LBB115_196
.LBB115_195:                            ;   in Loop: Header=BB115_196 Depth=2
	s_or_b32 exec_lo, exec_lo, s7
	s_waitcnt vmcnt(0) lgkmcnt(0)
	s_barrier
	buffer_gl0_inv
	ds_load_b128 v[3:6], v13 offset:3072
	v_add_nc_u32_e32 v7, s31, v7
	v_add_nc_u32_e32 v12, s50, v12
	s_waitcnt lgkmcnt(0)
	s_barrier
	buffer_gl0_inv
	v_cmp_le_u32_e64 s7, s64, v7
	v_cmp_neq_f64_e32 vcc_lo, 0, v[3:4]
	s_delay_alu instid0(VALU_DEP_2) | instskip(NEXT) | instid1(SALU_CYCLE_1)
	s_or_b32 s7, s7, vcc_lo
	s_and_b32 s7, exec_lo, s7
	s_delay_alu instid0(SALU_CYCLE_1) | instskip(SKIP_2) | instid1(SALU_CYCLE_1)
	s_or_b32 s15, s7, s15
	s_and_not1_b32 s7, s14, exec_lo
	s_and_b32 s14, vcc_lo, exec_lo
	s_or_b32 s14, s7, s14
	s_and_not1_b32 exec_lo, exec_lo, s15
	s_cbranch_execz .LBB115_201
.LBB115_196:                            ;   Parent Loop BB115_30 Depth=1
                                        ; =>  This Inner Loop Header: Depth=2
	v_mov_b32_e32 v3, 0
	v_mov_b32_e32 v4, 0
	v_cmp_gt_u32_e32 vcc_lo, s28, v7
	s_and_saveexec_b32 s25, vcc_lo
	s_cbranch_execz .LBB115_198
; %bb.197:                              ;   in Loop: Header=BB115_196 Depth=2
	v_lshlrev_b64 v[3:4], 3, v[12:13]
	s_delay_alu instid0(VALU_DEP_1) | instskip(NEXT) | instid1(VALU_DEP_1)
	v_add_co_u32 v3, s7, s47, v3
	v_add_co_ci_u32_e64 v4, s7, s48, v4, s7
	global_load_b64 v[3:4], v[3:4], off
.LBB115_198:                            ;   in Loop: Header=BB115_196 Depth=2
	s_or_b32 exec_lo, exec_lo, s25
	s_and_saveexec_b32 s7, vcc_lo
	s_cbranch_execz .LBB115_195
; %bb.199:                              ;   in Loop: Header=BB115_196 Depth=2
	s_waitcnt vmcnt(0)
	v_cmp_o_f64_e32 vcc_lo, v[3:4], v[3:4]
	v_ashrrev_i32_e32 v1, 31, v4
	s_delay_alu instid0(VALU_DEP_1) | instskip(SKIP_1) | instid1(VALU_DEP_2)
	v_or_b32_e32 v5, 0x80000000, v1
	v_xor_b32_e32 v1, v1, v3
	v_xor_b32_e32 v5, v5, v4
	s_delay_alu instid0(VALU_DEP_1) | instskip(NEXT) | instid1(VALU_DEP_3)
	v_cndmask_b32_e32 v5, -1, v5, vcc_lo
	v_cndmask_b32_e32 v1, -1, v1, vcc_lo
	s_delay_alu instid0(VALU_DEP_2) | instskip(NEXT) | instid1(VALU_DEP_2)
	v_and_b32_e32 v6, s45, v5
	v_and_b32_e32 v5, s44, v1
	s_delay_alu instid0(VALU_DEP_1)
	v_cmp_eq_u64_e32 vcc_lo, s[42:43], v[5:6]
	s_and_b32 exec_lo, exec_lo, vcc_lo
	s_cbranch_execz .LBB115_195
; %bb.200:                              ;   in Loop: Header=BB115_196 Depth=2
	v_mov_b32_e32 v1, v13
	ds_store_b128 v13, v[1:4] offset:3072
	s_branch .LBB115_195
.LBB115_201:                            ;   in Loop: Header=BB115_30 Depth=1
	s_or_b32 exec_lo, exec_lo, s15
	s_delay_alu instid0(SALU_CYCLE_1)
	s_and_b32 s14, s14, exec_lo
.LBB115_202:                            ;   in Loop: Header=BB115_30 Depth=1
	s_or_b32 exec_lo, exec_lo, s13
	s_mov_b32 s75, -1
	s_mov_b32 s25, 0
	s_mov_b32 s26, 0
.LBB115_203:                            ;   in Loop: Header=BB115_30 Depth=1
	s_mov_b32 s13, 0
                                        ; implicit-def: $sgpr7
	s_and_saveexec_b32 s76, s14
	s_cbranch_execz .LBB115_258
; %bb.204:                              ;   in Loop: Header=BB115_30 Depth=1
	s_xor_b32 s7, s12, -1
	s_mov_b32 s78, 0
	s_and_not1_b32 vcc_lo, exec_lo, s7
	s_mov_b32 s12, 1
	s_cbranch_vccnz .LBB115_215
; %bb.205:                              ;   in Loop: Header=BB115_30 Depth=1
	s_cmp_gt_u32 s77, s19
	s_mov_b32 s78, -1
                                        ; implicit-def: $sgpr7
                                        ; implicit-def: $sgpr12_sgpr13
                                        ; implicit-def: $sgpr14_sgpr15
	s_cbranch_scc1 .LBB115_211
; %bb.206:                              ;   in Loop: Header=BB115_30 Depth=1
	ds_load_b32 v1, v13 offset:4104
	s_waitcnt lgkmcnt(0)
	v_cmp_ne_u32_e32 vcc_lo, 0, v1
	s_cbranch_vccnz .LBB115_210
; %bb.207:                              ;   in Loop: Header=BB115_30 Depth=1
	s_and_saveexec_b32 s7, s1
	s_cbranch_execz .LBB115_209
; %bb.208:                              ;   in Loop: Header=BB115_30 Depth=1
	v_mov_b32_e32 v1, s19
	ds_store_b32 v13, v1 offset:4108
.LBB115_209:                            ;   in Loop: Header=BB115_30 Depth=1
	s_or_b32 exec_lo, exec_lo, s7
	s_waitcnt lgkmcnt(0)
	s_barrier
	buffer_gl0_inv
.LBB115_210:                            ;   in Loop: Header=BB115_30 Depth=1
	s_lshl_b64 s[12:13], 2, s22
	s_and_b64 s[10:11], s[42:43], s[10:11]
	s_or_b64 s[14:15], s[44:45], s[8:9]
	s_or_b64 s[12:13], s[10:11], s[12:13]
	s_mov_b32 s78, 0
	s_mov_b32 s7, 8
.LBB115_211:                            ;   in Loop: Header=BB115_30 Depth=1
	s_and_not1_b32 vcc_lo, exec_lo, s78
	s_cbranch_vccnz .LBB115_213
; %bb.212:                              ;   in Loop: Header=BB115_30 Depth=1
	s_sub_i32 s77, s77, s19
	s_mov_b32 s78, -1
	s_mov_b32 s7, 0
	s_mov_b64 s[12:13], s[42:43]
	s_mov_b64 s[14:15], s[44:45]
.LBB115_213:                            ;   in Loop: Header=BB115_30 Depth=1
	s_delay_alu instid0(SALU_CYCLE_1)
	s_mov_b64 s[44:45], s[14:15]
	s_mov_b64 s[42:43], s[12:13]
	s_mov_b32 s12, s77
	s_and_not1_b32 vcc_lo, exec_lo, s78
	s_mov_b32 s11, -1
	s_cbranch_vccz .LBB115_216
.LBB115_214:                            ;   in Loop: Header=BB115_30 Depth=1
                                        ; implicit-def: $sgpr13
                                        ; implicit-def: $sgpr15
                                        ; implicit-def: $sgpr14
	s_branch .LBB115_257
.LBB115_215:                            ;   in Loop: Header=BB115_30 Depth=1
	s_mov_b32 s7, 1
	s_and_not1_b32 vcc_lo, exec_lo, s78
	s_mov_b32 s11, -1
	s_cbranch_vccnz .LBB115_214
.LBB115_216:                            ;   in Loop: Header=BB115_30 Depth=1
	s_cmp_eq_u32 s16, 1
	s_mov_b32 s19, -1
	s_cselect_b32 s7, -1, 0
	s_cmp_eq_u32 s12, 1
	s_cselect_b32 s10, -1, 0
	s_delay_alu instid0(SALU_CYCLE_1) | instskip(NEXT) | instid1(SALU_CYCLE_1)
	s_and_b32 s10, s7, s10
	s_and_b32 vcc_lo, exec_lo, s10
	s_cbranch_vccz .LBB115_228
; %bb.217:                              ;   in Loop: Header=BB115_30 Depth=1
	ds_load_b32 v1, v13 offset:4104
	s_waitcnt lgkmcnt(0)
	s_barrier
	buffer_gl0_inv
	v_readfirstlane_b32 s11, v1
	s_and_saveexec_b32 s7, s2
	s_cbranch_execz .LBB115_219
; %bb.218:                              ;   in Loop: Header=BB115_30 Depth=1
	v_mov_b32_e32 v12, v13
	ds_store_b64 v26, v[12:13]
.LBB115_219:                            ;   in Loop: Header=BB115_30 Depth=1
	s_or_b32 exec_lo, exec_lo, s7
	s_or_b64 s[42:43], s[42:43], s[8:9]
	s_or_b64 s[44:45], s[44:45], s[8:9]
	s_cmp_eq_u32 s11, 0
	s_waitcnt lgkmcnt(0)
	s_barrier
	buffer_gl0_inv
	s_cbranch_scc1 .LBB115_229
; %bb.220:                              ;   in Loop: Header=BB115_30 Depth=1
	s_add_i32 s7, s11, s53
	s_mov_b32 s19, 0
	s_mul_hi_u32 s13, s7, s62
                                        ; implicit-def: $vgpr5_vgpr6
	s_delay_alu instid0(SALU_CYCLE_1) | instskip(NEXT) | instid1(SALU_CYCLE_1)
	s_mul_i32 s13, s13, s31
	s_sub_i32 s13, s7, s13
	s_delay_alu instid0(SALU_CYCLE_1) | instskip(SKIP_2) | instid1(SALU_CYCLE_1)
	s_sub_i32 s14, s13, s31
	s_cmp_ge_u32 s13, s31
	s_cselect_b32 s13, s14, s13
	s_sub_i32 s14, s13, s31
	s_cmp_ge_u32 s13, s31
	s_cselect_b32 s13, s14, s13
	s_delay_alu instid0(SALU_CYCLE_1)
	s_sub_i32 s14, s7, s13
	s_mov_b32 s13, exec_lo
	v_cmpx_gt_u32_e64 s14, v0
	s_cbranch_execz .LBB115_231
; %bb.221:                              ;   in Loop: Header=BB115_30 Depth=1
	v_dual_mov_b32 v7, v25 :: v_dual_mov_b32 v8, v0
                                        ; implicit-def: $sgpr15
	s_set_inst_prefetch_distance 0x1
	s_branch .LBB115_223
	.p2align	6
.LBB115_222:                            ;   in Loop: Header=BB115_223 Depth=2
	s_or_b32 exec_lo, exec_lo, s7
	s_waitcnt lgkmcnt(0)
	s_barrier
	buffer_gl0_inv
	ds_load_b128 v[3:6], v13 offset:3072
	v_add_nc_u32_e32 v8, s31, v8
	v_add_nc_u32_e32 v7, s66, v7
	s_waitcnt lgkmcnt(0)
	s_barrier
	buffer_gl0_inv
	v_cmp_le_u32_e64 s7, s14, v8
	v_cmp_neq_f64_e32 vcc_lo, 0, v[3:4]
	s_delay_alu instid0(VALU_DEP_2) | instskip(NEXT) | instid1(SALU_CYCLE_1)
	s_or_b32 s7, s7, vcc_lo
	s_and_b32 s7, exec_lo, s7
	s_delay_alu instid0(SALU_CYCLE_1) | instskip(SKIP_2) | instid1(SALU_CYCLE_1)
	s_or_b32 s19, s7, s19
	s_and_not1_b32 s7, s15, exec_lo
	s_and_b32 s15, vcc_lo, exec_lo
	s_or_b32 s15, s7, s15
	s_and_not1_b32 exec_lo, exec_lo, s19
	s_cbranch_execz .LBB115_230
.LBB115_223:                            ;   Parent Loop BB115_30 Depth=1
                                        ; =>  This Inner Loop Header: Depth=2
	v_mov_b32_e32 v3, 0
	v_mov_b32_e32 v4, 0
	v_cmp_gt_u32_e32 vcc_lo, s11, v8
	s_and_saveexec_b32 s7, vcc_lo
	s_cbranch_execz .LBB115_225
; %bb.224:                              ;   in Loop: Header=BB115_223 Depth=2
	ds_load_b64 v[3:4], v7
.LBB115_225:                            ;   in Loop: Header=BB115_223 Depth=2
	s_or_b32 exec_lo, exec_lo, s7
	s_and_saveexec_b32 s7, vcc_lo
	s_cbranch_execz .LBB115_222
; %bb.226:                              ;   in Loop: Header=BB115_223 Depth=2
	s_waitcnt lgkmcnt(0)
	v_cmp_o_f64_e32 vcc_lo, v[3:4], v[3:4]
	v_ashrrev_i32_e32 v1, 31, v4
	s_delay_alu instid0(VALU_DEP_1) | instskip(SKIP_1) | instid1(VALU_DEP_2)
	v_or_b32_e32 v5, 0x80000000, v1
	v_xor_b32_e32 v1, v1, v3
	v_xor_b32_e32 v5, v5, v4
	s_delay_alu instid0(VALU_DEP_1) | instskip(NEXT) | instid1(VALU_DEP_3)
	v_cndmask_b32_e32 v5, -1, v5, vcc_lo
	v_cndmask_b32_e32 v1, -1, v1, vcc_lo
	s_delay_alu instid0(VALU_DEP_2) | instskip(NEXT) | instid1(VALU_DEP_2)
	v_and_b32_e32 v6, s45, v5
	v_and_b32_e32 v5, s44, v1
	s_delay_alu instid0(VALU_DEP_1)
	v_cmp_eq_u64_e32 vcc_lo, s[42:43], v[5:6]
	s_and_b32 exec_lo, exec_lo, vcc_lo
	s_cbranch_execz .LBB115_222
; %bb.227:                              ;   in Loop: Header=BB115_223 Depth=2
	v_mov_b32_e32 v1, v13
	ds_store_b128 v13, v[1:4] offset:3072
	s_branch .LBB115_222
.LBB115_228:                            ;   in Loop: Header=BB115_30 Depth=1
                                        ; implicit-def: $sgpr13
                                        ; implicit-def: $sgpr15
                                        ; implicit-def: $sgpr14
	s_branch .LBB115_242
.LBB115_229:                            ;   in Loop: Header=BB115_30 Depth=1
	s_mov_b32 s13, -1
	s_mov_b32 s19, 0
                                        ; implicit-def: $sgpr14
                                        ; implicit-def: $vgpr5_vgpr6
	s_mov_b32 s15, s13
	s_cbranch_execnz .LBB115_232
	s_branch .LBB115_242
.LBB115_230:                            ;   in Loop: Header=BB115_30 Depth=1
	s_set_inst_prefetch_distance 0x2
	s_or_b32 exec_lo, exec_lo, s19
	s_delay_alu instid0(SALU_CYCLE_1)
	s_and_b32 s19, s15, exec_lo
.LBB115_231:                            ;   in Loop: Header=BB115_30 Depth=1
	s_or_b32 exec_lo, exec_lo, s13
	s_mov_b32 s14, -1
	s_mov_b32 s13, 0
	s_delay_alu instid0(SALU_CYCLE_1)
	s_mov_b32 s15, s13
	s_branch .LBB115_242
.LBB115_232:                            ;   in Loop: Header=BB115_30 Depth=1
	s_mov_b32 s19, 0
                                        ; implicit-def: $vgpr5_vgpr6
	s_and_saveexec_b32 s11, s6
	s_cbranch_execz .LBB115_241
; %bb.233:                              ;   in Loop: Header=BB115_30 Depth=1
	v_dual_mov_b32 v12, v11 :: v_dual_mov_b32 v7, v0
	s_mov_b32 s14, 0
                                        ; implicit-def: $sgpr13
	s_branch .LBB115_235
.LBB115_234:                            ;   in Loop: Header=BB115_235 Depth=2
	s_or_b32 exec_lo, exec_lo, s7
	s_waitcnt vmcnt(0) lgkmcnt(0)
	s_barrier
	buffer_gl0_inv
	ds_load_b128 v[3:6], v13 offset:3072
	v_add_nc_u32_e32 v7, s31, v7
	v_add_nc_u32_e32 v12, s50, v12
	s_waitcnt lgkmcnt(0)
	s_barrier
	buffer_gl0_inv
	v_cmp_le_u32_e64 s7, s64, v7
	v_cmp_neq_f64_e32 vcc_lo, 0, v[3:4]
	s_delay_alu instid0(VALU_DEP_2) | instskip(NEXT) | instid1(SALU_CYCLE_1)
	s_or_b32 s7, s7, vcc_lo
	s_and_b32 s7, exec_lo, s7
	s_delay_alu instid0(SALU_CYCLE_1) | instskip(SKIP_2) | instid1(SALU_CYCLE_1)
	s_or_b32 s14, s7, s14
	s_and_not1_b32 s7, s13, exec_lo
	s_and_b32 s13, vcc_lo, exec_lo
	s_or_b32 s13, s7, s13
	s_and_not1_b32 exec_lo, exec_lo, s14
	s_cbranch_execz .LBB115_240
.LBB115_235:                            ;   Parent Loop BB115_30 Depth=1
                                        ; =>  This Inner Loop Header: Depth=2
	v_mov_b32_e32 v3, 0
	v_mov_b32_e32 v4, 0
	v_cmp_gt_u32_e32 vcc_lo, s28, v7
	s_and_saveexec_b32 s15, vcc_lo
	s_cbranch_execz .LBB115_237
; %bb.236:                              ;   in Loop: Header=BB115_235 Depth=2
	v_lshlrev_b64 v[3:4], 3, v[12:13]
	s_delay_alu instid0(VALU_DEP_1) | instskip(NEXT) | instid1(VALU_DEP_1)
	v_add_co_u32 v3, s7, s47, v3
	v_add_co_ci_u32_e64 v4, s7, s48, v4, s7
	global_load_b64 v[3:4], v[3:4], off
.LBB115_237:                            ;   in Loop: Header=BB115_235 Depth=2
	s_or_b32 exec_lo, exec_lo, s15
	s_and_saveexec_b32 s7, vcc_lo
	s_cbranch_execz .LBB115_234
; %bb.238:                              ;   in Loop: Header=BB115_235 Depth=2
	s_waitcnt vmcnt(0)
	v_cmp_o_f64_e32 vcc_lo, v[3:4], v[3:4]
	v_ashrrev_i32_e32 v1, 31, v4
	s_delay_alu instid0(VALU_DEP_1) | instskip(SKIP_1) | instid1(VALU_DEP_2)
	v_or_b32_e32 v5, 0x80000000, v1
	v_xor_b32_e32 v1, v1, v3
	v_xor_b32_e32 v5, v5, v4
	s_delay_alu instid0(VALU_DEP_1) | instskip(NEXT) | instid1(VALU_DEP_3)
	v_cndmask_b32_e32 v5, -1, v5, vcc_lo
	v_cndmask_b32_e32 v1, -1, v1, vcc_lo
	s_delay_alu instid0(VALU_DEP_2) | instskip(NEXT) | instid1(VALU_DEP_2)
	v_and_b32_e32 v6, s45, v5
	v_and_b32_e32 v5, s44, v1
	s_delay_alu instid0(VALU_DEP_1)
	v_cmp_eq_u64_e32 vcc_lo, s[42:43], v[5:6]
	s_and_b32 exec_lo, exec_lo, vcc_lo
	s_cbranch_execz .LBB115_234
; %bb.239:                              ;   in Loop: Header=BB115_235 Depth=2
	v_mov_b32_e32 v1, v13
	ds_store_b128 v13, v[1:4] offset:3072
	s_branch .LBB115_234
.LBB115_240:                            ;   in Loop: Header=BB115_30 Depth=1
	s_or_b32 exec_lo, exec_lo, s14
	s_delay_alu instid0(SALU_CYCLE_1)
	s_and_b32 s19, s13, exec_lo
.LBB115_241:                            ;   in Loop: Header=BB115_30 Depth=1
	s_or_b32 exec_lo, exec_lo, s11
	s_mov_b32 s15, -1
	s_mov_b32 s13, 0
	s_mov_b32 s14, 0
.LBB115_242:                            ;   in Loop: Header=BB115_30 Depth=1
	s_mov_b32 s11, 0
                                        ; implicit-def: $sgpr7
	s_and_saveexec_b32 s22, s19
	s_cbranch_execz .LBB115_256
; %bb.243:                              ;   in Loop: Header=BB115_30 Depth=1
	s_xor_b32 s7, s10, -1
	s_delay_alu instid0(SALU_CYCLE_1)
	s_and_not1_b32 vcc_lo, exec_lo, s7
	s_mov_b32 s7, 1
	s_cbranch_vccnz .LBB115_250
; %bb.244:                              ;   in Loop: Header=BB115_30 Depth=1
	s_cmp_gt_u32 s12, s16
	s_cbranch_scc1 .LBB115_251
; %bb.245:                              ;   in Loop: Header=BB115_30 Depth=1
	ds_load_b32 v1, v13 offset:4104
	s_waitcnt lgkmcnt(0)
	v_cmp_ne_u32_e32 vcc_lo, 0, v1
	s_cbranch_vccnz .LBB115_249
; %bb.246:                              ;   in Loop: Header=BB115_30 Depth=1
	s_and_saveexec_b32 s7, s1
	s_cbranch_execz .LBB115_248
; %bb.247:                              ;   in Loop: Header=BB115_30 Depth=1
	v_mov_b32_e32 v1, s16
	ds_store_b32 v13, v1 offset:4108
.LBB115_248:                            ;   in Loop: Header=BB115_30 Depth=1
	s_or_b32 exec_lo, exec_lo, s7
	s_waitcnt lgkmcnt(0)
	s_barrier
	buffer_gl0_inv
.LBB115_249:                            ;   in Loop: Header=BB115_30 Depth=1
	s_or_b64 s[10:11], s[42:43], s[8:9]
	s_or_b64 s[8:9], s[44:45], s[8:9]
	s_mov_b32 s19, 0
	s_mov_b32 s7, 8
	s_branch .LBB115_252
.LBB115_250:                            ;   in Loop: Header=BB115_30 Depth=1
	s_mov_b32 s12, 1
	s_branch .LBB115_255
.LBB115_251:                            ;   in Loop: Header=BB115_30 Depth=1
	s_mov_b32 s19, -1
                                        ; implicit-def: $sgpr7
                                        ; implicit-def: $sgpr10_sgpr11
                                        ; implicit-def: $sgpr8_sgpr9
.LBB115_252:                            ;   in Loop: Header=BB115_30 Depth=1
	s_delay_alu instid0(SALU_CYCLE_1)
	s_and_not1_b32 vcc_lo, exec_lo, s19
	s_cbranch_vccnz .LBB115_254
; %bb.253:                              ;   in Loop: Header=BB115_30 Depth=1
	s_sub_i32 s12, s12, s16
	s_mov_b32 s7, 8
	s_mov_b64 s[10:11], s[42:43]
	s_mov_b64 s[8:9], s[44:45]
.LBB115_254:                            ;   in Loop: Header=BB115_30 Depth=1
	s_mov_b64 s[42:43], s[10:11]
	s_mov_b64 s[44:45], s[8:9]
.LBB115_255:                            ;   in Loop: Header=BB115_30 Depth=1
	s_mov_b32 s11, exec_lo
.LBB115_256:                            ;   in Loop: Header=BB115_30 Depth=1
	s_or_b32 exec_lo, exec_lo, s22
.LBB115_257:                            ;   in Loop: Header=BB115_30 Depth=1
	s_delay_alu instid0(SALU_CYCLE_1)
	s_and_not1_b32 s8, s25, exec_lo
	s_and_b32 s9, s13, exec_lo
	s_and_not1_b32 s10, s26, exec_lo
	s_or_b32 s25, s8, s9
	s_and_not1_b32 s8, s75, exec_lo
	s_and_b32 s9, s15, exec_lo
	s_and_b32 s13, s14, exec_lo
	s_or_b32 s75, s8, s9
	s_or_b32 s26, s10, s13
	s_and_b32 s13, s11, exec_lo
	s_mov_b32 s77, s12
.LBB115_258:                            ;   in Loop: Header=BB115_30 Depth=1
	s_or_b32 exec_lo, exec_lo, s76
.LBB115_259:                            ;   in Loop: Header=BB115_30 Depth=1
	s_delay_alu instid0(SALU_CYCLE_1)
	s_and_not1_b32 s8, s21, exec_lo
	s_and_b32 s9, s25, exec_lo
	s_and_not1_b32 s10, s20, exec_lo
	s_or_b32 s21, s8, s9
	s_and_not1_b32 s8, s23, exec_lo
	s_and_b32 s9, s75, exec_lo
	s_and_b32 s11, s26, exec_lo
	s_or_b32 s23, s8, s9
	s_or_b32 s20, s10, s11
	s_and_b32 s13, s13, exec_lo
	s_mov_b32 s26, s77
.LBB115_260:                            ;   in Loop: Header=BB115_30 Depth=1
	s_or_b32 exec_lo, exec_lo, s24
                                        ; implicit-def: $sgpr75
	s_and_saveexec_b32 s8, s13
	s_delay_alu instid0(SALU_CYCLE_1)
	s_xor_b32 s8, exec_lo, s8
	s_cbranch_execz .LBB115_28
.LBB115_261:                            ;   in Loop: Header=BB115_30 Depth=1
	s_and_b32 s7, s7, -9
	s_delay_alu instid0(SALU_CYCLE_1)
	s_cmp_eq_u32 s7, 0
	s_cbranch_scc1 .LBB115_26
; %bb.262:                              ;   in Loop: Header=BB115_30 Depth=1
	s_mov_b32 s7, -1
	s_mov_b32 s9, -1
                                        ; implicit-def: $sgpr44_sgpr45
                                        ; implicit-def: $sgpr26
                                        ; implicit-def: $sgpr70
                                        ; implicit-def: $sgpr73
	s_branch .LBB115_27
.LBB115_263:
	s_or_b32 exec_lo, exec_lo, s49
	s_xor_b32 s4, s69, -1
	s_xor_b32 s1, s67, -1
	;; [unrolled: 1-line block ×3, first 2 shown]
	s_mov_b32 s2, 0
	s_and_saveexec_b32 s5, s1
	s_delay_alu instid0(SALU_CYCLE_1)
	s_xor_b32 s1, exec_lo, s5
	s_cbranch_execz .LBB115_277
; %bb.264:
	s_and_saveexec_b32 s2, s4
	s_delay_alu instid0(SALU_CYCLE_1)
	s_xor_b32 s4, exec_lo, s2
	s_cbranch_execz .LBB115_275
; %bb.265:
	s_and_saveexec_b32 s2, s3
	s_delay_alu instid0(SALU_CYCLE_1)
	s_xor_b32 s2, exec_lo, s2
; %bb.266:
	v_lshrrev_b32_e32 v1, 31, v4
	s_delay_alu instid0(VALU_DEP_1) | instskip(NEXT) | instid1(VALU_DEP_1)
	v_add_co_u32 v1, s3, v1, -1
	v_add_co_ci_u32_e64 v2, null, 0, -1, s3
	s_delay_alu instid0(VALU_DEP_2) | instskip(NEXT) | instid1(VALU_DEP_2)
	v_xor_b32_e32 v5, v1, v3
	v_or_b32_e32 v2, 0x80000000, v2
	s_delay_alu instid0(VALU_DEP_1)
	v_xor_b32_e32 v6, v2, v4
; %bb.267:
	s_or_b32 exec_lo, exec_lo, s2
	s_mul_i32 s2, s34, s29
	s_mov_b32 s3, 0
	s_add_i32 s2, s2, s27
	v_mov_b32_e32 v12, 0
	s_lshl_b64 s[6:7], s[2:3], 3
	s_delay_alu instid0(SALU_CYCLE_1)
	s_add_u32 s6, s38, s6
	s_addc_u32 s7, s39, s7
	global_store_b64 v12, v[5:6], s[6:7]
	s_and_saveexec_b32 s2, s0
	s_cbranch_execz .LBB115_274
; %bb.268:
	v_cmp_u_f64_e32 vcc_lo, v[5:6], v[5:6]
                                        ; implicit-def: $sgpr5
                                        ; implicit-def: $sgpr8
                                        ; implicit-def: $sgpr7
	s_xor_b32 s6, vcc_lo, -1
	s_set_inst_prefetch_distance 0x1
	s_branch .LBB115_270
	.p2align	6
.LBB115_269:                            ;   in Loop: Header=BB115_270 Depth=1
	s_or_b32 exec_lo, exec_lo, s0
	s_delay_alu instid0(SALU_CYCLE_1) | instskip(NEXT) | instid1(SALU_CYCLE_1)
	s_and_b32 s0, exec_lo, s8
	s_or_b32 s3, s0, s3
	s_and_not1_b32 s0, s5, exec_lo
	s_and_b32 s5, s7, exec_lo
	s_delay_alu instid0(SALU_CYCLE_1)
	s_or_b32 s5, s0, s5
	s_and_not1_b32 exec_lo, exec_lo, s3
	s_cbranch_execz .LBB115_272
.LBB115_270:                            ; =>This Inner Loop Header: Depth=1
	v_lshlrev_b64 v[1:2], 3, v[11:12]
	s_or_b32 s7, s7, exec_lo
	s_or_b32 s8, s8, exec_lo
	s_delay_alu instid0(VALU_DEP_1) | instskip(NEXT) | instid1(VALU_DEP_2)
	v_add_co_u32 v1, vcc_lo, s47, v1
	v_add_co_ci_u32_e32 v2, vcc_lo, s48, v2, vcc_lo
	global_load_b64 v[1:2], v[1:2], off
	s_waitcnt vmcnt(0)
	v_cmp_o_f64_e32 vcc_lo, v[1:2], v[1:2]
	v_cmp_neq_f64_e64 s0, v[1:2], v[5:6]
	v_mov_b32_e32 v1, v0
                                        ; implicit-def: $vgpr0
	s_or_b32 s9, vcc_lo, s6
	s_delay_alu instid0(VALU_DEP_2) | instid1(SALU_CYCLE_1)
	s_and_b32 s9, s0, s9
	s_delay_alu instid0(SALU_CYCLE_1)
	s_and_saveexec_b32 s0, s9
	s_cbranch_execz .LBB115_269
; %bb.271:                              ;   in Loop: Header=BB115_270 Depth=1
	v_add_nc_u32_e32 v0, s31, v1
	s_and_not1_b32 s8, s8, exec_lo
	v_add_nc_u32_e32 v11, s50, v11
	s_and_not1_b32 s7, s7, exec_lo
	s_delay_alu instid0(VALU_DEP_2) | instskip(SKIP_1) | instid1(SALU_CYCLE_1)
	v_cmp_le_u32_e32 vcc_lo, s28, v0
	s_and_b32 s9, vcc_lo, exec_lo
	s_or_b32 s8, s8, s9
	s_branch .LBB115_269
.LBB115_272:
	s_set_inst_prefetch_distance 0x2
	s_or_b32 exec_lo, exec_lo, s3
	s_and_saveexec_b32 s0, s5
	s_delay_alu instid0(SALU_CYCLE_1)
	s_xor_b32 s0, exec_lo, s0
	s_cbranch_execz .LBB115_274
; %bb.273:
	s_mul_i32 s0, s46, s33
	s_mov_b32 s7, 0
	s_add_i32 s6, s0, s35
	v_mov_b32_e32 v2, 0
	s_lshl_b64 s[6:7], s[6:7], 3
	s_delay_alu instid0(SALU_CYCLE_1)
	s_add_u32 s6, s36, s6
	s_addc_u32 s7, s37, s7
	global_store_b64 v2, v[1:2], s[6:7]
.LBB115_274:
	s_or_b32 exec_lo, exec_lo, s2
.LBB115_275:
	s_or_saveexec_b32 s0, s4
	s_mov_b32 s2, 0
	s_xor_b32 exec_lo, exec_lo, s0
	s_cbranch_execnz .LBB115_283
.LBB115_276:
	s_or_b32 exec_lo, exec_lo, s0
	s_delay_alu instid0(SALU_CYCLE_1)
	s_and_b32 s2, s2, exec_lo
.LBB115_277:
	s_and_not1_saveexec_b32 s0, s1
	s_cbranch_execnz .LBB115_281
; %bb.278:
	s_or_b32 exec_lo, exec_lo, s0
	s_and_saveexec_b32 s0, s2
.LBB115_279:
	; divergent unreachable
.LBB115_280:
	s_nop 0
	s_sendmsg sendmsg(MSG_DEALLOC_VGPRS)
	s_endpgm
.LBB115_281:
	s_cbranch_execnz .LBB115_285
; %bb.282:
	s_or_b32 s2, s2, exec_lo
	s_or_b32 exec_lo, exec_lo, s0
	s_and_saveexec_b32 s0, s2
	s_cbranch_execnz .LBB115_279
	s_branch .LBB115_280
.LBB115_283:
	s_cbranch_execnz .LBB115_287
; %bb.284:
	s_mov_b32 s2, exec_lo
	s_branch .LBB115_276
.LBB115_285:
	s_trap 2
	s_sendmsg_rtn_b32 s0, sendmsg(MSG_RTN_GET_DOORBELL)
	s_mov_b32 ttmp2, m0
	s_waitcnt lgkmcnt(0)
	s_and_b32 s0, s0, 0x3ff
	s_delay_alu instid0(SALU_CYCLE_1) | instskip(NEXT) | instid1(SALU_CYCLE_1)
	s_bitset1_b32 s0, 10
	s_mov_b32 m0, s0
	s_sendmsg sendmsg(MSG_INTERRUPT)
	s_mov_b32 m0, ttmp2
.LBB115_286:                            ; =>This Inner Loop Header: Depth=1
	s_sethalt 5
	s_branch .LBB115_286
.LBB115_287:
	s_trap 2
	s_sendmsg_rtn_b32 s0, sendmsg(MSG_RTN_GET_DOORBELL)
	s_mov_b32 ttmp2, m0
	s_waitcnt lgkmcnt(0)
	s_and_b32 s0, s0, 0x3ff
	s_delay_alu instid0(SALU_CYCLE_1) | instskip(NEXT) | instid1(SALU_CYCLE_1)
	s_bitset1_b32 s0, 10
	s_mov_b32 m0, s0
	s_sendmsg sendmsg(MSG_INTERRUPT)
	s_mov_b32 m0, ttmp2
.LBB115_288:                            ; =>This Inner Loop Header: Depth=1
	s_sethalt 5
	s_branch .LBB115_288
	.section	.rodata,"a",@progbits
	.p2align	6, 0x0
	.amdhsa_kernel _ZN2at6native12_GLOBAL__N_112gatherMedianIdjLin1EEEvNS_4cuda6detail10TensorInfoIT_T0_EENS5_IlS7_EENS5_IKS6_S7_EES7_S7_S7_b
		.amdhsa_group_segment_fixed_size 4120
		.amdhsa_private_segment_fixed_size 0
		.amdhsa_kernarg_size 920
		.amdhsa_user_sgpr_count 13
		.amdhsa_user_sgpr_dispatch_ptr 0
		.amdhsa_user_sgpr_queue_ptr 0
		.amdhsa_user_sgpr_kernarg_segment_ptr 1
		.amdhsa_user_sgpr_dispatch_id 0
		.amdhsa_user_sgpr_private_segment_size 0
		.amdhsa_wavefront_size32 1
		.amdhsa_uses_dynamic_stack 0
		.amdhsa_enable_private_segment 0
		.amdhsa_system_sgpr_workgroup_id_x 1
		.amdhsa_system_sgpr_workgroup_id_y 1
		.amdhsa_system_sgpr_workgroup_id_z 1
		.amdhsa_system_sgpr_workgroup_info 0
		.amdhsa_system_vgpr_workitem_id 0
		.amdhsa_next_free_vgpr 50
		.amdhsa_next_free_sgpr 85
		.amdhsa_reserve_vcc 1
		.amdhsa_float_round_mode_32 0
		.amdhsa_float_round_mode_16_64 0
		.amdhsa_float_denorm_mode_32 3
		.amdhsa_float_denorm_mode_16_64 3
		.amdhsa_dx10_clamp 1
		.amdhsa_ieee_mode 1
		.amdhsa_fp16_overflow 0
		.amdhsa_workgroup_processor_mode 1
		.amdhsa_memory_ordered 1
		.amdhsa_forward_progress 0
		.amdhsa_shared_vgpr_count 0
		.amdhsa_exception_fp_ieee_invalid_op 0
		.amdhsa_exception_fp_denorm_src 0
		.amdhsa_exception_fp_ieee_div_zero 0
		.amdhsa_exception_fp_ieee_overflow 0
		.amdhsa_exception_fp_ieee_underflow 0
		.amdhsa_exception_fp_ieee_inexact 0
		.amdhsa_exception_int_div_zero 0
	.end_amdhsa_kernel
	.section	.text._ZN2at6native12_GLOBAL__N_112gatherMedianIdjLin1EEEvNS_4cuda6detail10TensorInfoIT_T0_EENS5_IlS7_EENS5_IKS6_S7_EES7_S7_S7_b,"axG",@progbits,_ZN2at6native12_GLOBAL__N_112gatherMedianIdjLin1EEEvNS_4cuda6detail10TensorInfoIT_T0_EENS5_IlS7_EENS5_IKS6_S7_EES7_S7_S7_b,comdat
.Lfunc_end115:
	.size	_ZN2at6native12_GLOBAL__N_112gatherMedianIdjLin1EEEvNS_4cuda6detail10TensorInfoIT_T0_EENS5_IlS7_EENS5_IKS6_S7_EES7_S7_S7_b, .Lfunc_end115-_ZN2at6native12_GLOBAL__N_112gatherMedianIdjLin1EEEvNS_4cuda6detail10TensorInfoIT_T0_EENS5_IlS7_EENS5_IKS6_S7_EES7_S7_S7_b
                                        ; -- End function
	.section	.AMDGPU.csdata,"",@progbits
; Kernel info:
; codeLenInByte = 11460
; NumSgprs: 87
; NumVgprs: 50
; ScratchSize: 0
; MemoryBound: 0
; FloatMode: 240
; IeeeMode: 1
; LDSByteSize: 4120 bytes/workgroup (compile time only)
; SGPRBlocks: 10
; VGPRBlocks: 6
; NumSGPRsForWavesPerEU: 87
; NumVGPRsForWavesPerEU: 50
; Occupancy: 16
; WaveLimiterHint : 1
; COMPUTE_PGM_RSRC2:SCRATCH_EN: 0
; COMPUTE_PGM_RSRC2:USER_SGPR: 13
; COMPUTE_PGM_RSRC2:TRAP_HANDLER: 0
; COMPUTE_PGM_RSRC2:TGID_X_EN: 1
; COMPUTE_PGM_RSRC2:TGID_Y_EN: 1
; COMPUTE_PGM_RSRC2:TGID_Z_EN: 1
; COMPUTE_PGM_RSRC2:TIDIG_COMP_CNT: 0
	.section	.text._ZN2at6native12_GLOBAL__N_112gatherMedianIdmLi1EEEvNS_4cuda6detail10TensorInfoIT_T0_EENS5_IlS7_EENS5_IKS6_S7_EES7_S7_S7_b,"axG",@progbits,_ZN2at6native12_GLOBAL__N_112gatherMedianIdmLi1EEEvNS_4cuda6detail10TensorInfoIT_T0_EENS5_IlS7_EENS5_IKS6_S7_EES7_S7_S7_b,comdat
	.globl	_ZN2at6native12_GLOBAL__N_112gatherMedianIdmLi1EEEvNS_4cuda6detail10TensorInfoIT_T0_EENS5_IlS7_EENS5_IKS6_S7_EES7_S7_S7_b ; -- Begin function _ZN2at6native12_GLOBAL__N_112gatherMedianIdmLi1EEEvNS_4cuda6detail10TensorInfoIT_T0_EENS5_IlS7_EENS5_IKS6_S7_EES7_S7_S7_b
	.p2align	8
	.type	_ZN2at6native12_GLOBAL__N_112gatherMedianIdmLi1EEEvNS_4cuda6detail10TensorInfoIT_T0_EENS5_IlS7_EENS5_IKS6_S7_EES7_S7_S7_b,@function
_ZN2at6native12_GLOBAL__N_112gatherMedianIdmLi1EEEvNS_4cuda6detail10TensorInfoIT_T0_EENS5_IlS7_EENS5_IKS6_S7_EES7_S7_S7_b: ; @_ZN2at6native12_GLOBAL__N_112gatherMedianIdmLi1EEEvNS_4cuda6detail10TensorInfoIT_T0_EENS5_IlS7_EENS5_IKS6_S7_EES7_S7_S7_b
; %bb.0:
	s_clause 0x1
	s_load_b64 s[8:9], s[0:1], 0x500
	s_load_b128 s[24:27], s[0:1], 0x4e0
	s_add_u32 s6, s0, 0x500
	s_addc_u32 s7, s1, 0
	s_mov_b32 s29, 0
	s_waitcnt lgkmcnt(0)
	s_mul_i32 s2, s9, s15
	s_delay_alu instid0(SALU_CYCLE_1) | instskip(NEXT) | instid1(SALU_CYCLE_1)
	s_add_i32 s2, s2, s14
	s_mul_i32 s2, s2, s8
	s_delay_alu instid0(SALU_CYCLE_1) | instskip(NEXT) | instid1(SALU_CYCLE_1)
	s_add_i32 s28, s2, s13
	v_cmp_ge_u64_e64 s2, s[28:29], s[26:27]
	s_delay_alu instid0(VALU_DEP_1)
	s_and_b32 vcc_lo, exec_lo, s2
	s_cbranch_vccnz .LBB116_306
; %bb.1:
	s_clause 0x6
	s_load_b64 s[10:11], s[0:1], 0x410
	s_load_b64 s[38:39], s[0:1], 0x4f0
	;; [unrolled: 1-line block ×7, first 2 shown]
	v_dual_mov_b32 v1, 0 :: v_dual_mov_b32 v2, 0
	v_mov_b32_e32 v3, 0
	s_delay_alu instid0(VALU_DEP_2)
	v_cmp_gt_u64_e64 s2, s[24:25], v[0:1]
	s_waitcnt lgkmcnt(0)
	s_mul_i32 s3, s11, s28
	s_mul_hi_u32 s9, s10, s28
	s_mul_i32 s10, s10, s28
	s_add_i32 s11, s9, s3
	s_and_saveexec_b32 s9, s2
	s_cbranch_execz .LBB116_5
; %bb.2:
	v_mad_u64_u32 v[4:5], null, s38, v0, 0
	s_load_b32 s3, s[6:7], 0xc
	s_lshl_b64 s[14:15], s[10:11], 3
	s_delay_alu instid0(VALU_DEP_1) | instskip(NEXT) | instid1(VALU_DEP_1)
	v_mov_b32_e32 v2, v5
	v_mad_u64_u32 v[5:6], null, s39, v0, v[2:3]
	v_dual_mov_b32 v2, 0 :: v_dual_mov_b32 v7, v1
	v_dual_mov_b32 v3, 0 :: v_dual_mov_b32 v6, v0
	s_delay_alu instid0(VALU_DEP_3)
	v_lshlrev_b64 v[4:5], 3, v[4:5]
	s_waitcnt lgkmcnt(0)
	s_and_b32 s12, s3, 0xffff
	s_add_u32 s3, s4, s14
	s_addc_u32 s17, s5, s15
	s_mul_i32 s14, s39, s12
	s_mul_hi_u32 s16, s38, s12
	v_add_co_u32 v4, vcc_lo, s3, v4
	v_add_co_ci_u32_e32 v5, vcc_lo, s17, v5, vcc_lo
	s_add_i32 s15, s16, s14
	s_mul_i32 s14, s38, s12
	s_mov_b32 s16, 0
	s_lshl_b64 s[14:15], s[14:15], 3
	.p2align	6
.LBB116_3:                              ; =>This Inner Loop Header: Depth=1
	global_load_b64 v[8:9], v[4:5], off
	v_add_co_u32 v6, vcc_lo, v6, s12
	v_add_co_ci_u32_e32 v7, vcc_lo, 0, v7, vcc_lo
	v_add_co_u32 v4, vcc_lo, v4, s14
	v_add_co_ci_u32_e32 v5, vcc_lo, s15, v5, vcc_lo
	s_waitcnt vmcnt(0)
	v_cmp_u_f64_e32 vcc_lo, v[8:9], v[8:9]
	v_cndmask_b32_e64 v8, 0, 1, vcc_lo
	v_cmp_le_u64_e32 vcc_lo, s[24:25], v[6:7]
	s_delay_alu instid0(VALU_DEP_2) | instskip(NEXT) | instid1(VALU_DEP_1)
	v_add_co_u32 v2, s3, v2, v8
	v_add_co_ci_u32_e64 v3, s3, 0, v3, s3
	s_or_b32 s16, vcc_lo, s16
	s_delay_alu instid0(SALU_CYCLE_1)
	s_and_not1_b32 exec_lo, exec_lo, s16
	s_cbranch_execnz .LBB116_3
; %bb.4:
	s_or_b32 exec_lo, exec_lo, s16
.LBB116_5:
	s_delay_alu instid0(SALU_CYCLE_1) | instskip(SKIP_1) | instid1(VALU_DEP_1)
	s_or_b32 exec_lo, exec_lo, s9
	v_cmp_eq_u32_e64 s3, 0, v0
	s_and_saveexec_b32 s9, s3
	s_cbranch_execz .LBB116_7
; %bb.6:
	v_mov_b32_e32 v4, 0
	s_delay_alu instid0(VALU_DEP_1)
	v_mov_b32_e32 v5, v4
	ds_store_b64 v4, v[4:5] offset:5136
.LBB116_7:
	s_or_b32 exec_lo, exec_lo, s9
	s_mov_b64 s[14:15], 0
	s_mov_b32 s9, exec_lo
	s_waitcnt lgkmcnt(0)
	s_barrier
	buffer_gl0_inv
	v_cmpx_ne_u64_e32 0, v[2:3]
	s_cbranch_execz .LBB116_12
; %bb.8:
	s_mov_b32 s12, exec_lo
.LBB116_9:                              ; =>This Inner Loop Header: Depth=1
	s_delay_alu instid0(SALU_CYCLE_1) | instskip(NEXT) | instid1(SALU_CYCLE_1)
	s_ctz_i32_b32 s16, s12
	v_readlane_b32 s17, v2, s16
	v_readlane_b32 s18, v3, s16
	s_delay_alu instid0(VALU_DEP_2) | instskip(NEXT) | instid1(VALU_DEP_1)
	s_add_u32 s14, s14, s17
	s_addc_u32 s15, s15, s18
	s_lshl_b32 s16, 1, s16
	s_delay_alu instid0(SALU_CYCLE_1) | instskip(NEXT) | instid1(SALU_CYCLE_1)
	s_and_not1_b32 s12, s12, s16
	s_cmp_lg_u32 s12, 0
	s_cbranch_scc1 .LBB116_9
; %bb.10:
	v_mbcnt_lo_u32_b32 v2, exec_lo, 0
	s_mov_b32 s12, exec_lo
	s_delay_alu instid0(VALU_DEP_1)
	v_cmpx_eq_u32_e32 0, v2
	s_xor_b32 s12, exec_lo, s12
	s_cbranch_execz .LBB116_12
; %bb.11:
	v_mov_b32_e32 v2, s14
	v_dual_mov_b32 v4, 0 :: v_dual_mov_b32 v3, s15
	ds_add_u64 v4, v[2:3] offset:5136
.LBB116_12:
	s_or_b32 exec_lo, exec_lo, s9
	v_mov_b32_e32 v2, 0
	s_waitcnt lgkmcnt(0)
	s_barrier
	buffer_gl0_inv
	s_load_b32 s9, s[0:1], 0x4f8
	ds_load_b64 v[2:3], v2 offset:5136
	s_mov_b64 s[44:45], s[24:25]
	s_waitcnt lgkmcnt(0)
	s_bitcmp1_b32 s9, 0
	v_readfirstlane_b32 s0, v2
	v_readfirstlane_b32 s1, v3
	s_cselect_b32 s9, -1, 0
	s_delay_alu instid0(VALU_DEP_1) | instskip(NEXT) | instid1(VALU_DEP_1)
	v_cmp_lt_i64_e64 s12, s[0:1], 1
	s_or_b32 s9, s9, s12
	s_delay_alu instid0(SALU_CYCLE_1)
	s_and_not1_b32 vcc_lo, exec_lo, s9
	s_cbranch_vccnz .LBB116_14
; %bb.13:
	s_not_b64 s[0:1], s[0:1]
	s_delay_alu instid0(SALU_CYCLE_1) | instskip(SKIP_1) | instid1(SALU_CYCLE_1)
	s_add_u32 s0, s0, s24
	s_addc_u32 s1, s1, s25
	s_lshr_b64 s[0:1], s[0:1], 1
	s_delay_alu instid0(SALU_CYCLE_1)
	s_add_u32 s44, s0, 1
	s_addc_u32 s45, s1, 0
.LBB116_14:
	s_and_saveexec_b32 s0, s3
	s_cbranch_execz .LBB116_16
; %bb.15:
	v_dual_mov_b32 v2, 0 :: v_dual_mov_b32 v5, s25
	s_delay_alu instid0(VALU_DEP_1)
	v_dual_mov_b32 v4, s24 :: v_dual_mov_b32 v3, v2
	ds_store_b32 v2, v2 offset:5144
	ds_store_b128 v2, v[2:5] offset:5120
.LBB116_16:
	s_or_b32 exec_lo, exec_lo, s0
	v_mad_u64_u32 v[2:3], null, v0, s38, 0
	v_lshlrev_b32_e32 v37, 5, v0
	v_mbcnt_lo_u32_b32 v33, -1, 0
	v_dual_mov_b32 v21, 0 :: v_dual_lshlrev_b32 v34, 3, v0
	v_lshrrev_b32_e32 v6, 3, v0
	s_delay_alu instid0(VALU_DEP_4) | instskip(SKIP_3) | instid1(VALU_DEP_3)
	v_or_b32_e32 v11, 8, v37
	v_mad_u64_u32 v[4:5], null, v0, s39, v[3:4]
	v_lshlrev_b32_e32 v18, 2, v0
	s_waitcnt lgkmcnt(0)
	v_mad_u64_u32 v[26:27], null, s38, v11, 0
	s_barrier
	buffer_gl0_inv
	v_mov_b32_e32 v3, v4
	s_load_b32 s9, s[6:7], 0xc
	s_lshl_b64 s[10:11], s[10:11], 3
	v_cmp_gt_u32_e32 vcc_lo, 32, v0
	s_add_u32 s46, s4, s10
	v_lshlrev_b64 v[4:5], 3, v[2:3]
	v_cmp_gt_i32_e64 s4, 4, v33
	v_dual_mov_b32 v19, v21 :: v_dual_and_b32 v36, 0x7c, v6
	v_mov_b32_e32 v6, v27
	v_or_b32_e32 v9, 24, v37
	v_or_b32_e32 v10, 16, v37
	s_addc_u32 s47, s5, s11
	s_and_b32 s72, vcc_lo, s4
	v_add_co_u32 v16, vcc_lo, s46, v4
	v_mad_u64_u32 v[22:23], null, s38, v9, 0
	v_mad_u64_u32 v[24:25], null, s38, v10, 0
	v_add_co_ci_u32_e32 v17, vcc_lo, s47, v5, vcc_lo
	v_lshlrev_b64 v[4:5], v33, -1
	v_add_nc_u32_e32 v35, 0xc00, v34
	s_waitcnt lgkmcnt(0)
	s_and_b32 s29, s9, 0xffff
	s_bfe_u32 s4, s9, 0xb0005
	s_delay_alu instid0(VALU_DEP_4)
	v_mov_b32_e32 v5, v25
	s_add_u32 s73, s29, -1
	v_not_b32_e32 v38, v4
	v_mov_b32_e32 v4, v23
	s_addc_u32 s74, 0, -1
	s_add_u32 s75, s73, s24
	s_addc_u32 s49, s74, s25
	s_cmp_lt_u32 s13, s8
	v_mad_u64_u32 v[7:8], null, s39, v9, v[4:5]
	s_cselect_b32 s5, 12, 18
	v_mad_u64_u32 v[8:9], null, s39, v10, v[5:6]
	s_add_u32 s50, s6, s5
	s_addc_u32 s51, s7, 0
	s_add_i32 s5, s4, -1
	s_delay_alu instid0(VALU_DEP_2)
	v_mad_u64_u32 v[4:5], null, s39, v11, v[6:7]
	s_bfe_u32 s76, s29, 0x30005
	s_cmp_gt_u32 s5, 6
	v_cmp_lt_u64_e64 s33, 0x180, s[24:25]
	s_cselect_b32 s77, -1, 0
	s_and_b32 s78, s4, 0x7f8
	s_cmp_lg_u32 s76, 0
	v_dual_mov_b32 v23, v7 :: v_dual_mov_b32 v6, 0
	v_lshlrev_b64 v[27:28], 5, v[2:3]
	s_mul_i32 s4, s39, s29
	s_mul_hi_u32 s5, s38, s29
	v_cmp_gt_u32_e64 s0, 2, v0
	v_cmp_eq_u32_e64 s1, 0, v33
	v_cmp_gt_u16_e64 s79, s9, 31
	v_mov_b32_e32 v25, v8
	v_mov_b32_e32 v39, v4
	v_lshl_or_b32 v40, v33, 3, 0xc00
	v_mov_b32_e32 v7, 0
	v_mov_b32_e32 v3, 0x3ff00000
	s_cselect_b32 s80, -1, 0
	s_add_i32 s5, s5, s4
	s_mul_i32 s4, s38, s29
	s_mov_b32 s43, 0
	s_lshl_b64 s[52:53], s[38:39], 3
	s_lshl_b64 s[54:55], s[38:39], 5
	s_lshl_b32 s81, s29, 3
	s_lshl_b64 s[40:41], s[4:5], 3
	s_mov_b64 s[56:57], 0
	s_mov_b32 s86, 62
	s_mov_b32 s82, 0
	;; [unrolled: 1-line block ×3, first 2 shown]
	s_mov_b64 s[58:59], 0
                                        ; implicit-def: $sgpr83
                                        ; implicit-def: $sgpr85
                                        ; implicit-def: $sgpr84
                                        ; implicit-def: $sgpr88
                                        ; implicit-def: $sgpr90
                                        ; implicit-def: $sgpr87
	s_branch .LBB116_21
.LBB116_17:                             ;   in Loop: Header=BB116_21 Depth=1
	s_xor_b32 s89, s89, 1
	s_add_i32 s7, s86, -2
	s_cmp_eq_u32 s86, 0
	s_mov_b32 s5, 0
	s_cselect_b32 s6, -1, 0
	s_mov_b32 s86, s7
.LBB116_18:                             ;   in Loop: Header=BB116_21 Depth=1
	s_and_not1_b32 s7, s22, exec_lo
	s_and_b32 s5, s5, exec_lo
	s_and_not1_b32 s23, s23, exec_lo
	s_or_b32 s22, s7, s5
	s_and_not1_b32 s19, s19, exec_lo
	s_or_not1_b32 s18, s6, exec_lo
.LBB116_19:                             ;   in Loop: Header=BB116_21 Depth=1
	s_or_b32 exec_lo, exec_lo, s4
	s_delay_alu instid0(SALU_CYCLE_1)
	s_and_not1_b32 s4, s87, exec_lo
	s_and_b32 s5, s22, exec_lo
	s_and_not1_b32 s6, s88, exec_lo
	s_or_b32 s87, s4, s5
	s_and_not1_b32 s4, s90, exec_lo
	s_and_b32 s5, s23, exec_lo
	s_and_b32 s7, s19, exec_lo
	s_or_b32 s90, s4, s5
	s_or_b32 s88, s6, s7
	s_or_not1_b32 s22, s18, exec_lo
.LBB116_20:                             ;   in Loop: Header=BB116_21 Depth=1
	s_or_b32 exec_lo, exec_lo, s20
	s_delay_alu instid0(SALU_CYCLE_1)
	s_and_b32 s4, exec_lo, s22
	v_dual_mov_b32 v4, s56 :: v_dual_mov_b32 v5, s57
	s_or_b32 s82, s4, s82
	s_and_not1_b32 s4, s84, exec_lo
	s_and_b32 s5, s87, exec_lo
	s_and_not1_b32 s6, s83, exec_lo
	s_or_b32 s84, s4, s5
	s_and_not1_b32 s4, s85, exec_lo
	s_and_b32 s5, s90, exec_lo
	s_and_b32 s7, s88, exec_lo
	s_or_b32 s85, s4, s5
	s_or_b32 s83, s6, s7
	s_and_not1_b32 exec_lo, exec_lo, s82
	s_cbranch_execz .LBB116_289
.LBB116_21:                             ; =>This Loop Header: Depth=1
                                        ;     Child Loop BB116_29 Depth 2
                                        ;     Child Loop BB116_47 Depth 2
	;; [unrolled: 1-line block ×16, first 2 shown]
	ds_load_b128 v[8:11], v21 offset:5120
	s_waitcnt lgkmcnt(0)
	v_readfirstlane_b32 s61, v9
	v_readfirstlane_b32 s60, v8
	s_delay_alu instid0(VALU_DEP_1)
	s_cmp_lg_u64 s[60:61], 0
	s_cbranch_scc1 .LBB116_54
; %bb.22:                               ;   in Loop: Header=BB116_21 Depth=1
	s_and_b32 vcc_lo, exec_lo, s33
	s_cbranch_vccz .LBB116_37
; %bb.23:                               ;   in Loop: Header=BB116_21 Depth=1
	v_cmp_gt_u64_e32 vcc_lo, 0x181, v[10:11]
	s_mov_b32 s6, 0
	s_mov_b32 s4, 0
	s_cbranch_vccz .LBB116_38
; %bb.24:                               ;   in Loop: Header=BB116_21 Depth=1
	v_mov_b32_e32 v4, 0
	v_mov_b32_e32 v5, 0
	s_and_saveexec_b32 s4, s2
	s_cbranch_execz .LBB116_26
; %bb.25:                               ;   in Loop: Header=BB116_21 Depth=1
	global_load_b64 v[4:5], v[16:17], off
.LBB116_26:                             ;   in Loop: Header=BB116_21 Depth=1
	s_or_b32 exec_lo, exec_lo, s4
	s_and_saveexec_b32 s7, s2
	s_cbranch_execz .LBB116_39
; %bb.27:                               ;   in Loop: Header=BB116_21 Depth=1
	global_load_u16 v11, v21, s[50:51]
	s_mov_b32 s10, 0
	s_waitcnt vmcnt(0)
	v_readfirstlane_b32 s4, v11
	s_delay_alu instid0(VALU_DEP_1) | instskip(NEXT) | instid1(SALU_CYCLE_1)
	s_and_b32 s4, 0xffff, s4
	v_add_nc_u32_e32 v12, s4, v0
	s_mul_i32 s5, s53, s4
	s_mul_hi_u32 s8, s52, s4
	s_mul_i32 s9, s52, s4
	s_add_i32 s8, s8, s5
	v_mad_u64_u32 v[8:9], null, s52, v12, s[46:47]
	s_delay_alu instid0(VALU_DEP_1) | instskip(NEXT) | instid1(VALU_DEP_1)
	v_mov_b32_e32 v2, v9
	v_mad_u64_u32 v[9:10], null, s53, v12, v[2:3]
	v_dual_mov_b32 v11, v1 :: v_dual_and_b32 v2, 0xffff, v11
	v_mov_b32_e32 v10, v0
	s_branch .LBB116_29
.LBB116_28:                             ;   in Loop: Header=BB116_29 Depth=2
	s_or_b32 exec_lo, exec_lo, s5
	v_add_co_u32 v8, vcc_lo, v8, s9
	v_add_co_ci_u32_e32 v9, vcc_lo, s8, v9, vcc_lo
	s_waitcnt vmcnt(0)
	v_dual_mov_b32 v4, v12 :: v_dual_mov_b32 v5, v13
	s_and_not1_b32 exec_lo, exec_lo, s10
	s_cbranch_execz .LBB116_39
.LBB116_29:                             ;   Parent Loop BB116_21 Depth=1
                                        ; =>  This Inner Loop Header: Depth=2
	s_delay_alu instid0(VALU_DEP_1) | instskip(NEXT) | instid1(VALU_DEP_3)
	v_add_co_u32 v10, vcc_lo, v10, v2
	v_add_co_ci_u32_e32 v11, vcc_lo, 0, v11, vcc_lo
	v_mov_b32_e32 v12, 0
	v_mov_b32_e32 v13, 0
	s_mov_b32 s5, exec_lo
	s_delay_alu instid0(VALU_DEP_3)
	v_cmp_le_u64_e32 vcc_lo, s[24:25], v[10:11]
	v_cmpx_gt_u64_e64 s[24:25], v[10:11]
	s_cbranch_execz .LBB116_31
; %bb.30:                               ;   in Loop: Header=BB116_29 Depth=2
	global_load_b64 v[12:13], v[8:9], off
.LBB116_31:                             ;   in Loop: Header=BB116_29 Depth=2
	s_or_b32 exec_lo, exec_lo, s5
	v_cmp_o_f64_e64 s4, v[4:5], v[4:5]
	s_waitcnt lgkmcnt(0)
	v_ashrrev_i32_e32 v14, 31, v5
	s_delay_alu instid0(VALU_DEP_1) | instskip(SKIP_1) | instid1(VALU_DEP_2)
	v_or_b32_e32 v15, 0x80000000, v14
	v_xor_b32_e32 v14, v14, v4
	v_xor_b32_e32 v15, v15, v5
	s_delay_alu instid0(VALU_DEP_1) | instskip(NEXT) | instid1(VALU_DEP_3)
	v_cndmask_b32_e64 v15, -1, v15, s4
	v_cndmask_b32_e64 v14, -1, v14, s4
	s_delay_alu instid0(VALU_DEP_2) | instskip(NEXT) | instid1(VALU_DEP_2)
	v_and_b32_e32 v15, s59, v15
	v_and_b32_e32 v14, s58, v14
	s_delay_alu instid0(VALU_DEP_1) | instskip(SKIP_1) | instid1(VALU_DEP_2)
	v_cmp_eq_u64_e64 s4, s[56:57], v[14:15]
	v_mov_b32_e32 v14, 0
	s_cmp_lg_u32 s4, 0
	s_cselect_b32 s5, -1, 0
	s_delay_alu instid0(SALU_CYCLE_1) | instskip(NEXT) | instid1(SALU_CYCLE_1)
	s_and_b32 s5, s1, s5
	s_and_saveexec_b32 s11, s5
	s_cbranch_execz .LBB116_35
; %bb.32:                               ;   in Loop: Header=BB116_29 Depth=2
	s_mov_b32 s14, exec_lo
	s_bcnt1_i32_b32 s12, s4
	v_mbcnt_lo_u32_b32 v14, s14, 0
	s_mov_b32 s13, exec_lo
                                        ; implicit-def: $vgpr15
	s_delay_alu instid0(VALU_DEP_1)
	v_cmpx_eq_u32_e32 0, v14
	s_cbranch_execz .LBB116_34
; %bb.33:                               ;   in Loop: Header=BB116_29 Depth=2
	s_bcnt1_i32_b32 s5, s14
	s_delay_alu instid0(SALU_CYCLE_1) | instskip(NEXT) | instid1(SALU_CYCLE_1)
	s_mul_i32 s5, s12, s5
	v_mov_b32_e32 v15, s5
	ds_add_rtn_u32 v15, v21, v15 offset:5144
.LBB116_34:                             ;   in Loop: Header=BB116_29 Depth=2
	s_or_b32 exec_lo, exec_lo, s13
	s_waitcnt lgkmcnt(0)
	v_readfirstlane_b32 s5, v15
	s_delay_alu instid0(VALU_DEP_1)
	v_mad_u32_u24 v14, s12, v14, s5
.LBB116_35:                             ;   in Loop: Header=BB116_29 Depth=2
	s_or_b32 exec_lo, exec_lo, s11
	ds_bpermute_b32 v14, v21, v14
	s_and_b32 s5, exec_lo, vcc_lo
	s_delay_alu instid0(SALU_CYCLE_1)
	s_or_b32 s10, s5, s10
	s_and_saveexec_b32 s5, s4
	s_cbranch_execz .LBB116_28
; %bb.36:                               ;   in Loop: Header=BB116_29 Depth=2
	v_and_b32_e32 v15, s4, v38
	s_delay_alu instid0(VALU_DEP_1) | instskip(NEXT) | instid1(VALU_DEP_1)
	v_bcnt_u32_b32 v15, v15, 0
	v_lshlrev_b32_e32 v15, 3, v15
	s_waitcnt lgkmcnt(0)
	s_delay_alu instid0(VALU_DEP_1)
	v_lshl_add_u32 v14, v14, 3, v15
	ds_store_b64 v14, v[4:5]
	s_branch .LBB116_28
.LBB116_37:                             ;   in Loop: Header=BB116_21 Depth=1
	s_mov_b32 s4, 0
                                        ; implicit-def: $sgpr60_sgpr61
	s_cbranch_execnz .LBB116_42
	s_branch .LBB116_52
.LBB116_38:                             ;   in Loop: Header=BB116_21 Depth=1
	s_mov_b64 s[60:61], 0
	s_and_b32 vcc_lo, exec_lo, s6
	s_cbranch_vccnz .LBB116_42
	s_branch .LBB116_52
.LBB116_39:                             ;   in Loop: Header=BB116_21 Depth=1
	s_or_b32 exec_lo, exec_lo, s7
	s_waitcnt vmcnt(0) lgkmcnt(0)
	s_barrier
	buffer_gl0_inv
	s_and_saveexec_b32 s4, s3
	s_cbranch_execz .LBB116_41
; %bb.40:                               ;   in Loop: Header=BB116_21 Depth=1
	ds_load_b32 v4, v21 offset:5144
	s_waitcnt lgkmcnt(0)
	v_ashrrev_i32_e32 v5, 31, v4
	ds_store_b64 v21, v[4:5] offset:5120
.LBB116_41:                             ;   in Loop: Header=BB116_21 Depth=1
	s_or_b32 exec_lo, exec_lo, s4
	s_waitcnt lgkmcnt(0)
	s_mov_b32 s4, -1
	s_barrier
	s_mov_b64 s[60:61], 0
	s_and_b32 vcc_lo, exec_lo, s6
	s_cbranch_vccz .LBB116_52
.LBB116_42:                             ;   in Loop: Header=BB116_21 Depth=1
	v_mov_b32_e32 v4, 0
	v_mov_b32_e32 v5, 0
	s_and_saveexec_b32 s4, s2
	s_cbranch_execz .LBB116_44
; %bb.43:                               ;   in Loop: Header=BB116_21 Depth=1
	global_load_b64 v[4:5], v[16:17], off
.LBB116_44:                             ;   in Loop: Header=BB116_21 Depth=1
	s_or_b32 exec_lo, exec_lo, s4
	s_and_saveexec_b32 s5, s2
	s_cbranch_execz .LBB116_49
; %bb.45:                               ;   in Loop: Header=BB116_21 Depth=1
	global_load_u16 v11, v21, s[50:51]
	s_mov_b32 s9, 0
	s_waitcnt vmcnt(0)
	v_readfirstlane_b32 s4, v11
	v_and_b32_e32 v14, 0xffff, v11
	s_delay_alu instid0(VALU_DEP_2) | instskip(NEXT) | instid1(SALU_CYCLE_1)
	s_and_b32 s4, 0xffff, s4
	v_add_nc_u32_e32 v12, s4, v0
	s_mul_i32 s7, s53, s4
	s_mul_hi_u32 s8, s52, s4
	s_lshl_b32 s6, s4, 3
	s_add_i32 s7, s8, s7
	v_mad_u64_u32 v[8:9], null, s52, v12, s[46:47]
	s_mul_i32 s8, s52, s4
	s_delay_alu instid0(VALU_DEP_1) | instskip(NEXT) | instid1(VALU_DEP_1)
	v_mov_b32_e32 v2, v9
	v_mad_u64_u32 v[9:10], null, s53, v12, v[2:3]
	v_dual_mov_b32 v11, v1 :: v_dual_mov_b32 v2, v34
	v_mov_b32_e32 v10, v0
	s_set_inst_prefetch_distance 0x1
	s_branch .LBB116_47
	.p2align	6
.LBB116_46:                             ;   in Loop: Header=BB116_47 Depth=2
	s_or_b32 exec_lo, exec_lo, s10
	s_delay_alu instid0(SALU_CYCLE_1)
	s_and_b32 s4, exec_lo, vcc_lo
	v_add_co_u32 v8, vcc_lo, v8, s8
	ds_store_b64 v2, v[4:5]
	s_waitcnt vmcnt(0)
	v_mov_b32_e32 v4, v12
	v_dual_mov_b32 v5, v13 :: v_dual_add_nc_u32 v2, s6, v2
	v_add_co_ci_u32_e32 v9, vcc_lo, s7, v9, vcc_lo
	s_or_b32 s9, s4, s9
	s_delay_alu instid0(SALU_CYCLE_1)
	s_and_not1_b32 exec_lo, exec_lo, s9
	s_cbranch_execz .LBB116_49
.LBB116_47:                             ;   Parent Loop BB116_21 Depth=1
                                        ; =>  This Inner Loop Header: Depth=2
	s_delay_alu instid0(VALU_DEP_1) | instskip(SKIP_4) | instid1(VALU_DEP_3)
	v_add_co_u32 v10, vcc_lo, v10, v14
	v_add_co_ci_u32_e32 v11, vcc_lo, 0, v11, vcc_lo
	v_mov_b32_e32 v12, 0
	v_mov_b32_e32 v13, 0
	s_mov_b32 s10, exec_lo
	v_cmp_le_u64_e32 vcc_lo, s[24:25], v[10:11]
	v_cmpx_gt_u64_e64 s[24:25], v[10:11]
	s_cbranch_execz .LBB116_46
; %bb.48:                               ;   in Loop: Header=BB116_47 Depth=2
	global_load_b64 v[12:13], v[8:9], off
	s_branch .LBB116_46
.LBB116_49:                             ;   in Loop: Header=BB116_21 Depth=1
	s_set_inst_prefetch_distance 0x2
	s_or_b32 exec_lo, exec_lo, s5
	s_waitcnt vmcnt(0) lgkmcnt(0)
	s_barrier
	buffer_gl0_inv
	s_and_saveexec_b32 s4, s3
	s_cbranch_execz .LBB116_51
; %bb.50:                               ;   in Loop: Header=BB116_21 Depth=1
	v_dual_mov_b32 v4, s24 :: v_dual_mov_b32 v5, s25
	ds_store_b64 v21, v[4:5] offset:5120
.LBB116_51:                             ;   in Loop: Header=BB116_21 Depth=1
	s_or_b32 exec_lo, exec_lo, s4
	s_mov_b32 s4, -1
	s_waitcnt lgkmcnt(0)
	s_barrier
                                        ; implicit-def: $sgpr60_sgpr61
.LBB116_52:                             ;   in Loop: Header=BB116_21 Depth=1
	s_and_b32 vcc_lo, exec_lo, s4
	s_cbranch_vccz .LBB116_54
; %bb.53:                               ;   in Loop: Header=BB116_21 Depth=1
	buffer_gl0_inv
	ds_load_b64 v[4:5], v21 offset:5120
	s_waitcnt lgkmcnt(0)
	v_readfirstlane_b32 s60, v4
.LBB116_54:                             ;   in Loop: Header=BB116_21 Depth=1
	s_delay_alu instid0(VALU_DEP_1)
	s_cmp_lt_i32 s60, 1
	s_cbranch_scc0 .LBB116_69
; %bb.55:                               ;   in Loop: Header=BB116_21 Depth=1
	global_load_u16 v2, v21, s[50:51]
	s_mov_b32 s5, s25
	s_waitcnt vmcnt(0)
	v_readfirstlane_b32 s4, v2
	s_delay_alu instid0(VALU_DEP_1)
	s_and_b32 s42, s4, 0xffff
	s_mov_b32 s4, s43
	s_lshl_b32 s48, s42, 2
	s_cmp_lg_u64 s[4:5], 0
	s_cbranch_scc0 .LBB116_89
; %bb.56:                               ;   in Loop: Header=BB116_21 Depth=1
	v_cvt_f32_u32_e32 v2, s48
	s_sub_u32 s6, 0, s48
	s_subb_u32 s7, 0, 0
	s_delay_alu instid0(VALU_DEP_1) | instskip(NEXT) | instid1(VALU_DEP_1)
	v_fmac_f32_e64 v2, 0, 0x4f800000
	v_rcp_f32_e32 v2, v2
	s_waitcnt_depctr 0xfff
	v_mul_f32_e32 v2, 0x5f7ffffc, v2
	s_delay_alu instid0(VALU_DEP_1) | instskip(NEXT) | instid1(VALU_DEP_1)
	v_mul_f32_e32 v4, 0x2f800000, v2
	v_trunc_f32_e32 v4, v4
	s_delay_alu instid0(VALU_DEP_1) | instskip(SKIP_1) | instid1(VALU_DEP_2)
	v_fmac_f32_e32 v2, 0xcf800000, v4
	v_cvt_u32_f32_e32 v4, v4
	v_cvt_u32_f32_e32 v2, v2
	s_delay_alu instid0(VALU_DEP_2) | instskip(NEXT) | instid1(VALU_DEP_2)
	v_readfirstlane_b32 s4, v4
	v_readfirstlane_b32 s5, v2
	s_delay_alu instid0(VALU_DEP_2) | instskip(NEXT) | instid1(VALU_DEP_1)
	s_mul_i32 s8, s6, s4
	s_mul_hi_u32 s10, s6, s5
	s_mul_i32 s9, s7, s5
	s_add_i32 s8, s10, s8
	s_mul_i32 s11, s6, s5
	s_add_i32 s8, s8, s9
	s_mul_hi_u32 s10, s5, s11
	s_mul_hi_u32 s12, s4, s11
	s_mul_i32 s9, s4, s11
	s_mul_hi_u32 s11, s5, s8
	s_mul_i32 s5, s5, s8
	s_mul_hi_u32 s13, s4, s8
	s_add_u32 s5, s10, s5
	s_addc_u32 s10, 0, s11
	s_add_u32 s5, s5, s9
	s_mul_i32 s8, s4, s8
	s_addc_u32 s5, s10, s12
	s_addc_u32 s9, s13, 0
	s_add_u32 s5, s5, s8
	s_addc_u32 s8, 0, s9
	v_add_co_u32 v2, s5, v2, s5
	s_delay_alu instid0(VALU_DEP_1) | instskip(SKIP_1) | instid1(VALU_DEP_1)
	s_cmp_lg_u32 s5, 0
	s_addc_u32 s4, s4, s8
	v_readfirstlane_b32 s5, v2
	s_mul_i32 s8, s6, s4
	s_delay_alu instid0(VALU_DEP_1)
	s_mul_hi_u32 s9, s6, s5
	s_mul_i32 s7, s7, s5
	s_add_i32 s8, s9, s8
	s_mul_i32 s6, s6, s5
	s_add_i32 s8, s8, s7
	s_mul_hi_u32 s9, s4, s6
	s_mul_i32 s10, s4, s6
	s_mul_hi_u32 s6, s5, s6
	s_mul_hi_u32 s11, s5, s8
	s_mul_i32 s5, s5, s8
	s_mul_hi_u32 s7, s4, s8
	s_add_u32 s5, s6, s5
	s_addc_u32 s6, 0, s11
	s_add_u32 s5, s5, s10
	s_mul_i32 s8, s4, s8
	s_addc_u32 s5, s6, s9
	s_addc_u32 s6, s7, 0
	s_add_u32 s5, s5, s8
	s_addc_u32 s6, 0, s6
	v_add_co_u32 v2, s5, v2, s5
	s_delay_alu instid0(VALU_DEP_1) | instskip(SKIP_1) | instid1(VALU_DEP_1)
	s_cmp_lg_u32 s5, 0
	s_addc_u32 s4, s4, s6
	v_readfirstlane_b32 s5, v2
	s_mul_i32 s7, s24, s4
	s_mul_hi_u32 s6, s24, s4
	s_mul_hi_u32 s8, s25, s4
	s_mul_i32 s4, s25, s4
	s_mul_hi_u32 s9, s24, s5
	s_mul_hi_u32 s10, s25, s5
	s_mul_i32 s5, s25, s5
	s_add_u32 s7, s9, s7
	s_addc_u32 s6, 0, s6
	s_add_u32 s5, s7, s5
	s_addc_u32 s5, s6, s10
	s_addc_u32 s6, s8, 0
	s_add_u32 s4, s5, s4
	s_addc_u32 s5, 0, s6
	s_mul_hi_u32 s6, s48, s4
	s_mul_i32 s4, s48, s4
	s_mul_i32 s5, s48, s5
	v_sub_co_u32 v2, s4, s24, s4
	s_add_i32 s6, s6, s5
	s_cmp_lg_u32 s4, 0
	s_delay_alu instid0(VALU_DEP_1) | instskip(SKIP_2) | instid1(VALU_DEP_1)
	v_sub_co_u32 v4, s4, v2, s48
	s_subb_u32 s5, s25, s6
	s_cmp_lg_u32 s4, 0
	v_cmp_le_u32_e32 vcc_lo, s48, v4
	v_sub_co_u32 v5, s4, v4, s48
	s_subb_u32 s6, s5, 0
	s_cmp_lg_u32 s4, 0
	v_cndmask_b32_e64 v8, 0, -1, vcc_lo
	s_subb_u32 s4, s6, 0
	s_cmp_eq_u32 s6, 0
	v_mov_b32_e32 v10, s4
	s_cselect_b32 vcc_lo, -1, 0
	s_cmp_eq_u32 s5, 0
	v_cndmask_b32_e32 v8, -1, v8, vcc_lo
	v_cmp_le_u32_e32 vcc_lo, s48, v2
	s_cselect_b32 s4, -1, 0
	v_cndmask_b32_e64 v9, 0, -1, vcc_lo
	s_delay_alu instid0(VALU_DEP_3) | instskip(NEXT) | instid1(VALU_DEP_2)
	v_cmp_ne_u32_e32 vcc_lo, 0, v8
	v_cndmask_b32_e64 v8, -1, v9, s4
	v_cndmask_b32_e32 v9, s6, v10, vcc_lo
	v_cndmask_b32_e32 v4, v4, v5, vcc_lo
	s_delay_alu instid0(VALU_DEP_3) | instskip(NEXT) | instid1(VALU_DEP_3)
	v_cmp_ne_u32_e32 vcc_lo, 0, v8
	v_cndmask_b32_e32 v5, s5, v9, vcc_lo
	s_delay_alu instid0(VALU_DEP_3)
	v_cndmask_b32_e32 v4, v2, v4, vcc_lo
	s_cbranch_execnz .LBB116_58
.LBB116_57:                             ;   in Loop: Header=BB116_21 Depth=1
	v_cvt_f32_u32_e32 v2, s48
	s_sub_i32 s4, 0, s48
	s_delay_alu instid0(VALU_DEP_1) | instskip(SKIP_2) | instid1(VALU_DEP_1)
	v_rcp_iflag_f32_e32 v2, v2
	s_waitcnt_depctr 0xfff
	v_mul_f32_e32 v2, 0x4f7ffffe, v2
	v_cvt_u32_f32_e32 v2, v2
	s_delay_alu instid0(VALU_DEP_1) | instskip(NEXT) | instid1(VALU_DEP_1)
	v_mul_lo_u32 v4, s4, v2
	v_mul_hi_u32 v4, v2, v4
	s_delay_alu instid0(VALU_DEP_1) | instskip(NEXT) | instid1(VALU_DEP_1)
	v_add_nc_u32_e32 v2, v2, v4
	v_mul_hi_u32 v2, s24, v2
	s_delay_alu instid0(VALU_DEP_1) | instskip(NEXT) | instid1(VALU_DEP_1)
	v_mul_lo_u32 v2, v2, s48
	v_sub_nc_u32_e32 v2, s24, v2
	s_delay_alu instid0(VALU_DEP_1) | instskip(SKIP_1) | instid1(VALU_DEP_2)
	v_subrev_nc_u32_e32 v4, s48, v2
	v_cmp_le_u32_e32 vcc_lo, s48, v2
	v_cndmask_b32_e32 v2, v2, v4, vcc_lo
	s_delay_alu instid0(VALU_DEP_1) | instskip(SKIP_1) | instid1(VALU_DEP_2)
	v_subrev_nc_u32_e32 v4, s48, v2
	v_cmp_le_u32_e32 vcc_lo, s48, v2
	v_cndmask_b32_e32 v20, v2, v4, vcc_lo
	s_delay_alu instid0(VALU_DEP_1)
	v_dual_mov_b32 v4, v20 :: v_dual_mov_b32 v5, v21
.LBB116_58:                             ;   in Loop: Header=BB116_21 Depth=1
	v_mov_b32_e32 v8, 0
	v_mov_b32_e32 v9, 0
	s_delay_alu instid0(VALU_DEP_3) | instskip(NEXT) | instid1(VALU_DEP_4)
	v_sub_co_u32 v4, vcc_lo, s24, v4
	v_sub_co_ci_u32_e32 v5, vcc_lo, s25, v5, vcc_lo
	s_delay_alu instid0(VALU_DEP_3)
	v_dual_mov_b32 v11, v9 :: v_dual_mov_b32 v10, v8
	v_dual_mov_b32 v13, v9 :: v_dual_mov_b32 v12, v8
	;; [unrolled: 1-line block ×3, first 2 shown]
	s_mov_b64 s[62:63], 0
	s_mov_b32 s61, exec_lo
	v_cmpx_gt_u64_e64 v[4:5], v[18:19]
	s_cbranch_execz .LBB116_62
; %bb.59:                               ;   in Loop: Header=BB116_21 Depth=1
	v_dual_mov_b32 v30, v19 :: v_dual_mov_b32 v29, v18
	s_mul_i32 s4, s55, s42
	s_mul_hi_u32 s5, s54, s42
	s_and_b32 s91, s86, 0xfe
	s_add_i32 s92, s5, s4
	s_mul_i32 s93, s54, s42
	s_mov_b32 s94, 0
	s_mov_b64 s[64:65], s[46:47]
	s_mov_b64 s[66:67], 0
	s_mov_b64 s[68:69], 0
	s_mov_b64 s[70:71], 0
.LBB116_60:                             ;   Parent Loop BB116_21 Depth=1
                                        ; =>  This Inner Loop Header: Depth=2
	v_add_co_u32 v8, vcc_lo, s64, v27
	v_add_co_ci_u32_e32 v9, vcc_lo, s65, v28, vcc_lo
	v_add_co_u32 v10, vcc_lo, s64, v26
	v_add_co_ci_u32_e32 v11, vcc_lo, s65, v39, vcc_lo
	;; [unrolled: 2-line block ×4, first 2 shown]
	s_clause 0x3
	global_load_b64 v[8:9], v[8:9], off
	global_load_b64 v[10:11], v[10:11], off
	;; [unrolled: 1-line block ×4, first 2 shown]
	v_add_co_u32 v29, vcc_lo, v29, s48
	v_add_co_ci_u32_e32 v30, vcc_lo, 0, v30, vcc_lo
	s_delay_alu instid0(VALU_DEP_1)
	v_cmp_ge_u64_e32 vcc_lo, v[29:30], v[4:5]
	s_waitcnt vmcnt(3)
	v_cmp_o_f64_e64 s5, v[8:9], v[8:9]
	s_waitcnt vmcnt(2)
	v_cmp_o_f64_e64 s4, v[10:11], v[10:11]
	;; [unrolled: 2-line block ×4, first 2 shown]
	v_ashrrev_i32_e32 v2, 31, v9
	v_ashrrev_i32_e32 v41, 31, v15
	;; [unrolled: 1-line block ×4, first 2 shown]
	s_delay_alu instid0(VALU_DEP_4) | instskip(NEXT) | instid1(VALU_DEP_4)
	v_or_b32_e32 v43, 0x80000000, v2
	v_or_b32_e32 v47, 0x80000000, v41
	s_delay_alu instid0(VALU_DEP_4) | instskip(NEXT) | instid1(VALU_DEP_4)
	v_or_b32_e32 v45, 0x80000000, v20
	v_or_b32_e32 v46, 0x80000000, v31
	v_xor_b32_e32 v2, v2, v8
	v_xor_b32_e32 v43, v43, v9
	;; [unrolled: 1-line block ×8, first 2 shown]
	v_cndmask_b32_e64 v9, -1, v43, s5
	v_cndmask_b32_e64 v11, -1, v45, s4
	;; [unrolled: 1-line block ×7, first 2 shown]
	v_mov_b32_e32 v32, v21
	v_and_b32_e32 v46, s59, v9
	v_and_b32_e32 v45, s58, v8
	v_lshrrev_b64 v[8:9], s91, v[8:9]
	v_cndmask_b32_e64 v14, -1, v41, s7
	v_dual_mov_b32 v42, v21 :: v_dual_and_b32 v47, s58, v10
	v_lshrrev_b64 v[9:10], s91, v[10:11]
	v_and_b32_e32 v48, s59, v11
	v_lshrrev_b64 v[10:11], s91, v[12:13]
	v_dual_mov_b32 v44, v21 :: v_dual_and_b32 v49, s58, v12
	v_lshrrev_b64 v[11:12], s91, v[14:15]
	v_and_b32_e32 v20, 3, v8
	v_and_b32_e32 v31, 3, v9
	;; [unrolled: 1-line block ×4, first 2 shown]
	v_cmp_eq_u64_e64 s4, s[56:57], v[45:46]
	v_cmp_eq_u64_e64 s8, 0, v[20:21]
	v_and_b32_e32 v52, s59, v15
	v_and_b32_e32 v51, s58, v14
	;; [unrolled: 1-line block ×3, first 2 shown]
	v_cmp_eq_u64_e64 s5, s[56:57], v[47:48]
	v_cmp_eq_u64_e64 s9, 0, v[31:32]
	v_cmp_eq_u64_e64 s6, s[56:57], v[49:50]
	v_cmp_eq_u64_e64 s10, 0, v[41:42]
	v_cmp_eq_u64_e64 s7, s[56:57], v[51:52]
	v_cmp_eq_u64_e64 s11, 0, v[43:44]
	s_and_b32 s8, s4, s8
	v_cmp_eq_u64_e64 s12, 1, v[20:21]
	v_cndmask_b32_e64 v2, 0, 1, s8
	s_and_b32 s8, s5, s9
	v_cmp_eq_u64_e64 s13, 1, v[31:32]
	v_cndmask_b32_e64 v8, 0, 1, s8
	;; [unrolled: 3-line block ×3, first 2 shown]
	s_and_b32 s8, s7, s11
	v_cmp_ne_u32_e64 s9, 0, v8
	v_cndmask_b32_e64 v10, 0, 1, s8
	v_cmp_ne_u32_e64 s8, 0, v2
	v_cmp_ne_u32_e64 s10, 0, v9
	v_cmp_eq_u64_e64 s15, 1, v[43:44]
	s_bcnt1_i32_b32 s9, s9
	v_cmp_ne_u32_e64 s11, 0, v10
	s_bcnt1_i32_b32 s8, s8
	s_bcnt1_i32_b32 s10, s10
	s_add_i32 s8, s9, s8
	v_cmp_eq_u64_e64 s16, 2, v[20:21]
	s_bcnt1_i32_b32 s11, s11
	s_add_i32 s8, s8, s10
	v_cmp_eq_u64_e64 s17, 2, v[31:32]
	s_add_i32 s8, s8, s11
	v_cmp_eq_u64_e64 s18, 2, v[41:42]
	s_add_u32 s70, s70, s8
	s_addc_u32 s71, s71, 0
	s_and_b32 s8, s4, s12
	v_cmp_eq_u64_e64 s19, 2, v[43:44]
	v_cndmask_b32_e64 v2, 0, 1, s8
	s_and_b32 s8, s5, s13
	v_cmp_eq_u64_e64 s20, 3, v[20:21]
	v_cndmask_b32_e64 v10, 0, 1, s8
	s_and_b32 s8, s6, s14
	v_cmp_eq_u64_e64 s21, 3, v[31:32]
	v_cndmask_b32_e64 v11, 0, 1, s8
	s_and_b32 s8, s7, s15
	v_cmp_ne_u32_e64 s9, 0, v10
	v_cndmask_b32_e64 v12, 0, 1, s8
	v_cmp_ne_u32_e64 s8, 0, v2
	v_cmp_ne_u32_e64 s10, 0, v11
	v_cmp_eq_u64_e64 s22, 3, v[41:42]
	s_bcnt1_i32_b32 s9, s9
	v_cmp_ne_u32_e64 s11, 0, v12
	s_bcnt1_i32_b32 s8, s8
	s_bcnt1_i32_b32 s10, s10
	s_add_i32 s8, s9, s8
	v_cmp_eq_u64_e64 s23, 3, v[43:44]
	s_bcnt1_i32_b32 s11, s11
	s_add_i32 s8, s8, s10
	v_mov_b32_e32 v8, s70
	s_add_i32 s8, s8, s11
	v_mov_b32_e32 v9, s71
	s_add_u32 s68, s68, s8
	s_addc_u32 s69, s69, 0
	s_and_b32 s8, s4, s16
	s_delay_alu instid0(SALU_CYCLE_1) | instskip(SKIP_1) | instid1(SALU_CYCLE_1)
	v_cndmask_b32_e64 v2, 0, 1, s8
	s_and_b32 s8, s5, s17
	v_cndmask_b32_e64 v10, 0, 1, s8
	s_and_b32 s8, s6, s18
	s_delay_alu instid0(SALU_CYCLE_1) | instskip(SKIP_1) | instid1(VALU_DEP_2)
	v_cndmask_b32_e64 v11, 0, 1, s8
	s_and_b32 s8, s7, s19
	v_cmp_ne_u32_e64 s9, 0, v10
	v_cndmask_b32_e64 v12, 0, 1, s8
	v_cmp_ne_u32_e64 s8, 0, v2
	v_cmp_ne_u32_e64 s10, 0, v11
	s_delay_alu instid0(VALU_DEP_4) | instskip(NEXT) | instid1(VALU_DEP_3)
	s_bcnt1_i32_b32 s9, s9
	v_cmp_ne_u32_e64 s11, 0, v12
	s_delay_alu instid0(VALU_DEP_3) | instskip(NEXT) | instid1(VALU_DEP_2)
	s_bcnt1_i32_b32 s8, s8
	s_bcnt1_i32_b32 s10, s10
	s_add_i32 s8, s9, s8
	s_delay_alu instid0(VALU_DEP_1) | instskip(SKIP_1) | instid1(SALU_CYCLE_1)
	s_bcnt1_i32_b32 s11, s11
	s_add_i32 s8, s8, s10
	s_add_i32 s8, s8, s11
	s_delay_alu instid0(SALU_CYCLE_1) | instskip(SKIP_2) | instid1(SALU_CYCLE_1)
	s_add_u32 s66, s66, s8
	s_addc_u32 s67, s67, 0
	s_and_b32 s4, s4, s20
	v_cndmask_b32_e64 v2, 0, 1, s4
	s_and_b32 s4, s5, s21
	s_delay_alu instid0(SALU_CYCLE_1) | instskip(SKIP_1) | instid1(SALU_CYCLE_1)
	v_cndmask_b32_e64 v10, 0, 1, s4
	s_and_b32 s4, s6, s22
	v_cndmask_b32_e64 v11, 0, 1, s4
	s_and_b32 s4, s7, s23
	s_delay_alu instid0(VALU_DEP_2)
	v_cmp_ne_u32_e64 s5, 0, v10
	v_cndmask_b32_e64 v12, 0, 1, s4
	v_cmp_ne_u32_e64 s4, 0, v2
	v_cmp_ne_u32_e64 s6, 0, v11
	v_mov_b32_e32 v10, s68
	s_bcnt1_i32_b32 s5, s5
	v_cmp_ne_u32_e64 s7, 0, v12
	s_bcnt1_i32_b32 s4, s4
	s_bcnt1_i32_b32 s6, s6
	s_add_i32 s4, s5, s4
	v_mov_b32_e32 v12, s66
	s_bcnt1_i32_b32 s5, s7
	s_add_i32 s4, s4, s6
	v_mov_b32_e32 v11, s69
	s_add_i32 s4, s4, s5
	v_mov_b32_e32 v13, s67
	s_add_u32 s62, s62, s4
	s_addc_u32 s63, s63, 0
	s_delay_alu instid0(SALU_CYCLE_1) | instskip(SKIP_3) | instid1(SALU_CYCLE_1)
	v_dual_mov_b32 v14, s62 :: v_dual_mov_b32 v15, s63
	s_add_u32 s64, s64, s93
	s_addc_u32 s65, s65, s92
	s_or_b32 s94, vcc_lo, s94
	s_and_not1_b32 exec_lo, exec_lo, s94
	s_cbranch_execnz .LBB116_60
; %bb.61:                               ;   in Loop: Header=BB116_21 Depth=1
	s_or_b32 exec_lo, exec_lo, s94
.LBB116_62:                             ;   in Loop: Header=BB116_21 Depth=1
	s_delay_alu instid0(SALU_CYCLE_1) | instskip(SKIP_4) | instid1(VALU_DEP_3)
	s_or_b32 exec_lo, exec_lo, s61
	v_add_co_u32 v4, vcc_lo, v4, v0
	v_add_co_ci_u32_e32 v5, vcc_lo, 0, v5, vcc_lo
	v_mov_b32_e32 v31, 0
	v_mov_b32_e32 v32, 0
	v_cmp_gt_u64_e32 vcc_lo, s[24:25], v[4:5]
	s_and_saveexec_b32 s5, vcc_lo
	s_cbranch_execz .LBB116_64
; %bb.63:                               ;   in Loop: Header=BB116_21 Depth=1
	v_mul_lo_u32 v2, v5, s38
	v_mul_lo_u32 v20, v4, s39
	v_mad_u64_u32 v[29:30], null, v4, s38, 0
	s_delay_alu instid0(VALU_DEP_1) | instskip(NEXT) | instid1(VALU_DEP_1)
	v_add3_u32 v30, v30, v20, v2
	v_lshlrev_b64 v[29:30], 3, v[29:30]
	s_delay_alu instid0(VALU_DEP_1) | instskip(NEXT) | instid1(VALU_DEP_1)
	v_add_co_u32 v29, s4, s46, v29
	v_add_co_ci_u32_e64 v30, s4, s47, v30, s4
	global_load_b64 v[31:32], v[29:30], off
.LBB116_64:                             ;   in Loop: Header=BB116_21 Depth=1
	s_or_b32 exec_lo, exec_lo, s5
	s_and_saveexec_b32 s8, vcc_lo
	s_cbranch_execz .LBB116_71
; %bb.65:                               ;   in Loop: Header=BB116_21 Depth=1
	s_and_b32 s9, s86, 0xfe
	s_mov_b32 s10, 0
	s_branch .LBB116_67
.LBB116_66:                             ;   in Loop: Header=BB116_67 Depth=2
	s_or_b32 exec_lo, exec_lo, s5
	s_waitcnt vmcnt(0)
	v_cmp_o_f64_e64 s4, v[31:32], v[31:32]
	v_ashrrev_i32_e32 v2, 31, v32
	s_and_b32 s6, exec_lo, vcc_lo
	s_delay_alu instid0(SALU_CYCLE_1) | instskip(NEXT) | instid1(VALU_DEP_1)
	s_or_b32 s10, s6, s10
	v_or_b32_e32 v20, 0x80000000, v2
	v_xor_b32_e32 v2, v2, v31
	s_delay_alu instid0(VALU_DEP_2) | instskip(NEXT) | instid1(VALU_DEP_1)
	v_xor_b32_e32 v20, v20, v32
	v_cndmask_b32_e64 v32, -1, v20, s4
	s_delay_alu instid0(VALU_DEP_3) | instskip(NEXT) | instid1(VALU_DEP_1)
	v_cndmask_b32_e64 v31, -1, v2, s4
	v_lshrrev_b64 v[41:42], s9, v[31:32]
	v_and_b32_e32 v32, s59, v32
	v_and_b32_e32 v31, s58, v31
	s_delay_alu instid0(VALU_DEP_3) | instskip(NEXT) | instid1(VALU_DEP_2)
	v_and_b32_e32 v20, 3, v41
	v_cmp_eq_u64_e64 s4, s[56:57], v[31:32]
	s_delay_alu instid0(VALU_DEP_2) | instskip(SKIP_3) | instid1(VALU_DEP_4)
	v_cmp_eq_u64_e64 s5, 0, v[20:21]
	v_cmp_eq_u64_e32 vcc_lo, 1, v[20:21]
	v_cmp_eq_u64_e64 s6, 2, v[20:21]
	v_cmp_eq_u64_e64 s7, 3, v[20:21]
	s_and_b32 s5, s4, s5
	s_delay_alu instid0(SALU_CYCLE_1) | instskip(SKIP_1) | instid1(SALU_CYCLE_1)
	v_cndmask_b32_e64 v2, 0, 1, s5
	s_and_b32 s5, s4, vcc_lo
	v_cndmask_b32_e64 v20, 0, 1, s5
	s_and_b32 s5, s4, s6
	s_delay_alu instid0(VALU_DEP_2) | instskip(SKIP_2) | instid1(SALU_CYCLE_1)
	v_cmp_ne_u32_e32 vcc_lo, 0, v2
	v_cndmask_b32_e64 v31, 0, 1, s5
	s_and_b32 s4, s4, s7
	v_cndmask_b32_e64 v32, 0, 1, s4
	v_cmp_ne_u32_e64 s4, 0, v20
	s_bcnt1_i32_b32 s7, vcc_lo
	v_cmp_ne_u32_e64 s5, 0, v31
	v_add_co_u32 v8, vcc_lo, v8, s7
	s_delay_alu instid0(VALU_DEP_3)
	s_bcnt1_i32_b32 s4, s4
	v_cmp_ne_u32_e64 s6, 0, v32
	v_add_co_ci_u32_e32 v9, vcc_lo, 0, v9, vcc_lo
	v_add_co_u32 v10, vcc_lo, v10, s4
	s_bcnt1_i32_b32 s5, s5
	v_add_co_ci_u32_e32 v11, vcc_lo, 0, v11, vcc_lo
	v_add_co_u32 v12, vcc_lo, v12, s5
	s_bcnt1_i32_b32 s6, s6
	v_add_co_ci_u32_e32 v13, vcc_lo, 0, v13, vcc_lo
	v_add_co_u32 v14, vcc_lo, v14, s6
	v_dual_mov_b32 v32, v30 :: v_dual_mov_b32 v31, v29
	v_add_co_ci_u32_e32 v15, vcc_lo, 0, v15, vcc_lo
	s_and_not1_b32 exec_lo, exec_lo, s10
	s_cbranch_execz .LBB116_70
.LBB116_67:                             ;   Parent Loop BB116_21 Depth=1
                                        ; =>  This Inner Loop Header: Depth=2
	v_add_co_u32 v4, vcc_lo, v4, s42
	v_add_co_ci_u32_e32 v5, vcc_lo, 0, v5, vcc_lo
	v_mov_b32_e32 v29, 0
	v_mov_b32_e32 v30, 0
	s_mov_b32 s5, exec_lo
	s_delay_alu instid0(VALU_DEP_3)
	v_cmp_le_u64_e32 vcc_lo, s[24:25], v[4:5]
	v_cmpx_gt_u64_e64 s[24:25], v[4:5]
	s_cbranch_execz .LBB116_66
; %bb.68:                               ;   in Loop: Header=BB116_67 Depth=2
	v_mul_lo_u32 v2, v5, s38
	v_mul_lo_u32 v20, v4, s39
	v_mad_u64_u32 v[29:30], null, v4, s38, 0
	s_delay_alu instid0(VALU_DEP_1) | instskip(NEXT) | instid1(VALU_DEP_1)
	v_add3_u32 v30, v30, v20, v2
	v_lshlrev_b64 v[29:30], 3, v[29:30]
	s_delay_alu instid0(VALU_DEP_1) | instskip(NEXT) | instid1(VALU_DEP_1)
	v_add_co_u32 v29, s4, s46, v29
	v_add_co_ci_u32_e64 v30, s4, s47, v30, s4
	global_load_b64 v[29:30], v[29:30], off
	s_branch .LBB116_66
.LBB116_69:                             ;   in Loop: Header=BB116_21 Depth=1
                                        ; implicit-def: $vgpr14_vgpr15
                                        ; implicit-def: $vgpr10_vgpr11
	s_cbranch_execnz .LBB116_72
	s_branch .LBB116_81
.LBB116_70:                             ;   in Loop: Header=BB116_21 Depth=1
	s_or_b32 exec_lo, exec_lo, s10
.LBB116_71:                             ;   in Loop: Header=BB116_21 Depth=1
	s_delay_alu instid0(SALU_CYCLE_1)
	s_or_b32 exec_lo, exec_lo, s8
	s_branch .LBB116_81
.LBB116_72:                             ;   in Loop: Header=BB116_21 Depth=1
	global_load_u16 v2, v21, s[50:51]
	v_mov_b32_e32 v8, 0
	s_mov_b64 s[62:63], 0
	s_mov_b32 s61, exec_lo
	v_mov_b32_e32 v9, 0
	s_delay_alu instid0(VALU_DEP_1)
	v_mov_b32_e32 v15, v9
	v_dual_mov_b32 v11, v9 :: v_dual_mov_b32 v10, v8
	v_dual_mov_b32 v13, v9 :: v_dual_mov_b32 v12, v8
	v_mov_b32_e32 v14, v8
	s_waitcnt vmcnt(0)
	v_readfirstlane_b32 s4, v2
	v_and_b32_e32 v2, 0xffff, v2
	s_delay_alu instid0(VALU_DEP_2) | instskip(NEXT) | instid1(SALU_CYCLE_1)
	s_and_b32 s4, 0xffff, s4
	s_lshl_b32 s48, s4, 2
	s_delay_alu instid0(SALU_CYCLE_1) | instskip(SKIP_1) | instid1(VALU_DEP_1)
	v_cvt_f32_u32_e32 v4, s48
	s_sub_i32 s5, 0, s48
	v_rcp_iflag_f32_e32 v4, v4
	s_waitcnt_depctr 0xfff
	v_mul_f32_e32 v4, 0x4f7ffffe, v4
	s_delay_alu instid0(VALU_DEP_1) | instskip(NEXT) | instid1(VALU_DEP_1)
	v_cvt_u32_f32_e32 v4, v4
	v_readfirstlane_b32 s4, v4
	s_delay_alu instid0(VALU_DEP_1) | instskip(NEXT) | instid1(SALU_CYCLE_1)
	s_mul_i32 s5, s5, s4
	s_mul_hi_u32 s5, s4, s5
	s_delay_alu instid0(SALU_CYCLE_1) | instskip(NEXT) | instid1(SALU_CYCLE_1)
	s_add_i32 s4, s4, s5
	s_mul_hi_u32 s4, s60, s4
	s_delay_alu instid0(SALU_CYCLE_1) | instskip(NEXT) | instid1(SALU_CYCLE_1)
	s_mul_i32 s4, s4, s48
	s_sub_i32 s4, s60, s4
	s_delay_alu instid0(SALU_CYCLE_1) | instskip(SKIP_2) | instid1(SALU_CYCLE_1)
	s_sub_i32 s5, s4, s48
	s_cmp_ge_u32 s4, s48
	s_cselect_b32 s4, s5, s4
	s_sub_i32 s5, s4, s48
	s_cmp_ge_u32 s4, s48
	s_cselect_b32 s4, s5, s4
	s_delay_alu instid0(SALU_CYCLE_1) | instskip(NEXT) | instid1(SALU_CYCLE_1)
	s_sub_i32 s42, s60, s4
	v_cmpx_gt_u32_e64 s42, v18
	s_cbranch_execz .LBB116_76
; %bb.73:                               ;   in Loop: Header=BB116_21 Depth=1
	v_dual_mov_b32 v30, v37 :: v_dual_lshlrev_b32 v29, 5, v2
	v_dual_mov_b32 v4, v18 :: v_dual_mov_b32 v5, v19
	s_and_b32 s70, s86, 0xfe
	s_mov_b32 s71, 0
	s_mov_b64 s[64:65], 0
	s_mov_b64 s[66:67], 0
	;; [unrolled: 1-line block ×3, first 2 shown]
.LBB116_74:                             ;   Parent Loop BB116_21 Depth=1
                                        ; =>  This Inner Loop Header: Depth=2
	ds_load_b128 v[8:11], v30
	ds_load_b128 v[12:15], v30 offset:16
	v_add_co_u32 v4, vcc_lo, v4, s48
	v_add_co_ci_u32_e32 v5, vcc_lo, 0, v5, vcc_lo
	s_delay_alu instid0(VALU_DEP_1)
	v_cmp_le_u64_e32 vcc_lo, s[42:43], v[4:5]
	s_waitcnt lgkmcnt(1)
	v_cmp_o_f64_e64 s5, v[8:9], v[8:9]
	s_waitcnt lgkmcnt(0)
	v_cmp_o_f64_e64 s7, v[14:15], v[14:15]
	v_cmp_o_f64_e64 s4, v[10:11], v[10:11]
	;; [unrolled: 1-line block ×3, first 2 shown]
	v_ashrrev_i32_e32 v20, 31, v9
	v_ashrrev_i32_e32 v43, 31, v15
	;; [unrolled: 1-line block ×4, first 2 shown]
	s_delay_alu instid0(VALU_DEP_4) | instskip(NEXT) | instid1(VALU_DEP_4)
	v_or_b32_e32 v45, 0x80000000, v20
	v_or_b32_e32 v48, 0x80000000, v43
	s_delay_alu instid0(VALU_DEP_4) | instskip(NEXT) | instid1(VALU_DEP_4)
	v_or_b32_e32 v46, 0x80000000, v31
	v_or_b32_e32 v47, 0x80000000, v41
	v_xor_b32_e32 v20, v20, v8
	v_xor_b32_e32 v45, v45, v9
	;; [unrolled: 1-line block ×8, first 2 shown]
	v_cndmask_b32_e64 v9, -1, v45, s5
	v_cndmask_b32_e64 v15, -1, v8, s7
	;; [unrolled: 1-line block ×7, first 2 shown]
	v_dual_mov_b32 v32, v21 :: v_dual_and_b32 v45, s58, v8
	v_and_b32_e32 v46, s59, v9
	v_lshrrev_b64 v[8:9], s70, v[8:9]
	v_cndmask_b32_e64 v14, -1, v43, s7
	v_dual_mov_b32 v42, v21 :: v_dual_and_b32 v47, s58, v10
	v_lshrrev_b64 v[9:10], s70, v[10:11]
	v_and_b32_e32 v48, s59, v11
	v_lshrrev_b64 v[10:11], s70, v[12:13]
	v_dual_mov_b32 v44, v21 :: v_dual_and_b32 v49, s58, v12
	v_lshrrev_b64 v[11:12], s70, v[14:15]
	v_and_b32_e32 v20, 3, v8
	v_and_b32_e32 v31, 3, v9
	;; [unrolled: 1-line block ×4, first 2 shown]
	v_cmp_eq_u64_e64 s4, s[56:57], v[45:46]
	v_cmp_eq_u64_e64 s8, 0, v[20:21]
	v_and_b32_e32 v52, s59, v15
	v_and_b32_e32 v51, s58, v14
	;; [unrolled: 1-line block ×3, first 2 shown]
	v_cmp_eq_u64_e64 s5, s[56:57], v[47:48]
	v_cmp_eq_u64_e64 s9, 0, v[31:32]
	;; [unrolled: 1-line block ×6, first 2 shown]
	s_and_b32 s8, s4, s8
	v_cmp_eq_u64_e64 s12, 1, v[20:21]
	v_cndmask_b32_e64 v8, 0, 1, s8
	s_and_b32 s8, s5, s9
	v_cmp_eq_u64_e64 s13, 1, v[31:32]
	v_cndmask_b32_e64 v9, 0, 1, s8
	;; [unrolled: 3-line block ×3, first 2 shown]
	s_and_b32 s8, s7, s11
	v_cmp_ne_u32_e64 s9, 0, v9
	v_cndmask_b32_e64 v11, 0, 1, s8
	v_cmp_ne_u32_e64 s8, 0, v8
	v_cmp_ne_u32_e64 s10, 0, v10
	v_cmp_eq_u64_e64 s15, 1, v[43:44]
	s_bcnt1_i32_b32 s9, s9
	v_cmp_ne_u32_e64 s11, 0, v11
	s_bcnt1_i32_b32 s8, s8
	s_bcnt1_i32_b32 s10, s10
	s_add_i32 s8, s9, s8
	v_cmp_eq_u64_e64 s16, 2, v[20:21]
	s_bcnt1_i32_b32 s11, s11
	s_add_i32 s8, s8, s10
	v_cmp_eq_u64_e64 s17, 2, v[31:32]
	s_add_i32 s8, s8, s11
	v_cmp_eq_u64_e64 s18, 2, v[41:42]
	s_add_u32 s68, s68, s8
	s_addc_u32 s69, s69, 0
	s_and_b32 s8, s4, s12
	v_cmp_eq_u64_e64 s19, 2, v[43:44]
	v_cndmask_b32_e64 v8, 0, 1, s8
	s_and_b32 s8, s5, s13
	v_cmp_eq_u64_e64 s20, 3, v[20:21]
	v_cndmask_b32_e64 v9, 0, 1, s8
	;; [unrolled: 3-line block ×3, first 2 shown]
	s_and_b32 s8, s7, s15
	v_cmp_ne_u32_e64 s9, 0, v9
	v_cndmask_b32_e64 v11, 0, 1, s8
	v_cmp_ne_u32_e64 s8, 0, v8
	v_cmp_ne_u32_e64 s10, 0, v10
	v_cmp_eq_u64_e64 s23, 3, v[43:44]
	s_bcnt1_i32_b32 s9, s9
	v_cmp_ne_u32_e64 s11, 0, v11
	s_bcnt1_i32_b32 s8, s8
	s_bcnt1_i32_b32 s10, s10
	s_add_i32 s8, s9, s8
	v_add_nc_u32_e32 v30, v30, v29
	s_bcnt1_i32_b32 s11, s11
	s_add_i32 s8, s8, s10
	s_delay_alu instid0(SALU_CYCLE_1) | instskip(NEXT) | instid1(SALU_CYCLE_1)
	s_add_i32 s8, s8, s11
	s_add_u32 s66, s66, s8
	s_addc_u32 s67, s67, 0
	s_and_b32 s8, s4, s16
	s_delay_alu instid0(SALU_CYCLE_1) | instskip(SKIP_1) | instid1(SALU_CYCLE_1)
	v_cndmask_b32_e64 v8, 0, 1, s8
	s_and_b32 s8, s5, s17
	v_cndmask_b32_e64 v9, 0, 1, s8
	s_and_b32 s8, s6, s18
	s_delay_alu instid0(SALU_CYCLE_1) | instskip(SKIP_1) | instid1(VALU_DEP_2)
	v_cndmask_b32_e64 v10, 0, 1, s8
	s_and_b32 s8, s7, s19
	v_cmp_ne_u32_e64 s9, 0, v9
	v_cndmask_b32_e64 v11, 0, 1, s8
	v_cmp_ne_u32_e64 s8, 0, v8
	v_cmp_ne_u32_e64 s10, 0, v10
	s_delay_alu instid0(VALU_DEP_4) | instskip(NEXT) | instid1(VALU_DEP_3)
	s_bcnt1_i32_b32 s9, s9
	v_cmp_ne_u32_e64 s11, 0, v11
	s_delay_alu instid0(VALU_DEP_3) | instskip(NEXT) | instid1(VALU_DEP_2)
	s_bcnt1_i32_b32 s8, s8
	s_bcnt1_i32_b32 s10, s10
	s_add_i32 s8, s9, s8
	s_delay_alu instid0(VALU_DEP_1) | instskip(SKIP_1) | instid1(SALU_CYCLE_1)
	s_bcnt1_i32_b32 s11, s11
	s_add_i32 s8, s8, s10
	s_add_i32 s8, s8, s11
	s_delay_alu instid0(SALU_CYCLE_1)
	s_add_u32 s64, s64, s8
	s_addc_u32 s65, s65, 0
	v_mov_b32_e32 v12, s64
	v_cmp_eq_u64_e64 s22, 3, v[41:42]
	s_and_b32 s4, s4, s20
	v_mov_b32_e32 v13, s65
	v_cndmask_b32_e64 v8, 0, 1, s4
	s_and_b32 s4, s5, s21
	s_delay_alu instid0(SALU_CYCLE_1) | instskip(SKIP_1) | instid1(SALU_CYCLE_1)
	v_cndmask_b32_e64 v9, 0, 1, s4
	s_and_b32 s4, s6, s22
	v_cndmask_b32_e64 v10, 0, 1, s4
	s_and_b32 s4, s7, s23
	s_delay_alu instid0(VALU_DEP_2) | instskip(SKIP_4) | instid1(VALU_DEP_4)
	v_cmp_ne_u32_e64 s5, 0, v9
	v_cndmask_b32_e64 v11, 0, 1, s4
	v_cmp_ne_u32_e64 s4, 0, v8
	v_cmp_ne_u32_e64 s6, 0, v10
	v_dual_mov_b32 v8, s68 :: v_dual_mov_b32 v9, s69
	v_cmp_ne_u32_e64 s7, 0, v11
	s_delay_alu instid0(VALU_DEP_4)
	s_bcnt1_i32_b32 s4, s4
	s_bcnt1_i32_b32 s5, s5
	;; [unrolled: 1-line block ×3, first 2 shown]
	s_add_i32 s4, s5, s4
	s_bcnt1_i32_b32 s5, s7
	s_add_i32 s4, s4, s6
	v_mov_b32_e32 v10, s66
	s_add_i32 s4, s4, s5
	v_mov_b32_e32 v11, s67
	s_add_u32 s62, s62, s4
	s_addc_u32 s63, s63, 0
	s_delay_alu instid0(SALU_CYCLE_1) | instskip(SKIP_1) | instid1(SALU_CYCLE_1)
	v_dual_mov_b32 v14, s62 :: v_dual_mov_b32 v15, s63
	s_or_b32 s71, vcc_lo, s71
	s_and_not1_b32 exec_lo, exec_lo, s71
	s_cbranch_execnz .LBB116_74
; %bb.75:                               ;   in Loop: Header=BB116_21 Depth=1
	s_or_b32 exec_lo, exec_lo, s71
.LBB116_76:                             ;   in Loop: Header=BB116_21 Depth=1
	s_delay_alu instid0(SALU_CYCLE_1) | instskip(SKIP_2) | instid1(VALU_DEP_1)
	s_or_b32 exec_lo, exec_lo, s61
	v_add_nc_u32_e32 v20, s42, v0
	s_mov_b32 s9, exec_lo
	v_cmpx_gt_u32_e64 s60, v20
	s_cbranch_execz .LBB116_80
; %bb.77:                               ;   in Loop: Header=BB116_21 Depth=1
	v_dual_mov_b32 v4, v20 :: v_dual_lshlrev_b32 v29, 3, v20
	v_dual_mov_b32 v5, v21 :: v_dual_lshlrev_b32 v30, 3, v2
	s_mov_b32 s11, 0
	s_and_b32 s10, s60, 0x7fffffff
	s_and_b32 s13, s86, 0xfe
	s_mov_b32 s12, s11
.LBB116_78:                             ;   Parent Loop BB116_21 Depth=1
                                        ; =>  This Inner Loop Header: Depth=2
	ds_load_b64 v[31:32], v29
	v_add_co_u32 v4, s4, v4, v2
	s_delay_alu instid0(VALU_DEP_1) | instskip(NEXT) | instid1(VALU_DEP_1)
	v_add_co_ci_u32_e64 v5, s4, 0, v5, s4
	v_cmp_le_u64_e64 s4, s[10:11], v[4:5]
	s_waitcnt lgkmcnt(0)
	v_cmp_o_f64_e32 vcc_lo, v[31:32], v[31:32]
	v_ashrrev_i32_e32 v20, 31, v32
	s_delay_alu instid0(VALU_DEP_1) | instskip(SKIP_1) | instid1(VALU_DEP_2)
	v_or_b32_e32 v41, 0x80000000, v20
	v_xor_b32_e32 v20, v20, v31
	v_xor_b32_e32 v41, v41, v32
	s_delay_alu instid0(VALU_DEP_1) | instskip(NEXT) | instid1(VALU_DEP_3)
	v_dual_cndmask_b32 v32, -1, v41 :: v_dual_add_nc_u32 v29, v29, v30
	v_cndmask_b32_e32 v31, -1, v20, vcc_lo
	s_delay_alu instid0(VALU_DEP_2) | instskip(NEXT) | instid1(VALU_DEP_2)
	v_and_b32_e32 v42, s59, v32
	v_and_b32_e32 v41, s58, v31
	v_lshrrev_b64 v[31:32], s13, v[31:32]
	s_delay_alu instid0(VALU_DEP_2) | instskip(NEXT) | instid1(VALU_DEP_2)
	v_cmp_eq_u64_e32 vcc_lo, s[56:57], v[41:42]
	v_and_b32_e32 v20, 3, v31
	s_delay_alu instid0(VALU_DEP_1) | instskip(SKIP_3) | instid1(VALU_DEP_4)
	v_cmp_eq_u64_e64 s5, 0, v[20:21]
	v_cmp_eq_u64_e64 s6, 1, v[20:21]
	;; [unrolled: 1-line block ×4, first 2 shown]
	s_and_b32 s5, vcc_lo, s5
	s_delay_alu instid0(SALU_CYCLE_1) | instskip(NEXT) | instid1(VALU_DEP_4)
	v_cndmask_b32_e64 v20, 0, 1, s5
	s_and_b32 s5, vcc_lo, s6
	s_delay_alu instid0(SALU_CYCLE_1) | instskip(SKIP_1) | instid1(SALU_CYCLE_1)
	v_cndmask_b32_e64 v31, 0, 1, s5
	s_and_b32 s5, vcc_lo, s7
	v_cndmask_b32_e64 v32, 0, 1, s5
	s_and_b32 s5, vcc_lo, s8
	v_cmp_ne_u32_e32 vcc_lo, 0, v20
	v_cndmask_b32_e64 v41, 0, 1, s5
	v_cmp_ne_u32_e64 s5, 0, v31
	v_cmp_ne_u32_e64 s6, 0, v32
	s_bcnt1_i32_b32 s8, vcc_lo
	s_delay_alu instid0(VALU_DEP_3)
	v_cmp_ne_u32_e64 s7, 0, v41
	v_add_co_u32 v8, vcc_lo, v8, s8
	s_bcnt1_i32_b32 s5, s5
	v_add_co_ci_u32_e32 v9, vcc_lo, 0, v9, vcc_lo
	v_add_co_u32 v10, vcc_lo, v10, s5
	s_bcnt1_i32_b32 s6, s6
	v_add_co_ci_u32_e32 v11, vcc_lo, 0, v11, vcc_lo
	;; [unrolled: 3-line block ×3, first 2 shown]
	v_add_co_u32 v14, vcc_lo, v14, s7
	v_add_co_ci_u32_e32 v15, vcc_lo, 0, v15, vcc_lo
	s_or_b32 s12, s4, s12
	s_delay_alu instid0(SALU_CYCLE_1)
	s_and_not1_b32 exec_lo, exec_lo, s12
	s_cbranch_execnz .LBB116_78
; %bb.79:                               ;   in Loop: Header=BB116_21 Depth=1
	s_or_b32 exec_lo, exec_lo, s12
.LBB116_80:                             ;   in Loop: Header=BB116_21 Depth=1
	s_delay_alu instid0(SALU_CYCLE_1)
	s_or_b32 exec_lo, exec_lo, s9
.LBB116_81:                             ;   in Loop: Header=BB116_21 Depth=1
	s_lshl_b32 s4, s89, 7
	s_and_saveexec_b32 s5, s1
	s_cbranch_execz .LBB116_83
; %bb.82:                               ;   in Loop: Header=BB116_21 Depth=1
	v_or_b32_e32 v2, s4, v36
	s_delay_alu instid0(VALU_DEP_1)
	v_lshlrev_b32_e32 v2, 3, v2
	ds_store_b128 v2, v[8:11] offset:3072
	ds_store_b128 v2, v[12:15] offset:3088
.LBB116_83:                             ;   in Loop: Header=BB116_21 Depth=1
	s_or_b32 exec_lo, exec_lo, s5
	s_waitcnt vmcnt(0) lgkmcnt(0)
	s_barrier
	buffer_gl0_inv
	s_and_saveexec_b32 s5, s72
	s_cbranch_execz .LBB116_94
; %bb.84:                               ;   in Loop: Header=BB116_21 Depth=1
	v_mov_b32_e32 v4, 0
	v_mov_b32_e32 v5, 0
	s_and_not1_b32 vcc_lo, exec_lo, s79
	s_cbranch_vccnz .LBB116_93
; %bb.85:                               ;   in Loop: Header=BB116_21 Depth=1
	v_mov_b32_e32 v4, 0
	v_mov_b32_e32 v5, 0
	s_and_not1_b32 vcc_lo, exec_lo, s77
	s_cbranch_vccnz .LBB116_90
; %bb.86:                               ;   in Loop: Header=BB116_21 Depth=1
	v_lshl_add_u32 v2, s89, 10, v40
	s_mov_b32 s6, 0
	s_set_inst_prefetch_distance 0x1
	.p2align	6
.LBB116_87:                             ;   Parent Loop BB116_21 Depth=1
                                        ; =>  This Inner Loop Header: Depth=2
	ds_load_2addr_b64 v[8:11], v2 offset1:4
	ds_load_2addr_b64 v[12:15], v2 offset0:8 offset1:12
	ds_load_2addr_b64 v[29:32], v2 offset0:16 offset1:20
	s_add_i32 s6, s6, 8
	s_delay_alu instid0(SALU_CYCLE_1) | instskip(SKIP_3) | instid1(VALU_DEP_2)
	s_cmp_eq_u32 s78, s6
	s_waitcnt lgkmcnt(2)
	v_add_co_u32 v4, vcc_lo, v8, v4
	v_add_co_ci_u32_e32 v5, vcc_lo, v9, v5, vcc_lo
	v_add_co_u32 v4, vcc_lo, v10, v4
	s_delay_alu instid0(VALU_DEP_2)
	v_add_co_ci_u32_e32 v5, vcc_lo, v11, v5, vcc_lo
	ds_load_2addr_b64 v[8:11], v2 offset0:24 offset1:28
	s_waitcnt lgkmcnt(2)
	v_add_co_u32 v4, vcc_lo, v12, v4
	v_add_co_ci_u32_e32 v5, vcc_lo, v13, v5, vcc_lo
	v_add_nc_u32_e32 v2, 0x100, v2
	s_delay_alu instid0(VALU_DEP_3) | instskip(NEXT) | instid1(VALU_DEP_3)
	v_add_co_u32 v4, vcc_lo, v14, v4
	v_add_co_ci_u32_e32 v5, vcc_lo, v15, v5, vcc_lo
	s_waitcnt lgkmcnt(1)
	s_delay_alu instid0(VALU_DEP_2) | instskip(NEXT) | instid1(VALU_DEP_2)
	v_add_co_u32 v4, vcc_lo, v29, v4
	v_add_co_ci_u32_e32 v5, vcc_lo, v30, v5, vcc_lo
	s_delay_alu instid0(VALU_DEP_2) | instskip(NEXT) | instid1(VALU_DEP_2)
	v_add_co_u32 v4, vcc_lo, v31, v4
	v_add_co_ci_u32_e32 v5, vcc_lo, v32, v5, vcc_lo
	s_waitcnt lgkmcnt(0)
	s_delay_alu instid0(VALU_DEP_2) | instskip(NEXT) | instid1(VALU_DEP_2)
	v_add_co_u32 v4, vcc_lo, v8, v4
	v_add_co_ci_u32_e32 v5, vcc_lo, v9, v5, vcc_lo
	s_delay_alu instid0(VALU_DEP_2) | instskip(NEXT) | instid1(VALU_DEP_2)
	v_add_co_u32 v4, vcc_lo, v10, v4
	v_add_co_ci_u32_e32 v5, vcc_lo, v11, v5, vcc_lo
	s_cbranch_scc0 .LBB116_87
; %bb.88:                               ;   in Loop: Header=BB116_21 Depth=1
	s_set_inst_prefetch_distance 0x2
	s_mov_b32 s6, s78
	s_and_not1_b32 vcc_lo, exec_lo, s80
	s_cbranch_vccz .LBB116_91
	s_branch .LBB116_93
.LBB116_89:                             ;   in Loop: Header=BB116_21 Depth=1
                                        ; implicit-def: $vgpr4_vgpr5
	s_branch .LBB116_57
.LBB116_90:                             ;   in Loop: Header=BB116_21 Depth=1
	s_mov_b32 s6, 0
	s_and_not1_b32 vcc_lo, exec_lo, s80
	s_cbranch_vccnz .LBB116_93
.LBB116_91:                             ;   in Loop: Header=BB116_21 Depth=1
	s_lshl_b32 s7, s89, 10
	s_lshl_b32 s6, s6, 5
	s_delay_alu instid0(SALU_CYCLE_1)
	v_add3_u32 v2, s7, s6, v40
	s_mov_b32 s6, s76
.LBB116_92:                             ;   Parent Loop BB116_21 Depth=1
                                        ; =>  This Inner Loop Header: Depth=2
	ds_load_b64 v[8:9], v2
	v_add_nc_u32_e32 v2, 32, v2
	s_add_i32 s6, s6, -1
	s_delay_alu instid0(SALU_CYCLE_1)
	s_cmp_lg_u32 s6, 0
	s_waitcnt lgkmcnt(0)
	v_add_co_u32 v4, vcc_lo, v8, v4
	v_add_co_ci_u32_e32 v5, vcc_lo, v9, v5, vcc_lo
	s_cbranch_scc1 .LBB116_92
.LBB116_93:                             ;   in Loop: Header=BB116_21 Depth=1
	v_add_lshl_u32 v2, s4, v33, 3
	ds_store_b64 v2, v[4:5] offset:3072
.LBB116_94:                             ;   in Loop: Header=BB116_21 Depth=1
	s_or_b32 exec_lo, exec_lo, s5
	s_lshl_b32 s4, s4, 3
	s_waitcnt lgkmcnt(0)
	v_mov_b32_e32 v2, s4
	s_barrier
	buffer_gl0_inv
	s_and_b32 s21, s86, 0xfe
	s_mov_b32 s22, -1
	ds_load_b128 v[8:11], v2 offset:3072
	ds_load_b128 v[12:15], v2 offset:3088
	s_lshl_b64 s[8:9], 3, s21
	s_delay_alu instid0(SALU_CYCLE_1)
	s_not_b64 s[12:13], s[8:9]
	s_waitcnt lgkmcnt(1)
	v_readfirstlane_b32 s17, v9
	v_readfirstlane_b32 s16, v8
	;; [unrolled: 1-line block ×4, first 2 shown]
	s_waitcnt lgkmcnt(0)
	v_readfirstlane_b32 s10, v12
	v_readfirstlane_b32 s11, v13
	s_cmp_eq_u64 s[16:17], 1
	v_readfirstlane_b32 s6, v14
	s_cselect_b32 s4, -1, 0
	s_cmp_eq_u64 s[44:45], 1
	v_readfirstlane_b32 s7, v15
	s_cselect_b32 s5, -1, 0
	s_delay_alu instid0(SALU_CYCLE_1) | instskip(NEXT) | instid1(SALU_CYCLE_1)
	s_and_b32 s23, s4, s5
	s_and_b32 vcc_lo, exec_lo, s23
	s_cbranch_vccz .LBB116_109
; %bb.95:                               ;   in Loop: Header=BB116_21 Depth=1
	ds_load_b64 v[4:5], v21 offset:5120
	s_waitcnt lgkmcnt(0)
	s_barrier
	buffer_gl0_inv
	v_readfirstlane_b32 s18, v4
	v_readfirstlane_b32 s19, v5
	s_and_saveexec_b32 s4, s0
	s_cbranch_execz .LBB116_97
; %bb.96:                               ;   in Loop: Header=BB116_21 Depth=1
	v_mov_b32_e32 v20, v21
	ds_store_b64 v35, v[20:21]
.LBB116_97:                             ;   in Loop: Header=BB116_21 Depth=1
	s_or_b32 exec_lo, exec_lo, s4
	s_and_b64 s[56:57], s[56:57], s[12:13]
	s_or_b64 s[58:59], s[58:59], s[8:9]
	s_cmp_eq_u64 s[18:19], 0
	s_waitcnt lgkmcnt(0)
	s_barrier
	buffer_gl0_inv
	s_cbranch_scc1 .LBB116_110
; %bb.98:                               ;   in Loop: Header=BB116_21 Depth=1
	s_add_u32 s20, s73, s18
	s_addc_u32 s5, s74, s19
	s_mov_b32 s4, s43
	s_delay_alu instid0(SALU_CYCLE_1)
	s_cmp_lg_u64 s[4:5], 0
	s_cbranch_scc0 .LBB116_155
; %bb.99:                               ;   in Loop: Header=BB116_21 Depth=1
	v_cvt_f32_u32_e32 v2, s29
	s_sub_u32 s48, 0, s29
	s_subb_u32 s60, 0, 0
	s_delay_alu instid0(VALU_DEP_1) | instskip(NEXT) | instid1(VALU_DEP_1)
	v_fmac_f32_e64 v2, 0, 0x4f800000
	v_rcp_f32_e32 v2, v2
	s_waitcnt_depctr 0xfff
	v_mul_f32_e32 v2, 0x5f7ffffc, v2
	s_delay_alu instid0(VALU_DEP_1) | instskip(NEXT) | instid1(VALU_DEP_1)
	v_mul_f32_e32 v4, 0x2f800000, v2
	v_trunc_f32_e32 v4, v4
	s_delay_alu instid0(VALU_DEP_1) | instskip(SKIP_1) | instid1(VALU_DEP_2)
	v_fmac_f32_e32 v2, 0xcf800000, v4
	v_cvt_u32_f32_e32 v4, v4
	v_cvt_u32_f32_e32 v2, v2
	s_delay_alu instid0(VALU_DEP_2) | instskip(NEXT) | instid1(VALU_DEP_2)
	v_readfirstlane_b32 s4, v4
	v_readfirstlane_b32 s42, v2
	s_delay_alu instid0(VALU_DEP_2) | instskip(NEXT) | instid1(VALU_DEP_1)
	s_mul_i32 s61, s48, s4
	s_mul_hi_u32 s63, s48, s42
	s_mul_i32 s62, s60, s42
	s_add_i32 s61, s63, s61
	s_mul_i32 s64, s48, s42
	s_add_i32 s61, s61, s62
	s_mul_hi_u32 s63, s42, s64
	s_mul_hi_u32 s65, s4, s64
	s_mul_i32 s62, s4, s64
	s_mul_hi_u32 s64, s42, s61
	s_mul_i32 s42, s42, s61
	s_mul_hi_u32 s66, s4, s61
	s_add_u32 s42, s63, s42
	s_addc_u32 s63, 0, s64
	s_add_u32 s42, s42, s62
	s_mul_i32 s61, s4, s61
	s_addc_u32 s42, s63, s65
	s_addc_u32 s62, s66, 0
	s_add_u32 s42, s42, s61
	s_addc_u32 s61, 0, s62
	v_add_co_u32 v2, s42, v2, s42
	s_delay_alu instid0(VALU_DEP_1) | instskip(SKIP_1) | instid1(VALU_DEP_1)
	s_cmp_lg_u32 s42, 0
	s_addc_u32 s4, s4, s61
	v_readfirstlane_b32 s42, v2
	s_mul_i32 s61, s48, s4
	s_delay_alu instid0(VALU_DEP_1)
	s_mul_hi_u32 s62, s48, s42
	s_mul_i32 s60, s60, s42
	s_add_i32 s61, s62, s61
	s_mul_i32 s48, s48, s42
	s_add_i32 s61, s61, s60
	s_mul_hi_u32 s62, s4, s48
	s_mul_i32 s63, s4, s48
	s_mul_hi_u32 s48, s42, s48
	s_mul_hi_u32 s64, s42, s61
	s_mul_i32 s42, s42, s61
	s_mul_hi_u32 s60, s4, s61
	s_add_u32 s42, s48, s42
	s_addc_u32 s48, 0, s64
	s_add_u32 s42, s42, s63
	s_mul_i32 s61, s4, s61
	s_addc_u32 s42, s48, s62
	s_addc_u32 s48, s60, 0
	s_add_u32 s42, s42, s61
	s_addc_u32 s48, 0, s48
	v_add_co_u32 v2, s42, v2, s42
	s_delay_alu instid0(VALU_DEP_1) | instskip(SKIP_1) | instid1(VALU_DEP_1)
	s_cmp_lg_u32 s42, 0
	s_addc_u32 s4, s4, s48
	v_readfirstlane_b32 s42, v2
	s_mul_i32 s60, s20, s4
	s_mul_hi_u32 s48, s20, s4
	s_mul_hi_u32 s61, s5, s4
	s_mul_i32 s4, s5, s4
	s_mul_hi_u32 s62, s20, s42
	s_mul_hi_u32 s63, s5, s42
	s_mul_i32 s42, s5, s42
	s_add_u32 s60, s62, s60
	s_addc_u32 s48, 0, s48
	s_add_u32 s42, s60, s42
	s_addc_u32 s42, s48, s63
	s_addc_u32 s48, s61, 0
	s_add_u32 s4, s42, s4
	s_addc_u32 s42, 0, s48
	s_mul_hi_u32 s48, s29, s4
	s_mul_i32 s4, s29, s4
	s_mul_i32 s42, s29, s42
	v_sub_co_u32 v2, s4, s20, s4
	s_add_i32 s48, s48, s42
	s_cmp_lg_u32 s4, 0
	s_delay_alu instid0(VALU_DEP_1) | instskip(SKIP_2) | instid1(VALU_DEP_1)
	v_sub_co_u32 v4, s4, v2, s29
	s_subb_u32 s42, s5, s48
	s_cmp_lg_u32 s4, 0
	v_cmp_le_u32_e32 vcc_lo, s29, v4
	v_sub_co_u32 v5, s4, v4, s29
	s_subb_u32 s48, s42, 0
	s_cmp_lg_u32 s4, 0
	v_cndmask_b32_e64 v6, 0, -1, vcc_lo
	s_subb_u32 s4, s48, 0
	s_cmp_eq_u32 s48, 0
	v_mov_b32_e32 v8, s4
	s_cselect_b32 vcc_lo, -1, 0
	s_cmp_eq_u32 s42, 0
	v_cndmask_b32_e32 v6, -1, v6, vcc_lo
	v_cmp_le_u32_e32 vcc_lo, s29, v2
	s_cselect_b32 s4, -1, 0
	v_cndmask_b32_e64 v7, 0, -1, vcc_lo
	s_delay_alu instid0(VALU_DEP_3) | instskip(NEXT) | instid1(VALU_DEP_2)
	v_cmp_ne_u32_e32 vcc_lo, 0, v6
	v_cndmask_b32_e64 v6, -1, v7, s4
	v_cndmask_b32_e32 v7, s48, v8, vcc_lo
	v_cndmask_b32_e32 v4, v4, v5, vcc_lo
	s_delay_alu instid0(VALU_DEP_3) | instskip(NEXT) | instid1(VALU_DEP_3)
	v_cmp_ne_u32_e32 vcc_lo, 0, v6
	v_cndmask_b32_e32 v5, s42, v7, vcc_lo
	s_delay_alu instid0(VALU_DEP_3)
	v_cndmask_b32_e32 v4, v2, v4, vcc_lo
	s_cbranch_execnz .LBB116_101
.LBB116_100:                            ;   in Loop: Header=BB116_21 Depth=1
	v_cvt_f32_u32_e32 v2, s29
	s_sub_i32 s4, 0, s29
	s_delay_alu instid0(VALU_DEP_1) | instskip(SKIP_2) | instid1(VALU_DEP_1)
	v_rcp_iflag_f32_e32 v2, v2
	s_waitcnt_depctr 0xfff
	v_mul_f32_e32 v2, 0x4f7ffffe, v2
	v_cvt_u32_f32_e32 v2, v2
	s_delay_alu instid0(VALU_DEP_1) | instskip(NEXT) | instid1(VALU_DEP_1)
	v_mul_lo_u32 v4, s4, v2
	v_mul_hi_u32 v4, v2, v4
	s_delay_alu instid0(VALU_DEP_1) | instskip(NEXT) | instid1(VALU_DEP_1)
	v_add_nc_u32_e32 v2, v2, v4
	v_mul_hi_u32 v2, s20, v2
	s_delay_alu instid0(VALU_DEP_1) | instskip(NEXT) | instid1(VALU_DEP_1)
	v_mul_lo_u32 v2, v2, s29
	v_sub_nc_u32_e32 v2, s20, v2
	s_delay_alu instid0(VALU_DEP_1) | instskip(SKIP_1) | instid1(VALU_DEP_2)
	v_subrev_nc_u32_e32 v4, s29, v2
	v_cmp_le_u32_e32 vcc_lo, s29, v2
	v_cndmask_b32_e32 v2, v2, v4, vcc_lo
	s_delay_alu instid0(VALU_DEP_1) | instskip(SKIP_1) | instid1(VALU_DEP_2)
	v_subrev_nc_u32_e32 v4, s29, v2
	v_cmp_le_u32_e32 vcc_lo, s29, v2
	v_cndmask_b32_e32 v20, v2, v4, vcc_lo
	s_delay_alu instid0(VALU_DEP_1)
	v_dual_mov_b32 v4, v20 :: v_dual_mov_b32 v5, v21
.LBB116_101:                            ;   in Loop: Header=BB116_21 Depth=1
	s_delay_alu instid0(VALU_DEP_1) | instskip(NEXT) | instid1(VALU_DEP_2)
	v_sub_co_u32 v8, vcc_lo, s20, v4
	v_sub_co_ci_u32_e32 v9, vcc_lo, s5, v5, vcc_lo
	s_mov_b32 s4, 0
	s_mov_b32 s5, exec_lo
                                        ; implicit-def: $vgpr6_vgpr7
	s_delay_alu instid0(VALU_DEP_1)
	v_cmpx_gt_u64_e64 v[8:9], v[0:1]
	s_cbranch_execz .LBB116_112
; %bb.102:                              ;   in Loop: Header=BB116_21 Depth=1
	v_dual_mov_b32 v12, v34 :: v_dual_mov_b32 v11, v1
	v_mov_b32_e32 v10, v0
	s_mov_b32 s42, 0
                                        ; implicit-def: $sgpr20
	s_set_inst_prefetch_distance 0x1
	s_branch .LBB116_104
	.p2align	6
.LBB116_103:                            ;   in Loop: Header=BB116_104 Depth=2
	s_or_b32 exec_lo, exec_lo, s4
	s_waitcnt lgkmcnt(0)
	s_barrier
	buffer_gl0_inv
	ds_load_b128 v[4:7], v21 offset:3072
	v_add_co_u32 v10, s4, v10, s29
	s_delay_alu instid0(VALU_DEP_1) | instskip(SKIP_3) | instid1(VALU_DEP_2)
	v_add_co_ci_u32_e64 v11, s4, 0, v11, s4
	v_add_nc_u32_e32 v12, s81, v12
	s_waitcnt lgkmcnt(0)
	s_barrier
	v_cmp_ge_u64_e64 s4, v[10:11], v[8:9]
	buffer_gl0_inv
	v_cmp_neq_f64_e32 vcc_lo, 0, v[4:5]
	s_or_b32 s4, s4, vcc_lo
	s_delay_alu instid0(SALU_CYCLE_1) | instskip(NEXT) | instid1(SALU_CYCLE_1)
	s_and_b32 s4, exec_lo, s4
	s_or_b32 s42, s4, s42
	s_and_not1_b32 s4, s20, exec_lo
	s_and_b32 s20, vcc_lo, exec_lo
	s_delay_alu instid0(SALU_CYCLE_1)
	s_or_b32 s20, s4, s20
	s_and_not1_b32 exec_lo, exec_lo, s42
	s_cbranch_execz .LBB116_111
.LBB116_104:                            ;   Parent Loop BB116_21 Depth=1
                                        ; =>  This Inner Loop Header: Depth=2
	s_delay_alu instid0(VALU_DEP_1)
	v_cmp_gt_u64_e32 vcc_lo, s[18:19], v[10:11]
	v_mov_b32_e32 v4, 0
	v_mov_b32_e32 v5, 0
	s_and_saveexec_b32 s4, vcc_lo
	s_cbranch_execz .LBB116_106
; %bb.105:                              ;   in Loop: Header=BB116_104 Depth=2
	ds_load_b64 v[4:5], v12
.LBB116_106:                            ;   in Loop: Header=BB116_104 Depth=2
	s_or_b32 exec_lo, exec_lo, s4
	s_and_saveexec_b32 s4, vcc_lo
	s_cbranch_execz .LBB116_103
; %bb.107:                              ;   in Loop: Header=BB116_104 Depth=2
	s_waitcnt lgkmcnt(0)
	v_cmp_o_f64_e32 vcc_lo, v[4:5], v[4:5]
	v_ashrrev_i32_e32 v2, 31, v5
	s_delay_alu instid0(VALU_DEP_1) | instskip(SKIP_1) | instid1(VALU_DEP_2)
	v_or_b32_e32 v6, 0x80000000, v2
	v_xor_b32_e32 v2, v2, v4
	v_xor_b32_e32 v6, v6, v5
	s_delay_alu instid0(VALU_DEP_1) | instskip(NEXT) | instid1(VALU_DEP_3)
	v_cndmask_b32_e32 v6, -1, v6, vcc_lo
	v_cndmask_b32_e32 v2, -1, v2, vcc_lo
	s_delay_alu instid0(VALU_DEP_2) | instskip(NEXT) | instid1(VALU_DEP_2)
	v_and_b32_e32 v7, s59, v6
	v_and_b32_e32 v6, s58, v2
	s_delay_alu instid0(VALU_DEP_1)
	v_cmp_eq_u64_e32 vcc_lo, s[56:57], v[6:7]
	s_and_b32 exec_lo, exec_lo, vcc_lo
	s_cbranch_execz .LBB116_103
; %bb.108:                              ;   in Loop: Header=BB116_104 Depth=2
	v_mov_b32_e32 v2, v21
	ds_store_b128 v21, v[2:5] offset:3072
	s_branch .LBB116_103
.LBB116_109:                            ;   in Loop: Header=BB116_21 Depth=1
	s_mov_b32 s4, -1
                                        ; implicit-def: $sgpr5
                                        ; implicit-def: $sgpr19
                                        ; implicit-def: $sgpr18
	s_branch .LBB116_126
.LBB116_110:                            ;   in Loop: Header=BB116_21 Depth=1
	s_mov_b32 s5, -1
	s_mov_b32 s4, 0
                                        ; implicit-def: $sgpr18
                                        ; implicit-def: $vgpr6_vgpr7
	s_mov_b32 s19, s5
	s_cbranch_execnz .LBB116_113
	s_branch .LBB116_126
.LBB116_111:                            ;   in Loop: Header=BB116_21 Depth=1
	s_set_inst_prefetch_distance 0x2
	s_or_b32 exec_lo, exec_lo, s42
	s_delay_alu instid0(SALU_CYCLE_1)
	s_and_b32 s4, s20, exec_lo
.LBB116_112:                            ;   in Loop: Header=BB116_21 Depth=1
	s_or_b32 exec_lo, exec_lo, s5
	s_mov_b32 s18, -1
	s_mov_b32 s5, 0
	s_delay_alu instid0(SALU_CYCLE_1)
	s_mov_b32 s19, s5
	s_branch .LBB116_126
.LBB116_113:                            ;   in Loop: Header=BB116_21 Depth=1
	s_mov_b32 s48, s43
	s_delay_alu instid0(SALU_CYCLE_1)
	s_cmp_lg_u64 s[48:49], 0
	s_cbranch_scc0 .LBB116_156
; %bb.114:                              ;   in Loop: Header=BB116_21 Depth=1
	v_cvt_f32_u32_e32 v2, s29
	s_sub_u32 s18, 0, s29
	s_subb_u32 s19, 0, 0
	s_delay_alu instid0(VALU_DEP_1) | instskip(NEXT) | instid1(VALU_DEP_1)
	v_fmac_f32_e64 v2, 0, 0x4f800000
	v_rcp_f32_e32 v2, v2
	s_waitcnt_depctr 0xfff
	v_mul_f32_e32 v2, 0x5f7ffffc, v2
	s_delay_alu instid0(VALU_DEP_1) | instskip(NEXT) | instid1(VALU_DEP_1)
	v_mul_f32_e32 v4, 0x2f800000, v2
	v_trunc_f32_e32 v4, v4
	s_delay_alu instid0(VALU_DEP_1) | instskip(SKIP_1) | instid1(VALU_DEP_2)
	v_fmac_f32_e32 v2, 0xcf800000, v4
	v_cvt_u32_f32_e32 v4, v4
	v_cvt_u32_f32_e32 v2, v2
	s_delay_alu instid0(VALU_DEP_2) | instskip(NEXT) | instid1(VALU_DEP_2)
	v_readfirstlane_b32 s4, v4
	v_readfirstlane_b32 s5, v2
	s_delay_alu instid0(VALU_DEP_2) | instskip(NEXT) | instid1(VALU_DEP_1)
	s_mul_i32 s20, s18, s4
	s_mul_hi_u32 s48, s18, s5
	s_mul_i32 s42, s19, s5
	s_add_i32 s20, s48, s20
	s_mul_i32 s60, s18, s5
	s_add_i32 s20, s20, s42
	s_mul_hi_u32 s48, s5, s60
	s_mul_hi_u32 s61, s4, s60
	s_mul_i32 s42, s4, s60
	s_mul_hi_u32 s60, s5, s20
	s_mul_i32 s5, s5, s20
	s_mul_hi_u32 s62, s4, s20
	s_add_u32 s5, s48, s5
	s_addc_u32 s48, 0, s60
	s_add_u32 s5, s5, s42
	s_mul_i32 s20, s4, s20
	s_addc_u32 s5, s48, s61
	s_addc_u32 s42, s62, 0
	s_add_u32 s5, s5, s20
	s_addc_u32 s20, 0, s42
	v_add_co_u32 v2, s5, v2, s5
	s_delay_alu instid0(VALU_DEP_1) | instskip(SKIP_1) | instid1(VALU_DEP_1)
	s_cmp_lg_u32 s5, 0
	s_addc_u32 s4, s4, s20
	v_readfirstlane_b32 s5, v2
	s_mul_i32 s20, s18, s4
	s_delay_alu instid0(VALU_DEP_1)
	s_mul_hi_u32 s42, s18, s5
	s_mul_i32 s19, s19, s5
	s_add_i32 s20, s42, s20
	s_mul_i32 s18, s18, s5
	s_add_i32 s20, s20, s19
	s_mul_hi_u32 s42, s4, s18
	s_mul_i32 s48, s4, s18
	s_mul_hi_u32 s18, s5, s18
	s_mul_hi_u32 s60, s5, s20
	s_mul_i32 s5, s5, s20
	s_mul_hi_u32 s19, s4, s20
	s_add_u32 s5, s18, s5
	s_addc_u32 s18, 0, s60
	s_add_u32 s5, s5, s48
	s_mul_i32 s20, s4, s20
	s_addc_u32 s5, s18, s42
	s_addc_u32 s18, s19, 0
	s_add_u32 s5, s5, s20
	s_addc_u32 s18, 0, s18
	v_add_co_u32 v2, s5, v2, s5
	s_delay_alu instid0(VALU_DEP_1) | instskip(SKIP_1) | instid1(VALU_DEP_1)
	s_cmp_lg_u32 s5, 0
	s_addc_u32 s4, s4, s18
	v_readfirstlane_b32 s5, v2
	s_mul_i32 s19, s75, s4
	s_mul_hi_u32 s18, s75, s4
	s_mul_hi_u32 s20, s49, s4
	s_mul_i32 s4, s49, s4
	s_mul_hi_u32 s42, s75, s5
	s_mul_hi_u32 s48, s49, s5
	s_mul_i32 s5, s49, s5
	s_add_u32 s19, s42, s19
	s_addc_u32 s18, 0, s18
	s_add_u32 s5, s19, s5
	s_addc_u32 s5, s18, s48
	s_addc_u32 s18, s20, 0
	s_add_u32 s4, s5, s4
	s_addc_u32 s5, 0, s18
	s_mul_hi_u32 s18, s29, s4
	s_mul_i32 s4, s29, s4
	s_mul_i32 s5, s29, s5
	v_sub_co_u32 v2, s4, s75, s4
	s_add_i32 s18, s18, s5
	s_cmp_lg_u32 s4, 0
	s_delay_alu instid0(VALU_DEP_1) | instskip(SKIP_2) | instid1(VALU_DEP_1)
	v_sub_co_u32 v4, s4, v2, s29
	s_subb_u32 s5, s49, s18
	s_cmp_lg_u32 s4, 0
	v_cmp_le_u32_e32 vcc_lo, s29, v4
	v_sub_co_u32 v5, s4, v4, s29
	s_subb_u32 s18, s5, 0
	s_cmp_lg_u32 s4, 0
	v_cndmask_b32_e64 v6, 0, -1, vcc_lo
	s_subb_u32 s4, s18, 0
	s_cmp_eq_u32 s18, 0
	v_mov_b32_e32 v8, s4
	s_cselect_b32 vcc_lo, -1, 0
	s_cmp_eq_u32 s5, 0
	v_cndmask_b32_e32 v6, -1, v6, vcc_lo
	v_cmp_le_u32_e32 vcc_lo, s29, v2
	s_cselect_b32 s4, -1, 0
	v_cndmask_b32_e64 v7, 0, -1, vcc_lo
	s_delay_alu instid0(VALU_DEP_3) | instskip(NEXT) | instid1(VALU_DEP_2)
	v_cmp_ne_u32_e32 vcc_lo, 0, v6
	v_cndmask_b32_e64 v6, -1, v7, s4
	v_cndmask_b32_e32 v7, s18, v8, vcc_lo
	v_cndmask_b32_e32 v4, v4, v5, vcc_lo
	s_delay_alu instid0(VALU_DEP_3) | instskip(NEXT) | instid1(VALU_DEP_3)
	v_cmp_ne_u32_e32 vcc_lo, 0, v6
	v_cndmask_b32_e32 v5, s5, v7, vcc_lo
	s_delay_alu instid0(VALU_DEP_3)
	v_cndmask_b32_e32 v4, v2, v4, vcc_lo
	s_cbranch_execnz .LBB116_116
.LBB116_115:                            ;   in Loop: Header=BB116_21 Depth=1
	v_cvt_f32_u32_e32 v2, s29
	s_sub_i32 s4, 0, s29
	s_delay_alu instid0(VALU_DEP_1) | instskip(SKIP_2) | instid1(VALU_DEP_1)
	v_rcp_iflag_f32_e32 v2, v2
	s_waitcnt_depctr 0xfff
	v_mul_f32_e32 v2, 0x4f7ffffe, v2
	v_cvt_u32_f32_e32 v2, v2
	s_delay_alu instid0(VALU_DEP_1) | instskip(NEXT) | instid1(VALU_DEP_1)
	v_mul_lo_u32 v4, s4, v2
	v_mul_hi_u32 v4, v2, v4
	s_delay_alu instid0(VALU_DEP_1) | instskip(NEXT) | instid1(VALU_DEP_1)
	v_add_nc_u32_e32 v2, v2, v4
	v_mul_hi_u32 v2, s75, v2
	s_delay_alu instid0(VALU_DEP_1) | instskip(NEXT) | instid1(VALU_DEP_1)
	v_mul_lo_u32 v2, v2, s29
	v_sub_nc_u32_e32 v2, s75, v2
	s_delay_alu instid0(VALU_DEP_1) | instskip(SKIP_1) | instid1(VALU_DEP_2)
	v_subrev_nc_u32_e32 v4, s29, v2
	v_cmp_le_u32_e32 vcc_lo, s29, v2
	v_cndmask_b32_e32 v2, v2, v4, vcc_lo
	s_delay_alu instid0(VALU_DEP_1) | instskip(SKIP_1) | instid1(VALU_DEP_2)
	v_subrev_nc_u32_e32 v4, s29, v2
	v_cmp_le_u32_e32 vcc_lo, s29, v2
	v_cndmask_b32_e32 v20, v2, v4, vcc_lo
	s_delay_alu instid0(VALU_DEP_1)
	v_dual_mov_b32 v4, v20 :: v_dual_mov_b32 v5, v21
.LBB116_116:                            ;   in Loop: Header=BB116_21 Depth=1
	s_delay_alu instid0(VALU_DEP_1) | instskip(NEXT) | instid1(VALU_DEP_2)
	v_sub_co_u32 v8, vcc_lo, s75, v4
	v_sub_co_ci_u32_e32 v9, vcc_lo, s49, v5, vcc_lo
	s_mov_b32 s4, 0
	s_mov_b32 s5, exec_lo
                                        ; implicit-def: $vgpr6_vgpr7
	s_delay_alu instid0(VALU_DEP_1)
	v_cmpx_gt_u64_e64 v[8:9], v[0:1]
	s_cbranch_execz .LBB116_125
; %bb.117:                              ;   in Loop: Header=BB116_21 Depth=1
	v_dual_mov_b32 v10, v16 :: v_dual_mov_b32 v11, v17
	v_dual_mov_b32 v13, v1 :: v_dual_mov_b32 v12, v0
	s_mov_b32 s19, 0
                                        ; implicit-def: $sgpr18
	s_branch .LBB116_119
.LBB116_118:                            ;   in Loop: Header=BB116_119 Depth=2
	s_or_b32 exec_lo, exec_lo, s4
	s_waitcnt vmcnt(0) lgkmcnt(0)
	s_barrier
	buffer_gl0_inv
	ds_load_b128 v[4:7], v21 offset:3072
	v_add_co_u32 v12, s4, v12, s29
	s_delay_alu instid0(VALU_DEP_1)
	v_add_co_ci_u32_e64 v13, s4, 0, v13, s4
	s_waitcnt lgkmcnt(0)
	s_barrier
	buffer_gl0_inv
	v_cmp_ge_u64_e64 s4, v[12:13], v[8:9]
	v_cmp_neq_f64_e32 vcc_lo, 0, v[4:5]
	s_delay_alu instid0(VALU_DEP_2) | instskip(NEXT) | instid1(SALU_CYCLE_1)
	s_or_b32 s4, s4, vcc_lo
	s_and_b32 s20, exec_lo, s4
	v_add_co_u32 v10, s4, v10, s40
	s_delay_alu instid0(VALU_DEP_1) | instskip(SKIP_3) | instid1(SALU_CYCLE_1)
	v_add_co_ci_u32_e64 v11, s4, s41, v11, s4
	s_or_b32 s19, s20, s19
	s_and_not1_b32 s4, s18, exec_lo
	s_and_b32 s18, vcc_lo, exec_lo
	s_or_b32 s18, s4, s18
	s_and_not1_b32 exec_lo, exec_lo, s19
	s_cbranch_execz .LBB116_124
.LBB116_119:                            ;   Parent Loop BB116_21 Depth=1
                                        ; =>  This Inner Loop Header: Depth=2
	s_delay_alu instid0(VALU_DEP_1)
	v_cmp_gt_u64_e32 vcc_lo, s[24:25], v[12:13]
	v_mov_b32_e32 v4, 0
	v_mov_b32_e32 v5, 0
	s_and_saveexec_b32 s4, vcc_lo
	s_cbranch_execz .LBB116_121
; %bb.120:                              ;   in Loop: Header=BB116_119 Depth=2
	global_load_b64 v[4:5], v[10:11], off
.LBB116_121:                            ;   in Loop: Header=BB116_119 Depth=2
	s_or_b32 exec_lo, exec_lo, s4
	s_and_saveexec_b32 s4, vcc_lo
	s_cbranch_execz .LBB116_118
; %bb.122:                              ;   in Loop: Header=BB116_119 Depth=2
	s_waitcnt vmcnt(0)
	v_cmp_o_f64_e32 vcc_lo, v[4:5], v[4:5]
	v_ashrrev_i32_e32 v2, 31, v5
	s_delay_alu instid0(VALU_DEP_1) | instskip(SKIP_1) | instid1(VALU_DEP_2)
	v_or_b32_e32 v6, 0x80000000, v2
	v_xor_b32_e32 v2, v2, v4
	v_xor_b32_e32 v6, v6, v5
	s_delay_alu instid0(VALU_DEP_1) | instskip(NEXT) | instid1(VALU_DEP_3)
	v_cndmask_b32_e32 v6, -1, v6, vcc_lo
	v_cndmask_b32_e32 v2, -1, v2, vcc_lo
	s_delay_alu instid0(VALU_DEP_2) | instskip(NEXT) | instid1(VALU_DEP_2)
	v_and_b32_e32 v7, s59, v6
	v_and_b32_e32 v6, s58, v2
	s_delay_alu instid0(VALU_DEP_1)
	v_cmp_eq_u64_e32 vcc_lo, s[56:57], v[6:7]
	s_and_b32 exec_lo, exec_lo, vcc_lo
	s_cbranch_execz .LBB116_118
; %bb.123:                              ;   in Loop: Header=BB116_119 Depth=2
	v_mov_b32_e32 v2, v21
	ds_store_b128 v21, v[2:5] offset:3072
	s_branch .LBB116_118
.LBB116_124:                            ;   in Loop: Header=BB116_21 Depth=1
	s_or_b32 exec_lo, exec_lo, s19
	s_delay_alu instid0(SALU_CYCLE_1)
	s_and_b32 s4, s18, exec_lo
.LBB116_125:                            ;   in Loop: Header=BB116_21 Depth=1
	s_or_b32 exec_lo, exec_lo, s5
	s_mov_b32 s19, -1
	s_mov_b32 s5, 0
	s_mov_b32 s18, 0
.LBB116_126:                            ;   in Loop: Header=BB116_21 Depth=1
	s_and_not1_b32 s20, s87, exec_lo
	s_and_b32 s5, s5, exec_lo
	s_and_b32 s19, s19, exec_lo
	s_or_b32 s87, s20, s5
	s_and_not1_b32 s5, s90, exec_lo
	s_and_not1_b32 s20, s88, exec_lo
	s_and_b32 s18, s18, exec_lo
	s_or_b32 s90, s5, s19
	s_or_b32 s88, s20, s18
	s_and_saveexec_b32 s20, s4
	s_cbranch_execz .LBB116_20
; %bb.127:                              ;   in Loop: Header=BB116_21 Depth=1
	s_xor_b32 s4, s23, -1
	s_mov_b32 s48, 1
	s_and_not1_b32 vcc_lo, exec_lo, s4
	s_cbranch_vccnz .LBB116_138
; %bb.128:                              ;   in Loop: Header=BB116_21 Depth=1
	v_cmp_gt_u64_e64 s4, s[44:45], s[16:17]
	s_mov_b32 s22, -1
                                        ; implicit-def: $sgpr48
                                        ; implicit-def: $sgpr18_sgpr19
	s_delay_alu instid0(VALU_DEP_1)
	s_and_b32 vcc_lo, exec_lo, s4
                                        ; implicit-def: $sgpr4_sgpr5
	s_cbranch_vccnz .LBB116_134
; %bb.129:                              ;   in Loop: Header=BB116_21 Depth=1
	ds_load_b64 v[4:5], v21 offset:5120
	s_waitcnt lgkmcnt(0)
	v_cmp_ne_u64_e32 vcc_lo, 0, v[4:5]
	s_cbranch_vccnz .LBB116_133
; %bb.130:                              ;   in Loop: Header=BB116_21 Depth=1
	s_and_saveexec_b32 s4, s3
	s_cbranch_execz .LBB116_132
; %bb.131:                              ;   in Loop: Header=BB116_21 Depth=1
	v_dual_mov_b32 v4, s16 :: v_dual_mov_b32 v5, s17
	ds_store_b64 v21, v[4:5] offset:5128
.LBB116_132:                            ;   in Loop: Header=BB116_21 Depth=1
	s_or_b32 exec_lo, exec_lo, s4
	s_waitcnt lgkmcnt(0)
	s_barrier
	buffer_gl0_inv
.LBB116_133:                            ;   in Loop: Header=BB116_21 Depth=1
	s_and_b64 s[4:5], s[56:57], s[12:13]
	s_or_b64 s[18:19], s[58:59], s[8:9]
	s_mov_b32 s22, 0
	s_mov_b32 s48, 8
.LBB116_134:                            ;   in Loop: Header=BB116_21 Depth=1
	s_and_not1_b32 vcc_lo, exec_lo, s22
	s_cbranch_vccnz .LBB116_136
; %bb.135:                              ;   in Loop: Header=BB116_21 Depth=1
	s_sub_u32 s44, s44, s16
	s_subb_u32 s45, s45, s17
	s_mov_b32 s22, -1
	s_mov_b32 s48, 0
	s_mov_b64 s[4:5], s[56:57]
	s_mov_b64 s[18:19], s[58:59]
.LBB116_136:                            ;   in Loop: Header=BB116_21 Depth=1
	s_delay_alu instid0(SALU_CYCLE_1)
	s_mov_b64 s[58:59], s[18:19]
	s_mov_b64 s[56:57], s[4:5]
	s_and_b32 vcc_lo, exec_lo, s22
	s_mov_b32 s18, -1
	s_cbranch_vccnz .LBB116_139
.LBB116_137:                            ;   in Loop: Header=BB116_21 Depth=1
	s_mov_b32 s5, -1
                                        ; implicit-def: $sgpr19
                                        ; implicit-def: $sgpr23
                                        ; implicit-def: $sgpr22
	s_delay_alu instid0(SALU_CYCLE_1) | instskip(NEXT) | instid1(SALU_CYCLE_1)
	s_and_saveexec_b32 s4, s5
	s_xor_b32 s4, exec_lo, s4
	s_cbranch_execz .LBB116_19
	s_branch .LBB116_285
.LBB116_138:                            ;   in Loop: Header=BB116_21 Depth=1
	s_mov_b64 s[44:45], 1
	s_mov_b32 s18, -1
	s_branch .LBB116_137
.LBB116_139:                            ;   in Loop: Header=BB116_21 Depth=1
	s_cmp_eq_u64 s[14:15], 1
	s_cselect_b32 s4, -1, 0
	s_cmp_eq_u64 s[44:45], 1
	s_cselect_b32 s5, -1, 0
	s_delay_alu instid0(SALU_CYCLE_1)
	s_and_b32 s60, s4, s5
	s_mov_b32 s4, -1
	s_and_b32 vcc_lo, exec_lo, s60
	s_cbranch_vccz .LBB116_154
; %bb.140:                              ;   in Loop: Header=BB116_21 Depth=1
	ds_load_b64 v[4:5], v21 offset:5120
	s_waitcnt lgkmcnt(0)
	s_barrier
	buffer_gl0_inv
	v_readfirstlane_b32 s16, v4
	v_readfirstlane_b32 s17, v5
	s_and_saveexec_b32 s4, s0
	s_cbranch_execz .LBB116_142
; %bb.141:                              ;   in Loop: Header=BB116_21 Depth=1
	v_mov_b32_e32 v20, v21
	ds_store_b64 v35, v[20:21]
.LBB116_142:                            ;   in Loop: Header=BB116_21 Depth=1
	s_or_b32 exec_lo, exec_lo, s4
	s_lshl_b64 s[4:5], 1, s21
	s_and_b64 s[22:23], s[56:57], s[12:13]
	s_or_b64 s[58:59], s[58:59], s[8:9]
	s_or_b64 s[56:57], s[22:23], s[4:5]
	s_cmp_eq_u64 s[16:17], 0
	s_waitcnt lgkmcnt(0)
	s_barrier
	buffer_gl0_inv
	s_cbranch_scc1 .LBB116_157
; %bb.143:                              ;   in Loop: Header=BB116_21 Depth=1
	s_add_u32 s19, s73, s16
	s_addc_u32 s5, s74, s17
	s_mov_b32 s4, s43
	s_delay_alu instid0(SALU_CYCLE_1)
	s_cmp_lg_u64 s[4:5], 0
	s_cbranch_scc0 .LBB116_202
; %bb.144:                              ;   in Loop: Header=BB116_21 Depth=1
	v_cvt_f32_u32_e32 v2, s29
	s_sub_u32 s23, 0, s29
	s_subb_u32 s42, 0, 0
	s_delay_alu instid0(VALU_DEP_1) | instskip(NEXT) | instid1(VALU_DEP_1)
	v_fmac_f32_e64 v2, 0, 0x4f800000
	v_rcp_f32_e32 v2, v2
	s_waitcnt_depctr 0xfff
	v_mul_f32_e32 v2, 0x5f7ffffc, v2
	s_delay_alu instid0(VALU_DEP_1) | instskip(NEXT) | instid1(VALU_DEP_1)
	v_mul_f32_e32 v4, 0x2f800000, v2
	v_trunc_f32_e32 v4, v4
	s_delay_alu instid0(VALU_DEP_1) | instskip(SKIP_1) | instid1(VALU_DEP_2)
	v_fmac_f32_e32 v2, 0xcf800000, v4
	v_cvt_u32_f32_e32 v4, v4
	v_cvt_u32_f32_e32 v2, v2
	s_delay_alu instid0(VALU_DEP_2) | instskip(NEXT) | instid1(VALU_DEP_2)
	v_readfirstlane_b32 s4, v4
	v_readfirstlane_b32 s22, v2
	s_delay_alu instid0(VALU_DEP_2) | instskip(NEXT) | instid1(VALU_DEP_1)
	s_mul_i32 s48, s23, s4
	s_mul_hi_u32 s62, s23, s22
	s_mul_i32 s61, s42, s22
	s_add_i32 s48, s62, s48
	s_mul_i32 s63, s23, s22
	s_add_i32 s48, s48, s61
	s_mul_hi_u32 s62, s22, s63
	s_mul_hi_u32 s64, s4, s63
	s_mul_i32 s61, s4, s63
	s_mul_hi_u32 s63, s22, s48
	s_mul_i32 s22, s22, s48
	s_mul_hi_u32 s65, s4, s48
	s_add_u32 s22, s62, s22
	s_addc_u32 s62, 0, s63
	s_add_u32 s22, s22, s61
	s_mul_i32 s48, s4, s48
	s_addc_u32 s22, s62, s64
	s_addc_u32 s61, s65, 0
	s_add_u32 s22, s22, s48
	s_addc_u32 s48, 0, s61
	v_add_co_u32 v2, s22, v2, s22
	s_delay_alu instid0(VALU_DEP_1) | instskip(SKIP_1) | instid1(VALU_DEP_1)
	s_cmp_lg_u32 s22, 0
	s_addc_u32 s4, s4, s48
	v_readfirstlane_b32 s22, v2
	s_mul_i32 s48, s23, s4
	s_delay_alu instid0(VALU_DEP_1)
	s_mul_hi_u32 s61, s23, s22
	s_mul_i32 s42, s42, s22
	s_add_i32 s48, s61, s48
	s_mul_i32 s23, s23, s22
	s_add_i32 s48, s48, s42
	s_mul_hi_u32 s61, s4, s23
	s_mul_i32 s62, s4, s23
	s_mul_hi_u32 s23, s22, s23
	s_mul_hi_u32 s63, s22, s48
	s_mul_i32 s22, s22, s48
	s_mul_hi_u32 s42, s4, s48
	s_add_u32 s22, s23, s22
	s_addc_u32 s23, 0, s63
	s_add_u32 s22, s22, s62
	s_mul_i32 s48, s4, s48
	s_addc_u32 s22, s23, s61
	s_addc_u32 s23, s42, 0
	s_add_u32 s22, s22, s48
	s_addc_u32 s23, 0, s23
	v_add_co_u32 v2, s22, v2, s22
	s_delay_alu instid0(VALU_DEP_1) | instskip(SKIP_1) | instid1(VALU_DEP_1)
	s_cmp_lg_u32 s22, 0
	s_addc_u32 s4, s4, s23
	v_readfirstlane_b32 s22, v2
	s_mul_i32 s42, s19, s4
	s_mul_hi_u32 s23, s19, s4
	s_mul_hi_u32 s48, s5, s4
	s_mul_i32 s4, s5, s4
	s_mul_hi_u32 s61, s19, s22
	s_mul_hi_u32 s62, s5, s22
	s_mul_i32 s22, s5, s22
	s_add_u32 s42, s61, s42
	s_addc_u32 s23, 0, s23
	s_add_u32 s22, s42, s22
	s_addc_u32 s22, s23, s62
	s_addc_u32 s23, s48, 0
	s_add_u32 s4, s22, s4
	s_addc_u32 s22, 0, s23
	s_mul_hi_u32 s23, s29, s4
	s_mul_i32 s4, s29, s4
	s_mul_i32 s22, s29, s22
	v_sub_co_u32 v2, s4, s19, s4
	s_add_i32 s23, s23, s22
	s_cmp_lg_u32 s4, 0
	s_delay_alu instid0(VALU_DEP_1) | instskip(SKIP_2) | instid1(VALU_DEP_1)
	v_sub_co_u32 v4, s4, v2, s29
	s_subb_u32 s22, s5, s23
	s_cmp_lg_u32 s4, 0
	v_cmp_le_u32_e32 vcc_lo, s29, v4
	v_sub_co_u32 v5, s4, v4, s29
	s_subb_u32 s23, s22, 0
	s_cmp_lg_u32 s4, 0
	v_cndmask_b32_e64 v6, 0, -1, vcc_lo
	s_subb_u32 s4, s23, 0
	s_cmp_eq_u32 s23, 0
	v_mov_b32_e32 v8, s4
	s_cselect_b32 vcc_lo, -1, 0
	s_cmp_eq_u32 s22, 0
	v_cndmask_b32_e32 v6, -1, v6, vcc_lo
	v_cmp_le_u32_e32 vcc_lo, s29, v2
	s_cselect_b32 s4, -1, 0
	v_cndmask_b32_e64 v7, 0, -1, vcc_lo
	s_delay_alu instid0(VALU_DEP_3) | instskip(NEXT) | instid1(VALU_DEP_2)
	v_cmp_ne_u32_e32 vcc_lo, 0, v6
	v_cndmask_b32_e64 v6, -1, v7, s4
	v_cndmask_b32_e32 v7, s23, v8, vcc_lo
	v_cndmask_b32_e32 v4, v4, v5, vcc_lo
	s_delay_alu instid0(VALU_DEP_3) | instskip(NEXT) | instid1(VALU_DEP_3)
	v_cmp_ne_u32_e32 vcc_lo, 0, v6
	v_cndmask_b32_e32 v5, s22, v7, vcc_lo
	s_delay_alu instid0(VALU_DEP_3)
	v_cndmask_b32_e32 v4, v2, v4, vcc_lo
	s_cbranch_execnz .LBB116_146
.LBB116_145:                            ;   in Loop: Header=BB116_21 Depth=1
	v_cvt_f32_u32_e32 v2, s29
	s_sub_i32 s4, 0, s29
	s_delay_alu instid0(VALU_DEP_1) | instskip(SKIP_2) | instid1(VALU_DEP_1)
	v_rcp_iflag_f32_e32 v2, v2
	s_waitcnt_depctr 0xfff
	v_mul_f32_e32 v2, 0x4f7ffffe, v2
	v_cvt_u32_f32_e32 v2, v2
	s_delay_alu instid0(VALU_DEP_1) | instskip(NEXT) | instid1(VALU_DEP_1)
	v_mul_lo_u32 v4, s4, v2
	v_mul_hi_u32 v4, v2, v4
	s_delay_alu instid0(VALU_DEP_1) | instskip(NEXT) | instid1(VALU_DEP_1)
	v_add_nc_u32_e32 v2, v2, v4
	v_mul_hi_u32 v2, s19, v2
	s_delay_alu instid0(VALU_DEP_1) | instskip(NEXT) | instid1(VALU_DEP_1)
	v_mul_lo_u32 v2, v2, s29
	v_sub_nc_u32_e32 v2, s19, v2
	s_delay_alu instid0(VALU_DEP_1) | instskip(SKIP_1) | instid1(VALU_DEP_2)
	v_subrev_nc_u32_e32 v4, s29, v2
	v_cmp_le_u32_e32 vcc_lo, s29, v2
	v_cndmask_b32_e32 v2, v2, v4, vcc_lo
	s_delay_alu instid0(VALU_DEP_1) | instskip(SKIP_1) | instid1(VALU_DEP_2)
	v_subrev_nc_u32_e32 v4, s29, v2
	v_cmp_le_u32_e32 vcc_lo, s29, v2
	v_cndmask_b32_e32 v20, v2, v4, vcc_lo
	s_delay_alu instid0(VALU_DEP_1)
	v_dual_mov_b32 v4, v20 :: v_dual_mov_b32 v5, v21
.LBB116_146:                            ;   in Loop: Header=BB116_21 Depth=1
	s_delay_alu instid0(VALU_DEP_1) | instskip(NEXT) | instid1(VALU_DEP_2)
	v_sub_co_u32 v8, vcc_lo, s19, v4
	v_sub_co_ci_u32_e32 v9, vcc_lo, s5, v5, vcc_lo
	s_mov_b32 s4, 0
	s_mov_b32 s5, exec_lo
                                        ; implicit-def: $vgpr6_vgpr7
	s_delay_alu instid0(VALU_DEP_1)
	v_cmpx_gt_u64_e64 v[8:9], v[0:1]
	s_cbranch_execz .LBB116_159
; %bb.147:                              ;   in Loop: Header=BB116_21 Depth=1
	v_dual_mov_b32 v12, v34 :: v_dual_mov_b32 v11, v1
	v_mov_b32_e32 v10, v0
	s_mov_b32 s22, 0
                                        ; implicit-def: $sgpr19
	s_set_inst_prefetch_distance 0x1
	s_branch .LBB116_149
	.p2align	6
.LBB116_148:                            ;   in Loop: Header=BB116_149 Depth=2
	s_or_b32 exec_lo, exec_lo, s4
	s_waitcnt lgkmcnt(0)
	s_barrier
	buffer_gl0_inv
	ds_load_b128 v[4:7], v21 offset:3072
	v_add_co_u32 v10, s4, v10, s29
	s_delay_alu instid0(VALU_DEP_1) | instskip(SKIP_3) | instid1(VALU_DEP_2)
	v_add_co_ci_u32_e64 v11, s4, 0, v11, s4
	v_add_nc_u32_e32 v12, s81, v12
	s_waitcnt lgkmcnt(0)
	s_barrier
	v_cmp_ge_u64_e64 s4, v[10:11], v[8:9]
	buffer_gl0_inv
	v_cmp_neq_f64_e32 vcc_lo, 0, v[4:5]
	s_or_b32 s4, s4, vcc_lo
	s_delay_alu instid0(SALU_CYCLE_1) | instskip(NEXT) | instid1(SALU_CYCLE_1)
	s_and_b32 s4, exec_lo, s4
	s_or_b32 s22, s4, s22
	s_and_not1_b32 s4, s19, exec_lo
	s_and_b32 s19, vcc_lo, exec_lo
	s_delay_alu instid0(SALU_CYCLE_1)
	s_or_b32 s19, s4, s19
	s_and_not1_b32 exec_lo, exec_lo, s22
	s_cbranch_execz .LBB116_158
.LBB116_149:                            ;   Parent Loop BB116_21 Depth=1
                                        ; =>  This Inner Loop Header: Depth=2
	s_delay_alu instid0(VALU_DEP_1)
	v_cmp_gt_u64_e32 vcc_lo, s[16:17], v[10:11]
	v_mov_b32_e32 v4, 0
	v_mov_b32_e32 v5, 0
	s_and_saveexec_b32 s4, vcc_lo
	s_cbranch_execz .LBB116_151
; %bb.150:                              ;   in Loop: Header=BB116_149 Depth=2
	ds_load_b64 v[4:5], v12
.LBB116_151:                            ;   in Loop: Header=BB116_149 Depth=2
	s_or_b32 exec_lo, exec_lo, s4
	s_and_saveexec_b32 s4, vcc_lo
	s_cbranch_execz .LBB116_148
; %bb.152:                              ;   in Loop: Header=BB116_149 Depth=2
	s_waitcnt lgkmcnt(0)
	v_cmp_o_f64_e32 vcc_lo, v[4:5], v[4:5]
	v_ashrrev_i32_e32 v2, 31, v5
	s_delay_alu instid0(VALU_DEP_1) | instskip(SKIP_1) | instid1(VALU_DEP_2)
	v_or_b32_e32 v6, 0x80000000, v2
	v_xor_b32_e32 v2, v2, v4
	v_xor_b32_e32 v6, v6, v5
	s_delay_alu instid0(VALU_DEP_1) | instskip(NEXT) | instid1(VALU_DEP_3)
	v_cndmask_b32_e32 v6, -1, v6, vcc_lo
	v_cndmask_b32_e32 v2, -1, v2, vcc_lo
	s_delay_alu instid0(VALU_DEP_2) | instskip(NEXT) | instid1(VALU_DEP_2)
	v_and_b32_e32 v7, s59, v6
	v_and_b32_e32 v6, s58, v2
	s_delay_alu instid0(VALU_DEP_1)
	v_cmp_eq_u64_e32 vcc_lo, s[56:57], v[6:7]
	s_and_b32 exec_lo, exec_lo, vcc_lo
	s_cbranch_execz .LBB116_148
; %bb.153:                              ;   in Loop: Header=BB116_149 Depth=2
	v_mov_b32_e32 v2, v21
	ds_store_b128 v21, v[2:5] offset:3072
	s_branch .LBB116_148
.LBB116_154:                            ;   in Loop: Header=BB116_21 Depth=1
                                        ; implicit-def: $sgpr22
                                        ; implicit-def: $sgpr23
                                        ; implicit-def: $sgpr19
	s_branch .LBB116_173
.LBB116_155:                            ;   in Loop: Header=BB116_21 Depth=1
                                        ; implicit-def: $vgpr4_vgpr5
	s_branch .LBB116_100
.LBB116_156:                            ;   in Loop: Header=BB116_21 Depth=1
                                        ; implicit-def: $vgpr4_vgpr5
	s_branch .LBB116_115
.LBB116_157:                            ;   in Loop: Header=BB116_21 Depth=1
	s_mov_b32 s22, -1
	s_mov_b32 s4, 0
                                        ; implicit-def: $sgpr19
                                        ; implicit-def: $vgpr6_vgpr7
	s_mov_b32 s23, s22
	s_cbranch_execnz .LBB116_160
	s_branch .LBB116_173
.LBB116_158:                            ;   in Loop: Header=BB116_21 Depth=1
	s_set_inst_prefetch_distance 0x2
	s_or_b32 exec_lo, exec_lo, s22
	s_delay_alu instid0(SALU_CYCLE_1)
	s_and_b32 s4, s19, exec_lo
.LBB116_159:                            ;   in Loop: Header=BB116_21 Depth=1
	s_or_b32 exec_lo, exec_lo, s5
	s_mov_b32 s19, -1
	s_mov_b32 s22, 0
	s_delay_alu instid0(SALU_CYCLE_1)
	s_mov_b32 s23, s22
	s_branch .LBB116_173
.LBB116_160:                            ;   in Loop: Header=BB116_21 Depth=1
	s_mov_b32 s48, s43
	s_delay_alu instid0(SALU_CYCLE_1)
	s_cmp_lg_u64 s[48:49], 0
	s_cbranch_scc0 .LBB116_203
; %bb.161:                              ;   in Loop: Header=BB116_21 Depth=1
	v_cvt_f32_u32_e32 v2, s29
	s_sub_u32 s16, 0, s29
	s_subb_u32 s17, 0, 0
	s_delay_alu instid0(VALU_DEP_1) | instskip(NEXT) | instid1(VALU_DEP_1)
	v_fmac_f32_e64 v2, 0, 0x4f800000
	v_rcp_f32_e32 v2, v2
	s_waitcnt_depctr 0xfff
	v_mul_f32_e32 v2, 0x5f7ffffc, v2
	s_delay_alu instid0(VALU_DEP_1) | instskip(NEXT) | instid1(VALU_DEP_1)
	v_mul_f32_e32 v4, 0x2f800000, v2
	v_trunc_f32_e32 v4, v4
	s_delay_alu instid0(VALU_DEP_1) | instskip(SKIP_1) | instid1(VALU_DEP_2)
	v_fmac_f32_e32 v2, 0xcf800000, v4
	v_cvt_u32_f32_e32 v4, v4
	v_cvt_u32_f32_e32 v2, v2
	s_delay_alu instid0(VALU_DEP_2) | instskip(NEXT) | instid1(VALU_DEP_2)
	v_readfirstlane_b32 s4, v4
	v_readfirstlane_b32 s5, v2
	s_delay_alu instid0(VALU_DEP_2) | instskip(NEXT) | instid1(VALU_DEP_1)
	s_mul_i32 s19, s16, s4
	s_mul_hi_u32 s23, s16, s5
	s_mul_i32 s22, s17, s5
	s_add_i32 s19, s23, s19
	s_mul_i32 s42, s16, s5
	s_add_i32 s19, s19, s22
	s_mul_hi_u32 s23, s5, s42
	s_mul_hi_u32 s48, s4, s42
	s_mul_i32 s22, s4, s42
	s_mul_hi_u32 s42, s5, s19
	s_mul_i32 s5, s5, s19
	s_mul_hi_u32 s61, s4, s19
	s_add_u32 s5, s23, s5
	s_addc_u32 s23, 0, s42
	s_add_u32 s5, s5, s22
	s_mul_i32 s19, s4, s19
	s_addc_u32 s5, s23, s48
	s_addc_u32 s22, s61, 0
	s_add_u32 s5, s5, s19
	s_addc_u32 s19, 0, s22
	v_add_co_u32 v2, s5, v2, s5
	s_delay_alu instid0(VALU_DEP_1) | instskip(SKIP_1) | instid1(VALU_DEP_1)
	s_cmp_lg_u32 s5, 0
	s_addc_u32 s4, s4, s19
	v_readfirstlane_b32 s5, v2
	s_mul_i32 s19, s16, s4
	s_delay_alu instid0(VALU_DEP_1)
	s_mul_hi_u32 s22, s16, s5
	s_mul_i32 s17, s17, s5
	s_add_i32 s19, s22, s19
	s_mul_i32 s16, s16, s5
	s_add_i32 s19, s19, s17
	s_mul_hi_u32 s22, s4, s16
	s_mul_i32 s23, s4, s16
	s_mul_hi_u32 s16, s5, s16
	s_mul_hi_u32 s42, s5, s19
	s_mul_i32 s5, s5, s19
	s_mul_hi_u32 s17, s4, s19
	s_add_u32 s5, s16, s5
	s_addc_u32 s16, 0, s42
	s_add_u32 s5, s5, s23
	s_mul_i32 s19, s4, s19
	s_addc_u32 s5, s16, s22
	s_addc_u32 s16, s17, 0
	s_add_u32 s5, s5, s19
	s_addc_u32 s16, 0, s16
	v_add_co_u32 v2, s5, v2, s5
	s_delay_alu instid0(VALU_DEP_1) | instskip(SKIP_1) | instid1(VALU_DEP_1)
	s_cmp_lg_u32 s5, 0
	s_addc_u32 s4, s4, s16
	v_readfirstlane_b32 s5, v2
	s_mul_i32 s17, s75, s4
	s_mul_hi_u32 s16, s75, s4
	s_mul_hi_u32 s19, s49, s4
	s_mul_i32 s4, s49, s4
	s_mul_hi_u32 s22, s75, s5
	s_mul_hi_u32 s23, s49, s5
	s_mul_i32 s5, s49, s5
	s_add_u32 s17, s22, s17
	s_addc_u32 s16, 0, s16
	s_add_u32 s5, s17, s5
	s_addc_u32 s5, s16, s23
	s_addc_u32 s16, s19, 0
	s_add_u32 s4, s5, s4
	s_addc_u32 s5, 0, s16
	s_mul_hi_u32 s16, s29, s4
	s_mul_i32 s4, s29, s4
	s_mul_i32 s5, s29, s5
	v_sub_co_u32 v2, s4, s75, s4
	s_add_i32 s16, s16, s5
	s_cmp_lg_u32 s4, 0
	s_delay_alu instid0(VALU_DEP_1) | instskip(SKIP_2) | instid1(VALU_DEP_1)
	v_sub_co_u32 v4, s4, v2, s29
	s_subb_u32 s5, s49, s16
	s_cmp_lg_u32 s4, 0
	v_cmp_le_u32_e32 vcc_lo, s29, v4
	v_sub_co_u32 v5, s4, v4, s29
	s_subb_u32 s16, s5, 0
	s_cmp_lg_u32 s4, 0
	v_cndmask_b32_e64 v6, 0, -1, vcc_lo
	s_subb_u32 s4, s16, 0
	s_cmp_eq_u32 s16, 0
	v_mov_b32_e32 v8, s4
	s_cselect_b32 vcc_lo, -1, 0
	s_cmp_eq_u32 s5, 0
	v_cndmask_b32_e32 v6, -1, v6, vcc_lo
	v_cmp_le_u32_e32 vcc_lo, s29, v2
	s_cselect_b32 s4, -1, 0
	v_cndmask_b32_e64 v7, 0, -1, vcc_lo
	s_delay_alu instid0(VALU_DEP_3) | instskip(NEXT) | instid1(VALU_DEP_2)
	v_cmp_ne_u32_e32 vcc_lo, 0, v6
	v_cndmask_b32_e64 v6, -1, v7, s4
	v_cndmask_b32_e32 v7, s16, v8, vcc_lo
	v_cndmask_b32_e32 v4, v4, v5, vcc_lo
	s_delay_alu instid0(VALU_DEP_3) | instskip(NEXT) | instid1(VALU_DEP_3)
	v_cmp_ne_u32_e32 vcc_lo, 0, v6
	v_cndmask_b32_e32 v5, s5, v7, vcc_lo
	s_delay_alu instid0(VALU_DEP_3)
	v_cndmask_b32_e32 v4, v2, v4, vcc_lo
	s_cbranch_execnz .LBB116_163
.LBB116_162:                            ;   in Loop: Header=BB116_21 Depth=1
	v_cvt_f32_u32_e32 v2, s29
	s_sub_i32 s4, 0, s29
	s_delay_alu instid0(VALU_DEP_1) | instskip(SKIP_2) | instid1(VALU_DEP_1)
	v_rcp_iflag_f32_e32 v2, v2
	s_waitcnt_depctr 0xfff
	v_mul_f32_e32 v2, 0x4f7ffffe, v2
	v_cvt_u32_f32_e32 v2, v2
	s_delay_alu instid0(VALU_DEP_1) | instskip(NEXT) | instid1(VALU_DEP_1)
	v_mul_lo_u32 v4, s4, v2
	v_mul_hi_u32 v4, v2, v4
	s_delay_alu instid0(VALU_DEP_1) | instskip(NEXT) | instid1(VALU_DEP_1)
	v_add_nc_u32_e32 v2, v2, v4
	v_mul_hi_u32 v2, s75, v2
	s_delay_alu instid0(VALU_DEP_1) | instskip(NEXT) | instid1(VALU_DEP_1)
	v_mul_lo_u32 v2, v2, s29
	v_sub_nc_u32_e32 v2, s75, v2
	s_delay_alu instid0(VALU_DEP_1) | instskip(SKIP_1) | instid1(VALU_DEP_2)
	v_subrev_nc_u32_e32 v4, s29, v2
	v_cmp_le_u32_e32 vcc_lo, s29, v2
	v_cndmask_b32_e32 v2, v2, v4, vcc_lo
	s_delay_alu instid0(VALU_DEP_1) | instskip(SKIP_1) | instid1(VALU_DEP_2)
	v_subrev_nc_u32_e32 v4, s29, v2
	v_cmp_le_u32_e32 vcc_lo, s29, v2
	v_cndmask_b32_e32 v20, v2, v4, vcc_lo
	s_delay_alu instid0(VALU_DEP_1)
	v_dual_mov_b32 v4, v20 :: v_dual_mov_b32 v5, v21
.LBB116_163:                            ;   in Loop: Header=BB116_21 Depth=1
	s_delay_alu instid0(VALU_DEP_1) | instskip(NEXT) | instid1(VALU_DEP_2)
	v_sub_co_u32 v8, vcc_lo, s75, v4
	v_sub_co_ci_u32_e32 v9, vcc_lo, s49, v5, vcc_lo
	s_mov_b32 s4, 0
	s_mov_b32 s5, exec_lo
                                        ; implicit-def: $vgpr6_vgpr7
	s_delay_alu instid0(VALU_DEP_1)
	v_cmpx_gt_u64_e64 v[8:9], v[0:1]
	s_cbranch_execz .LBB116_172
; %bb.164:                              ;   in Loop: Header=BB116_21 Depth=1
	v_dual_mov_b32 v10, v16 :: v_dual_mov_b32 v11, v17
	v_dual_mov_b32 v13, v1 :: v_dual_mov_b32 v12, v0
	s_mov_b32 s17, 0
                                        ; implicit-def: $sgpr16
	s_branch .LBB116_166
.LBB116_165:                            ;   in Loop: Header=BB116_166 Depth=2
	s_or_b32 exec_lo, exec_lo, s4
	s_waitcnt vmcnt(0) lgkmcnt(0)
	s_barrier
	buffer_gl0_inv
	ds_load_b128 v[4:7], v21 offset:3072
	v_add_co_u32 v12, s4, v12, s29
	s_delay_alu instid0(VALU_DEP_1)
	v_add_co_ci_u32_e64 v13, s4, 0, v13, s4
	s_waitcnt lgkmcnt(0)
	s_barrier
	buffer_gl0_inv
	v_cmp_ge_u64_e64 s4, v[12:13], v[8:9]
	v_cmp_neq_f64_e32 vcc_lo, 0, v[4:5]
	s_delay_alu instid0(VALU_DEP_2) | instskip(NEXT) | instid1(SALU_CYCLE_1)
	s_or_b32 s4, s4, vcc_lo
	s_and_b32 s19, exec_lo, s4
	v_add_co_u32 v10, s4, v10, s40
	s_delay_alu instid0(VALU_DEP_1) | instskip(SKIP_3) | instid1(SALU_CYCLE_1)
	v_add_co_ci_u32_e64 v11, s4, s41, v11, s4
	s_or_b32 s17, s19, s17
	s_and_not1_b32 s4, s16, exec_lo
	s_and_b32 s16, vcc_lo, exec_lo
	s_or_b32 s16, s4, s16
	s_and_not1_b32 exec_lo, exec_lo, s17
	s_cbranch_execz .LBB116_171
.LBB116_166:                            ;   Parent Loop BB116_21 Depth=1
                                        ; =>  This Inner Loop Header: Depth=2
	s_delay_alu instid0(VALU_DEP_1)
	v_cmp_gt_u64_e32 vcc_lo, s[24:25], v[12:13]
	v_mov_b32_e32 v4, 0
	v_mov_b32_e32 v5, 0
	s_and_saveexec_b32 s4, vcc_lo
	s_cbranch_execz .LBB116_168
; %bb.167:                              ;   in Loop: Header=BB116_166 Depth=2
	global_load_b64 v[4:5], v[10:11], off
.LBB116_168:                            ;   in Loop: Header=BB116_166 Depth=2
	s_or_b32 exec_lo, exec_lo, s4
	s_and_saveexec_b32 s4, vcc_lo
	s_cbranch_execz .LBB116_165
; %bb.169:                              ;   in Loop: Header=BB116_166 Depth=2
	s_waitcnt vmcnt(0)
	v_cmp_o_f64_e32 vcc_lo, v[4:5], v[4:5]
	v_ashrrev_i32_e32 v2, 31, v5
	s_delay_alu instid0(VALU_DEP_1) | instskip(SKIP_1) | instid1(VALU_DEP_2)
	v_or_b32_e32 v6, 0x80000000, v2
	v_xor_b32_e32 v2, v2, v4
	v_xor_b32_e32 v6, v6, v5
	s_delay_alu instid0(VALU_DEP_1) | instskip(NEXT) | instid1(VALU_DEP_3)
	v_cndmask_b32_e32 v6, -1, v6, vcc_lo
	v_cndmask_b32_e32 v2, -1, v2, vcc_lo
	s_delay_alu instid0(VALU_DEP_2) | instskip(NEXT) | instid1(VALU_DEP_2)
	v_and_b32_e32 v7, s59, v6
	v_and_b32_e32 v6, s58, v2
	s_delay_alu instid0(VALU_DEP_1)
	v_cmp_eq_u64_e32 vcc_lo, s[56:57], v[6:7]
	s_and_b32 exec_lo, exec_lo, vcc_lo
	s_cbranch_execz .LBB116_165
; %bb.170:                              ;   in Loop: Header=BB116_166 Depth=2
	v_mov_b32_e32 v2, v21
	ds_store_b128 v21, v[2:5] offset:3072
	s_branch .LBB116_165
.LBB116_171:                            ;   in Loop: Header=BB116_21 Depth=1
	s_or_b32 exec_lo, exec_lo, s17
	s_delay_alu instid0(SALU_CYCLE_1)
	s_and_b32 s4, s16, exec_lo
.LBB116_172:                            ;   in Loop: Header=BB116_21 Depth=1
	s_or_b32 exec_lo, exec_lo, s5
	s_mov_b32 s23, -1
	s_mov_b32 s22, 0
	s_mov_b32 s19, 0
.LBB116_173:                            ;   in Loop: Header=BB116_21 Depth=1
	s_mov_b32 s5, 0
                                        ; implicit-def: $sgpr48
	s_and_saveexec_b32 s42, s4
	s_cbranch_execz .LBB116_284
; %bb.174:                              ;   in Loop: Header=BB116_21 Depth=1
	s_xor_b32 s4, s60, -1
	s_mov_b32 s48, 1
	s_and_not1_b32 vcc_lo, exec_lo, s4
	s_cbranch_vccnz .LBB116_185
; %bb.175:                              ;   in Loop: Header=BB116_21 Depth=1
	v_cmp_gt_u64_e64 s4, s[44:45], s[14:15]
	s_mov_b32 s60, -1
                                        ; implicit-def: $sgpr48
                                        ; implicit-def: $sgpr16_sgpr17
	s_delay_alu instid0(VALU_DEP_1)
	s_and_b32 vcc_lo, exec_lo, s4
                                        ; implicit-def: $sgpr4_sgpr5
	s_cbranch_vccnz .LBB116_181
; %bb.176:                              ;   in Loop: Header=BB116_21 Depth=1
	ds_load_b64 v[4:5], v21 offset:5120
	s_waitcnt lgkmcnt(0)
	v_cmp_ne_u64_e32 vcc_lo, 0, v[4:5]
	s_cbranch_vccnz .LBB116_180
; %bb.177:                              ;   in Loop: Header=BB116_21 Depth=1
	s_and_saveexec_b32 s4, s3
	s_cbranch_execz .LBB116_179
; %bb.178:                              ;   in Loop: Header=BB116_21 Depth=1
	v_dual_mov_b32 v4, s14 :: v_dual_mov_b32 v5, s15
	ds_store_b64 v21, v[4:5] offset:5128
.LBB116_179:                            ;   in Loop: Header=BB116_21 Depth=1
	s_or_b32 exec_lo, exec_lo, s4
	s_waitcnt lgkmcnt(0)
	s_barrier
	buffer_gl0_inv
.LBB116_180:                            ;   in Loop: Header=BB116_21 Depth=1
	s_lshl_b64 s[4:5], 1, s21
	s_and_b64 s[16:17], s[56:57], s[12:13]
	s_mov_b32 s60, 0
	s_or_b64 s[4:5], s[16:17], s[4:5]
	s_or_b64 s[16:17], s[58:59], s[8:9]
	s_mov_b32 s48, 8
.LBB116_181:                            ;   in Loop: Header=BB116_21 Depth=1
	s_and_not1_b32 vcc_lo, exec_lo, s60
	s_cbranch_vccnz .LBB116_183
; %bb.182:                              ;   in Loop: Header=BB116_21 Depth=1
	s_sub_u32 s44, s44, s14
	s_subb_u32 s45, s45, s15
	s_mov_b32 s60, -1
	s_mov_b32 s48, 0
	s_mov_b64 s[4:5], s[56:57]
	s_mov_b64 s[16:17], s[58:59]
.LBB116_183:                            ;   in Loop: Header=BB116_21 Depth=1
	s_delay_alu instid0(SALU_CYCLE_1)
	s_mov_b64 s[58:59], s[16:17]
	s_mov_b64 s[56:57], s[4:5]
	s_and_not1_b32 vcc_lo, exec_lo, s60
	s_mov_b32 s5, -1
	s_cbranch_vccz .LBB116_186
.LBB116_184:                            ;   in Loop: Header=BB116_21 Depth=1
                                        ; implicit-def: $sgpr17
                                        ; implicit-def: $sgpr60
                                        ; implicit-def: $sgpr16
	s_branch .LBB116_283
.LBB116_185:                            ;   in Loop: Header=BB116_21 Depth=1
	s_mov_b64 s[44:45], 1
	s_mov_b32 s5, -1
	s_cbranch_execnz .LBB116_184
.LBB116_186:                            ;   in Loop: Header=BB116_21 Depth=1
	s_cmp_eq_u64 s[10:11], 1
	s_cselect_b32 s4, -1, 0
	s_cmp_eq_u64 s[44:45], 1
	s_cselect_b32 s5, -1, 0
	s_delay_alu instid0(SALU_CYCLE_1)
	s_and_b32 s62, s4, s5
	s_mov_b32 s4, -1
	s_and_b32 vcc_lo, exec_lo, s62
	s_cbranch_vccz .LBB116_201
; %bb.187:                              ;   in Loop: Header=BB116_21 Depth=1
	ds_load_b64 v[4:5], v21 offset:5120
	s_waitcnt lgkmcnt(0)
	s_barrier
	buffer_gl0_inv
	v_readfirstlane_b32 s14, v4
	v_readfirstlane_b32 s15, v5
	s_and_saveexec_b32 s4, s0
	s_cbranch_execz .LBB116_189
; %bb.188:                              ;   in Loop: Header=BB116_21 Depth=1
	v_mov_b32_e32 v20, v21
	ds_store_b64 v35, v[20:21]
.LBB116_189:                            ;   in Loop: Header=BB116_21 Depth=1
	s_or_b32 exec_lo, exec_lo, s4
	s_lshl_b64 s[4:5], 2, s21
	s_and_b64 s[16:17], s[56:57], s[12:13]
	s_or_b64 s[58:59], s[58:59], s[8:9]
	s_or_b64 s[56:57], s[16:17], s[4:5]
	s_cmp_eq_u64 s[14:15], 0
	s_waitcnt lgkmcnt(0)
	s_barrier
	buffer_gl0_inv
	s_cbranch_scc1 .LBB116_204
; %bb.190:                              ;   in Loop: Header=BB116_21 Depth=1
	s_add_u32 s16, s73, s14
	s_addc_u32 s5, s74, s15
	s_mov_b32 s4, s43
	s_delay_alu instid0(SALU_CYCLE_1)
	s_cmp_lg_u64 s[4:5], 0
	s_cbranch_scc0 .LBB116_249
; %bb.191:                              ;   in Loop: Header=BB116_21 Depth=1
	v_cvt_f32_u32_e32 v2, s29
	s_sub_u32 s48, 0, s29
	s_subb_u32 s60, 0, 0
	s_delay_alu instid0(VALU_DEP_1) | instskip(NEXT) | instid1(VALU_DEP_1)
	v_fmac_f32_e64 v2, 0, 0x4f800000
	v_rcp_f32_e32 v2, v2
	s_waitcnt_depctr 0xfff
	v_mul_f32_e32 v2, 0x5f7ffffc, v2
	s_delay_alu instid0(VALU_DEP_1) | instskip(NEXT) | instid1(VALU_DEP_1)
	v_mul_f32_e32 v4, 0x2f800000, v2
	v_trunc_f32_e32 v4, v4
	s_delay_alu instid0(VALU_DEP_1) | instskip(SKIP_1) | instid1(VALU_DEP_2)
	v_fmac_f32_e32 v2, 0xcf800000, v4
	v_cvt_u32_f32_e32 v4, v4
	v_cvt_u32_f32_e32 v2, v2
	s_delay_alu instid0(VALU_DEP_2) | instskip(NEXT) | instid1(VALU_DEP_2)
	v_readfirstlane_b32 s4, v4
	v_readfirstlane_b32 s17, v2
	s_delay_alu instid0(VALU_DEP_2) | instskip(NEXT) | instid1(VALU_DEP_1)
	s_mul_i32 s61, s48, s4
	s_mul_hi_u32 s64, s48, s17
	s_mul_i32 s63, s60, s17
	s_add_i32 s61, s64, s61
	s_mul_i32 s65, s48, s17
	s_add_i32 s61, s61, s63
	s_mul_hi_u32 s64, s17, s65
	s_mul_hi_u32 s66, s4, s65
	s_mul_i32 s63, s4, s65
	s_mul_hi_u32 s65, s17, s61
	s_mul_i32 s17, s17, s61
	s_mul_hi_u32 s67, s4, s61
	s_add_u32 s17, s64, s17
	s_addc_u32 s64, 0, s65
	s_add_u32 s17, s17, s63
	s_mul_i32 s61, s4, s61
	s_addc_u32 s17, s64, s66
	s_addc_u32 s63, s67, 0
	s_add_u32 s17, s17, s61
	s_addc_u32 s61, 0, s63
	v_add_co_u32 v2, s17, v2, s17
	s_delay_alu instid0(VALU_DEP_1) | instskip(SKIP_1) | instid1(VALU_DEP_1)
	s_cmp_lg_u32 s17, 0
	s_addc_u32 s4, s4, s61
	v_readfirstlane_b32 s17, v2
	s_mul_i32 s61, s48, s4
	s_delay_alu instid0(VALU_DEP_1)
	s_mul_hi_u32 s63, s48, s17
	s_mul_i32 s60, s60, s17
	s_add_i32 s61, s63, s61
	s_mul_i32 s48, s48, s17
	s_add_i32 s61, s61, s60
	s_mul_hi_u32 s63, s4, s48
	s_mul_i32 s64, s4, s48
	s_mul_hi_u32 s48, s17, s48
	s_mul_hi_u32 s65, s17, s61
	s_mul_i32 s17, s17, s61
	s_mul_hi_u32 s60, s4, s61
	s_add_u32 s17, s48, s17
	s_addc_u32 s48, 0, s65
	s_add_u32 s17, s17, s64
	s_mul_i32 s61, s4, s61
	s_addc_u32 s17, s48, s63
	s_addc_u32 s48, s60, 0
	s_add_u32 s17, s17, s61
	s_addc_u32 s48, 0, s48
	v_add_co_u32 v2, s17, v2, s17
	s_delay_alu instid0(VALU_DEP_1) | instskip(SKIP_1) | instid1(VALU_DEP_1)
	s_cmp_lg_u32 s17, 0
	s_addc_u32 s4, s4, s48
	v_readfirstlane_b32 s17, v2
	s_mul_i32 s60, s16, s4
	s_mul_hi_u32 s48, s16, s4
	s_mul_hi_u32 s61, s5, s4
	s_mul_i32 s4, s5, s4
	s_mul_hi_u32 s63, s16, s17
	s_mul_hi_u32 s64, s5, s17
	s_mul_i32 s17, s5, s17
	s_add_u32 s60, s63, s60
	s_addc_u32 s48, 0, s48
	s_add_u32 s17, s60, s17
	s_addc_u32 s17, s48, s64
	s_addc_u32 s48, s61, 0
	s_add_u32 s4, s17, s4
	s_addc_u32 s17, 0, s48
	s_mul_hi_u32 s48, s29, s4
	s_mul_i32 s4, s29, s4
	s_mul_i32 s17, s29, s17
	v_sub_co_u32 v2, s4, s16, s4
	s_add_i32 s48, s48, s17
	s_cmp_lg_u32 s4, 0
	s_delay_alu instid0(VALU_DEP_1) | instskip(SKIP_2) | instid1(VALU_DEP_1)
	v_sub_co_u32 v4, s4, v2, s29
	s_subb_u32 s17, s5, s48
	s_cmp_lg_u32 s4, 0
	v_cmp_le_u32_e32 vcc_lo, s29, v4
	v_sub_co_u32 v5, s4, v4, s29
	s_subb_u32 s48, s17, 0
	s_cmp_lg_u32 s4, 0
	v_cndmask_b32_e64 v6, 0, -1, vcc_lo
	s_subb_u32 s4, s48, 0
	s_cmp_eq_u32 s48, 0
	v_mov_b32_e32 v8, s4
	s_cselect_b32 vcc_lo, -1, 0
	s_cmp_eq_u32 s17, 0
	v_cndmask_b32_e32 v6, -1, v6, vcc_lo
	v_cmp_le_u32_e32 vcc_lo, s29, v2
	s_cselect_b32 s4, -1, 0
	v_cndmask_b32_e64 v7, 0, -1, vcc_lo
	s_delay_alu instid0(VALU_DEP_3) | instskip(NEXT) | instid1(VALU_DEP_2)
	v_cmp_ne_u32_e32 vcc_lo, 0, v6
	v_cndmask_b32_e64 v6, -1, v7, s4
	v_cndmask_b32_e32 v7, s48, v8, vcc_lo
	v_cndmask_b32_e32 v4, v4, v5, vcc_lo
	s_delay_alu instid0(VALU_DEP_3) | instskip(NEXT) | instid1(VALU_DEP_3)
	v_cmp_ne_u32_e32 vcc_lo, 0, v6
	v_cndmask_b32_e32 v5, s17, v7, vcc_lo
	s_delay_alu instid0(VALU_DEP_3)
	v_cndmask_b32_e32 v4, v2, v4, vcc_lo
	s_cbranch_execnz .LBB116_193
.LBB116_192:                            ;   in Loop: Header=BB116_21 Depth=1
	v_cvt_f32_u32_e32 v2, s29
	s_sub_i32 s4, 0, s29
	s_delay_alu instid0(VALU_DEP_1) | instskip(SKIP_2) | instid1(VALU_DEP_1)
	v_rcp_iflag_f32_e32 v2, v2
	s_waitcnt_depctr 0xfff
	v_mul_f32_e32 v2, 0x4f7ffffe, v2
	v_cvt_u32_f32_e32 v2, v2
	s_delay_alu instid0(VALU_DEP_1) | instskip(NEXT) | instid1(VALU_DEP_1)
	v_mul_lo_u32 v4, s4, v2
	v_mul_hi_u32 v4, v2, v4
	s_delay_alu instid0(VALU_DEP_1) | instskip(NEXT) | instid1(VALU_DEP_1)
	v_add_nc_u32_e32 v2, v2, v4
	v_mul_hi_u32 v2, s16, v2
	s_delay_alu instid0(VALU_DEP_1) | instskip(NEXT) | instid1(VALU_DEP_1)
	v_mul_lo_u32 v2, v2, s29
	v_sub_nc_u32_e32 v2, s16, v2
	s_delay_alu instid0(VALU_DEP_1) | instskip(SKIP_1) | instid1(VALU_DEP_2)
	v_subrev_nc_u32_e32 v4, s29, v2
	v_cmp_le_u32_e32 vcc_lo, s29, v2
	v_cndmask_b32_e32 v2, v2, v4, vcc_lo
	s_delay_alu instid0(VALU_DEP_1) | instskip(SKIP_1) | instid1(VALU_DEP_2)
	v_subrev_nc_u32_e32 v4, s29, v2
	v_cmp_le_u32_e32 vcc_lo, s29, v2
	v_cndmask_b32_e32 v20, v2, v4, vcc_lo
	s_delay_alu instid0(VALU_DEP_1)
	v_dual_mov_b32 v4, v20 :: v_dual_mov_b32 v5, v21
.LBB116_193:                            ;   in Loop: Header=BB116_21 Depth=1
	s_delay_alu instid0(VALU_DEP_1) | instskip(NEXT) | instid1(VALU_DEP_2)
	v_sub_co_u32 v8, vcc_lo, s16, v4
	v_sub_co_ci_u32_e32 v9, vcc_lo, s5, v5, vcc_lo
	s_mov_b32 s4, 0
	s_mov_b32 s5, exec_lo
                                        ; implicit-def: $vgpr6_vgpr7
	s_delay_alu instid0(VALU_DEP_1)
	v_cmpx_gt_u64_e64 v[8:9], v[0:1]
	s_cbranch_execz .LBB116_206
; %bb.194:                              ;   in Loop: Header=BB116_21 Depth=1
	v_dual_mov_b32 v12, v34 :: v_dual_mov_b32 v11, v1
	v_mov_b32_e32 v10, v0
	s_mov_b32 s17, 0
                                        ; implicit-def: $sgpr16
	s_set_inst_prefetch_distance 0x1
	s_branch .LBB116_196
	.p2align	6
.LBB116_195:                            ;   in Loop: Header=BB116_196 Depth=2
	s_or_b32 exec_lo, exec_lo, s4
	s_waitcnt lgkmcnt(0)
	s_barrier
	buffer_gl0_inv
	ds_load_b128 v[4:7], v21 offset:3072
	v_add_co_u32 v10, s4, v10, s29
	s_delay_alu instid0(VALU_DEP_1) | instskip(SKIP_3) | instid1(VALU_DEP_2)
	v_add_co_ci_u32_e64 v11, s4, 0, v11, s4
	v_add_nc_u32_e32 v12, s81, v12
	s_waitcnt lgkmcnt(0)
	s_barrier
	v_cmp_ge_u64_e64 s4, v[10:11], v[8:9]
	buffer_gl0_inv
	v_cmp_neq_f64_e32 vcc_lo, 0, v[4:5]
	s_or_b32 s4, s4, vcc_lo
	s_delay_alu instid0(SALU_CYCLE_1) | instskip(NEXT) | instid1(SALU_CYCLE_1)
	s_and_b32 s4, exec_lo, s4
	s_or_b32 s17, s4, s17
	s_and_not1_b32 s4, s16, exec_lo
	s_and_b32 s16, vcc_lo, exec_lo
	s_delay_alu instid0(SALU_CYCLE_1)
	s_or_b32 s16, s4, s16
	s_and_not1_b32 exec_lo, exec_lo, s17
	s_cbranch_execz .LBB116_205
.LBB116_196:                            ;   Parent Loop BB116_21 Depth=1
                                        ; =>  This Inner Loop Header: Depth=2
	s_delay_alu instid0(VALU_DEP_1)
	v_cmp_gt_u64_e32 vcc_lo, s[14:15], v[10:11]
	v_mov_b32_e32 v4, 0
	v_mov_b32_e32 v5, 0
	s_and_saveexec_b32 s4, vcc_lo
	s_cbranch_execz .LBB116_198
; %bb.197:                              ;   in Loop: Header=BB116_196 Depth=2
	ds_load_b64 v[4:5], v12
.LBB116_198:                            ;   in Loop: Header=BB116_196 Depth=2
	s_or_b32 exec_lo, exec_lo, s4
	s_and_saveexec_b32 s4, vcc_lo
	s_cbranch_execz .LBB116_195
; %bb.199:                              ;   in Loop: Header=BB116_196 Depth=2
	s_waitcnt lgkmcnt(0)
	v_cmp_o_f64_e32 vcc_lo, v[4:5], v[4:5]
	v_ashrrev_i32_e32 v2, 31, v5
	s_delay_alu instid0(VALU_DEP_1) | instskip(SKIP_1) | instid1(VALU_DEP_2)
	v_or_b32_e32 v6, 0x80000000, v2
	v_xor_b32_e32 v2, v2, v4
	v_xor_b32_e32 v6, v6, v5
	s_delay_alu instid0(VALU_DEP_1) | instskip(NEXT) | instid1(VALU_DEP_3)
	v_cndmask_b32_e32 v6, -1, v6, vcc_lo
	v_cndmask_b32_e32 v2, -1, v2, vcc_lo
	s_delay_alu instid0(VALU_DEP_2) | instskip(NEXT) | instid1(VALU_DEP_2)
	v_and_b32_e32 v7, s59, v6
	v_and_b32_e32 v6, s58, v2
	s_delay_alu instid0(VALU_DEP_1)
	v_cmp_eq_u64_e32 vcc_lo, s[56:57], v[6:7]
	s_and_b32 exec_lo, exec_lo, vcc_lo
	s_cbranch_execz .LBB116_195
; %bb.200:                              ;   in Loop: Header=BB116_196 Depth=2
	v_mov_b32_e32 v2, v21
	ds_store_b128 v21, v[2:5] offset:3072
	s_branch .LBB116_195
.LBB116_201:                            ;   in Loop: Header=BB116_21 Depth=1
                                        ; implicit-def: $sgpr16
                                        ; implicit-def: $sgpr60
                                        ; implicit-def: $sgpr17
	s_branch .LBB116_220
.LBB116_202:                            ;   in Loop: Header=BB116_21 Depth=1
                                        ; implicit-def: $vgpr4_vgpr5
	s_branch .LBB116_145
.LBB116_203:                            ;   in Loop: Header=BB116_21 Depth=1
                                        ; implicit-def: $vgpr4_vgpr5
	s_branch .LBB116_162
.LBB116_204:                            ;   in Loop: Header=BB116_21 Depth=1
	s_mov_b32 s16, -1
	s_mov_b32 s4, 0
                                        ; implicit-def: $sgpr17
                                        ; implicit-def: $vgpr6_vgpr7
	s_mov_b32 s60, s16
	s_cbranch_execnz .LBB116_207
	s_branch .LBB116_220
.LBB116_205:                            ;   in Loop: Header=BB116_21 Depth=1
	s_set_inst_prefetch_distance 0x2
	s_or_b32 exec_lo, exec_lo, s17
	s_delay_alu instid0(SALU_CYCLE_1)
	s_and_b32 s4, s16, exec_lo
.LBB116_206:                            ;   in Loop: Header=BB116_21 Depth=1
	s_or_b32 exec_lo, exec_lo, s5
	s_mov_b32 s17, -1
	s_mov_b32 s16, 0
	s_delay_alu instid0(SALU_CYCLE_1)
	s_mov_b32 s60, s16
	s_branch .LBB116_220
.LBB116_207:                            ;   in Loop: Header=BB116_21 Depth=1
	s_mov_b32 s48, s43
	s_delay_alu instid0(SALU_CYCLE_1)
	s_cmp_lg_u64 s[48:49], 0
	s_cbranch_scc0 .LBB116_250
; %bb.208:                              ;   in Loop: Header=BB116_21 Depth=1
	v_cvt_f32_u32_e32 v2, s29
	s_sub_u32 s14, 0, s29
	s_subb_u32 s15, 0, 0
	s_delay_alu instid0(VALU_DEP_1) | instskip(NEXT) | instid1(VALU_DEP_1)
	v_fmac_f32_e64 v2, 0, 0x4f800000
	v_rcp_f32_e32 v2, v2
	s_waitcnt_depctr 0xfff
	v_mul_f32_e32 v2, 0x5f7ffffc, v2
	s_delay_alu instid0(VALU_DEP_1) | instskip(NEXT) | instid1(VALU_DEP_1)
	v_mul_f32_e32 v4, 0x2f800000, v2
	v_trunc_f32_e32 v4, v4
	s_delay_alu instid0(VALU_DEP_1) | instskip(SKIP_1) | instid1(VALU_DEP_2)
	v_fmac_f32_e32 v2, 0xcf800000, v4
	v_cvt_u32_f32_e32 v4, v4
	v_cvt_u32_f32_e32 v2, v2
	s_delay_alu instid0(VALU_DEP_2) | instskip(NEXT) | instid1(VALU_DEP_2)
	v_readfirstlane_b32 s4, v4
	v_readfirstlane_b32 s5, v2
	s_delay_alu instid0(VALU_DEP_2) | instskip(NEXT) | instid1(VALU_DEP_1)
	s_mul_i32 s16, s14, s4
	s_mul_hi_u32 s48, s14, s5
	s_mul_i32 s17, s15, s5
	s_add_i32 s16, s48, s16
	s_mul_i32 s60, s14, s5
	s_add_i32 s16, s16, s17
	s_mul_hi_u32 s48, s5, s60
	s_mul_hi_u32 s61, s4, s60
	s_mul_i32 s17, s4, s60
	s_mul_hi_u32 s60, s5, s16
	s_mul_i32 s5, s5, s16
	s_mul_hi_u32 s63, s4, s16
	s_add_u32 s5, s48, s5
	s_addc_u32 s48, 0, s60
	s_add_u32 s5, s5, s17
	s_mul_i32 s16, s4, s16
	s_addc_u32 s5, s48, s61
	s_addc_u32 s17, s63, 0
	s_add_u32 s5, s5, s16
	s_addc_u32 s16, 0, s17
	v_add_co_u32 v2, s5, v2, s5
	s_delay_alu instid0(VALU_DEP_1) | instskip(SKIP_1) | instid1(VALU_DEP_1)
	s_cmp_lg_u32 s5, 0
	s_addc_u32 s4, s4, s16
	v_readfirstlane_b32 s5, v2
	s_mul_i32 s16, s14, s4
	s_delay_alu instid0(VALU_DEP_1)
	s_mul_hi_u32 s17, s14, s5
	s_mul_i32 s15, s15, s5
	s_add_i32 s16, s17, s16
	s_mul_i32 s14, s14, s5
	s_add_i32 s16, s16, s15
	s_mul_hi_u32 s17, s4, s14
	s_mul_i32 s48, s4, s14
	s_mul_hi_u32 s14, s5, s14
	s_mul_hi_u32 s60, s5, s16
	s_mul_i32 s5, s5, s16
	s_mul_hi_u32 s15, s4, s16
	s_add_u32 s5, s14, s5
	s_addc_u32 s14, 0, s60
	s_add_u32 s5, s5, s48
	s_mul_i32 s16, s4, s16
	s_addc_u32 s5, s14, s17
	s_addc_u32 s14, s15, 0
	s_add_u32 s5, s5, s16
	s_addc_u32 s14, 0, s14
	v_add_co_u32 v2, s5, v2, s5
	s_delay_alu instid0(VALU_DEP_1) | instskip(SKIP_1) | instid1(VALU_DEP_1)
	s_cmp_lg_u32 s5, 0
	s_addc_u32 s4, s4, s14
	v_readfirstlane_b32 s5, v2
	s_mul_i32 s15, s75, s4
	s_mul_hi_u32 s14, s75, s4
	s_mul_hi_u32 s16, s49, s4
	s_mul_i32 s4, s49, s4
	s_mul_hi_u32 s17, s75, s5
	s_mul_hi_u32 s48, s49, s5
	s_mul_i32 s5, s49, s5
	s_add_u32 s15, s17, s15
	s_addc_u32 s14, 0, s14
	s_add_u32 s5, s15, s5
	s_addc_u32 s5, s14, s48
	s_addc_u32 s14, s16, 0
	s_add_u32 s4, s5, s4
	s_addc_u32 s5, 0, s14
	s_mul_hi_u32 s14, s29, s4
	s_mul_i32 s4, s29, s4
	s_mul_i32 s5, s29, s5
	v_sub_co_u32 v2, s4, s75, s4
	s_add_i32 s14, s14, s5
	s_cmp_lg_u32 s4, 0
	s_delay_alu instid0(VALU_DEP_1) | instskip(SKIP_2) | instid1(VALU_DEP_1)
	v_sub_co_u32 v4, s4, v2, s29
	s_subb_u32 s5, s49, s14
	s_cmp_lg_u32 s4, 0
	v_cmp_le_u32_e32 vcc_lo, s29, v4
	v_sub_co_u32 v5, s4, v4, s29
	s_subb_u32 s14, s5, 0
	s_cmp_lg_u32 s4, 0
	v_cndmask_b32_e64 v6, 0, -1, vcc_lo
	s_subb_u32 s4, s14, 0
	s_cmp_eq_u32 s14, 0
	v_mov_b32_e32 v8, s4
	s_cselect_b32 vcc_lo, -1, 0
	s_cmp_eq_u32 s5, 0
	v_cndmask_b32_e32 v6, -1, v6, vcc_lo
	v_cmp_le_u32_e32 vcc_lo, s29, v2
	s_cselect_b32 s4, -1, 0
	v_cndmask_b32_e64 v7, 0, -1, vcc_lo
	s_delay_alu instid0(VALU_DEP_3) | instskip(NEXT) | instid1(VALU_DEP_2)
	v_cmp_ne_u32_e32 vcc_lo, 0, v6
	v_cndmask_b32_e64 v6, -1, v7, s4
	v_cndmask_b32_e32 v7, s14, v8, vcc_lo
	v_cndmask_b32_e32 v4, v4, v5, vcc_lo
	s_delay_alu instid0(VALU_DEP_3) | instskip(NEXT) | instid1(VALU_DEP_3)
	v_cmp_ne_u32_e32 vcc_lo, 0, v6
	v_cndmask_b32_e32 v5, s5, v7, vcc_lo
	s_delay_alu instid0(VALU_DEP_3)
	v_cndmask_b32_e32 v4, v2, v4, vcc_lo
	s_cbranch_execnz .LBB116_210
.LBB116_209:                            ;   in Loop: Header=BB116_21 Depth=1
	v_cvt_f32_u32_e32 v2, s29
	s_sub_i32 s4, 0, s29
	s_delay_alu instid0(VALU_DEP_1) | instskip(SKIP_2) | instid1(VALU_DEP_1)
	v_rcp_iflag_f32_e32 v2, v2
	s_waitcnt_depctr 0xfff
	v_mul_f32_e32 v2, 0x4f7ffffe, v2
	v_cvt_u32_f32_e32 v2, v2
	s_delay_alu instid0(VALU_DEP_1) | instskip(NEXT) | instid1(VALU_DEP_1)
	v_mul_lo_u32 v4, s4, v2
	v_mul_hi_u32 v4, v2, v4
	s_delay_alu instid0(VALU_DEP_1) | instskip(NEXT) | instid1(VALU_DEP_1)
	v_add_nc_u32_e32 v2, v2, v4
	v_mul_hi_u32 v2, s75, v2
	s_delay_alu instid0(VALU_DEP_1) | instskip(NEXT) | instid1(VALU_DEP_1)
	v_mul_lo_u32 v2, v2, s29
	v_sub_nc_u32_e32 v2, s75, v2
	s_delay_alu instid0(VALU_DEP_1) | instskip(SKIP_1) | instid1(VALU_DEP_2)
	v_subrev_nc_u32_e32 v4, s29, v2
	v_cmp_le_u32_e32 vcc_lo, s29, v2
	v_cndmask_b32_e32 v2, v2, v4, vcc_lo
	s_delay_alu instid0(VALU_DEP_1) | instskip(SKIP_1) | instid1(VALU_DEP_2)
	v_subrev_nc_u32_e32 v4, s29, v2
	v_cmp_le_u32_e32 vcc_lo, s29, v2
	v_cndmask_b32_e32 v20, v2, v4, vcc_lo
	s_delay_alu instid0(VALU_DEP_1)
	v_dual_mov_b32 v4, v20 :: v_dual_mov_b32 v5, v21
.LBB116_210:                            ;   in Loop: Header=BB116_21 Depth=1
	s_delay_alu instid0(VALU_DEP_1) | instskip(NEXT) | instid1(VALU_DEP_2)
	v_sub_co_u32 v8, vcc_lo, s75, v4
	v_sub_co_ci_u32_e32 v9, vcc_lo, s49, v5, vcc_lo
	s_mov_b32 s4, 0
	s_mov_b32 s5, exec_lo
                                        ; implicit-def: $vgpr6_vgpr7
	s_delay_alu instid0(VALU_DEP_1)
	v_cmpx_gt_u64_e64 v[8:9], v[0:1]
	s_cbranch_execz .LBB116_219
; %bb.211:                              ;   in Loop: Header=BB116_21 Depth=1
	v_dual_mov_b32 v10, v16 :: v_dual_mov_b32 v11, v17
	v_dual_mov_b32 v13, v1 :: v_dual_mov_b32 v12, v0
	s_mov_b32 s15, 0
                                        ; implicit-def: $sgpr14
	s_branch .LBB116_213
.LBB116_212:                            ;   in Loop: Header=BB116_213 Depth=2
	s_or_b32 exec_lo, exec_lo, s4
	s_waitcnt vmcnt(0) lgkmcnt(0)
	s_barrier
	buffer_gl0_inv
	ds_load_b128 v[4:7], v21 offset:3072
	v_add_co_u32 v12, s4, v12, s29
	s_delay_alu instid0(VALU_DEP_1)
	v_add_co_ci_u32_e64 v13, s4, 0, v13, s4
	s_waitcnt lgkmcnt(0)
	s_barrier
	buffer_gl0_inv
	v_cmp_ge_u64_e64 s4, v[12:13], v[8:9]
	v_cmp_neq_f64_e32 vcc_lo, 0, v[4:5]
	s_delay_alu instid0(VALU_DEP_2) | instskip(NEXT) | instid1(SALU_CYCLE_1)
	s_or_b32 s4, s4, vcc_lo
	s_and_b32 s16, exec_lo, s4
	v_add_co_u32 v10, s4, v10, s40
	s_delay_alu instid0(VALU_DEP_1) | instskip(SKIP_3) | instid1(SALU_CYCLE_1)
	v_add_co_ci_u32_e64 v11, s4, s41, v11, s4
	s_or_b32 s15, s16, s15
	s_and_not1_b32 s4, s14, exec_lo
	s_and_b32 s14, vcc_lo, exec_lo
	s_or_b32 s14, s4, s14
	s_and_not1_b32 exec_lo, exec_lo, s15
	s_cbranch_execz .LBB116_218
.LBB116_213:                            ;   Parent Loop BB116_21 Depth=1
                                        ; =>  This Inner Loop Header: Depth=2
	s_delay_alu instid0(VALU_DEP_1)
	v_cmp_gt_u64_e32 vcc_lo, s[24:25], v[12:13]
	v_mov_b32_e32 v4, 0
	v_mov_b32_e32 v5, 0
	s_and_saveexec_b32 s4, vcc_lo
	s_cbranch_execz .LBB116_215
; %bb.214:                              ;   in Loop: Header=BB116_213 Depth=2
	global_load_b64 v[4:5], v[10:11], off
.LBB116_215:                            ;   in Loop: Header=BB116_213 Depth=2
	s_or_b32 exec_lo, exec_lo, s4
	s_and_saveexec_b32 s4, vcc_lo
	s_cbranch_execz .LBB116_212
; %bb.216:                              ;   in Loop: Header=BB116_213 Depth=2
	s_waitcnt vmcnt(0)
	v_cmp_o_f64_e32 vcc_lo, v[4:5], v[4:5]
	v_ashrrev_i32_e32 v2, 31, v5
	s_delay_alu instid0(VALU_DEP_1) | instskip(SKIP_1) | instid1(VALU_DEP_2)
	v_or_b32_e32 v6, 0x80000000, v2
	v_xor_b32_e32 v2, v2, v4
	v_xor_b32_e32 v6, v6, v5
	s_delay_alu instid0(VALU_DEP_1) | instskip(NEXT) | instid1(VALU_DEP_3)
	v_cndmask_b32_e32 v6, -1, v6, vcc_lo
	v_cndmask_b32_e32 v2, -1, v2, vcc_lo
	s_delay_alu instid0(VALU_DEP_2) | instskip(NEXT) | instid1(VALU_DEP_2)
	v_and_b32_e32 v7, s59, v6
	v_and_b32_e32 v6, s58, v2
	s_delay_alu instid0(VALU_DEP_1)
	v_cmp_eq_u64_e32 vcc_lo, s[56:57], v[6:7]
	s_and_b32 exec_lo, exec_lo, vcc_lo
	s_cbranch_execz .LBB116_212
; %bb.217:                              ;   in Loop: Header=BB116_213 Depth=2
	v_mov_b32_e32 v2, v21
	ds_store_b128 v21, v[2:5] offset:3072
	s_branch .LBB116_212
.LBB116_218:                            ;   in Loop: Header=BB116_21 Depth=1
	s_or_b32 exec_lo, exec_lo, s15
	s_delay_alu instid0(SALU_CYCLE_1)
	s_and_b32 s4, s14, exec_lo
.LBB116_219:                            ;   in Loop: Header=BB116_21 Depth=1
	s_or_b32 exec_lo, exec_lo, s5
	s_mov_b32 s60, -1
	s_mov_b32 s16, 0
	s_mov_b32 s17, 0
.LBB116_220:                            ;   in Loop: Header=BB116_21 Depth=1
	s_mov_b32 s5, 0
                                        ; implicit-def: $sgpr48
	s_and_saveexec_b32 s61, s4
	s_cbranch_execz .LBB116_282
; %bb.221:                              ;   in Loop: Header=BB116_21 Depth=1
	s_xor_b32 s4, s62, -1
	s_mov_b32 s48, 1
	s_and_not1_b32 vcc_lo, exec_lo, s4
	s_cbranch_vccnz .LBB116_232
; %bb.222:                              ;   in Loop: Header=BB116_21 Depth=1
	v_cmp_gt_u64_e64 s4, s[44:45], s[10:11]
	s_mov_b32 s62, -1
                                        ; implicit-def: $sgpr48
                                        ; implicit-def: $sgpr14_sgpr15
	s_delay_alu instid0(VALU_DEP_1)
	s_and_b32 vcc_lo, exec_lo, s4
                                        ; implicit-def: $sgpr4_sgpr5
	s_cbranch_vccnz .LBB116_228
; %bb.223:                              ;   in Loop: Header=BB116_21 Depth=1
	ds_load_b64 v[4:5], v21 offset:5120
	s_waitcnt lgkmcnt(0)
	v_cmp_ne_u64_e32 vcc_lo, 0, v[4:5]
	s_cbranch_vccnz .LBB116_227
; %bb.224:                              ;   in Loop: Header=BB116_21 Depth=1
	s_and_saveexec_b32 s4, s3
	s_cbranch_execz .LBB116_226
; %bb.225:                              ;   in Loop: Header=BB116_21 Depth=1
	v_dual_mov_b32 v4, s10 :: v_dual_mov_b32 v5, s11
	ds_store_b64 v21, v[4:5] offset:5128
.LBB116_226:                            ;   in Loop: Header=BB116_21 Depth=1
	s_or_b32 exec_lo, exec_lo, s4
	s_waitcnt lgkmcnt(0)
	s_barrier
	buffer_gl0_inv
.LBB116_227:                            ;   in Loop: Header=BB116_21 Depth=1
	s_lshl_b64 s[4:5], 2, s21
	s_and_b64 s[12:13], s[56:57], s[12:13]
	s_or_b64 s[14:15], s[58:59], s[8:9]
	s_or_b64 s[4:5], s[12:13], s[4:5]
	s_mov_b32 s62, 0
	s_mov_b32 s48, 8
.LBB116_228:                            ;   in Loop: Header=BB116_21 Depth=1
	s_and_not1_b32 vcc_lo, exec_lo, s62
	s_cbranch_vccnz .LBB116_230
; %bb.229:                              ;   in Loop: Header=BB116_21 Depth=1
	s_sub_u32 s44, s44, s10
	s_subb_u32 s45, s45, s11
	s_mov_b32 s62, -1
	s_mov_b32 s48, 0
	s_mov_b64 s[4:5], s[56:57]
	s_mov_b64 s[14:15], s[58:59]
.LBB116_230:                            ;   in Loop: Header=BB116_21 Depth=1
	s_delay_alu instid0(SALU_CYCLE_1)
	s_mov_b64 s[58:59], s[14:15]
	s_mov_b64 s[56:57], s[4:5]
	s_and_not1_b32 vcc_lo, exec_lo, s62
	s_mov_b32 s10, -1
	s_cbranch_vccz .LBB116_233
.LBB116_231:                            ;   in Loop: Header=BB116_21 Depth=1
                                        ; implicit-def: $sgpr13
                                        ; implicit-def: $sgpr15
                                        ; implicit-def: $sgpr14
	s_branch .LBB116_281
.LBB116_232:                            ;   in Loop: Header=BB116_21 Depth=1
	s_mov_b64 s[44:45], 1
	s_mov_b32 s10, -1
	s_cbranch_execnz .LBB116_231
.LBB116_233:                            ;   in Loop: Header=BB116_21 Depth=1
	s_cmp_eq_u64 s[6:7], 1
	s_mov_b32 s21, -1
	s_cselect_b32 s4, -1, 0
	s_cmp_eq_u64 s[44:45], 1
	s_cselect_b32 s5, -1, 0
	s_delay_alu instid0(SALU_CYCLE_1) | instskip(NEXT) | instid1(SALU_CYCLE_1)
	s_and_b32 s12, s4, s5
	s_and_b32 vcc_lo, exec_lo, s12
	s_cbranch_vccz .LBB116_248
; %bb.234:                              ;   in Loop: Header=BB116_21 Depth=1
	ds_load_b64 v[4:5], v21 offset:5120
	s_waitcnt lgkmcnt(0)
	s_barrier
	buffer_gl0_inv
	v_readfirstlane_b32 s10, v4
	v_readfirstlane_b32 s11, v5
	s_and_saveexec_b32 s4, s0
	s_cbranch_execz .LBB116_236
; %bb.235:                              ;   in Loop: Header=BB116_21 Depth=1
	v_mov_b32_e32 v20, v21
	ds_store_b64 v35, v[20:21]
.LBB116_236:                            ;   in Loop: Header=BB116_21 Depth=1
	s_or_b32 exec_lo, exec_lo, s4
	s_or_b64 s[56:57], s[56:57], s[8:9]
	s_or_b64 s[58:59], s[58:59], s[8:9]
	s_cmp_eq_u64 s[10:11], 0
	s_waitcnt lgkmcnt(0)
	s_barrier
	buffer_gl0_inv
	s_cbranch_scc1 .LBB116_251
; %bb.237:                              ;   in Loop: Header=BB116_21 Depth=1
	s_add_u32 s13, s73, s10
	s_addc_u32 s5, s74, s11
	s_mov_b32 s4, s43
	s_delay_alu instid0(SALU_CYCLE_1)
	s_cmp_lg_u64 s[4:5], 0
	s_cbranch_scc0 .LBB116_287
; %bb.238:                              ;   in Loop: Header=BB116_21 Depth=1
	v_cvt_f32_u32_e32 v2, s29
	s_sub_u32 s15, 0, s29
	s_subb_u32 s21, 0, 0
	s_delay_alu instid0(VALU_DEP_1) | instskip(NEXT) | instid1(VALU_DEP_1)
	v_fmac_f32_e64 v2, 0, 0x4f800000
	v_rcp_f32_e32 v2, v2
	s_waitcnt_depctr 0xfff
	v_mul_f32_e32 v2, 0x5f7ffffc, v2
	s_delay_alu instid0(VALU_DEP_1) | instskip(NEXT) | instid1(VALU_DEP_1)
	v_mul_f32_e32 v4, 0x2f800000, v2
	v_trunc_f32_e32 v4, v4
	s_delay_alu instid0(VALU_DEP_1) | instskip(SKIP_1) | instid1(VALU_DEP_2)
	v_fmac_f32_e32 v2, 0xcf800000, v4
	v_cvt_u32_f32_e32 v4, v4
	v_cvt_u32_f32_e32 v2, v2
	s_delay_alu instid0(VALU_DEP_2) | instskip(NEXT) | instid1(VALU_DEP_2)
	v_readfirstlane_b32 s4, v4
	v_readfirstlane_b32 s14, v2
	s_delay_alu instid0(VALU_DEP_2) | instskip(NEXT) | instid1(VALU_DEP_1)
	s_mul_i32 s48, s15, s4
	s_mul_hi_u32 s63, s15, s14
	s_mul_i32 s62, s21, s14
	s_add_i32 s48, s63, s48
	s_mul_i32 s64, s15, s14
	s_add_i32 s48, s48, s62
	s_mul_hi_u32 s63, s14, s64
	s_mul_hi_u32 s65, s4, s64
	s_mul_i32 s62, s4, s64
	s_mul_hi_u32 s64, s14, s48
	s_mul_i32 s14, s14, s48
	s_mul_hi_u32 s66, s4, s48
	s_add_u32 s14, s63, s14
	s_addc_u32 s63, 0, s64
	s_add_u32 s14, s14, s62
	s_mul_i32 s48, s4, s48
	s_addc_u32 s14, s63, s65
	s_addc_u32 s62, s66, 0
	s_add_u32 s14, s14, s48
	s_addc_u32 s48, 0, s62
	v_add_co_u32 v2, s14, v2, s14
	s_delay_alu instid0(VALU_DEP_1) | instskip(SKIP_1) | instid1(VALU_DEP_1)
	s_cmp_lg_u32 s14, 0
	s_addc_u32 s4, s4, s48
	v_readfirstlane_b32 s14, v2
	s_mul_i32 s48, s15, s4
	s_delay_alu instid0(VALU_DEP_1)
	s_mul_hi_u32 s62, s15, s14
	s_mul_i32 s21, s21, s14
	s_add_i32 s48, s62, s48
	s_mul_i32 s15, s15, s14
	s_add_i32 s48, s48, s21
	s_mul_hi_u32 s62, s4, s15
	s_mul_i32 s63, s4, s15
	s_mul_hi_u32 s15, s14, s15
	s_mul_hi_u32 s64, s14, s48
	s_mul_i32 s14, s14, s48
	s_mul_hi_u32 s21, s4, s48
	s_add_u32 s14, s15, s14
	s_addc_u32 s15, 0, s64
	s_add_u32 s14, s14, s63
	s_mul_i32 s48, s4, s48
	s_addc_u32 s14, s15, s62
	s_addc_u32 s15, s21, 0
	s_add_u32 s14, s14, s48
	s_addc_u32 s15, 0, s15
	v_add_co_u32 v2, s14, v2, s14
	s_delay_alu instid0(VALU_DEP_1) | instskip(SKIP_1) | instid1(VALU_DEP_1)
	s_cmp_lg_u32 s14, 0
	s_addc_u32 s4, s4, s15
	v_readfirstlane_b32 s14, v2
	s_mul_i32 s21, s13, s4
	s_mul_hi_u32 s15, s13, s4
	s_mul_hi_u32 s48, s5, s4
	s_mul_i32 s4, s5, s4
	s_mul_hi_u32 s62, s13, s14
	s_mul_hi_u32 s63, s5, s14
	s_mul_i32 s14, s5, s14
	s_add_u32 s21, s62, s21
	s_addc_u32 s15, 0, s15
	s_add_u32 s14, s21, s14
	s_addc_u32 s14, s15, s63
	s_addc_u32 s15, s48, 0
	s_add_u32 s4, s14, s4
	s_addc_u32 s14, 0, s15
	s_mul_hi_u32 s15, s29, s4
	s_mul_i32 s4, s29, s4
	s_mul_i32 s14, s29, s14
	v_sub_co_u32 v2, s4, s13, s4
	s_add_i32 s15, s15, s14
	s_cmp_lg_u32 s4, 0
	s_delay_alu instid0(VALU_DEP_1) | instskip(SKIP_2) | instid1(VALU_DEP_1)
	v_sub_co_u32 v4, s4, v2, s29
	s_subb_u32 s14, s5, s15
	s_cmp_lg_u32 s4, 0
	v_cmp_le_u32_e32 vcc_lo, s29, v4
	v_sub_co_u32 v5, s4, v4, s29
	s_subb_u32 s15, s14, 0
	s_cmp_lg_u32 s4, 0
	v_cndmask_b32_e64 v6, 0, -1, vcc_lo
	s_subb_u32 s4, s15, 0
	s_cmp_eq_u32 s15, 0
	v_mov_b32_e32 v8, s4
	s_cselect_b32 vcc_lo, -1, 0
	s_cmp_eq_u32 s14, 0
	v_cndmask_b32_e32 v6, -1, v6, vcc_lo
	v_cmp_le_u32_e32 vcc_lo, s29, v2
	s_cselect_b32 s4, -1, 0
	v_cndmask_b32_e64 v7, 0, -1, vcc_lo
	s_delay_alu instid0(VALU_DEP_3) | instskip(NEXT) | instid1(VALU_DEP_2)
	v_cmp_ne_u32_e32 vcc_lo, 0, v6
	v_cndmask_b32_e64 v6, -1, v7, s4
	v_cndmask_b32_e32 v7, s15, v8, vcc_lo
	v_cndmask_b32_e32 v4, v4, v5, vcc_lo
	s_delay_alu instid0(VALU_DEP_3) | instskip(NEXT) | instid1(VALU_DEP_3)
	v_cmp_ne_u32_e32 vcc_lo, 0, v6
	v_cndmask_b32_e32 v5, s14, v7, vcc_lo
	s_delay_alu instid0(VALU_DEP_3)
	v_cndmask_b32_e32 v4, v2, v4, vcc_lo
	s_cbranch_execnz .LBB116_240
.LBB116_239:                            ;   in Loop: Header=BB116_21 Depth=1
	v_cvt_f32_u32_e32 v2, s29
	s_sub_i32 s4, 0, s29
	s_delay_alu instid0(VALU_DEP_1) | instskip(SKIP_2) | instid1(VALU_DEP_1)
	v_rcp_iflag_f32_e32 v2, v2
	s_waitcnt_depctr 0xfff
	v_mul_f32_e32 v2, 0x4f7ffffe, v2
	v_cvt_u32_f32_e32 v2, v2
	s_delay_alu instid0(VALU_DEP_1) | instskip(NEXT) | instid1(VALU_DEP_1)
	v_mul_lo_u32 v4, s4, v2
	v_mul_hi_u32 v4, v2, v4
	s_delay_alu instid0(VALU_DEP_1) | instskip(NEXT) | instid1(VALU_DEP_1)
	v_add_nc_u32_e32 v2, v2, v4
	v_mul_hi_u32 v2, s13, v2
	s_delay_alu instid0(VALU_DEP_1) | instskip(NEXT) | instid1(VALU_DEP_1)
	v_mul_lo_u32 v2, v2, s29
	v_sub_nc_u32_e32 v2, s13, v2
	s_delay_alu instid0(VALU_DEP_1) | instskip(SKIP_1) | instid1(VALU_DEP_2)
	v_subrev_nc_u32_e32 v4, s29, v2
	v_cmp_le_u32_e32 vcc_lo, s29, v2
	v_cndmask_b32_e32 v2, v2, v4, vcc_lo
	s_delay_alu instid0(VALU_DEP_1) | instskip(SKIP_1) | instid1(VALU_DEP_2)
	v_subrev_nc_u32_e32 v4, s29, v2
	v_cmp_le_u32_e32 vcc_lo, s29, v2
	v_cndmask_b32_e32 v20, v2, v4, vcc_lo
	s_delay_alu instid0(VALU_DEP_1)
	v_dual_mov_b32 v4, v20 :: v_dual_mov_b32 v5, v21
.LBB116_240:                            ;   in Loop: Header=BB116_21 Depth=1
	s_delay_alu instid0(VALU_DEP_1) | instskip(NEXT) | instid1(VALU_DEP_2)
	v_sub_co_u32 v8, vcc_lo, s13, v4
	v_sub_co_ci_u32_e32 v9, vcc_lo, s5, v5, vcc_lo
	s_mov_b32 s21, 0
	s_mov_b32 s5, exec_lo
                                        ; implicit-def: $vgpr6_vgpr7
	s_delay_alu instid0(VALU_DEP_1)
	v_cmpx_gt_u64_e64 v[8:9], v[0:1]
	s_cbranch_execz .LBB116_253
; %bb.241:                              ;   in Loop: Header=BB116_21 Depth=1
	v_dual_mov_b32 v12, v34 :: v_dual_mov_b32 v11, v1
	v_mov_b32_e32 v10, v0
	s_mov_b32 s14, 0
                                        ; implicit-def: $sgpr13
	s_set_inst_prefetch_distance 0x1
	s_branch .LBB116_243
	.p2align	6
.LBB116_242:                            ;   in Loop: Header=BB116_243 Depth=2
	s_or_b32 exec_lo, exec_lo, s4
	s_waitcnt lgkmcnt(0)
	s_barrier
	buffer_gl0_inv
	ds_load_b128 v[4:7], v21 offset:3072
	v_add_co_u32 v10, s4, v10, s29
	s_delay_alu instid0(VALU_DEP_1) | instskip(SKIP_3) | instid1(VALU_DEP_2)
	v_add_co_ci_u32_e64 v11, s4, 0, v11, s4
	v_add_nc_u32_e32 v12, s81, v12
	s_waitcnt lgkmcnt(0)
	s_barrier
	v_cmp_ge_u64_e64 s4, v[10:11], v[8:9]
	buffer_gl0_inv
	v_cmp_neq_f64_e32 vcc_lo, 0, v[4:5]
	s_or_b32 s4, s4, vcc_lo
	s_delay_alu instid0(SALU_CYCLE_1) | instskip(NEXT) | instid1(SALU_CYCLE_1)
	s_and_b32 s4, exec_lo, s4
	s_or_b32 s14, s4, s14
	s_and_not1_b32 s4, s13, exec_lo
	s_and_b32 s13, vcc_lo, exec_lo
	s_delay_alu instid0(SALU_CYCLE_1)
	s_or_b32 s13, s4, s13
	s_and_not1_b32 exec_lo, exec_lo, s14
	s_cbranch_execz .LBB116_252
.LBB116_243:                            ;   Parent Loop BB116_21 Depth=1
                                        ; =>  This Inner Loop Header: Depth=2
	s_delay_alu instid0(VALU_DEP_1)
	v_cmp_gt_u64_e32 vcc_lo, s[10:11], v[10:11]
	v_mov_b32_e32 v4, 0
	v_mov_b32_e32 v5, 0
	s_and_saveexec_b32 s4, vcc_lo
	s_cbranch_execz .LBB116_245
; %bb.244:                              ;   in Loop: Header=BB116_243 Depth=2
	ds_load_b64 v[4:5], v12
.LBB116_245:                            ;   in Loop: Header=BB116_243 Depth=2
	s_or_b32 exec_lo, exec_lo, s4
	s_and_saveexec_b32 s4, vcc_lo
	s_cbranch_execz .LBB116_242
; %bb.246:                              ;   in Loop: Header=BB116_243 Depth=2
	s_waitcnt lgkmcnt(0)
	v_cmp_o_f64_e32 vcc_lo, v[4:5], v[4:5]
	v_ashrrev_i32_e32 v2, 31, v5
	s_delay_alu instid0(VALU_DEP_1) | instskip(SKIP_1) | instid1(VALU_DEP_2)
	v_or_b32_e32 v6, 0x80000000, v2
	v_xor_b32_e32 v2, v2, v4
	v_xor_b32_e32 v6, v6, v5
	s_delay_alu instid0(VALU_DEP_1) | instskip(NEXT) | instid1(VALU_DEP_3)
	v_cndmask_b32_e32 v6, -1, v6, vcc_lo
	v_cndmask_b32_e32 v2, -1, v2, vcc_lo
	s_delay_alu instid0(VALU_DEP_2) | instskip(NEXT) | instid1(VALU_DEP_2)
	v_and_b32_e32 v7, s59, v6
	v_and_b32_e32 v6, s58, v2
	s_delay_alu instid0(VALU_DEP_1)
	v_cmp_eq_u64_e32 vcc_lo, s[56:57], v[6:7]
	s_and_b32 exec_lo, exec_lo, vcc_lo
	s_cbranch_execz .LBB116_242
; %bb.247:                              ;   in Loop: Header=BB116_243 Depth=2
	v_mov_b32_e32 v2, v21
	ds_store_b128 v21, v[2:5] offset:3072
	s_branch .LBB116_242
.LBB116_248:                            ;   in Loop: Header=BB116_21 Depth=1
                                        ; implicit-def: $sgpr13
                                        ; implicit-def: $sgpr15
                                        ; implicit-def: $sgpr14
	s_branch .LBB116_267
.LBB116_249:                            ;   in Loop: Header=BB116_21 Depth=1
                                        ; implicit-def: $vgpr4_vgpr5
	s_branch .LBB116_192
.LBB116_250:                            ;   in Loop: Header=BB116_21 Depth=1
                                        ; implicit-def: $vgpr4_vgpr5
	s_branch .LBB116_209
.LBB116_251:                            ;   in Loop: Header=BB116_21 Depth=1
	s_mov_b32 s13, -1
	s_mov_b32 s21, 0
                                        ; implicit-def: $sgpr14
                                        ; implicit-def: $vgpr6_vgpr7
	s_mov_b32 s15, s13
	s_cbranch_execnz .LBB116_254
	s_branch .LBB116_267
.LBB116_252:                            ;   in Loop: Header=BB116_21 Depth=1
	s_set_inst_prefetch_distance 0x2
	s_or_b32 exec_lo, exec_lo, s14
	s_delay_alu instid0(SALU_CYCLE_1)
	s_and_b32 s21, s13, exec_lo
.LBB116_253:                            ;   in Loop: Header=BB116_21 Depth=1
	s_or_b32 exec_lo, exec_lo, s5
	s_mov_b32 s14, -1
	s_mov_b32 s13, 0
	s_delay_alu instid0(SALU_CYCLE_1)
	s_mov_b32 s15, s13
	s_branch .LBB116_267
.LBB116_254:                            ;   in Loop: Header=BB116_21 Depth=1
	s_mov_b32 s48, s43
	s_delay_alu instid0(SALU_CYCLE_1)
	s_cmp_lg_u64 s[48:49], 0
	s_cbranch_scc0 .LBB116_288
; %bb.255:                              ;   in Loop: Header=BB116_21 Depth=1
	v_cvt_f32_u32_e32 v2, s29
	s_sub_u32 s10, 0, s29
	s_subb_u32 s11, 0, 0
	s_delay_alu instid0(VALU_DEP_1) | instskip(NEXT) | instid1(VALU_DEP_1)
	v_fmac_f32_e64 v2, 0, 0x4f800000
	v_rcp_f32_e32 v2, v2
	s_waitcnt_depctr 0xfff
	v_mul_f32_e32 v2, 0x5f7ffffc, v2
	s_delay_alu instid0(VALU_DEP_1) | instskip(NEXT) | instid1(VALU_DEP_1)
	v_mul_f32_e32 v4, 0x2f800000, v2
	v_trunc_f32_e32 v4, v4
	s_delay_alu instid0(VALU_DEP_1) | instskip(SKIP_1) | instid1(VALU_DEP_2)
	v_fmac_f32_e32 v2, 0xcf800000, v4
	v_cvt_u32_f32_e32 v4, v4
	v_cvt_u32_f32_e32 v2, v2
	s_delay_alu instid0(VALU_DEP_2) | instskip(NEXT) | instid1(VALU_DEP_2)
	v_readfirstlane_b32 s4, v4
	v_readfirstlane_b32 s5, v2
	s_delay_alu instid0(VALU_DEP_2) | instskip(NEXT) | instid1(VALU_DEP_1)
	s_mul_i32 s13, s10, s4
	s_mul_hi_u32 s15, s10, s5
	s_mul_i32 s14, s11, s5
	s_add_i32 s13, s15, s13
	s_mul_i32 s21, s10, s5
	s_add_i32 s13, s13, s14
	s_mul_hi_u32 s15, s5, s21
	s_mul_hi_u32 s48, s4, s21
	s_mul_i32 s14, s4, s21
	s_mul_hi_u32 s21, s5, s13
	s_mul_i32 s5, s5, s13
	s_mul_hi_u32 s62, s4, s13
	s_add_u32 s5, s15, s5
	s_addc_u32 s15, 0, s21
	s_add_u32 s5, s5, s14
	s_mul_i32 s13, s4, s13
	s_addc_u32 s5, s15, s48
	s_addc_u32 s14, s62, 0
	s_add_u32 s5, s5, s13
	s_addc_u32 s13, 0, s14
	v_add_co_u32 v2, s5, v2, s5
	s_delay_alu instid0(VALU_DEP_1) | instskip(SKIP_1) | instid1(VALU_DEP_1)
	s_cmp_lg_u32 s5, 0
	s_addc_u32 s4, s4, s13
	v_readfirstlane_b32 s5, v2
	s_mul_i32 s13, s10, s4
	s_delay_alu instid0(VALU_DEP_1)
	s_mul_hi_u32 s14, s10, s5
	s_mul_i32 s11, s11, s5
	s_add_i32 s13, s14, s13
	s_mul_i32 s10, s10, s5
	s_add_i32 s13, s13, s11
	s_mul_hi_u32 s14, s4, s10
	s_mul_i32 s15, s4, s10
	s_mul_hi_u32 s10, s5, s10
	s_mul_hi_u32 s21, s5, s13
	s_mul_i32 s5, s5, s13
	s_mul_hi_u32 s11, s4, s13
	s_add_u32 s5, s10, s5
	s_addc_u32 s10, 0, s21
	s_add_u32 s5, s5, s15
	s_mul_i32 s13, s4, s13
	s_addc_u32 s5, s10, s14
	s_addc_u32 s10, s11, 0
	s_add_u32 s5, s5, s13
	s_addc_u32 s10, 0, s10
	v_add_co_u32 v2, s5, v2, s5
	s_delay_alu instid0(VALU_DEP_1) | instskip(SKIP_1) | instid1(VALU_DEP_1)
	s_cmp_lg_u32 s5, 0
	s_addc_u32 s4, s4, s10
	v_readfirstlane_b32 s5, v2
	s_mul_i32 s11, s75, s4
	s_mul_hi_u32 s10, s75, s4
	s_mul_hi_u32 s13, s49, s4
	s_mul_i32 s4, s49, s4
	s_mul_hi_u32 s14, s75, s5
	s_mul_hi_u32 s15, s49, s5
	s_mul_i32 s5, s49, s5
	s_add_u32 s11, s14, s11
	s_addc_u32 s10, 0, s10
	s_add_u32 s5, s11, s5
	s_addc_u32 s5, s10, s15
	s_addc_u32 s10, s13, 0
	s_add_u32 s4, s5, s4
	s_addc_u32 s5, 0, s10
	s_mul_hi_u32 s10, s29, s4
	s_mul_i32 s4, s29, s4
	s_mul_i32 s5, s29, s5
	v_sub_co_u32 v2, s4, s75, s4
	s_add_i32 s10, s10, s5
	s_cmp_lg_u32 s4, 0
	s_delay_alu instid0(VALU_DEP_1) | instskip(SKIP_2) | instid1(VALU_DEP_1)
	v_sub_co_u32 v4, s4, v2, s29
	s_subb_u32 s5, s49, s10
	s_cmp_lg_u32 s4, 0
	v_cmp_le_u32_e32 vcc_lo, s29, v4
	v_sub_co_u32 v5, s4, v4, s29
	s_subb_u32 s10, s5, 0
	s_cmp_lg_u32 s4, 0
	v_cndmask_b32_e64 v6, 0, -1, vcc_lo
	s_subb_u32 s4, s10, 0
	s_cmp_eq_u32 s10, 0
	v_mov_b32_e32 v8, s4
	s_cselect_b32 vcc_lo, -1, 0
	s_cmp_eq_u32 s5, 0
	v_cndmask_b32_e32 v6, -1, v6, vcc_lo
	v_cmp_le_u32_e32 vcc_lo, s29, v2
	s_cselect_b32 s4, -1, 0
	v_cndmask_b32_e64 v7, 0, -1, vcc_lo
	s_delay_alu instid0(VALU_DEP_3) | instskip(NEXT) | instid1(VALU_DEP_2)
	v_cmp_ne_u32_e32 vcc_lo, 0, v6
	v_cndmask_b32_e64 v6, -1, v7, s4
	v_cndmask_b32_e32 v7, s10, v8, vcc_lo
	v_cndmask_b32_e32 v4, v4, v5, vcc_lo
	s_delay_alu instid0(VALU_DEP_3) | instskip(NEXT) | instid1(VALU_DEP_3)
	v_cmp_ne_u32_e32 vcc_lo, 0, v6
	v_cndmask_b32_e32 v5, s5, v7, vcc_lo
	s_delay_alu instid0(VALU_DEP_3)
	v_cndmask_b32_e32 v4, v2, v4, vcc_lo
	s_cbranch_execnz .LBB116_257
.LBB116_256:                            ;   in Loop: Header=BB116_21 Depth=1
	v_cvt_f32_u32_e32 v2, s29
	s_sub_i32 s4, 0, s29
	s_delay_alu instid0(VALU_DEP_1) | instskip(SKIP_2) | instid1(VALU_DEP_1)
	v_rcp_iflag_f32_e32 v2, v2
	s_waitcnt_depctr 0xfff
	v_mul_f32_e32 v2, 0x4f7ffffe, v2
	v_cvt_u32_f32_e32 v2, v2
	s_delay_alu instid0(VALU_DEP_1) | instskip(NEXT) | instid1(VALU_DEP_1)
	v_mul_lo_u32 v4, s4, v2
	v_mul_hi_u32 v4, v2, v4
	s_delay_alu instid0(VALU_DEP_1) | instskip(NEXT) | instid1(VALU_DEP_1)
	v_add_nc_u32_e32 v2, v2, v4
	v_mul_hi_u32 v2, s75, v2
	s_delay_alu instid0(VALU_DEP_1) | instskip(NEXT) | instid1(VALU_DEP_1)
	v_mul_lo_u32 v2, v2, s29
	v_sub_nc_u32_e32 v2, s75, v2
	s_delay_alu instid0(VALU_DEP_1) | instskip(SKIP_1) | instid1(VALU_DEP_2)
	v_subrev_nc_u32_e32 v4, s29, v2
	v_cmp_le_u32_e32 vcc_lo, s29, v2
	v_cndmask_b32_e32 v2, v2, v4, vcc_lo
	s_delay_alu instid0(VALU_DEP_1) | instskip(SKIP_1) | instid1(VALU_DEP_2)
	v_subrev_nc_u32_e32 v4, s29, v2
	v_cmp_le_u32_e32 vcc_lo, s29, v2
	v_cndmask_b32_e32 v20, v2, v4, vcc_lo
	s_delay_alu instid0(VALU_DEP_1)
	v_dual_mov_b32 v4, v20 :: v_dual_mov_b32 v5, v21
.LBB116_257:                            ;   in Loop: Header=BB116_21 Depth=1
	s_delay_alu instid0(VALU_DEP_1) | instskip(NEXT) | instid1(VALU_DEP_2)
	v_sub_co_u32 v8, vcc_lo, s75, v4
	v_sub_co_ci_u32_e32 v9, vcc_lo, s49, v5, vcc_lo
	s_mov_b32 s21, 0
	s_mov_b32 s5, exec_lo
                                        ; implicit-def: $vgpr6_vgpr7
	s_delay_alu instid0(VALU_DEP_1)
	v_cmpx_gt_u64_e64 v[8:9], v[0:1]
	s_cbranch_execz .LBB116_266
; %bb.258:                              ;   in Loop: Header=BB116_21 Depth=1
	v_dual_mov_b32 v10, v16 :: v_dual_mov_b32 v11, v17
	v_dual_mov_b32 v13, v1 :: v_dual_mov_b32 v12, v0
	s_mov_b32 s11, 0
                                        ; implicit-def: $sgpr10
	s_branch .LBB116_260
.LBB116_259:                            ;   in Loop: Header=BB116_260 Depth=2
	s_or_b32 exec_lo, exec_lo, s4
	s_waitcnt vmcnt(0) lgkmcnt(0)
	s_barrier
	buffer_gl0_inv
	ds_load_b128 v[4:7], v21 offset:3072
	v_add_co_u32 v12, s4, v12, s29
	s_delay_alu instid0(VALU_DEP_1)
	v_add_co_ci_u32_e64 v13, s4, 0, v13, s4
	s_waitcnt lgkmcnt(0)
	s_barrier
	buffer_gl0_inv
	v_cmp_ge_u64_e64 s4, v[12:13], v[8:9]
	v_cmp_neq_f64_e32 vcc_lo, 0, v[4:5]
	s_delay_alu instid0(VALU_DEP_2) | instskip(NEXT) | instid1(SALU_CYCLE_1)
	s_or_b32 s4, s4, vcc_lo
	s_and_b32 s13, exec_lo, s4
	v_add_co_u32 v10, s4, v10, s40
	s_delay_alu instid0(VALU_DEP_1) | instskip(SKIP_3) | instid1(SALU_CYCLE_1)
	v_add_co_ci_u32_e64 v11, s4, s41, v11, s4
	s_or_b32 s11, s13, s11
	s_and_not1_b32 s4, s10, exec_lo
	s_and_b32 s10, vcc_lo, exec_lo
	s_or_b32 s10, s4, s10
	s_and_not1_b32 exec_lo, exec_lo, s11
	s_cbranch_execz .LBB116_265
.LBB116_260:                            ;   Parent Loop BB116_21 Depth=1
                                        ; =>  This Inner Loop Header: Depth=2
	s_delay_alu instid0(VALU_DEP_1)
	v_cmp_gt_u64_e32 vcc_lo, s[24:25], v[12:13]
	v_mov_b32_e32 v4, 0
	v_mov_b32_e32 v5, 0
	s_and_saveexec_b32 s4, vcc_lo
	s_cbranch_execz .LBB116_262
; %bb.261:                              ;   in Loop: Header=BB116_260 Depth=2
	global_load_b64 v[4:5], v[10:11], off
.LBB116_262:                            ;   in Loop: Header=BB116_260 Depth=2
	s_or_b32 exec_lo, exec_lo, s4
	s_and_saveexec_b32 s4, vcc_lo
	s_cbranch_execz .LBB116_259
; %bb.263:                              ;   in Loop: Header=BB116_260 Depth=2
	s_waitcnt vmcnt(0)
	v_cmp_o_f64_e32 vcc_lo, v[4:5], v[4:5]
	v_ashrrev_i32_e32 v2, 31, v5
	s_delay_alu instid0(VALU_DEP_1) | instskip(SKIP_1) | instid1(VALU_DEP_2)
	v_or_b32_e32 v6, 0x80000000, v2
	v_xor_b32_e32 v2, v2, v4
	v_xor_b32_e32 v6, v6, v5
	s_delay_alu instid0(VALU_DEP_1) | instskip(NEXT) | instid1(VALU_DEP_3)
	v_cndmask_b32_e32 v6, -1, v6, vcc_lo
	v_cndmask_b32_e32 v2, -1, v2, vcc_lo
	s_delay_alu instid0(VALU_DEP_2) | instskip(NEXT) | instid1(VALU_DEP_2)
	v_and_b32_e32 v7, s59, v6
	v_and_b32_e32 v6, s58, v2
	s_delay_alu instid0(VALU_DEP_1)
	v_cmp_eq_u64_e32 vcc_lo, s[56:57], v[6:7]
	s_and_b32 exec_lo, exec_lo, vcc_lo
	s_cbranch_execz .LBB116_259
; %bb.264:                              ;   in Loop: Header=BB116_260 Depth=2
	v_mov_b32_e32 v2, v21
	ds_store_b128 v21, v[2:5] offset:3072
	s_branch .LBB116_259
.LBB116_265:                            ;   in Loop: Header=BB116_21 Depth=1
	s_or_b32 exec_lo, exec_lo, s11
	s_delay_alu instid0(SALU_CYCLE_1)
	s_and_b32 s21, s10, exec_lo
.LBB116_266:                            ;   in Loop: Header=BB116_21 Depth=1
	s_or_b32 exec_lo, exec_lo, s5
	s_mov_b32 s15, -1
	s_mov_b32 s13, 0
	s_mov_b32 s14, 0
.LBB116_267:                            ;   in Loop: Header=BB116_21 Depth=1
	s_mov_b32 s10, 0
                                        ; implicit-def: $sgpr48
                                        ; implicit-def: $sgpr4_sgpr5
	s_and_saveexec_b32 s62, s21
	s_cbranch_execz .LBB116_280
; %bb.268:                              ;   in Loop: Header=BB116_21 Depth=1
	s_xor_b32 s10, s12, -1
	s_mov_b64 s[4:5], 1
	s_and_not1_b32 vcc_lo, exec_lo, s10
	s_mov_b32 s48, 1
	s_cbranch_vccnz .LBB116_279
; %bb.269:                              ;   in Loop: Header=BB116_21 Depth=1
	v_cmp_gt_u64_e64 s4, s[44:45], s[6:7]
	s_delay_alu instid0(VALU_DEP_1)
	s_and_b32 vcc_lo, exec_lo, s4
	s_cbranch_vccnz .LBB116_275
; %bb.270:                              ;   in Loop: Header=BB116_21 Depth=1
	ds_load_b64 v[4:5], v21 offset:5120
	s_waitcnt lgkmcnt(0)
	v_cmp_ne_u64_e32 vcc_lo, 0, v[4:5]
	s_cbranch_vccnz .LBB116_274
; %bb.271:                              ;   in Loop: Header=BB116_21 Depth=1
	s_and_saveexec_b32 s4, s3
	s_cbranch_execz .LBB116_273
; %bb.272:                              ;   in Loop: Header=BB116_21 Depth=1
	v_dual_mov_b32 v4, s6 :: v_dual_mov_b32 v5, s7
	ds_store_b64 v21, v[4:5] offset:5128
.LBB116_273:                            ;   in Loop: Header=BB116_21 Depth=1
	s_or_b32 exec_lo, exec_lo, s4
	s_waitcnt lgkmcnt(0)
	s_barrier
	buffer_gl0_inv
.LBB116_274:                            ;   in Loop: Header=BB116_21 Depth=1
	s_or_b64 s[10:11], s[56:57], s[8:9]
	s_or_b64 s[8:9], s[58:59], s[8:9]
	s_mov_b32 s4, 0
	s_mov_b32 s48, 8
	s_branch .LBB116_276
.LBB116_275:                            ;   in Loop: Header=BB116_21 Depth=1
	s_mov_b32 s4, -1
                                        ; implicit-def: $sgpr48
                                        ; implicit-def: $sgpr10_sgpr11
                                        ; implicit-def: $sgpr8_sgpr9
.LBB116_276:                            ;   in Loop: Header=BB116_21 Depth=1
	s_delay_alu instid0(SALU_CYCLE_1)
	s_and_not1_b32 vcc_lo, exec_lo, s4
	s_cbranch_vccnz .LBB116_278
; %bb.277:                              ;   in Loop: Header=BB116_21 Depth=1
	s_sub_u32 s44, s44, s6
	s_subb_u32 s45, s45, s7
	s_mov_b32 s48, 8
	s_mov_b64 s[10:11], s[56:57]
	s_mov_b64 s[8:9], s[58:59]
.LBB116_278:                            ;   in Loop: Header=BB116_21 Depth=1
	s_mov_b64 s[4:5], s[44:45]
	s_mov_b64 s[56:57], s[10:11]
	;; [unrolled: 1-line block ×3, first 2 shown]
.LBB116_279:                            ;   in Loop: Header=BB116_21 Depth=1
	s_mov_b32 s10, exec_lo
.LBB116_280:                            ;   in Loop: Header=BB116_21 Depth=1
	s_or_b32 exec_lo, exec_lo, s62
	s_mov_b64 s[44:45], s[4:5]
.LBB116_281:                            ;   in Loop: Header=BB116_21 Depth=1
	s_and_not1_b32 s4, s16, exec_lo
	s_and_b32 s5, s13, exec_lo
	s_and_not1_b32 s6, s17, exec_lo
	s_or_b32 s16, s4, s5
	s_and_not1_b32 s4, s60, exec_lo
	s_and_b32 s5, s15, exec_lo
	s_and_b32 s7, s14, exec_lo
	s_or_b32 s60, s4, s5
	s_or_b32 s17, s6, s7
	s_and_b32 s5, s10, exec_lo
.LBB116_282:                            ;   in Loop: Header=BB116_21 Depth=1
	s_or_b32 exec_lo, exec_lo, s61
.LBB116_283:                            ;   in Loop: Header=BB116_21 Depth=1
	s_delay_alu instid0(SALU_CYCLE_1)
	s_and_not1_b32 s4, s22, exec_lo
	s_and_b32 s6, s16, exec_lo
	s_and_not1_b32 s7, s19, exec_lo
	s_or_b32 s22, s4, s6
	s_and_not1_b32 s4, s23, exec_lo
	s_and_b32 s6, s60, exec_lo
	s_and_b32 s8, s17, exec_lo
	s_or_b32 s23, s4, s6
	s_or_b32 s19, s7, s8
	s_and_b32 s5, s5, exec_lo
.LBB116_284:                            ;   in Loop: Header=BB116_21 Depth=1
	s_or_b32 exec_lo, exec_lo, s42
	s_and_saveexec_b32 s4, s5
	s_delay_alu instid0(SALU_CYCLE_1)
	s_xor_b32 s4, exec_lo, s4
	s_cbranch_execz .LBB116_19
.LBB116_285:                            ;   in Loop: Header=BB116_21 Depth=1
	s_and_b32 s5, s48, -9
	s_delay_alu instid0(SALU_CYCLE_1)
	s_cmp_eq_u32 s5, 0
	s_cbranch_scc1 .LBB116_17
; %bb.286:                              ;   in Loop: Header=BB116_21 Depth=1
	s_mov_b32 s5, -1
	s_mov_b32 s6, -1
                                        ; implicit-def: $sgpr58_sgpr59
                                        ; implicit-def: $sgpr44_sgpr45
                                        ; implicit-def: $sgpr86
                                        ; implicit-def: $sgpr89
	s_branch .LBB116_18
.LBB116_287:                            ;   in Loop: Header=BB116_21 Depth=1
                                        ; implicit-def: $vgpr4_vgpr5
	s_branch .LBB116_239
.LBB116_288:                            ;   in Loop: Header=BB116_21 Depth=1
                                        ; implicit-def: $vgpr4_vgpr5
	s_branch .LBB116_256
.LBB116_289:
	s_or_b32 exec_lo, exec_lo, s82
	s_xor_b32 s3, s85, -1
	s_xor_b32 s1, s83, -1
	;; [unrolled: 1-line block ×3, first 2 shown]
	s_mov_b32 s0, 0
	s_and_saveexec_b32 s5, s1
	s_delay_alu instid0(SALU_CYCLE_1)
	s_xor_b32 s1, exec_lo, s5
	s_cbranch_execz .LBB116_303
; %bb.290:
	s_and_saveexec_b32 s0, s3
	s_delay_alu instid0(SALU_CYCLE_1)
	s_xor_b32 s3, exec_lo, s0
	s_cbranch_execz .LBB116_301
; %bb.291:
	s_and_saveexec_b32 s0, s4
	s_delay_alu instid0(SALU_CYCLE_1)
	s_xor_b32 s0, exec_lo, s0
; %bb.292:
	v_lshrrev_b32_e32 v2, 31, v5
	s_delay_alu instid0(VALU_DEP_1) | instskip(NEXT) | instid1(VALU_DEP_1)
	v_add_co_u32 v2, s4, v2, -1
	v_add_co_ci_u32_e64 v3, null, 0, -1, s4
	s_delay_alu instid0(VALU_DEP_2) | instskip(NEXT) | instid1(VALU_DEP_2)
	v_xor_b32_e32 v6, v2, v4
	v_or_b32_e32 v3, 0x80000000, v3
	s_delay_alu instid0(VALU_DEP_1)
	v_xor_b32_e32 v7, v3, v5
; %bb.293:
	s_or_b32 exec_lo, exec_lo, s0
	s_mul_i32 s0, s37, s28
	s_mul_hi_u32 s5, s36, s28
	s_mul_i32 s4, s36, s28
	s_add_i32 s5, s5, s0
	v_mov_b32_e32 v2, 0
	s_lshl_b64 s[4:5], s[4:5], 3
	s_delay_alu instid0(SALU_CYCLE_1)
	s_add_u32 s4, s34, s4
	s_addc_u32 s5, s35, s5
	global_store_b64 v2, v[6:7], s[4:5]
	s_and_saveexec_b32 s4, s2
	s_cbranch_execz .LBB116_300
; %bb.294:
	v_cmp_u_f64_e32 vcc_lo, v[6:7], v[6:7]
	s_mov_b32 s2, 0
                                        ; implicit-def: $sgpr5
                                        ; implicit-def: $sgpr8
                                        ; implicit-def: $sgpr7
	s_xor_b32 s6, vcc_lo, -1
	s_set_inst_prefetch_distance 0x1
	s_branch .LBB116_296
	.p2align	6
.LBB116_295:                            ;   in Loop: Header=BB116_296 Depth=1
	s_or_b32 exec_lo, exec_lo, s9
	s_delay_alu instid0(SALU_CYCLE_1) | instskip(NEXT) | instid1(SALU_CYCLE_1)
	s_and_b32 s0, exec_lo, s8
	s_or_b32 s2, s0, s2
	s_and_not1_b32 s0, s5, exec_lo
	s_and_b32 s5, s7, exec_lo
	s_delay_alu instid0(SALU_CYCLE_1)
	s_or_b32 s5, s0, s5
	s_and_not1_b32 exec_lo, exec_lo, s2
	s_cbranch_execz .LBB116_298
.LBB116_296:                            ; =>This Inner Loop Header: Depth=1
	global_load_b64 v[2:3], v[16:17], off
	s_or_b32 s7, s7, exec_lo
	s_or_b32 s8, s8, exec_lo
	s_waitcnt vmcnt(0)
	v_cmp_o_f64_e32 vcc_lo, v[2:3], v[2:3]
	v_cmp_neq_f64_e64 s0, v[2:3], v[6:7]
	v_dual_mov_b32 v3, v1 :: v_dual_mov_b32 v2, v0
                                        ; implicit-def: $vgpr0_vgpr1
	s_or_b32 s9, vcc_lo, s6
	s_delay_alu instid0(VALU_DEP_2) | instid1(SALU_CYCLE_1)
	s_and_b32 s0, s0, s9
	s_delay_alu instid0(SALU_CYCLE_1)
	s_and_saveexec_b32 s9, s0
	s_cbranch_execz .LBB116_295
; %bb.297:                              ;   in Loop: Header=BB116_296 Depth=1
	v_add_co_u32 v0, vcc_lo, v2, s29
	v_add_co_ci_u32_e32 v1, vcc_lo, 0, v3, vcc_lo
	v_add_co_u32 v16, s0, v16, s40
	s_delay_alu instid0(VALU_DEP_1) | instskip(NEXT) | instid1(VALU_DEP_3)
	v_add_co_ci_u32_e64 v17, s0, s41, v17, s0
	v_cmp_le_u64_e32 vcc_lo, s[24:25], v[0:1]
	s_and_not1_b32 s0, s8, exec_lo
	s_and_not1_b32 s7, s7, exec_lo
	s_and_b32 s8, vcc_lo, exec_lo
	s_delay_alu instid0(SALU_CYCLE_1)
	s_or_b32 s8, s0, s8
	s_branch .LBB116_295
.LBB116_298:
	s_set_inst_prefetch_distance 0x2
	s_or_b32 exec_lo, exec_lo, s2
	s_and_saveexec_b32 s0, s5
	s_delay_alu instid0(SALU_CYCLE_1)
	s_xor_b32 s0, exec_lo, s0
	s_cbranch_execz .LBB116_300
; %bb.299:
	s_mul_i32 s0, s31, s28
	s_mul_hi_u32 s2, s30, s28
	s_mul_i32 s6, s30, s28
	s_add_i32 s7, s2, s0
	v_mov_b32_e32 v0, 0
	s_lshl_b64 s[6:7], s[6:7], 3
	s_delay_alu instid0(SALU_CYCLE_1)
	s_add_u32 s6, s26, s6
	s_addc_u32 s7, s27, s7
	global_store_b64 v0, v[2:3], s[6:7]
.LBB116_300:
	s_or_b32 exec_lo, exec_lo, s4
.LBB116_301:
	s_or_saveexec_b32 s0, s3
	s_mov_b32 s2, 0
	s_xor_b32 exec_lo, exec_lo, s0
	s_cbranch_execnz .LBB116_309
.LBB116_302:
	s_or_b32 exec_lo, exec_lo, s0
	s_delay_alu instid0(SALU_CYCLE_1)
	s_and_b32 s0, s2, exec_lo
.LBB116_303:
	s_and_not1_saveexec_b32 s1, s1
	s_cbranch_execnz .LBB116_307
; %bb.304:
	s_or_b32 exec_lo, exec_lo, s1
	s_and_saveexec_b32 s1, s0
.LBB116_305:
	; divergent unreachable
.LBB116_306:
	s_nop 0
	s_sendmsg sendmsg(MSG_DEALLOC_VGPRS)
	s_endpgm
.LBB116_307:
	s_cbranch_execnz .LBB116_311
; %bb.308:
	s_or_b32 s0, s0, exec_lo
	s_or_b32 exec_lo, exec_lo, s1
	s_and_saveexec_b32 s1, s0
	s_cbranch_execnz .LBB116_305
	s_branch .LBB116_306
.LBB116_309:
	s_cbranch_execnz .LBB116_313
; %bb.310:
	s_mov_b32 s2, exec_lo
	s_branch .LBB116_302
.LBB116_311:
	s_trap 2
	s_sendmsg_rtn_b32 s0, sendmsg(MSG_RTN_GET_DOORBELL)
	s_mov_b32 ttmp2, m0
	s_waitcnt lgkmcnt(0)
	s_and_b32 s0, s0, 0x3ff
	s_delay_alu instid0(SALU_CYCLE_1) | instskip(NEXT) | instid1(SALU_CYCLE_1)
	s_bitset1_b32 s0, 10
	s_mov_b32 m0, s0
	s_sendmsg sendmsg(MSG_INTERRUPT)
	s_mov_b32 m0, ttmp2
.LBB116_312:                            ; =>This Inner Loop Header: Depth=1
	s_sethalt 5
	s_branch .LBB116_312
.LBB116_313:
	s_trap 2
	s_sendmsg_rtn_b32 s0, sendmsg(MSG_RTN_GET_DOORBELL)
	s_mov_b32 ttmp2, m0
	s_waitcnt lgkmcnt(0)
	s_and_b32 s0, s0, 0x3ff
	s_delay_alu instid0(SALU_CYCLE_1) | instskip(NEXT) | instid1(SALU_CYCLE_1)
	s_bitset1_b32 s0, 10
	s_mov_b32 m0, s0
	s_sendmsg sendmsg(MSG_INTERRUPT)
	s_mov_b32 m0, ttmp2
.LBB116_314:                            ; =>This Inner Loop Header: Depth=1
	s_sethalt 5
	s_branch .LBB116_314
	.section	.rodata,"a",@progbits
	.p2align	6, 0x0
	.amdhsa_kernel _ZN2at6native12_GLOBAL__N_112gatherMedianIdmLi1EEEvNS_4cuda6detail10TensorInfoIT_T0_EENS5_IlS7_EENS5_IKS6_S7_EES7_S7_S7_b
		.amdhsa_group_segment_fixed_size 5152
		.amdhsa_private_segment_fixed_size 0
		.amdhsa_kernarg_size 1536
		.amdhsa_user_sgpr_count 13
		.amdhsa_user_sgpr_dispatch_ptr 0
		.amdhsa_user_sgpr_queue_ptr 0
		.amdhsa_user_sgpr_kernarg_segment_ptr 1
		.amdhsa_user_sgpr_dispatch_id 0
		.amdhsa_user_sgpr_private_segment_size 0
		.amdhsa_wavefront_size32 1
		.amdhsa_uses_dynamic_stack 0
		.amdhsa_enable_private_segment 0
		.amdhsa_system_sgpr_workgroup_id_x 1
		.amdhsa_system_sgpr_workgroup_id_y 1
		.amdhsa_system_sgpr_workgroup_id_z 1
		.amdhsa_system_sgpr_workgroup_info 0
		.amdhsa_system_vgpr_workitem_id 0
		.amdhsa_next_free_vgpr 53
		.amdhsa_next_free_sgpr 95
		.amdhsa_reserve_vcc 1
		.amdhsa_float_round_mode_32 0
		.amdhsa_float_round_mode_16_64 0
		.amdhsa_float_denorm_mode_32 3
		.amdhsa_float_denorm_mode_16_64 3
		.amdhsa_dx10_clamp 1
		.amdhsa_ieee_mode 1
		.amdhsa_fp16_overflow 0
		.amdhsa_workgroup_processor_mode 1
		.amdhsa_memory_ordered 1
		.amdhsa_forward_progress 0
		.amdhsa_shared_vgpr_count 0
		.amdhsa_exception_fp_ieee_invalid_op 0
		.amdhsa_exception_fp_denorm_src 0
		.amdhsa_exception_fp_ieee_div_zero 0
		.amdhsa_exception_fp_ieee_overflow 0
		.amdhsa_exception_fp_ieee_underflow 0
		.amdhsa_exception_fp_ieee_inexact 0
		.amdhsa_exception_int_div_zero 0
	.end_amdhsa_kernel
	.section	.text._ZN2at6native12_GLOBAL__N_112gatherMedianIdmLi1EEEvNS_4cuda6detail10TensorInfoIT_T0_EENS5_IlS7_EENS5_IKS6_S7_EES7_S7_S7_b,"axG",@progbits,_ZN2at6native12_GLOBAL__N_112gatherMedianIdmLi1EEEvNS_4cuda6detail10TensorInfoIT_T0_EENS5_IlS7_EENS5_IKS6_S7_EES7_S7_S7_b,comdat
.Lfunc_end116:
	.size	_ZN2at6native12_GLOBAL__N_112gatherMedianIdmLi1EEEvNS_4cuda6detail10TensorInfoIT_T0_EENS5_IlS7_EENS5_IKS6_S7_EES7_S7_S7_b, .Lfunc_end116-_ZN2at6native12_GLOBAL__N_112gatherMedianIdmLi1EEEvNS_4cuda6detail10TensorInfoIT_T0_EENS5_IlS7_EENS5_IKS6_S7_EES7_S7_S7_b
                                        ; -- End function
	.section	.AMDGPU.csdata,"",@progbits
; Kernel info:
; codeLenInByte = 17716
; NumSgprs: 97
; NumVgprs: 53
; ScratchSize: 0
; MemoryBound: 0
; FloatMode: 240
; IeeeMode: 1
; LDSByteSize: 5152 bytes/workgroup (compile time only)
; SGPRBlocks: 12
; VGPRBlocks: 6
; NumSGPRsForWavesPerEU: 97
; NumVGPRsForWavesPerEU: 53
; Occupancy: 16
; WaveLimiterHint : 1
; COMPUTE_PGM_RSRC2:SCRATCH_EN: 0
; COMPUTE_PGM_RSRC2:USER_SGPR: 13
; COMPUTE_PGM_RSRC2:TRAP_HANDLER: 0
; COMPUTE_PGM_RSRC2:TGID_X_EN: 1
; COMPUTE_PGM_RSRC2:TGID_Y_EN: 1
; COMPUTE_PGM_RSRC2:TGID_Z_EN: 1
; COMPUTE_PGM_RSRC2:TIDIG_COMP_CNT: 0
	.section	.text._ZN2at6native12_GLOBAL__N_112gatherMedianIdmLi2EEEvNS_4cuda6detail10TensorInfoIT_T0_EENS5_IlS7_EENS5_IKS6_S7_EES7_S7_S7_b,"axG",@progbits,_ZN2at6native12_GLOBAL__N_112gatherMedianIdmLi2EEEvNS_4cuda6detail10TensorInfoIT_T0_EENS5_IlS7_EENS5_IKS6_S7_EES7_S7_S7_b,comdat
	.globl	_ZN2at6native12_GLOBAL__N_112gatherMedianIdmLi2EEEvNS_4cuda6detail10TensorInfoIT_T0_EENS5_IlS7_EENS5_IKS6_S7_EES7_S7_S7_b ; -- Begin function _ZN2at6native12_GLOBAL__N_112gatherMedianIdmLi2EEEvNS_4cuda6detail10TensorInfoIT_T0_EENS5_IlS7_EENS5_IKS6_S7_EES7_S7_S7_b
	.p2align	8
	.type	_ZN2at6native12_GLOBAL__N_112gatherMedianIdmLi2EEEvNS_4cuda6detail10TensorInfoIT_T0_EENS5_IlS7_EENS5_IKS6_S7_EES7_S7_S7_b,@function
_ZN2at6native12_GLOBAL__N_112gatherMedianIdmLi2EEEvNS_4cuda6detail10TensorInfoIT_T0_EENS5_IlS7_EENS5_IKS6_S7_EES7_S7_S7_b: ; @_ZN2at6native12_GLOBAL__N_112gatherMedianIdmLi2EEEvNS_4cuda6detail10TensorInfoIT_T0_EENS5_IlS7_EENS5_IKS6_S7_EES7_S7_S7_b
; %bb.0:
	s_clause 0x1
	s_load_b64 s[8:9], s[0:1], 0x500
	s_load_b128 s[24:27], s[0:1], 0x4e0
	s_add_u32 s10, s0, 0x500
	s_addc_u32 s11, s1, 0
	s_mov_b32 s35, 0
	s_waitcnt lgkmcnt(0)
	s_mul_i32 s2, s9, s15
	s_delay_alu instid0(SALU_CYCLE_1) | instskip(NEXT) | instid1(SALU_CYCLE_1)
	s_add_i32 s2, s2, s14
	s_mul_i32 s2, s2, s8
	s_delay_alu instid0(SALU_CYCLE_1) | instskip(NEXT) | instid1(SALU_CYCLE_1)
	s_add_i32 s34, s2, s13
	v_cmp_ge_u64_e64 s2, s[34:35], s[26:27]
	s_delay_alu instid0(VALU_DEP_1)
	s_and_b32 vcc_lo, exec_lo, s2
	s_cbranch_vccnz .LBB117_312
; %bb.1:
	s_clause 0x3
	s_load_b64 s[46:47], s[0:1], 0x10
	s_load_b64 s[42:43], s[0:1], 0x4f0
	;; [unrolled: 1-line block ×4, first 2 shown]
	s_mov_b64 s[40:41], 0
	s_mov_b64 s[48:49], 0
	s_waitcnt lgkmcnt(0)
	v_cmp_lt_u64_e64 s4, s[34:35], s[46:47]
	s_delay_alu instid0(VALU_DEP_1)
	s_and_b32 vcc_lo, exec_lo, s4
	s_cbranch_vccnz .LBB117_3
; %bb.2:
	v_cvt_f32_u32_e32 v1, s46
	s_sub_i32 s5, 0, s46
	s_delay_alu instid0(VALU_DEP_1) | instskip(SKIP_2) | instid1(VALU_DEP_1)
	v_rcp_iflag_f32_e32 v1, v1
	s_waitcnt_depctr 0xfff
	v_mul_f32_e32 v1, 0x4f7ffffe, v1
	v_cvt_u32_f32_e32 v1, v1
	s_delay_alu instid0(VALU_DEP_1) | instskip(NEXT) | instid1(VALU_DEP_1)
	v_readfirstlane_b32 s4, v1
	s_mul_i32 s5, s5, s4
	s_delay_alu instid0(SALU_CYCLE_1) | instskip(NEXT) | instid1(SALU_CYCLE_1)
	s_mul_hi_u32 s5, s4, s5
	s_add_i32 s4, s4, s5
	s_delay_alu instid0(SALU_CYCLE_1) | instskip(NEXT) | instid1(SALU_CYCLE_1)
	s_mul_hi_u32 s4, s34, s4
	s_mul_i32 s5, s4, s46
	s_add_i32 s6, s4, 1
	s_sub_i32 s5, s34, s5
	s_delay_alu instid0(SALU_CYCLE_1)
	s_sub_i32 s7, s5, s46
	s_cmp_ge_u32 s5, s46
	s_cselect_b32 s4, s6, s4
	s_cselect_b32 s5, s7, s5
	s_add_i32 s6, s4, 1
	s_cmp_ge_u32 s5, s46
	s_cselect_b32 s48, s6, s4
.LBB117_3:
	s_load_b64 s[14:15], s[0:1], 0x340
	v_cmp_lt_u64_e64 s4, s[34:35], s[26:27]
	s_delay_alu instid0(VALU_DEP_1)
	s_and_b32 vcc_lo, exec_lo, s4
	s_cbranch_vccnz .LBB117_5
; %bb.4:
	v_cvt_f32_u32_e32 v1, s26
	s_sub_i32 s5, 0, s26
	s_delay_alu instid0(VALU_DEP_1) | instskip(SKIP_2) | instid1(VALU_DEP_1)
	v_rcp_iflag_f32_e32 v1, v1
	s_waitcnt_depctr 0xfff
	v_mul_f32_e32 v1, 0x4f7ffffe, v1
	v_cvt_u32_f32_e32 v1, v1
	s_delay_alu instid0(VALU_DEP_1) | instskip(NEXT) | instid1(VALU_DEP_1)
	v_readfirstlane_b32 s4, v1
	s_mul_i32 s5, s5, s4
	s_delay_alu instid0(SALU_CYCLE_1) | instskip(NEXT) | instid1(SALU_CYCLE_1)
	s_mul_hi_u32 s5, s4, s5
	s_add_i32 s4, s4, s5
	s_delay_alu instid0(SALU_CYCLE_1) | instskip(NEXT) | instid1(SALU_CYCLE_1)
	s_mul_hi_u32 s4, s34, s4
	s_mul_i32 s5, s4, s26
	s_add_i32 s6, s4, 1
	s_sub_i32 s5, s34, s5
	s_delay_alu instid0(SALU_CYCLE_1)
	s_sub_i32 s7, s5, s26
	s_cmp_ge_u32 s5, s26
	s_cselect_b32 s4, s6, s4
	s_cselect_b32 s5, s7, s5
	s_add_i32 s6, s4, 1
	s_cmp_ge_u32 s5, s26
	s_cselect_b32 s40, s6, s4
.LBB117_5:
	s_load_b128 s[4:7], s[0:1], 0x410
	v_cmp_lt_u64_e64 s9, s[34:35], s[2:3]
	s_mov_b64 s[16:17], 0
	s_delay_alu instid0(VALU_DEP_1)
	s_and_b32 vcc_lo, exec_lo, s9
	s_cbranch_vccnz .LBB117_7
; %bb.6:
	v_cvt_f32_u32_e32 v1, s2
	s_sub_i32 s12, 0, s2
	s_delay_alu instid0(VALU_DEP_1) | instskip(SKIP_2) | instid1(VALU_DEP_1)
	v_rcp_iflag_f32_e32 v1, v1
	s_waitcnt_depctr 0xfff
	v_mul_f32_e32 v1, 0x4f7ffffe, v1
	v_cvt_u32_f32_e32 v1, v1
	s_delay_alu instid0(VALU_DEP_1) | instskip(NEXT) | instid1(VALU_DEP_1)
	v_readfirstlane_b32 s9, v1
	s_mul_i32 s12, s12, s9
	s_delay_alu instid0(SALU_CYCLE_1) | instskip(NEXT) | instid1(SALU_CYCLE_1)
	s_mul_hi_u32 s12, s9, s12
	s_add_i32 s9, s9, s12
	s_delay_alu instid0(SALU_CYCLE_1) | instskip(NEXT) | instid1(SALU_CYCLE_1)
	s_mul_hi_u32 s9, s34, s9
	s_mul_i32 s12, s9, s2
	s_add_i32 s16, s9, 1
	s_sub_i32 s12, s34, s12
	s_delay_alu instid0(SALU_CYCLE_1)
	s_sub_i32 s17, s12, s2
	s_cmp_ge_u32 s12, s2
	s_cselect_b32 s9, s16, s9
	s_cselect_b32 s12, s17, s12
	s_add_i32 s16, s9, 1
	s_cmp_ge_u32 s12, s2
	s_cselect_b32 s16, s16, s9
.LBB117_7:
	s_clause 0x1
	s_load_b64 s[44:45], s[0:1], 0x1a0
	s_load_b64 s[50:51], s[0:1], 0x0
	s_mul_i32 s3, s16, s3
	s_mul_hi_u32 s9, s16, s2
	s_mul_i32 s2, s16, s2
	s_add_i32 s9, s9, s3
	s_sub_u32 s12, s34, s2
	v_dual_mov_b32 v1, 0 :: v_dual_mov_b32 v2, 0
	s_waitcnt lgkmcnt(0)
	s_mul_i32 s2, s12, s7
	s_mul_hi_u32 s3, s12, s6
	s_subb_u32 s7, 0, s9
	s_add_i32 s2, s3, s2
	s_mul_i32 s7, s7, s6
	s_mul_i32 s3, s16, s5
	s_mul_hi_u32 s9, s16, s4
	s_add_i32 s5, s2, s7
	s_add_i32 s3, s9, s3
	s_mul_i32 s2, s16, s4
	s_mul_i32 s4, s12, s6
	s_lshl_b64 s[2:3], s[2:3], 3
	v_mov_b32_e32 v3, 0
	s_add_u32 s6, s14, s2
	v_cmp_gt_u64_e64 s2, s[24:25], v[0:1]
	s_addc_u32 s3, s15, s3
	s_lshl_b64 s[4:5], s[4:5], 3
	s_delay_alu instid0(SALU_CYCLE_1) | instskip(SKIP_1) | instid1(VALU_DEP_1)
	s_add_u32 s33, s6, s4
	s_addc_u32 s35, s3, s5
	s_and_saveexec_b32 s4, s2
	s_cbranch_execz .LBB117_11
; %bb.8:
	s_load_b32 s3, s[10:11], 0xc
	v_dual_mov_b32 v2, 0 :: v_dual_mov_b32 v5, v1
	v_dual_mov_b32 v3, 0 :: v_dual_mov_b32 v4, v0
	s_mov_b32 s5, 0
	s_waitcnt lgkmcnt(0)
	s_and_b32 s6, s3, 0xffff
	.p2align	6
.LBB117_9:                              ; =>This Inner Loop Header: Depth=1
	v_mul_lo_u32 v8, v5, s42
	v_mul_lo_u32 v9, v4, s43
	v_mad_u64_u32 v[6:7], null, v4, s42, 0
	s_delay_alu instid0(VALU_DEP_1) | instskip(NEXT) | instid1(VALU_DEP_1)
	v_add3_u32 v7, v7, v9, v8
	v_lshlrev_b64 v[6:7], 3, v[6:7]
	s_delay_alu instid0(VALU_DEP_1) | instskip(NEXT) | instid1(VALU_DEP_2)
	v_add_co_u32 v6, vcc_lo, s33, v6
	v_add_co_ci_u32_e32 v7, vcc_lo, s35, v7, vcc_lo
	v_add_co_u32 v4, vcc_lo, v4, s6
	v_add_co_ci_u32_e32 v5, vcc_lo, 0, v5, vcc_lo
	global_load_b64 v[6:7], v[6:7], off
	s_waitcnt vmcnt(0)
	v_cmp_u_f64_e32 vcc_lo, v[6:7], v[6:7]
	v_cndmask_b32_e64 v6, 0, 1, vcc_lo
	v_cmp_le_u64_e32 vcc_lo, s[24:25], v[4:5]
	s_delay_alu instid0(VALU_DEP_2) | instskip(NEXT) | instid1(VALU_DEP_1)
	v_add_co_u32 v2, s3, v2, v6
	v_add_co_ci_u32_e64 v3, s3, 0, v3, s3
	s_or_b32 s5, vcc_lo, s5
	s_delay_alu instid0(SALU_CYCLE_1)
	s_and_not1_b32 exec_lo, exec_lo, s5
	s_cbranch_execnz .LBB117_9
; %bb.10:
	s_or_b32 exec_lo, exec_lo, s5
.LBB117_11:
	s_delay_alu instid0(SALU_CYCLE_1) | instskip(SKIP_4) | instid1(VALU_DEP_1)
	s_or_b32 exec_lo, exec_lo, s4
	s_clause 0x1
	s_load_b128 s[28:31], s[0:1], 0x270
	s_load_b128 s[36:39], s[0:1], 0xd0
	v_cmp_eq_u32_e64 s3, 0, v0
	s_and_saveexec_b32 s4, s3
	s_cbranch_execz .LBB117_13
; %bb.12:
	v_mov_b32_e32 v4, 0
	s_delay_alu instid0(VALU_DEP_1)
	v_mov_b32_e32 v5, v4
	ds_store_b64 v4, v[4:5] offset:5136
.LBB117_13:
	s_or_b32 exec_lo, exec_lo, s4
	s_mov_b64 s[4:5], 0
	s_mov_b32 s6, exec_lo
	s_waitcnt lgkmcnt(0)
	s_barrier
	buffer_gl0_inv
	v_cmpx_ne_u64_e32 0, v[2:3]
	s_cbranch_execz .LBB117_18
; %bb.14:
	s_mov_b32 s7, exec_lo
.LBB117_15:                             ; =>This Inner Loop Header: Depth=1
	s_delay_alu instid0(SALU_CYCLE_1) | instskip(NEXT) | instid1(SALU_CYCLE_1)
	s_ctz_i32_b32 s9, s7
	v_readlane_b32 s12, v2, s9
	v_readlane_b32 s14, v3, s9
	s_delay_alu instid0(VALU_DEP_2) | instskip(NEXT) | instid1(VALU_DEP_1)
	s_add_u32 s4, s4, s12
	s_addc_u32 s5, s5, s14
	s_lshl_b32 s9, 1, s9
	s_delay_alu instid0(SALU_CYCLE_1) | instskip(NEXT) | instid1(SALU_CYCLE_1)
	s_and_not1_b32 s7, s7, s9
	s_cmp_lg_u32 s7, 0
	s_cbranch_scc1 .LBB117_15
; %bb.16:
	v_mbcnt_lo_u32_b32 v2, exec_lo, 0
	s_mov_b32 s7, exec_lo
	s_delay_alu instid0(VALU_DEP_1)
	v_cmpx_eq_u32_e32 0, v2
	s_xor_b32 s7, exec_lo, s7
	s_cbranch_execz .LBB117_18
; %bb.17:
	v_mov_b32_e32 v2, s4
	v_dual_mov_b32 v4, 0 :: v_dual_mov_b32 v3, s5
	ds_add_u64 v4, v[2:3] offset:5136
.LBB117_18:
	s_or_b32 exec_lo, exec_lo, s6
	v_mov_b32_e32 v2, 0
	s_waitcnt lgkmcnt(0)
	s_barrier
	buffer_gl0_inv
	s_load_b32 s4, s[0:1], 0x4f8
	ds_load_b64 v[2:3], v2 offset:5136
	s_mov_b64 s[52:53], s[24:25]
	s_waitcnt lgkmcnt(0)
	s_bitcmp1_b32 s4, 0
	v_readfirstlane_b32 s0, v2
	v_readfirstlane_b32 s1, v3
	s_cselect_b32 s4, -1, 0
	s_delay_alu instid0(VALU_DEP_1) | instskip(NEXT) | instid1(VALU_DEP_1)
	v_cmp_lt_i64_e64 s5, s[0:1], 1
	s_or_b32 s4, s4, s5
	s_delay_alu instid0(SALU_CYCLE_1)
	s_and_not1_b32 vcc_lo, exec_lo, s4
	s_cbranch_vccnz .LBB117_20
; %bb.19:
	s_not_b64 s[0:1], s[0:1]
	s_delay_alu instid0(SALU_CYCLE_1) | instskip(SKIP_1) | instid1(SALU_CYCLE_1)
	s_add_u32 s0, s0, s24
	s_addc_u32 s1, s1, s25
	s_lshr_b64 s[0:1], s[0:1], 1
	s_delay_alu instid0(SALU_CYCLE_1)
	s_add_u32 s52, s0, 1
	s_addc_u32 s53, s1, 0
.LBB117_20:
	s_and_saveexec_b32 s0, s3
	s_cbranch_execz .LBB117_22
; %bb.21:
	v_dual_mov_b32 v2, 0 :: v_dual_mov_b32 v5, s25
	s_delay_alu instid0(VALU_DEP_1)
	v_dual_mov_b32 v4, s24 :: v_dual_mov_b32 v3, v2
	ds_store_b32 v2, v2 offset:5144
	ds_store_b128 v2, v[2:5] offset:5120
.LBB117_22:
	s_or_b32 exec_lo, exec_lo, s0
	v_mad_u64_u32 v[2:3], null, v0, s42, 0
	s_waitcnt lgkmcnt(0)
	s_barrier
	buffer_gl0_inv
	s_load_b32 s5, s[10:11], 0xc
	v_mbcnt_lo_u32_b32 v26, -1, 0
	v_cmp_gt_u32_e32 vcc_lo, 32, v0
	v_mad_u64_u32 v[4:5], null, v0, s43, v[3:4]
	v_dual_mov_b32 v6, 0 :: v_dual_lshlrev_b32 v27, 3, v0
	s_delay_alu instid0(VALU_DEP_4) | instskip(SKIP_2) | instid1(VALU_DEP_4)
	v_cmp_gt_i32_e64 s4, 4, v26
	v_dual_mov_b32 v19, 0 :: v_dual_lshlrev_b32 v16, 2, v0
	v_lshrrev_b32_e32 v5, 3, v0
	v_dual_mov_b32 v3, v4 :: v_dual_add_nc_u32 v28, 0xc00, v27
	s_delay_alu instid0(VALU_DEP_4) | instskip(SKIP_2) | instid1(VALU_DEP_3)
	s_and_b32 s74, vcc_lo, s4
	v_cmp_lt_u64_e64 s49, 0x180, s[24:25]
	v_cmp_gt_u32_e64 s0, 2, v0
	v_lshlrev_b64 v[2:3], 3, v[2:3]
	v_cmp_eq_u32_e64 s1, 0, v26
	v_mov_b32_e32 v17, v19
	v_and_b32_e32 v29, 0x7c, v5
	s_waitcnt lgkmcnt(0)
	s_and_b32 s41, s5, 0xffff
	s_bfe_u32 s4, s5, 0xb0005
	s_add_u32 s75, s41, -1
	s_addc_u32 s76, 0, -1
	s_add_u32 s77, s75, s24
	s_addc_u32 s57, s76, s25
	s_cmp_lt_u32 s13, s8
	v_add_co_u32 v20, vcc_lo, s33, v2
	s_cselect_b32 s6, 12, 18
	v_add_co_ci_u32_e32 v21, vcc_lo, s35, v3, vcc_lo
	v_lshlrev_b64 v[2:3], v26, -1
	s_add_u32 s58, s10, s6
	s_addc_u32 s59, s11, 0
	s_add_i32 s6, s4, -1
	s_bfe_u32 s78, s41, 0x30005
	s_cmp_gt_u32 s6, 6
	v_not_b32_e32 v30, v2
	s_cselect_b32 s79, -1, 0
	s_and_b32 s80, s4, 0x7f8
	v_cmp_gt_u16_e64 s81, s5, 31
	v_lshlrev_b32_e32 v31, 5, v0
	v_lshl_or_b32 v32, v26, 3, 0xc00
	v_mov_b32_e32 v7, 0
	v_mov_b32_e32 v3, 0x3ff00000
	s_cmp_lg_u32 s78, 0
	s_mov_b32 s55, 0
	s_cselect_b32 s82, -1, 0
	s_lshl_b32 s83, s41, 3
	s_mov_b64 s[60:61], 0
	s_mov_b32 s88, 62
	s_mov_b32 s84, 0
	;; [unrolled: 1-line block ×3, first 2 shown]
	s_mov_b64 s[62:63], 0
                                        ; implicit-def: $sgpr85
                                        ; implicit-def: $sgpr87
                                        ; implicit-def: $sgpr86
                                        ; implicit-def: $sgpr90
                                        ; implicit-def: $sgpr92
                                        ; implicit-def: $sgpr89
	s_branch .LBB117_27
.LBB117_23:                             ;   in Loop: Header=BB117_27 Depth=1
	s_xor_b32 s91, s91, 1
	s_add_i32 s7, s88, -2
	s_cmp_eq_u32 s88, 0
	s_mov_b32 s5, 0
	s_cselect_b32 s6, -1, 0
	s_mov_b32 s88, s7
.LBB117_24:                             ;   in Loop: Header=BB117_27 Depth=1
	s_and_not1_b32 s7, s22, exec_lo
	s_and_b32 s5, s5, exec_lo
	s_and_not1_b32 s23, s23, exec_lo
	s_or_b32 s22, s7, s5
	s_and_not1_b32 s19, s19, exec_lo
	s_or_not1_b32 s18, s6, exec_lo
.LBB117_25:                             ;   in Loop: Header=BB117_27 Depth=1
	s_or_b32 exec_lo, exec_lo, s4
	s_delay_alu instid0(SALU_CYCLE_1)
	s_and_not1_b32 s4, s89, exec_lo
	s_and_b32 s5, s22, exec_lo
	s_and_not1_b32 s6, s90, exec_lo
	s_or_b32 s89, s4, s5
	s_and_not1_b32 s4, s92, exec_lo
	s_and_b32 s5, s23, exec_lo
	s_and_b32 s7, s19, exec_lo
	s_or_b32 s92, s4, s5
	s_or_b32 s90, s6, s7
	s_or_not1_b32 s22, s18, exec_lo
.LBB117_26:                             ;   in Loop: Header=BB117_27 Depth=1
	s_or_b32 exec_lo, exec_lo, s20
	s_delay_alu instid0(SALU_CYCLE_1)
	s_and_b32 s4, exec_lo, s22
	v_dual_mov_b32 v4, s60 :: v_dual_mov_b32 v5, s61
	s_or_b32 s84, s4, s84
	s_and_not1_b32 s4, s86, exec_lo
	s_and_b32 s5, s89, exec_lo
	s_and_not1_b32 s6, s85, exec_lo
	s_or_b32 s86, s4, s5
	s_and_not1_b32 s4, s87, exec_lo
	s_and_b32 s5, s92, exec_lo
	s_and_b32 s7, s90, exec_lo
	s_or_b32 s87, s4, s5
	s_or_b32 s85, s6, s7
	s_and_not1_b32 exec_lo, exec_lo, s84
	s_cbranch_execz .LBB117_295
.LBB117_27:                             ; =>This Loop Header: Depth=1
                                        ;     Child Loop BB117_35 Depth 2
                                        ;     Child Loop BB117_53 Depth 2
	;; [unrolled: 1-line block ×16, first 2 shown]
	ds_load_b128 v[8:11], v19 offset:5120
	s_waitcnt lgkmcnt(0)
	v_readfirstlane_b32 s65, v9
	v_readfirstlane_b32 s64, v8
	s_delay_alu instid0(VALU_DEP_1)
	s_cmp_lg_u64 s[64:65], 0
	s_cbranch_scc1 .LBB117_60
; %bb.28:                               ;   in Loop: Header=BB117_27 Depth=1
	s_and_b32 vcc_lo, exec_lo, s49
	s_cbranch_vccz .LBB117_43
; %bb.29:                               ;   in Loop: Header=BB117_27 Depth=1
	v_cmp_gt_u64_e32 vcc_lo, 0x181, v[10:11]
	s_mov_b32 s6, 0
	s_mov_b32 s4, 0
	s_cbranch_vccz .LBB117_44
; %bb.30:                               ;   in Loop: Header=BB117_27 Depth=1
	v_mov_b32_e32 v4, 0
	v_mov_b32_e32 v5, 0
	s_and_saveexec_b32 s4, s2
	s_cbranch_execz .LBB117_32
; %bb.31:                               ;   in Loop: Header=BB117_27 Depth=1
	global_load_b64 v[4:5], v[20:21], off
.LBB117_32:                             ;   in Loop: Header=BB117_27 Depth=1
	s_or_b32 exec_lo, exec_lo, s4
	s_and_saveexec_b32 s7, s2
	s_cbranch_execz .LBB117_45
; %bb.33:                               ;   in Loop: Header=BB117_27 Depth=1
	global_load_u16 v2, v19, s[58:59]
	s_mov_b32 s8, 0
	v_dual_mov_b32 v9, v1 :: v_dual_mov_b32 v8, v0
	s_waitcnt vmcnt(0)
	v_and_b32_e32 v2, 0xffff, v2
	s_branch .LBB117_35
.LBB117_34:                             ;   in Loop: Header=BB117_35 Depth=2
	s_or_b32 exec_lo, exec_lo, s5
	s_waitcnt vmcnt(0)
	v_dual_mov_b32 v4, v10 :: v_dual_mov_b32 v5, v11
	s_and_not1_b32 exec_lo, exec_lo, s8
	s_cbranch_execz .LBB117_45
.LBB117_35:                             ;   Parent Loop BB117_27 Depth=1
                                        ; =>  This Inner Loop Header: Depth=2
	s_delay_alu instid0(VALU_DEP_1) | instskip(SKIP_4) | instid1(VALU_DEP_3)
	v_add_co_u32 v8, vcc_lo, v8, v2
	v_add_co_ci_u32_e32 v9, vcc_lo, 0, v9, vcc_lo
	v_mov_b32_e32 v10, 0
	v_mov_b32_e32 v11, 0
	s_mov_b32 s5, exec_lo
	v_cmp_le_u64_e32 vcc_lo, s[24:25], v[8:9]
	v_cmpx_gt_u64_e64 s[24:25], v[8:9]
	s_cbranch_execz .LBB117_37
; %bb.36:                               ;   in Loop: Header=BB117_35 Depth=2
	s_waitcnt lgkmcnt(0)
	v_mul_lo_u32 v12, v9, s42
	v_mul_lo_u32 v13, v8, s43
	v_mad_u64_u32 v[10:11], null, v8, s42, 0
	s_delay_alu instid0(VALU_DEP_1) | instskip(NEXT) | instid1(VALU_DEP_1)
	v_add3_u32 v11, v11, v13, v12
	v_lshlrev_b64 v[10:11], 3, v[10:11]
	s_delay_alu instid0(VALU_DEP_1) | instskip(NEXT) | instid1(VALU_DEP_1)
	v_add_co_u32 v10, s4, s33, v10
	v_add_co_ci_u32_e64 v11, s4, s35, v11, s4
	global_load_b64 v[10:11], v[10:11], off
.LBB117_37:                             ;   in Loop: Header=BB117_35 Depth=2
	s_or_b32 exec_lo, exec_lo, s5
	v_cmp_o_f64_e64 s4, v[4:5], v[4:5]
	s_waitcnt lgkmcnt(0)
	v_ashrrev_i32_e32 v12, 31, v5
	s_delay_alu instid0(VALU_DEP_1) | instskip(SKIP_1) | instid1(VALU_DEP_2)
	v_or_b32_e32 v13, 0x80000000, v12
	v_xor_b32_e32 v12, v12, v4
	v_xor_b32_e32 v13, v13, v5
	s_delay_alu instid0(VALU_DEP_1) | instskip(NEXT) | instid1(VALU_DEP_3)
	v_cndmask_b32_e64 v13, -1, v13, s4
	v_cndmask_b32_e64 v12, -1, v12, s4
	s_delay_alu instid0(VALU_DEP_2) | instskip(NEXT) | instid1(VALU_DEP_2)
	v_and_b32_e32 v13, s63, v13
	v_and_b32_e32 v12, s62, v12
	s_delay_alu instid0(VALU_DEP_1) | instskip(SKIP_1) | instid1(VALU_DEP_2)
	v_cmp_eq_u64_e64 s4, s[60:61], v[12:13]
	v_mov_b32_e32 v12, 0
	s_cmp_lg_u32 s4, 0
	s_cselect_b32 s5, -1, 0
	s_delay_alu instid0(SALU_CYCLE_1) | instskip(NEXT) | instid1(SALU_CYCLE_1)
	s_and_b32 s5, s1, s5
	s_and_saveexec_b32 s9, s5
	s_cbranch_execz .LBB117_41
; %bb.38:                               ;   in Loop: Header=BB117_35 Depth=2
	s_mov_b32 s12, exec_lo
	s_bcnt1_i32_b32 s10, s4
	v_mbcnt_lo_u32_b32 v12, s12, 0
	s_mov_b32 s11, exec_lo
                                        ; implicit-def: $vgpr13
	s_delay_alu instid0(VALU_DEP_1)
	v_cmpx_eq_u32_e32 0, v12
	s_cbranch_execz .LBB117_40
; %bb.39:                               ;   in Loop: Header=BB117_35 Depth=2
	s_bcnt1_i32_b32 s5, s12
	s_delay_alu instid0(SALU_CYCLE_1) | instskip(NEXT) | instid1(SALU_CYCLE_1)
	s_mul_i32 s5, s10, s5
	v_mov_b32_e32 v13, s5
	ds_add_rtn_u32 v13, v19, v13 offset:5144
.LBB117_40:                             ;   in Loop: Header=BB117_35 Depth=2
	s_or_b32 exec_lo, exec_lo, s11
	s_waitcnt lgkmcnt(0)
	v_readfirstlane_b32 s5, v13
	s_delay_alu instid0(VALU_DEP_1)
	v_mad_u32_u24 v12, s10, v12, s5
.LBB117_41:                             ;   in Loop: Header=BB117_35 Depth=2
	s_or_b32 exec_lo, exec_lo, s9
	ds_bpermute_b32 v12, v19, v12
	s_and_b32 s5, exec_lo, vcc_lo
	s_delay_alu instid0(SALU_CYCLE_1)
	s_or_b32 s8, s5, s8
	s_and_saveexec_b32 s5, s4
	s_cbranch_execz .LBB117_34
; %bb.42:                               ;   in Loop: Header=BB117_35 Depth=2
	v_and_b32_e32 v13, s4, v30
	s_delay_alu instid0(VALU_DEP_1) | instskip(NEXT) | instid1(VALU_DEP_1)
	v_bcnt_u32_b32 v13, v13, 0
	v_lshlrev_b32_e32 v13, 3, v13
	s_waitcnt lgkmcnt(0)
	s_delay_alu instid0(VALU_DEP_1)
	v_lshl_add_u32 v12, v12, 3, v13
	ds_store_b64 v12, v[4:5]
	s_branch .LBB117_34
.LBB117_43:                             ;   in Loop: Header=BB117_27 Depth=1
	s_mov_b32 s4, 0
                                        ; implicit-def: $sgpr64_sgpr65
	s_cbranch_execnz .LBB117_48
	s_branch .LBB117_58
.LBB117_44:                             ;   in Loop: Header=BB117_27 Depth=1
	s_mov_b64 s[64:65], 0
	s_and_b32 vcc_lo, exec_lo, s6
	s_cbranch_vccnz .LBB117_48
	s_branch .LBB117_58
.LBB117_45:                             ;   in Loop: Header=BB117_27 Depth=1
	s_or_b32 exec_lo, exec_lo, s7
	s_waitcnt vmcnt(0) lgkmcnt(0)
	s_barrier
	buffer_gl0_inv
	s_and_saveexec_b32 s4, s3
	s_cbranch_execz .LBB117_47
; %bb.46:                               ;   in Loop: Header=BB117_27 Depth=1
	ds_load_b32 v4, v19 offset:5144
	s_waitcnt lgkmcnt(0)
	v_ashrrev_i32_e32 v5, 31, v4
	ds_store_b64 v19, v[4:5] offset:5120
.LBB117_47:                             ;   in Loop: Header=BB117_27 Depth=1
	s_or_b32 exec_lo, exec_lo, s4
	s_waitcnt lgkmcnt(0)
	s_mov_b32 s4, -1
	s_barrier
	s_mov_b64 s[64:65], 0
	s_and_b32 vcc_lo, exec_lo, s6
	s_cbranch_vccz .LBB117_58
.LBB117_48:                             ;   in Loop: Header=BB117_27 Depth=1
	v_mov_b32_e32 v4, 0
	v_mov_b32_e32 v5, 0
	s_and_saveexec_b32 s4, s2
	s_cbranch_execz .LBB117_50
; %bb.49:                               ;   in Loop: Header=BB117_27 Depth=1
	global_load_b64 v[4:5], v[20:21], off
.LBB117_50:                             ;   in Loop: Header=BB117_27 Depth=1
	s_or_b32 exec_lo, exec_lo, s4
	s_and_saveexec_b32 s5, s2
	s_cbranch_execz .LBB117_55
; %bb.51:                               ;   in Loop: Header=BB117_27 Depth=1
	global_load_u16 v2, v19, s[58:59]
	s_mov_b32 s6, 0
	v_dual_mov_b32 v9, v1 :: v_dual_mov_b32 v8, v0
	s_waitcnt vmcnt(0)
	v_and_b32_e32 v2, 0xffff, v2
	s_delay_alu instid0(VALU_DEP_1)
	v_dual_mov_b32 v12, v27 :: v_dual_lshlrev_b32 v13, 3, v2
	s_set_inst_prefetch_distance 0x1
	s_branch .LBB117_53
	.p2align	6
.LBB117_52:                             ;   in Loop: Header=BB117_53 Depth=2
	s_or_b32 exec_lo, exec_lo, s7
	ds_store_b64 v12, v[4:5]
	s_waitcnt vmcnt(0)
	v_mov_b32_e32 v4, v10
	v_dual_mov_b32 v5, v11 :: v_dual_add_nc_u32 v12, v12, v13
	s_and_b32 s4, exec_lo, vcc_lo
	s_delay_alu instid0(SALU_CYCLE_1) | instskip(NEXT) | instid1(SALU_CYCLE_1)
	s_or_b32 s6, s4, s6
	s_and_not1_b32 exec_lo, exec_lo, s6
	s_cbranch_execz .LBB117_55
.LBB117_53:                             ;   Parent Loop BB117_27 Depth=1
                                        ; =>  This Inner Loop Header: Depth=2
	v_add_co_u32 v8, vcc_lo, v8, v2
	v_add_co_ci_u32_e32 v9, vcc_lo, 0, v9, vcc_lo
	v_mov_b32_e32 v10, 0
	v_mov_b32_e32 v11, 0
	s_mov_b32 s7, exec_lo
	s_delay_alu instid0(VALU_DEP_3)
	v_cmp_le_u64_e32 vcc_lo, s[24:25], v[8:9]
	v_cmpx_gt_u64_e64 s[24:25], v[8:9]
	s_cbranch_execz .LBB117_52
; %bb.54:                               ;   in Loop: Header=BB117_53 Depth=2
	v_mul_lo_u32 v14, v9, s42
	v_mul_lo_u32 v15, v8, s43
	v_mad_u64_u32 v[10:11], null, v8, s42, 0
	s_delay_alu instid0(VALU_DEP_1) | instskip(NEXT) | instid1(VALU_DEP_1)
	v_add3_u32 v11, v11, v15, v14
	v_lshlrev_b64 v[10:11], 3, v[10:11]
	s_delay_alu instid0(VALU_DEP_1) | instskip(NEXT) | instid1(VALU_DEP_1)
	v_add_co_u32 v10, s4, s33, v10
	v_add_co_ci_u32_e64 v11, s4, s35, v11, s4
	global_load_b64 v[10:11], v[10:11], off
	s_branch .LBB117_52
.LBB117_55:                             ;   in Loop: Header=BB117_27 Depth=1
	s_set_inst_prefetch_distance 0x2
	s_or_b32 exec_lo, exec_lo, s5
	s_waitcnt vmcnt(0) lgkmcnt(0)
	s_barrier
	buffer_gl0_inv
	s_and_saveexec_b32 s4, s3
	s_cbranch_execz .LBB117_57
; %bb.56:                               ;   in Loop: Header=BB117_27 Depth=1
	v_dual_mov_b32 v4, s24 :: v_dual_mov_b32 v5, s25
	ds_store_b64 v19, v[4:5] offset:5120
.LBB117_57:                             ;   in Loop: Header=BB117_27 Depth=1
	s_or_b32 exec_lo, exec_lo, s4
	s_mov_b32 s4, -1
	s_waitcnt lgkmcnt(0)
	s_barrier
                                        ; implicit-def: $sgpr64_sgpr65
.LBB117_58:                             ;   in Loop: Header=BB117_27 Depth=1
	s_and_b32 vcc_lo, exec_lo, s4
	s_cbranch_vccz .LBB117_60
; %bb.59:                               ;   in Loop: Header=BB117_27 Depth=1
	buffer_gl0_inv
	ds_load_b64 v[4:5], v19 offset:5120
	s_waitcnt lgkmcnt(0)
	v_readfirstlane_b32 s64, v4
.LBB117_60:                             ;   in Loop: Header=BB117_27 Depth=1
	s_delay_alu instid0(VALU_DEP_1)
	s_cmp_lt_i32 s64, 1
	s_cbranch_scc0 .LBB117_75
; %bb.61:                               ;   in Loop: Header=BB117_27 Depth=1
	global_load_u16 v2, v19, s[58:59]
	s_mov_b32 s5, s25
	s_waitcnt vmcnt(0)
	v_readfirstlane_b32 s4, v2
	s_delay_alu instid0(VALU_DEP_1)
	s_and_b32 s6, 0xffff, s4
	s_mov_b32 s4, s55
	s_lshl_b32 s54, s6, 2
	s_cmp_lg_u64 s[4:5], 0
	s_cbranch_scc0 .LBB117_95
; %bb.62:                               ;   in Loop: Header=BB117_27 Depth=1
	v_cvt_f32_u32_e32 v4, s54
	s_sub_u32 s6, 0, s54
	s_subb_u32 s7, 0, 0
	s_delay_alu instid0(VALU_DEP_1) | instskip(NEXT) | instid1(VALU_DEP_1)
	v_fmac_f32_e64 v4, 0, 0x4f800000
	v_rcp_f32_e32 v4, v4
	s_waitcnt_depctr 0xfff
	v_mul_f32_e32 v4, 0x5f7ffffc, v4
	s_delay_alu instid0(VALU_DEP_1) | instskip(NEXT) | instid1(VALU_DEP_1)
	v_mul_f32_e32 v5, 0x2f800000, v4
	v_trunc_f32_e32 v5, v5
	s_delay_alu instid0(VALU_DEP_1) | instskip(SKIP_1) | instid1(VALU_DEP_2)
	v_fmac_f32_e32 v4, 0xcf800000, v5
	v_cvt_u32_f32_e32 v5, v5
	v_cvt_u32_f32_e32 v4, v4
	s_delay_alu instid0(VALU_DEP_2) | instskip(NEXT) | instid1(VALU_DEP_2)
	v_readfirstlane_b32 s4, v5
	v_readfirstlane_b32 s5, v4
	s_delay_alu instid0(VALU_DEP_2) | instskip(NEXT) | instid1(VALU_DEP_1)
	s_mul_i32 s8, s6, s4
	s_mul_hi_u32 s10, s6, s5
	s_mul_i32 s9, s7, s5
	s_add_i32 s8, s10, s8
	s_mul_i32 s11, s6, s5
	s_add_i32 s8, s8, s9
	s_mul_hi_u32 s10, s5, s11
	s_mul_hi_u32 s12, s4, s11
	s_mul_i32 s9, s4, s11
	s_mul_hi_u32 s11, s5, s8
	s_mul_i32 s5, s5, s8
	s_mul_hi_u32 s13, s4, s8
	s_add_u32 s5, s10, s5
	s_addc_u32 s10, 0, s11
	s_add_u32 s5, s5, s9
	s_mul_i32 s8, s4, s8
	s_addc_u32 s5, s10, s12
	s_addc_u32 s9, s13, 0
	s_add_u32 s5, s5, s8
	s_addc_u32 s8, 0, s9
	v_add_co_u32 v4, s5, v4, s5
	s_delay_alu instid0(VALU_DEP_1) | instskip(SKIP_1) | instid1(VALU_DEP_1)
	s_cmp_lg_u32 s5, 0
	s_addc_u32 s4, s4, s8
	v_readfirstlane_b32 s5, v4
	s_mul_i32 s8, s6, s4
	s_delay_alu instid0(VALU_DEP_1)
	s_mul_hi_u32 s9, s6, s5
	s_mul_i32 s7, s7, s5
	s_add_i32 s8, s9, s8
	s_mul_i32 s6, s6, s5
	s_add_i32 s8, s8, s7
	s_mul_hi_u32 s9, s4, s6
	s_mul_i32 s10, s4, s6
	s_mul_hi_u32 s6, s5, s6
	s_mul_hi_u32 s11, s5, s8
	s_mul_i32 s5, s5, s8
	s_mul_hi_u32 s7, s4, s8
	s_add_u32 s5, s6, s5
	s_addc_u32 s6, 0, s11
	s_add_u32 s5, s5, s10
	s_mul_i32 s8, s4, s8
	s_addc_u32 s5, s6, s9
	s_addc_u32 s6, s7, 0
	s_add_u32 s5, s5, s8
	s_addc_u32 s6, 0, s6
	v_add_co_u32 v4, s5, v4, s5
	s_delay_alu instid0(VALU_DEP_1) | instskip(SKIP_1) | instid1(VALU_DEP_1)
	s_cmp_lg_u32 s5, 0
	s_addc_u32 s4, s4, s6
	v_readfirstlane_b32 s5, v4
	s_mul_i32 s7, s24, s4
	s_mul_hi_u32 s6, s24, s4
	s_mul_hi_u32 s8, s25, s4
	s_mul_i32 s4, s25, s4
	s_mul_hi_u32 s9, s24, s5
	s_mul_hi_u32 s10, s25, s5
	s_mul_i32 s5, s25, s5
	s_add_u32 s7, s9, s7
	s_addc_u32 s6, 0, s6
	s_add_u32 s5, s7, s5
	s_addc_u32 s5, s6, s10
	s_addc_u32 s6, s8, 0
	s_add_u32 s4, s5, s4
	s_addc_u32 s5, 0, s6
	s_mul_hi_u32 s6, s54, s4
	s_mul_i32 s4, s54, s4
	s_mul_i32 s5, s54, s5
	v_sub_co_u32 v4, s4, s24, s4
	s_add_i32 s6, s6, s5
	s_cmp_lg_u32 s4, 0
	s_delay_alu instid0(VALU_DEP_1) | instskip(SKIP_2) | instid1(VALU_DEP_1)
	v_sub_co_u32 v5, s4, v4, s54
	s_subb_u32 s5, s25, s6
	s_cmp_lg_u32 s4, 0
	v_cmp_le_u32_e32 vcc_lo, s54, v5
	v_sub_co_u32 v8, s4, v5, s54
	s_subb_u32 s6, s5, 0
	s_cmp_lg_u32 s4, 0
	v_cndmask_b32_e64 v9, 0, -1, vcc_lo
	s_subb_u32 s4, s6, 0
	s_cmp_eq_u32 s6, 0
	v_mov_b32_e32 v11, s4
	s_cselect_b32 vcc_lo, -1, 0
	s_cmp_eq_u32 s5, 0
	v_cndmask_b32_e32 v9, -1, v9, vcc_lo
	v_cmp_le_u32_e32 vcc_lo, s54, v4
	s_cselect_b32 s4, -1, 0
	v_cndmask_b32_e64 v10, 0, -1, vcc_lo
	s_delay_alu instid0(VALU_DEP_3) | instskip(NEXT) | instid1(VALU_DEP_2)
	v_cmp_ne_u32_e32 vcc_lo, 0, v9
	v_cndmask_b32_e64 v9, -1, v10, s4
	v_cndmask_b32_e32 v10, s6, v11, vcc_lo
	v_cndmask_b32_e32 v8, v5, v8, vcc_lo
	s_delay_alu instid0(VALU_DEP_3) | instskip(NEXT) | instid1(VALU_DEP_3)
	v_cmp_ne_u32_e32 vcc_lo, 0, v9
	v_cndmask_b32_e32 v5, s5, v10, vcc_lo
	s_delay_alu instid0(VALU_DEP_3)
	v_cndmask_b32_e32 v4, v4, v8, vcc_lo
	s_cbranch_execnz .LBB117_64
.LBB117_63:                             ;   in Loop: Header=BB117_27 Depth=1
	v_cvt_f32_u32_e32 v4, s54
	s_sub_i32 s4, 0, s54
	s_delay_alu instid0(VALU_DEP_1) | instskip(SKIP_2) | instid1(VALU_DEP_1)
	v_rcp_iflag_f32_e32 v4, v4
	s_waitcnt_depctr 0xfff
	v_mul_f32_e32 v4, 0x4f7ffffe, v4
	v_cvt_u32_f32_e32 v4, v4
	s_delay_alu instid0(VALU_DEP_1) | instskip(NEXT) | instid1(VALU_DEP_1)
	v_mul_lo_u32 v5, s4, v4
	v_mul_hi_u32 v5, v4, v5
	s_delay_alu instid0(VALU_DEP_1) | instskip(NEXT) | instid1(VALU_DEP_1)
	v_add_nc_u32_e32 v4, v4, v5
	v_mul_hi_u32 v4, s24, v4
	s_delay_alu instid0(VALU_DEP_1) | instskip(NEXT) | instid1(VALU_DEP_1)
	v_mul_lo_u32 v4, v4, s54
	v_sub_nc_u32_e32 v4, s24, v4
	s_delay_alu instid0(VALU_DEP_1) | instskip(SKIP_1) | instid1(VALU_DEP_2)
	v_subrev_nc_u32_e32 v5, s54, v4
	v_cmp_le_u32_e32 vcc_lo, s54, v4
	v_cndmask_b32_e32 v4, v4, v5, vcc_lo
	s_delay_alu instid0(VALU_DEP_1) | instskip(SKIP_1) | instid1(VALU_DEP_2)
	v_subrev_nc_u32_e32 v5, s54, v4
	v_cmp_le_u32_e32 vcc_lo, s54, v4
	v_cndmask_b32_e32 v18, v4, v5, vcc_lo
	s_delay_alu instid0(VALU_DEP_1)
	v_dual_mov_b32 v4, v18 :: v_dual_mov_b32 v5, v19
.LBB117_64:                             ;   in Loop: Header=BB117_27 Depth=1
	v_mov_b32_e32 v8, 0
	v_mov_b32_e32 v9, 0
	s_delay_alu instid0(VALU_DEP_3) | instskip(NEXT) | instid1(VALU_DEP_4)
	v_sub_co_u32 v4, vcc_lo, s24, v4
	v_sub_co_ci_u32_e32 v5, vcc_lo, s25, v5, vcc_lo
	s_delay_alu instid0(VALU_DEP_3)
	v_dual_mov_b32 v11, v9 :: v_dual_mov_b32 v10, v8
	v_dual_mov_b32 v13, v9 :: v_dual_mov_b32 v12, v8
	;; [unrolled: 1-line block ×3, first 2 shown]
	s_mov_b64 s[66:67], 0
	s_mov_b32 s56, exec_lo
	v_cmpx_gt_u64_e64 v[4:5], v[16:17]
	s_cbranch_execz .LBB117_68
; %bb.65:                               ;   in Loop: Header=BB117_27 Depth=1
	v_dual_mov_b32 v23, v17 :: v_dual_mov_b32 v22, v16
	s_and_b32 s65, s88, 0xfe
	s_mov_b32 s93, 0
	s_mov_b64 s[68:69], 0
	s_mov_b64 s[70:71], 0
	s_mov_b64 s[72:73], 0
.LBB117_66:                             ;   Parent Loop BB117_27 Depth=1
                                        ; =>  This Inner Loop Header: Depth=2
	v_mul_lo_u32 v10, v23, s42
	v_mul_lo_u32 v11, v22, s43
	v_mad_u64_u32 v[8:9], null, v22, s42, 0
	s_lshl_b64 s[4:5], s[42:43], 3
	s_delay_alu instid0(VALU_DEP_1) | instskip(NEXT) | instid1(VALU_DEP_1)
	v_add3_u32 v9, v9, v11, v10
	v_lshlrev_b64 v[8:9], 3, v[8:9]
	s_delay_alu instid0(VALU_DEP_1) | instskip(NEXT) | instid1(VALU_DEP_2)
	v_add_co_u32 v8, vcc_lo, s33, v8
	v_add_co_ci_u32_e32 v9, vcc_lo, s35, v9, vcc_lo
	s_delay_alu instid0(VALU_DEP_2) | instskip(NEXT) | instid1(VALU_DEP_2)
	v_add_co_u32 v10, vcc_lo, v8, s4
	v_add_co_ci_u32_e32 v11, vcc_lo, s5, v9, vcc_lo
	global_load_b64 v[8:9], v[8:9], off
	v_add_co_u32 v12, vcc_lo, v10, s4
	v_add_co_ci_u32_e32 v13, vcc_lo, s5, v11, vcc_lo
	s_clause 0x1
	global_load_b64 v[10:11], v[10:11], off
	global_load_b64 v[14:15], v[12:13], off
	v_add_co_u32 v12, vcc_lo, v12, s4
	v_add_co_ci_u32_e32 v13, vcc_lo, s5, v13, vcc_lo
	v_add_co_u32 v22, vcc_lo, v22, s54
	v_add_co_ci_u32_e32 v23, vcc_lo, 0, v23, vcc_lo
	global_load_b64 v[12:13], v[12:13], off
	v_cmp_ge_u64_e32 vcc_lo, v[22:23], v[4:5]
	s_waitcnt vmcnt(3)
	v_cmp_o_f64_e64 s4, v[8:9], v[8:9]
	v_ashrrev_i32_e32 v18, 31, v9
	s_delay_alu instid0(VALU_DEP_1)
	v_or_b32_e32 v24, 0x80000000, v18
	s_waitcnt vmcnt(1)
	v_cmp_o_f64_e64 s6, v[14:15], v[14:15]
	v_cmp_o_f64_e64 s5, v[10:11], v[10:11]
	v_ashrrev_i32_e32 v35, 31, v15
	v_ashrrev_i32_e32 v33, 31, v11
	v_xor_b32_e32 v24, v24, v9
	v_xor_b32_e32 v18, v18, v8
	s_delay_alu instid0(VALU_DEP_4) | instskip(NEXT) | instid1(VALU_DEP_4)
	v_or_b32_e32 v8, 0x80000000, v35
	v_or_b32_e32 v37, 0x80000000, v33
	s_waitcnt vmcnt(0)
	v_cmp_o_f64_e64 s7, v[12:13], v[12:13]
	v_xor_b32_e32 v33, v33, v10
	v_xor_b32_e32 v35, v35, v14
	;; [unrolled: 1-line block ×4, first 2 shown]
	v_cndmask_b32_e64 v9, -1, v24, s4
	v_ashrrev_i32_e32 v24, 31, v13
	s_delay_alu instid0(VALU_DEP_2) | instskip(NEXT) | instid1(VALU_DEP_2)
	v_dual_mov_b32 v25, v19 :: v_dual_and_b32 v14, s63, v9
	v_or_b32_e32 v10, 0x80000000, v24
	v_cndmask_b32_e64 v38, -1, v8, s6
	v_cndmask_b32_e64 v8, -1, v18, s4
	;; [unrolled: 1-line block ×3, first 2 shown]
	v_xor_b32_e32 v24, v24, v12
	v_xor_b32_e32 v10, v10, v13
	v_cndmask_b32_e64 v37, -1, v35, s6
	v_and_b32_e32 v13, s62, v8
	v_lshrrev_b64 v[8:9], s65, v[8:9]
	v_and_b32_e32 v40, s63, v11
	v_cndmask_b32_e64 v12, -1, v10, s7
	v_cndmask_b32_e64 v10, -1, v33, s5
	v_dual_mov_b32 v34, v19 :: v_dual_and_b32 v15, s63, v38
	v_cmp_eq_u64_e64 s4, s[60:61], v[13:14]
	v_and_b32_e32 v18, 3, v8
	s_delay_alu instid0(VALU_DEP_4)
	v_and_b32_e32 v39, s62, v10
	v_lshrrev_b64 v[9:10], s65, v[10:11]
	v_cndmask_b32_e64 v11, -1, v24, s7
	v_and_b32_e32 v14, s62, v37
	v_lshrrev_b64 v[37:38], s65, v[37:38]
	v_cmp_eq_u64_e64 s5, s[60:61], v[39:40]
	v_cmp_eq_u64_e64 s6, 0, v[18:19]
	v_and_b32_e32 v24, 3, v9
	v_lshrrev_b64 v[8:9], s65, v[11:12]
	v_dual_mov_b32 v36, v19 :: v_dual_and_b32 v41, s63, v12
	v_and_b32_e32 v33, 3, v37
	s_delay_alu instid0(VALU_DEP_4)
	v_cmp_eq_u64_e64 s11, 0, v[24:25]
	v_and_b32_e32 v40, s62, v11
	v_and_b32_e32 v35, 3, v8
	v_cmp_eq_u64_e64 s10, s[60:61], v[14:15]
	s_and_b32 s6, s4, s6
	v_cmp_eq_u64_e64 s15, 0, v[33:34]
	s_and_b32 s11, s5, s11
	v_cndmask_b32_e64 v9, 0, 1, s6
	v_cmp_eq_u64_e64 s6, s[60:61], v[40:41]
	v_cndmask_b32_e64 v8, 0, 1, s11
	v_cmp_eq_u64_e64 s11, 0, v[35:36]
	s_and_b32 s15, s10, s15
	v_cmp_ne_u32_e64 s19, 0, v9
	v_cmp_eq_u64_e64 s7, 1, v[18:19]
	v_cmp_ne_u32_e64 s23, 0, v8
	v_cndmask_b32_e64 v8, 0, 1, s15
	s_and_b32 s11, s6, s11
	s_bcnt1_i32_b32 s15, s19
	v_cndmask_b32_e64 v9, 0, 1, s11
	s_bcnt1_i32_b32 s19, s23
	v_cmp_ne_u32_e64 s11, 0, v8
	s_add_i32 s19, s19, s15
	v_cmp_eq_u64_e64 s12, 1, v[24:25]
	v_cmp_ne_u32_e64 s15, 0, v9
	v_cmp_eq_u64_e64 s16, 1, v[33:34]
	s_bcnt1_i32_b32 s11, s11
	v_cmp_eq_u64_e64 s20, 1, v[35:36]
	s_add_i32 s11, s19, s11
	s_bcnt1_i32_b32 s15, s15
	v_cmp_eq_u64_e64 s8, 2, v[18:19]
	s_add_i32 s11, s11, s15
	v_cmp_eq_u64_e64 s13, 2, v[24:25]
	s_add_u32 s72, s72, s11
	s_addc_u32 s73, s73, 0
	s_and_b32 s7, s4, s7
	v_cmp_eq_u64_e64 s17, 2, v[33:34]
	v_cndmask_b32_e64 v8, 0, 1, s7
	s_and_b32 s7, s5, s12
	v_cmp_eq_u64_e64 s21, 2, v[35:36]
	v_cndmask_b32_e64 v9, 0, 1, s7
	;; [unrolled: 3-line block ×3, first 2 shown]
	s_and_b32 s7, s6, s20
	v_cmp_ne_u32_e64 s11, 0, v9
	v_cndmask_b32_e64 v11, 0, 1, s7
	v_cmp_ne_u32_e64 s7, 0, v8
	v_cmp_ne_u32_e64 s12, 0, v10
	v_cmp_eq_u64_e64 s14, 3, v[24:25]
	s_bcnt1_i32_b32 s11, s11
	v_cmp_ne_u32_e64 s15, 0, v11
	s_bcnt1_i32_b32 s7, s7
	s_bcnt1_i32_b32 s12, s12
	s_add_i32 s7, s11, s7
	v_cmp_eq_u64_e64 s22, 3, v[35:36]
	s_bcnt1_i32_b32 s15, s15
	s_add_i32 s7, s7, s12
	s_delay_alu instid0(SALU_CYCLE_1) | instskip(NEXT) | instid1(SALU_CYCLE_1)
	s_add_i32 s7, s7, s15
	s_add_u32 s70, s70, s7
	s_addc_u32 s71, s71, 0
	s_and_b32 s7, s4, s8
	s_delay_alu instid0(SALU_CYCLE_1) | instskip(SKIP_1) | instid1(SALU_CYCLE_1)
	v_cndmask_b32_e64 v8, 0, 1, s7
	s_and_b32 s7, s5, s13
	v_cndmask_b32_e64 v9, 0, 1, s7
	s_and_b32 s7, s10, s17
	s_delay_alu instid0(SALU_CYCLE_1) | instskip(SKIP_1) | instid1(VALU_DEP_2)
	v_cndmask_b32_e64 v10, 0, 1, s7
	s_and_b32 s7, s6, s21
	v_cmp_ne_u32_e64 s8, 0, v9
	v_cndmask_b32_e64 v11, 0, 1, s7
	v_cmp_ne_u32_e64 s7, 0, v8
	v_cmp_ne_u32_e64 s11, 0, v10
	s_delay_alu instid0(VALU_DEP_4) | instskip(NEXT) | instid1(VALU_DEP_3)
	s_bcnt1_i32_b32 s8, s8
	v_cmp_ne_u32_e64 s12, 0, v11
	s_delay_alu instid0(VALU_DEP_3) | instskip(NEXT) | instid1(VALU_DEP_2)
	s_bcnt1_i32_b32 s7, s7
	s_bcnt1_i32_b32 s11, s11
	s_add_i32 s7, s8, s7
	s_delay_alu instid0(VALU_DEP_1) | instskip(SKIP_1) | instid1(SALU_CYCLE_1)
	s_bcnt1_i32_b32 s12, s12
	s_add_i32 s7, s7, s11
	s_add_i32 s7, s7, s12
	s_delay_alu instid0(SALU_CYCLE_1)
	s_add_u32 s68, s68, s7
	s_addc_u32 s69, s69, 0
	v_mov_b32_e32 v12, s68
	v_cmp_eq_u64_e64 s18, 3, v[33:34]
	s_and_b32 s4, s4, s9
	v_mov_b32_e32 v13, s69
	v_cndmask_b32_e64 v8, 0, 1, s4
	s_and_b32 s4, s5, s14
	s_delay_alu instid0(SALU_CYCLE_1) | instskip(SKIP_1) | instid1(SALU_CYCLE_1)
	v_cndmask_b32_e64 v9, 0, 1, s4
	s_and_b32 s4, s10, s18
	v_cndmask_b32_e64 v10, 0, 1, s4
	s_and_b32 s4, s6, s22
	s_delay_alu instid0(VALU_DEP_2)
	v_cmp_ne_u32_e64 s5, 0, v9
	v_cndmask_b32_e64 v11, 0, 1, s4
	v_cmp_ne_u32_e64 s4, 0, v8
	v_cmp_ne_u32_e64 s6, 0, v10
	v_mov_b32_e32 v8, s72
	s_bcnt1_i32_b32 s5, s5
	v_cmp_ne_u32_e64 s7, 0, v11
	s_bcnt1_i32_b32 s4, s4
	s_bcnt1_i32_b32 s6, s6
	s_add_i32 s4, s5, s4
	v_mov_b32_e32 v10, s70
	s_bcnt1_i32_b32 s5, s7
	s_add_i32 s4, s4, s6
	v_mov_b32_e32 v9, s73
	s_add_i32 s4, s4, s5
	v_mov_b32_e32 v11, s71
	s_add_u32 s66, s66, s4
	s_addc_u32 s67, s67, 0
	s_delay_alu instid0(SALU_CYCLE_1) | instskip(SKIP_1) | instid1(SALU_CYCLE_1)
	v_dual_mov_b32 v14, s66 :: v_dual_mov_b32 v15, s67
	s_or_b32 s93, vcc_lo, s93
	s_and_not1_b32 exec_lo, exec_lo, s93
	s_cbranch_execnz .LBB117_66
; %bb.67:                               ;   in Loop: Header=BB117_27 Depth=1
	s_or_b32 exec_lo, exec_lo, s93
.LBB117_68:                             ;   in Loop: Header=BB117_27 Depth=1
	s_delay_alu instid0(SALU_CYCLE_1) | instskip(SKIP_4) | instid1(VALU_DEP_3)
	s_or_b32 exec_lo, exec_lo, s56
	v_add_co_u32 v4, vcc_lo, v4, v0
	v_add_co_ci_u32_e32 v5, vcc_lo, 0, v5, vcc_lo
	v_mov_b32_e32 v24, 0
	v_dual_mov_b32 v25, 0 :: v_dual_and_b32 v2, 0xffff, v2
	v_cmp_gt_u64_e32 vcc_lo, s[24:25], v[4:5]
	s_and_saveexec_b32 s5, vcc_lo
	s_cbranch_execz .LBB117_70
; %bb.69:                               ;   in Loop: Header=BB117_27 Depth=1
	v_mul_lo_u32 v18, v5, s42
	v_mul_lo_u32 v24, v4, s43
	v_mad_u64_u32 v[22:23], null, v4, s42, 0
	s_delay_alu instid0(VALU_DEP_1) | instskip(NEXT) | instid1(VALU_DEP_1)
	v_add3_u32 v23, v23, v24, v18
	v_lshlrev_b64 v[22:23], 3, v[22:23]
	s_delay_alu instid0(VALU_DEP_1) | instskip(NEXT) | instid1(VALU_DEP_1)
	v_add_co_u32 v22, s4, s33, v22
	v_add_co_ci_u32_e64 v23, s4, s35, v23, s4
	global_load_b64 v[24:25], v[22:23], off
.LBB117_70:                             ;   in Loop: Header=BB117_27 Depth=1
	s_or_b32 exec_lo, exec_lo, s5
	s_and_saveexec_b32 s8, vcc_lo
	s_cbranch_execz .LBB117_77
; %bb.71:                               ;   in Loop: Header=BB117_27 Depth=1
	s_and_b32 s9, s88, 0xfe
	s_mov_b32 s10, 0
	s_branch .LBB117_73
.LBB117_72:                             ;   in Loop: Header=BB117_73 Depth=2
	s_or_b32 exec_lo, exec_lo, s5
	s_waitcnt vmcnt(0)
	v_cmp_o_f64_e64 s4, v[24:25], v[24:25]
	v_ashrrev_i32_e32 v18, 31, v25
	s_and_b32 s6, exec_lo, vcc_lo
	s_delay_alu instid0(SALU_CYCLE_1) | instskip(NEXT) | instid1(VALU_DEP_1)
	s_or_b32 s10, s6, s10
	v_or_b32_e32 v33, 0x80000000, v18
	v_xor_b32_e32 v18, v18, v24
	s_delay_alu instid0(VALU_DEP_2) | instskip(NEXT) | instid1(VALU_DEP_1)
	v_xor_b32_e32 v33, v33, v25
	v_cndmask_b32_e64 v25, -1, v33, s4
	s_delay_alu instid0(VALU_DEP_3) | instskip(NEXT) | instid1(VALU_DEP_1)
	v_cndmask_b32_e64 v24, -1, v18, s4
	v_lshrrev_b64 v[33:34], s9, v[24:25]
	v_and_b32_e32 v25, s63, v25
	v_and_b32_e32 v24, s62, v24
	s_delay_alu instid0(VALU_DEP_3) | instskip(NEXT) | instid1(VALU_DEP_2)
	v_and_b32_e32 v18, 3, v33
	v_cmp_eq_u64_e64 s4, s[60:61], v[24:25]
	s_delay_alu instid0(VALU_DEP_2) | instskip(SKIP_3) | instid1(VALU_DEP_4)
	v_cmp_eq_u64_e64 s5, 0, v[18:19]
	v_cmp_eq_u64_e32 vcc_lo, 1, v[18:19]
	v_cmp_eq_u64_e64 s6, 2, v[18:19]
	v_cmp_eq_u64_e64 s7, 3, v[18:19]
	s_and_b32 s5, s4, s5
	s_delay_alu instid0(SALU_CYCLE_1) | instskip(SKIP_1) | instid1(SALU_CYCLE_1)
	v_cndmask_b32_e64 v18, 0, 1, s5
	s_and_b32 s5, s4, vcc_lo
	v_cndmask_b32_e64 v24, 0, 1, s5
	s_and_b32 s5, s4, s6
	s_delay_alu instid0(VALU_DEP_2) | instskip(SKIP_2) | instid1(SALU_CYCLE_1)
	v_cmp_ne_u32_e32 vcc_lo, 0, v18
	v_cndmask_b32_e64 v25, 0, 1, s5
	s_and_b32 s4, s4, s7
	v_cndmask_b32_e64 v33, 0, 1, s4
	v_cmp_ne_u32_e64 s4, 0, v24
	s_bcnt1_i32_b32 s7, vcc_lo
	v_cmp_ne_u32_e64 s5, 0, v25
	v_mov_b32_e32 v25, v23
	v_add_co_u32 v8, vcc_lo, v8, s7
	s_bcnt1_i32_b32 s4, s4
	v_cmp_ne_u32_e64 s6, 0, v33
	v_add_co_ci_u32_e32 v9, vcc_lo, 0, v9, vcc_lo
	v_add_co_u32 v10, vcc_lo, v10, s4
	s_bcnt1_i32_b32 s5, s5
	v_add_co_ci_u32_e32 v11, vcc_lo, 0, v11, vcc_lo
	v_add_co_u32 v12, vcc_lo, v12, s5
	s_bcnt1_i32_b32 s6, s6
	v_add_co_ci_u32_e32 v13, vcc_lo, 0, v13, vcc_lo
	v_add_co_u32 v14, vcc_lo, v14, s6
	v_add_co_ci_u32_e32 v15, vcc_lo, 0, v15, vcc_lo
	v_mov_b32_e32 v24, v22
	s_and_not1_b32 exec_lo, exec_lo, s10
	s_cbranch_execz .LBB117_76
.LBB117_73:                             ;   Parent Loop BB117_27 Depth=1
                                        ; =>  This Inner Loop Header: Depth=2
	v_add_co_u32 v4, vcc_lo, v4, v2
	v_add_co_ci_u32_e32 v5, vcc_lo, 0, v5, vcc_lo
	v_mov_b32_e32 v22, 0
	v_mov_b32_e32 v23, 0
	s_mov_b32 s5, exec_lo
	s_delay_alu instid0(VALU_DEP_3)
	v_cmp_le_u64_e32 vcc_lo, s[24:25], v[4:5]
	v_cmpx_gt_u64_e64 s[24:25], v[4:5]
	s_cbranch_execz .LBB117_72
; %bb.74:                               ;   in Loop: Header=BB117_73 Depth=2
	v_mul_lo_u32 v18, v5, s42
	v_mul_lo_u32 v33, v4, s43
	v_mad_u64_u32 v[22:23], null, v4, s42, 0
	s_delay_alu instid0(VALU_DEP_1) | instskip(NEXT) | instid1(VALU_DEP_1)
	v_add3_u32 v23, v23, v33, v18
	v_lshlrev_b64 v[22:23], 3, v[22:23]
	s_delay_alu instid0(VALU_DEP_1) | instskip(NEXT) | instid1(VALU_DEP_1)
	v_add_co_u32 v22, s4, s33, v22
	v_add_co_ci_u32_e64 v23, s4, s35, v23, s4
	global_load_b64 v[22:23], v[22:23], off
	s_branch .LBB117_72
.LBB117_75:                             ;   in Loop: Header=BB117_27 Depth=1
                                        ; implicit-def: $vgpr14_vgpr15
                                        ; implicit-def: $vgpr10_vgpr11
	s_cbranch_execnz .LBB117_78
	s_branch .LBB117_87
.LBB117_76:                             ;   in Loop: Header=BB117_27 Depth=1
	s_or_b32 exec_lo, exec_lo, s10
.LBB117_77:                             ;   in Loop: Header=BB117_27 Depth=1
	s_delay_alu instid0(SALU_CYCLE_1)
	s_or_b32 exec_lo, exec_lo, s8
	s_branch .LBB117_87
.LBB117_78:                             ;   in Loop: Header=BB117_27 Depth=1
	global_load_u16 v2, v19, s[58:59]
	v_mov_b32_e32 v8, 0
	s_mov_b64 s[66:67], 0
	s_mov_b32 s65, exec_lo
	v_mov_b32_e32 v9, 0
	s_delay_alu instid0(VALU_DEP_1)
	v_mov_b32_e32 v15, v9
	v_dual_mov_b32 v11, v9 :: v_dual_mov_b32 v10, v8
	v_dual_mov_b32 v13, v9 :: v_dual_mov_b32 v12, v8
	v_mov_b32_e32 v14, v8
	s_waitcnt vmcnt(0)
	v_readfirstlane_b32 s4, v2
	v_and_b32_e32 v2, 0xffff, v2
	s_delay_alu instid0(VALU_DEP_2) | instskip(NEXT) | instid1(SALU_CYCLE_1)
	s_and_b32 s4, 0xffff, s4
	s_lshl_b32 s56, s4, 2
	s_delay_alu instid0(SALU_CYCLE_1) | instskip(SKIP_1) | instid1(VALU_DEP_1)
	v_cvt_f32_u32_e32 v4, s56
	s_sub_i32 s5, 0, s56
	v_rcp_iflag_f32_e32 v4, v4
	s_waitcnt_depctr 0xfff
	v_mul_f32_e32 v4, 0x4f7ffffe, v4
	s_delay_alu instid0(VALU_DEP_1) | instskip(NEXT) | instid1(VALU_DEP_1)
	v_cvt_u32_f32_e32 v4, v4
	v_readfirstlane_b32 s4, v4
	s_delay_alu instid0(VALU_DEP_1) | instskip(NEXT) | instid1(SALU_CYCLE_1)
	s_mul_i32 s5, s5, s4
	s_mul_hi_u32 s5, s4, s5
	s_delay_alu instid0(SALU_CYCLE_1) | instskip(NEXT) | instid1(SALU_CYCLE_1)
	s_add_i32 s4, s4, s5
	s_mul_hi_u32 s4, s64, s4
	s_delay_alu instid0(SALU_CYCLE_1) | instskip(NEXT) | instid1(SALU_CYCLE_1)
	s_mul_i32 s4, s4, s56
	s_sub_i32 s4, s64, s4
	s_delay_alu instid0(SALU_CYCLE_1) | instskip(SKIP_2) | instid1(SALU_CYCLE_1)
	s_sub_i32 s5, s4, s56
	s_cmp_ge_u32 s4, s56
	s_cselect_b32 s4, s5, s4
	s_sub_i32 s5, s4, s56
	s_cmp_ge_u32 s4, s56
	s_cselect_b32 s4, s5, s4
	s_delay_alu instid0(SALU_CYCLE_1) | instskip(NEXT) | instid1(SALU_CYCLE_1)
	s_sub_i32 s54, s64, s4
	v_cmpx_gt_u32_e64 s54, v16
	s_cbranch_execz .LBB117_82
; %bb.79:                               ;   in Loop: Header=BB117_27 Depth=1
	v_dual_mov_b32 v23, v31 :: v_dual_lshlrev_b32 v22, 5, v2
	v_dual_mov_b32 v4, v16 :: v_dual_mov_b32 v5, v17
	s_and_b32 s93, s88, 0xfe
	s_mov_b32 s94, 0
	s_mov_b64 s[68:69], 0
	s_mov_b64 s[70:71], 0
	;; [unrolled: 1-line block ×3, first 2 shown]
.LBB117_80:                             ;   Parent Loop BB117_27 Depth=1
                                        ; =>  This Inner Loop Header: Depth=2
	ds_load_b128 v[8:11], v23
	ds_load_b128 v[12:15], v23 offset:16
	v_add_co_u32 v4, vcc_lo, v4, s56
	v_add_co_ci_u32_e32 v5, vcc_lo, 0, v5, vcc_lo
	s_delay_alu instid0(VALU_DEP_1)
	v_cmp_le_u64_e32 vcc_lo, s[54:55], v[4:5]
	s_waitcnt lgkmcnt(1)
	v_cmp_o_f64_e64 s5, v[8:9], v[8:9]
	s_waitcnt lgkmcnt(0)
	v_cmp_o_f64_e64 s7, v[14:15], v[14:15]
	v_cmp_o_f64_e64 s4, v[10:11], v[10:11]
	;; [unrolled: 1-line block ×3, first 2 shown]
	v_ashrrev_i32_e32 v18, 31, v9
	v_ashrrev_i32_e32 v35, 31, v15
	;; [unrolled: 1-line block ×4, first 2 shown]
	s_delay_alu instid0(VALU_DEP_4) | instskip(NEXT) | instid1(VALU_DEP_4)
	v_or_b32_e32 v37, 0x80000000, v18
	v_or_b32_e32 v40, 0x80000000, v35
	s_delay_alu instid0(VALU_DEP_4) | instskip(NEXT) | instid1(VALU_DEP_4)
	v_or_b32_e32 v38, 0x80000000, v24
	v_or_b32_e32 v39, 0x80000000, v33
	v_xor_b32_e32 v18, v18, v8
	v_xor_b32_e32 v37, v37, v9
	;; [unrolled: 1-line block ×8, first 2 shown]
	v_cndmask_b32_e64 v9, -1, v37, s5
	v_cndmask_b32_e64 v15, -1, v8, s7
	v_cndmask_b32_e64 v8, -1, v18, s5
	v_cndmask_b32_e64 v11, -1, v38, s4
	v_cndmask_b32_e64 v13, -1, v10, s6
	v_cndmask_b32_e64 v10, -1, v24, s4
	v_cndmask_b32_e64 v12, -1, v33, s6
	v_dual_mov_b32 v25, v19 :: v_dual_and_b32 v38, s63, v9
	v_dual_mov_b32 v34, v19 :: v_dual_and_b32 v37, s62, v8
	v_lshrrev_b64 v[8:9], s93, v[8:9]
	v_cndmask_b32_e64 v14, -1, v35, s7
	v_dual_mov_b32 v36, v19 :: v_dual_and_b32 v39, s62, v10
	v_lshrrev_b64 v[9:10], s93, v[10:11]
	v_and_b32_e32 v40, s63, v11
	v_lshrrev_b64 v[10:11], s93, v[12:13]
	v_and_b32_e32 v41, s62, v12
	;; [unrolled: 2-line block ×3, first 2 shown]
	v_and_b32_e32 v24, 3, v9
	v_and_b32_e32 v42, s63, v13
	;; [unrolled: 1-line block ×3, first 2 shown]
	v_cmp_eq_u64_e64 s4, s[60:61], v[37:38]
	v_cmp_eq_u64_e64 s8, 0, v[18:19]
	v_and_b32_e32 v44, s63, v15
	v_and_b32_e32 v43, s62, v14
	;; [unrolled: 1-line block ×3, first 2 shown]
	v_cmp_eq_u64_e64 s5, s[60:61], v[39:40]
	v_cmp_eq_u64_e64 s9, 0, v[24:25]
	;; [unrolled: 1-line block ×6, first 2 shown]
	s_and_b32 s8, s4, s8
	v_cmp_eq_u64_e64 s12, 1, v[18:19]
	v_cndmask_b32_e64 v8, 0, 1, s8
	s_and_b32 s8, s5, s9
	v_cmp_eq_u64_e64 s13, 1, v[24:25]
	v_cndmask_b32_e64 v9, 0, 1, s8
	;; [unrolled: 3-line block ×3, first 2 shown]
	s_and_b32 s8, s7, s11
	v_cmp_ne_u32_e64 s9, 0, v9
	v_cndmask_b32_e64 v11, 0, 1, s8
	v_cmp_ne_u32_e64 s8, 0, v8
	v_cmp_ne_u32_e64 s10, 0, v10
	v_cmp_eq_u64_e64 s15, 1, v[35:36]
	s_bcnt1_i32_b32 s9, s9
	v_cmp_ne_u32_e64 s11, 0, v11
	s_bcnt1_i32_b32 s8, s8
	s_bcnt1_i32_b32 s10, s10
	s_add_i32 s8, s9, s8
	v_cmp_eq_u64_e64 s16, 2, v[18:19]
	s_bcnt1_i32_b32 s11, s11
	s_add_i32 s8, s8, s10
	v_cmp_eq_u64_e64 s17, 2, v[24:25]
	s_add_i32 s8, s8, s11
	v_cmp_eq_u64_e64 s18, 2, v[33:34]
	s_add_u32 s72, s72, s8
	s_addc_u32 s73, s73, 0
	s_and_b32 s8, s4, s12
	v_cmp_eq_u64_e64 s19, 2, v[35:36]
	v_cndmask_b32_e64 v8, 0, 1, s8
	s_and_b32 s8, s5, s13
	v_cmp_eq_u64_e64 s20, 3, v[18:19]
	v_cndmask_b32_e64 v9, 0, 1, s8
	;; [unrolled: 3-line block ×3, first 2 shown]
	s_and_b32 s8, s7, s15
	v_cmp_ne_u32_e64 s9, 0, v9
	v_cndmask_b32_e64 v11, 0, 1, s8
	v_cmp_ne_u32_e64 s8, 0, v8
	v_cmp_ne_u32_e64 s10, 0, v10
	v_cmp_eq_u64_e64 s22, 3, v[33:34]
	s_bcnt1_i32_b32 s9, s9
	v_cmp_ne_u32_e64 s11, 0, v11
	s_bcnt1_i32_b32 s8, s8
	s_bcnt1_i32_b32 s10, s10
	s_add_i32 s8, s9, s8
	v_cmp_eq_u64_e64 s23, 3, v[35:36]
	s_bcnt1_i32_b32 s11, s11
	s_add_i32 s8, s8, s10
	v_add_nc_u32_e32 v23, v23, v22
	s_add_i32 s8, s8, s11
	s_delay_alu instid0(SALU_CYCLE_1) | instskip(SKIP_2) | instid1(SALU_CYCLE_1)
	s_add_u32 s70, s70, s8
	s_addc_u32 s71, s71, 0
	s_and_b32 s8, s4, s16
	v_cndmask_b32_e64 v8, 0, 1, s8
	s_and_b32 s8, s5, s17
	s_delay_alu instid0(SALU_CYCLE_1) | instskip(SKIP_1) | instid1(SALU_CYCLE_1)
	v_cndmask_b32_e64 v9, 0, 1, s8
	s_and_b32 s8, s6, s18
	v_cndmask_b32_e64 v10, 0, 1, s8
	s_and_b32 s8, s7, s19
	s_delay_alu instid0(VALU_DEP_2) | instskip(SKIP_3) | instid1(VALU_DEP_4)
	v_cmp_ne_u32_e64 s9, 0, v9
	v_cndmask_b32_e64 v11, 0, 1, s8
	v_cmp_ne_u32_e64 s8, 0, v8
	v_cmp_ne_u32_e64 s10, 0, v10
	s_bcnt1_i32_b32 s9, s9
	s_delay_alu instid0(VALU_DEP_3) | instskip(NEXT) | instid1(VALU_DEP_3)
	v_cmp_ne_u32_e64 s11, 0, v11
	s_bcnt1_i32_b32 s8, s8
	s_delay_alu instid0(VALU_DEP_2) | instskip(SKIP_1) | instid1(VALU_DEP_1)
	s_bcnt1_i32_b32 s10, s10
	s_add_i32 s8, s9, s8
	s_bcnt1_i32_b32 s11, s11
	s_add_i32 s8, s8, s10
	s_delay_alu instid0(SALU_CYCLE_1) | instskip(NEXT) | instid1(SALU_CYCLE_1)
	s_add_i32 s8, s8, s11
	s_add_u32 s68, s68, s8
	s_addc_u32 s69, s69, 0
	s_and_b32 s4, s4, s20
	v_mov_b32_e32 v12, s68
	v_cndmask_b32_e64 v8, 0, 1, s4
	s_and_b32 s4, s5, s21
	v_mov_b32_e32 v13, s69
	v_cndmask_b32_e64 v9, 0, 1, s4
	s_and_b32 s4, s6, s22
	s_delay_alu instid0(SALU_CYCLE_1) | instskip(SKIP_1) | instid1(VALU_DEP_2)
	v_cndmask_b32_e64 v10, 0, 1, s4
	s_and_b32 s4, s7, s23
	v_cmp_ne_u32_e64 s5, 0, v9
	v_cndmask_b32_e64 v11, 0, 1, s4
	v_cmp_ne_u32_e64 s4, 0, v8
	v_mov_b32_e32 v8, s72
	v_cmp_ne_u32_e64 s6, 0, v10
	s_bcnt1_i32_b32 s5, s5
	v_cmp_ne_u32_e64 s7, 0, v11
	s_bcnt1_i32_b32 s4, s4
	v_mov_b32_e32 v10, s70
	s_bcnt1_i32_b32 s6, s6
	s_add_i32 s4, s5, s4
	s_bcnt1_i32_b32 s5, s7
	s_add_i32 s4, s4, s6
	v_mov_b32_e32 v9, s73
	s_add_i32 s4, s4, s5
	v_mov_b32_e32 v11, s71
	s_add_u32 s66, s66, s4
	s_addc_u32 s67, s67, 0
	s_delay_alu instid0(SALU_CYCLE_1) | instskip(SKIP_1) | instid1(SALU_CYCLE_1)
	v_dual_mov_b32 v14, s66 :: v_dual_mov_b32 v15, s67
	s_or_b32 s94, vcc_lo, s94
	s_and_not1_b32 exec_lo, exec_lo, s94
	s_cbranch_execnz .LBB117_80
; %bb.81:                               ;   in Loop: Header=BB117_27 Depth=1
	s_or_b32 exec_lo, exec_lo, s94
.LBB117_82:                             ;   in Loop: Header=BB117_27 Depth=1
	s_delay_alu instid0(SALU_CYCLE_1) | instskip(SKIP_2) | instid1(VALU_DEP_1)
	s_or_b32 exec_lo, exec_lo, s65
	v_add_nc_u32_e32 v18, s54, v0
	s_mov_b32 s9, exec_lo
	v_cmpx_gt_u32_e64 s64, v18
	s_cbranch_execz .LBB117_86
; %bb.83:                               ;   in Loop: Header=BB117_27 Depth=1
	v_dual_mov_b32 v4, v18 :: v_dual_lshlrev_b32 v23, 3, v2
	v_dual_mov_b32 v5, v19 :: v_dual_lshlrev_b32 v22, 3, v18
	s_mov_b32 s11, 0
	s_and_b32 s10, s64, 0x7fffffff
	s_and_b32 s13, s88, 0xfe
	s_mov_b32 s12, s11
.LBB117_84:                             ;   Parent Loop BB117_27 Depth=1
                                        ; =>  This Inner Loop Header: Depth=2
	ds_load_b64 v[24:25], v22
	v_add_co_u32 v4, s4, v4, v2
	s_delay_alu instid0(VALU_DEP_1) | instskip(NEXT) | instid1(VALU_DEP_1)
	v_add_co_ci_u32_e64 v5, s4, 0, v5, s4
	v_cmp_le_u64_e64 s4, s[10:11], v[4:5]
	s_waitcnt lgkmcnt(0)
	v_cmp_o_f64_e32 vcc_lo, v[24:25], v[24:25]
	v_ashrrev_i32_e32 v18, 31, v25
	s_delay_alu instid0(VALU_DEP_1) | instskip(SKIP_1) | instid1(VALU_DEP_2)
	v_or_b32_e32 v33, 0x80000000, v18
	v_xor_b32_e32 v18, v18, v24
	v_xor_b32_e32 v33, v33, v25
	s_delay_alu instid0(VALU_DEP_1) | instskip(NEXT) | instid1(VALU_DEP_3)
	v_dual_cndmask_b32 v25, -1, v33 :: v_dual_add_nc_u32 v22, v22, v23
	v_cndmask_b32_e32 v24, -1, v18, vcc_lo
	s_delay_alu instid0(VALU_DEP_2) | instskip(NEXT) | instid1(VALU_DEP_2)
	v_and_b32_e32 v34, s63, v25
	v_and_b32_e32 v33, s62, v24
	v_lshrrev_b64 v[24:25], s13, v[24:25]
	s_delay_alu instid0(VALU_DEP_2) | instskip(NEXT) | instid1(VALU_DEP_2)
	v_cmp_eq_u64_e32 vcc_lo, s[60:61], v[33:34]
	v_and_b32_e32 v18, 3, v24
	s_delay_alu instid0(VALU_DEP_1) | instskip(SKIP_3) | instid1(VALU_DEP_4)
	v_cmp_eq_u64_e64 s5, 0, v[18:19]
	v_cmp_eq_u64_e64 s6, 1, v[18:19]
	v_cmp_eq_u64_e64 s7, 2, v[18:19]
	v_cmp_eq_u64_e64 s8, 3, v[18:19]
	s_and_b32 s5, vcc_lo, s5
	s_delay_alu instid0(SALU_CYCLE_1) | instskip(NEXT) | instid1(VALU_DEP_4)
	v_cndmask_b32_e64 v18, 0, 1, s5
	s_and_b32 s5, vcc_lo, s6
	s_delay_alu instid0(SALU_CYCLE_1) | instskip(SKIP_1) | instid1(SALU_CYCLE_1)
	v_cndmask_b32_e64 v24, 0, 1, s5
	s_and_b32 s5, vcc_lo, s7
	v_cndmask_b32_e64 v25, 0, 1, s5
	s_and_b32 s5, vcc_lo, s8
	v_cmp_ne_u32_e32 vcc_lo, 0, v18
	v_cndmask_b32_e64 v33, 0, 1, s5
	v_cmp_ne_u32_e64 s5, 0, v24
	v_cmp_ne_u32_e64 s6, 0, v25
	s_bcnt1_i32_b32 s8, vcc_lo
	s_delay_alu instid0(VALU_DEP_3)
	v_cmp_ne_u32_e64 s7, 0, v33
	v_add_co_u32 v8, vcc_lo, v8, s8
	s_bcnt1_i32_b32 s5, s5
	v_add_co_ci_u32_e32 v9, vcc_lo, 0, v9, vcc_lo
	v_add_co_u32 v10, vcc_lo, v10, s5
	s_bcnt1_i32_b32 s6, s6
	v_add_co_ci_u32_e32 v11, vcc_lo, 0, v11, vcc_lo
	;; [unrolled: 3-line block ×3, first 2 shown]
	v_add_co_u32 v14, vcc_lo, v14, s7
	v_add_co_ci_u32_e32 v15, vcc_lo, 0, v15, vcc_lo
	s_or_b32 s12, s4, s12
	s_delay_alu instid0(SALU_CYCLE_1)
	s_and_not1_b32 exec_lo, exec_lo, s12
	s_cbranch_execnz .LBB117_84
; %bb.85:                               ;   in Loop: Header=BB117_27 Depth=1
	s_or_b32 exec_lo, exec_lo, s12
.LBB117_86:                             ;   in Loop: Header=BB117_27 Depth=1
	s_delay_alu instid0(SALU_CYCLE_1)
	s_or_b32 exec_lo, exec_lo, s9
.LBB117_87:                             ;   in Loop: Header=BB117_27 Depth=1
	s_lshl_b32 s4, s91, 7
	s_and_saveexec_b32 s5, s1
	s_cbranch_execz .LBB117_89
; %bb.88:                               ;   in Loop: Header=BB117_27 Depth=1
	v_or_b32_e32 v2, s4, v29
	s_delay_alu instid0(VALU_DEP_1)
	v_lshlrev_b32_e32 v2, 3, v2
	ds_store_b128 v2, v[8:11] offset:3072
	ds_store_b128 v2, v[12:15] offset:3088
.LBB117_89:                             ;   in Loop: Header=BB117_27 Depth=1
	s_or_b32 exec_lo, exec_lo, s5
	s_waitcnt vmcnt(0) lgkmcnt(0)
	s_barrier
	buffer_gl0_inv
	s_and_saveexec_b32 s5, s74
	s_cbranch_execz .LBB117_100
; %bb.90:                               ;   in Loop: Header=BB117_27 Depth=1
	v_mov_b32_e32 v4, 0
	v_mov_b32_e32 v5, 0
	s_and_not1_b32 vcc_lo, exec_lo, s81
	s_cbranch_vccnz .LBB117_99
; %bb.91:                               ;   in Loop: Header=BB117_27 Depth=1
	v_mov_b32_e32 v4, 0
	v_mov_b32_e32 v5, 0
	s_and_not1_b32 vcc_lo, exec_lo, s79
	s_cbranch_vccnz .LBB117_96
; %bb.92:                               ;   in Loop: Header=BB117_27 Depth=1
	v_lshl_add_u32 v2, s91, 10, v32
	s_mov_b32 s6, 0
	s_set_inst_prefetch_distance 0x1
	.p2align	6
.LBB117_93:                             ;   Parent Loop BB117_27 Depth=1
                                        ; =>  This Inner Loop Header: Depth=2
	ds_load_2addr_b64 v[8:11], v2 offset1:4
	ds_load_2addr_b64 v[12:15], v2 offset0:8 offset1:12
	ds_load_2addr_b64 v[22:25], v2 offset0:16 offset1:20
	s_add_i32 s6, s6, 8
	s_delay_alu instid0(SALU_CYCLE_1) | instskip(SKIP_3) | instid1(VALU_DEP_2)
	s_cmp_eq_u32 s80, s6
	s_waitcnt lgkmcnt(2)
	v_add_co_u32 v4, vcc_lo, v8, v4
	v_add_co_ci_u32_e32 v5, vcc_lo, v9, v5, vcc_lo
	v_add_co_u32 v4, vcc_lo, v10, v4
	s_delay_alu instid0(VALU_DEP_2)
	v_add_co_ci_u32_e32 v5, vcc_lo, v11, v5, vcc_lo
	ds_load_2addr_b64 v[8:11], v2 offset0:24 offset1:28
	s_waitcnt lgkmcnt(2)
	v_add_co_u32 v4, vcc_lo, v12, v4
	v_add_co_ci_u32_e32 v5, vcc_lo, v13, v5, vcc_lo
	v_add_nc_u32_e32 v2, 0x100, v2
	s_delay_alu instid0(VALU_DEP_3) | instskip(NEXT) | instid1(VALU_DEP_3)
	v_add_co_u32 v4, vcc_lo, v14, v4
	v_add_co_ci_u32_e32 v5, vcc_lo, v15, v5, vcc_lo
	s_waitcnt lgkmcnt(1)
	s_delay_alu instid0(VALU_DEP_2) | instskip(NEXT) | instid1(VALU_DEP_2)
	v_add_co_u32 v4, vcc_lo, v22, v4
	v_add_co_ci_u32_e32 v5, vcc_lo, v23, v5, vcc_lo
	s_delay_alu instid0(VALU_DEP_2) | instskip(NEXT) | instid1(VALU_DEP_2)
	v_add_co_u32 v4, vcc_lo, v24, v4
	v_add_co_ci_u32_e32 v5, vcc_lo, v25, v5, vcc_lo
	s_waitcnt lgkmcnt(0)
	s_delay_alu instid0(VALU_DEP_2) | instskip(NEXT) | instid1(VALU_DEP_2)
	v_add_co_u32 v4, vcc_lo, v8, v4
	v_add_co_ci_u32_e32 v5, vcc_lo, v9, v5, vcc_lo
	s_delay_alu instid0(VALU_DEP_2) | instskip(NEXT) | instid1(VALU_DEP_2)
	v_add_co_u32 v4, vcc_lo, v10, v4
	v_add_co_ci_u32_e32 v5, vcc_lo, v11, v5, vcc_lo
	s_cbranch_scc0 .LBB117_93
; %bb.94:                               ;   in Loop: Header=BB117_27 Depth=1
	s_set_inst_prefetch_distance 0x2
	s_mov_b32 s6, s80
	s_and_not1_b32 vcc_lo, exec_lo, s82
	s_cbranch_vccz .LBB117_97
	s_branch .LBB117_99
.LBB117_95:                             ;   in Loop: Header=BB117_27 Depth=1
                                        ; implicit-def: $vgpr4_vgpr5
	s_branch .LBB117_63
.LBB117_96:                             ;   in Loop: Header=BB117_27 Depth=1
	s_mov_b32 s6, 0
	s_and_not1_b32 vcc_lo, exec_lo, s82
	s_cbranch_vccnz .LBB117_99
.LBB117_97:                             ;   in Loop: Header=BB117_27 Depth=1
	s_lshl_b32 s7, s91, 10
	s_lshl_b32 s6, s6, 5
	s_delay_alu instid0(SALU_CYCLE_1)
	v_add3_u32 v2, s7, s6, v32
	s_mov_b32 s6, s78
.LBB117_98:                             ;   Parent Loop BB117_27 Depth=1
                                        ; =>  This Inner Loop Header: Depth=2
	ds_load_b64 v[8:9], v2
	v_add_nc_u32_e32 v2, 32, v2
	s_add_i32 s6, s6, -1
	s_delay_alu instid0(SALU_CYCLE_1)
	s_cmp_lg_u32 s6, 0
	s_waitcnt lgkmcnt(0)
	v_add_co_u32 v4, vcc_lo, v8, v4
	v_add_co_ci_u32_e32 v5, vcc_lo, v9, v5, vcc_lo
	s_cbranch_scc1 .LBB117_98
.LBB117_99:                             ;   in Loop: Header=BB117_27 Depth=1
	v_add_lshl_u32 v2, s4, v26, 3
	ds_store_b64 v2, v[4:5] offset:3072
.LBB117_100:                            ;   in Loop: Header=BB117_27 Depth=1
	s_or_b32 exec_lo, exec_lo, s5
	s_lshl_b32 s4, s4, 3
	s_waitcnt lgkmcnt(0)
	v_mov_b32_e32 v2, s4
	s_barrier
	buffer_gl0_inv
	s_and_b32 s21, s88, 0xfe
	s_mov_b32 s22, -1
	ds_load_b128 v[8:11], v2 offset:3072
	ds_load_b128 v[12:15], v2 offset:3088
	s_lshl_b64 s[8:9], 3, s21
	s_delay_alu instid0(SALU_CYCLE_1)
	s_not_b64 s[12:13], s[8:9]
	s_waitcnt lgkmcnt(1)
	v_readfirstlane_b32 s17, v9
	v_readfirstlane_b32 s16, v8
	;; [unrolled: 1-line block ×4, first 2 shown]
	s_waitcnt lgkmcnt(0)
	v_readfirstlane_b32 s10, v12
	v_readfirstlane_b32 s11, v13
	s_cmp_eq_u64 s[16:17], 1
	v_readfirstlane_b32 s6, v14
	s_cselect_b32 s4, -1, 0
	s_cmp_eq_u64 s[52:53], 1
	v_readfirstlane_b32 s7, v15
	s_cselect_b32 s5, -1, 0
	s_delay_alu instid0(SALU_CYCLE_1) | instskip(NEXT) | instid1(SALU_CYCLE_1)
	s_and_b32 s23, s4, s5
	s_and_b32 vcc_lo, exec_lo, s23
	s_cbranch_vccz .LBB117_115
; %bb.101:                              ;   in Loop: Header=BB117_27 Depth=1
	ds_load_b64 v[4:5], v19 offset:5120
	s_waitcnt lgkmcnt(0)
	s_barrier
	buffer_gl0_inv
	v_readfirstlane_b32 s18, v4
	v_readfirstlane_b32 s19, v5
	s_and_saveexec_b32 s4, s0
	s_cbranch_execz .LBB117_103
; %bb.102:                              ;   in Loop: Header=BB117_27 Depth=1
	v_mov_b32_e32 v18, v19
	ds_store_b64 v28, v[18:19]
.LBB117_103:                            ;   in Loop: Header=BB117_27 Depth=1
	s_or_b32 exec_lo, exec_lo, s4
	s_and_b64 s[60:61], s[60:61], s[12:13]
	s_or_b64 s[62:63], s[62:63], s[8:9]
	s_cmp_eq_u64 s[18:19], 0
	s_waitcnt lgkmcnt(0)
	s_barrier
	buffer_gl0_inv
	s_cbranch_scc1 .LBB117_116
; %bb.104:                              ;   in Loop: Header=BB117_27 Depth=1
	s_add_u32 s20, s75, s18
	s_addc_u32 s5, s76, s19
	s_mov_b32 s4, s55
	s_delay_alu instid0(SALU_CYCLE_1)
	s_cmp_lg_u64 s[4:5], 0
	s_cbranch_scc0 .LBB117_161
; %bb.105:                              ;   in Loop: Header=BB117_27 Depth=1
	v_cvt_f32_u32_e32 v2, s41
	s_sub_u32 s56, 0, s41
	s_subb_u32 s64, 0, 0
	s_delay_alu instid0(VALU_DEP_1) | instskip(NEXT) | instid1(VALU_DEP_1)
	v_fmac_f32_e64 v2, 0, 0x4f800000
	v_rcp_f32_e32 v2, v2
	s_waitcnt_depctr 0xfff
	v_mul_f32_e32 v2, 0x5f7ffffc, v2
	s_delay_alu instid0(VALU_DEP_1) | instskip(NEXT) | instid1(VALU_DEP_1)
	v_mul_f32_e32 v4, 0x2f800000, v2
	v_trunc_f32_e32 v4, v4
	s_delay_alu instid0(VALU_DEP_1) | instskip(SKIP_1) | instid1(VALU_DEP_2)
	v_fmac_f32_e32 v2, 0xcf800000, v4
	v_cvt_u32_f32_e32 v4, v4
	v_cvt_u32_f32_e32 v2, v2
	s_delay_alu instid0(VALU_DEP_2) | instskip(NEXT) | instid1(VALU_DEP_2)
	v_readfirstlane_b32 s4, v4
	v_readfirstlane_b32 s54, v2
	s_delay_alu instid0(VALU_DEP_2) | instskip(NEXT) | instid1(VALU_DEP_1)
	s_mul_i32 s65, s56, s4
	s_mul_hi_u32 s67, s56, s54
	s_mul_i32 s66, s64, s54
	s_add_i32 s65, s67, s65
	s_mul_i32 s68, s56, s54
	s_add_i32 s65, s65, s66
	s_mul_hi_u32 s67, s54, s68
	s_mul_hi_u32 s69, s4, s68
	s_mul_i32 s66, s4, s68
	s_mul_hi_u32 s68, s54, s65
	s_mul_i32 s54, s54, s65
	s_mul_hi_u32 s70, s4, s65
	s_add_u32 s54, s67, s54
	s_addc_u32 s67, 0, s68
	s_add_u32 s54, s54, s66
	s_mul_i32 s65, s4, s65
	s_addc_u32 s54, s67, s69
	s_addc_u32 s66, s70, 0
	s_add_u32 s54, s54, s65
	s_addc_u32 s65, 0, s66
	v_add_co_u32 v2, s54, v2, s54
	s_delay_alu instid0(VALU_DEP_1) | instskip(SKIP_1) | instid1(VALU_DEP_1)
	s_cmp_lg_u32 s54, 0
	s_addc_u32 s4, s4, s65
	v_readfirstlane_b32 s54, v2
	s_mul_i32 s65, s56, s4
	s_delay_alu instid0(VALU_DEP_1)
	s_mul_hi_u32 s66, s56, s54
	s_mul_i32 s64, s64, s54
	s_add_i32 s65, s66, s65
	s_mul_i32 s56, s56, s54
	s_add_i32 s65, s65, s64
	s_mul_hi_u32 s66, s4, s56
	s_mul_i32 s67, s4, s56
	s_mul_hi_u32 s56, s54, s56
	s_mul_hi_u32 s68, s54, s65
	s_mul_i32 s54, s54, s65
	s_mul_hi_u32 s64, s4, s65
	s_add_u32 s54, s56, s54
	s_addc_u32 s56, 0, s68
	s_add_u32 s54, s54, s67
	s_mul_i32 s65, s4, s65
	s_addc_u32 s54, s56, s66
	s_addc_u32 s56, s64, 0
	s_add_u32 s54, s54, s65
	s_addc_u32 s56, 0, s56
	v_add_co_u32 v2, s54, v2, s54
	s_delay_alu instid0(VALU_DEP_1) | instskip(SKIP_1) | instid1(VALU_DEP_1)
	s_cmp_lg_u32 s54, 0
	s_addc_u32 s4, s4, s56
	v_readfirstlane_b32 s54, v2
	s_mul_i32 s64, s20, s4
	s_mul_hi_u32 s56, s20, s4
	s_mul_hi_u32 s65, s5, s4
	s_mul_i32 s4, s5, s4
	s_mul_hi_u32 s66, s20, s54
	s_mul_hi_u32 s67, s5, s54
	s_mul_i32 s54, s5, s54
	s_add_u32 s64, s66, s64
	s_addc_u32 s56, 0, s56
	s_add_u32 s54, s64, s54
	s_addc_u32 s54, s56, s67
	s_addc_u32 s56, s65, 0
	s_add_u32 s4, s54, s4
	s_addc_u32 s54, 0, s56
	s_mul_hi_u32 s56, s41, s4
	s_mul_i32 s4, s41, s4
	s_mul_i32 s54, s41, s54
	v_sub_co_u32 v2, s4, s20, s4
	s_add_i32 s56, s56, s54
	s_cmp_lg_u32 s4, 0
	s_delay_alu instid0(VALU_DEP_1) | instskip(SKIP_2) | instid1(VALU_DEP_1)
	v_sub_co_u32 v4, s4, v2, s41
	s_subb_u32 s54, s5, s56
	s_cmp_lg_u32 s4, 0
	v_cmp_le_u32_e32 vcc_lo, s41, v4
	v_sub_co_u32 v5, s4, v4, s41
	s_subb_u32 s56, s54, 0
	s_cmp_lg_u32 s4, 0
	v_cndmask_b32_e64 v6, 0, -1, vcc_lo
	s_subb_u32 s4, s56, 0
	s_cmp_eq_u32 s56, 0
	v_mov_b32_e32 v8, s4
	s_cselect_b32 vcc_lo, -1, 0
	s_cmp_eq_u32 s54, 0
	v_cndmask_b32_e32 v6, -1, v6, vcc_lo
	v_cmp_le_u32_e32 vcc_lo, s41, v2
	s_cselect_b32 s4, -1, 0
	v_cndmask_b32_e64 v7, 0, -1, vcc_lo
	s_delay_alu instid0(VALU_DEP_3) | instskip(NEXT) | instid1(VALU_DEP_2)
	v_cmp_ne_u32_e32 vcc_lo, 0, v6
	v_cndmask_b32_e64 v6, -1, v7, s4
	v_cndmask_b32_e32 v7, s56, v8, vcc_lo
	v_cndmask_b32_e32 v4, v4, v5, vcc_lo
	s_delay_alu instid0(VALU_DEP_3) | instskip(NEXT) | instid1(VALU_DEP_3)
	v_cmp_ne_u32_e32 vcc_lo, 0, v6
	v_cndmask_b32_e32 v5, s54, v7, vcc_lo
	s_delay_alu instid0(VALU_DEP_3)
	v_cndmask_b32_e32 v4, v2, v4, vcc_lo
	s_cbranch_execnz .LBB117_107
.LBB117_106:                            ;   in Loop: Header=BB117_27 Depth=1
	v_cvt_f32_u32_e32 v2, s41
	s_sub_i32 s4, 0, s41
	s_delay_alu instid0(VALU_DEP_1) | instskip(SKIP_2) | instid1(VALU_DEP_1)
	v_rcp_iflag_f32_e32 v2, v2
	s_waitcnt_depctr 0xfff
	v_mul_f32_e32 v2, 0x4f7ffffe, v2
	v_cvt_u32_f32_e32 v2, v2
	s_delay_alu instid0(VALU_DEP_1) | instskip(NEXT) | instid1(VALU_DEP_1)
	v_mul_lo_u32 v4, s4, v2
	v_mul_hi_u32 v4, v2, v4
	s_delay_alu instid0(VALU_DEP_1) | instskip(NEXT) | instid1(VALU_DEP_1)
	v_add_nc_u32_e32 v2, v2, v4
	v_mul_hi_u32 v2, s20, v2
	s_delay_alu instid0(VALU_DEP_1) | instskip(NEXT) | instid1(VALU_DEP_1)
	v_mul_lo_u32 v2, v2, s41
	v_sub_nc_u32_e32 v2, s20, v2
	s_delay_alu instid0(VALU_DEP_1) | instskip(SKIP_1) | instid1(VALU_DEP_2)
	v_subrev_nc_u32_e32 v4, s41, v2
	v_cmp_le_u32_e32 vcc_lo, s41, v2
	v_cndmask_b32_e32 v2, v2, v4, vcc_lo
	s_delay_alu instid0(VALU_DEP_1) | instskip(SKIP_1) | instid1(VALU_DEP_2)
	v_subrev_nc_u32_e32 v4, s41, v2
	v_cmp_le_u32_e32 vcc_lo, s41, v2
	v_cndmask_b32_e32 v18, v2, v4, vcc_lo
	s_delay_alu instid0(VALU_DEP_1)
	v_dual_mov_b32 v4, v18 :: v_dual_mov_b32 v5, v19
.LBB117_107:                            ;   in Loop: Header=BB117_27 Depth=1
	s_delay_alu instid0(VALU_DEP_1) | instskip(NEXT) | instid1(VALU_DEP_2)
	v_sub_co_u32 v8, vcc_lo, s20, v4
	v_sub_co_ci_u32_e32 v9, vcc_lo, s5, v5, vcc_lo
	s_mov_b32 s4, 0
	s_mov_b32 s5, exec_lo
                                        ; implicit-def: $vgpr6_vgpr7
	s_delay_alu instid0(VALU_DEP_1)
	v_cmpx_gt_u64_e64 v[8:9], v[0:1]
	s_cbranch_execz .LBB117_118
; %bb.108:                              ;   in Loop: Header=BB117_27 Depth=1
	v_dual_mov_b32 v12, v27 :: v_dual_mov_b32 v11, v1
	v_mov_b32_e32 v10, v0
	s_mov_b32 s54, 0
                                        ; implicit-def: $sgpr20
	s_set_inst_prefetch_distance 0x1
	s_branch .LBB117_110
	.p2align	6
.LBB117_109:                            ;   in Loop: Header=BB117_110 Depth=2
	s_or_b32 exec_lo, exec_lo, s4
	s_waitcnt lgkmcnt(0)
	s_barrier
	buffer_gl0_inv
	ds_load_b128 v[4:7], v19 offset:3072
	v_add_co_u32 v10, s4, v10, s41
	s_delay_alu instid0(VALU_DEP_1) | instskip(SKIP_3) | instid1(VALU_DEP_2)
	v_add_co_ci_u32_e64 v11, s4, 0, v11, s4
	v_add_nc_u32_e32 v12, s83, v12
	s_waitcnt lgkmcnt(0)
	s_barrier
	v_cmp_ge_u64_e64 s4, v[10:11], v[8:9]
	buffer_gl0_inv
	v_cmp_neq_f64_e32 vcc_lo, 0, v[4:5]
	s_or_b32 s4, s4, vcc_lo
	s_delay_alu instid0(SALU_CYCLE_1) | instskip(NEXT) | instid1(SALU_CYCLE_1)
	s_and_b32 s4, exec_lo, s4
	s_or_b32 s54, s4, s54
	s_and_not1_b32 s4, s20, exec_lo
	s_and_b32 s20, vcc_lo, exec_lo
	s_delay_alu instid0(SALU_CYCLE_1)
	s_or_b32 s20, s4, s20
	s_and_not1_b32 exec_lo, exec_lo, s54
	s_cbranch_execz .LBB117_117
.LBB117_110:                            ;   Parent Loop BB117_27 Depth=1
                                        ; =>  This Inner Loop Header: Depth=2
	s_delay_alu instid0(VALU_DEP_1)
	v_cmp_gt_u64_e32 vcc_lo, s[18:19], v[10:11]
	v_mov_b32_e32 v4, 0
	v_mov_b32_e32 v5, 0
	s_and_saveexec_b32 s4, vcc_lo
	s_cbranch_execz .LBB117_112
; %bb.111:                              ;   in Loop: Header=BB117_110 Depth=2
	ds_load_b64 v[4:5], v12
.LBB117_112:                            ;   in Loop: Header=BB117_110 Depth=2
	s_or_b32 exec_lo, exec_lo, s4
	s_and_saveexec_b32 s4, vcc_lo
	s_cbranch_execz .LBB117_109
; %bb.113:                              ;   in Loop: Header=BB117_110 Depth=2
	s_waitcnt lgkmcnt(0)
	v_cmp_o_f64_e32 vcc_lo, v[4:5], v[4:5]
	v_ashrrev_i32_e32 v2, 31, v5
	s_delay_alu instid0(VALU_DEP_1) | instskip(SKIP_1) | instid1(VALU_DEP_2)
	v_or_b32_e32 v6, 0x80000000, v2
	v_xor_b32_e32 v2, v2, v4
	v_xor_b32_e32 v6, v6, v5
	s_delay_alu instid0(VALU_DEP_1) | instskip(NEXT) | instid1(VALU_DEP_3)
	v_cndmask_b32_e32 v6, -1, v6, vcc_lo
	v_cndmask_b32_e32 v2, -1, v2, vcc_lo
	s_delay_alu instid0(VALU_DEP_2) | instskip(NEXT) | instid1(VALU_DEP_2)
	v_and_b32_e32 v7, s63, v6
	v_and_b32_e32 v6, s62, v2
	s_delay_alu instid0(VALU_DEP_1)
	v_cmp_eq_u64_e32 vcc_lo, s[60:61], v[6:7]
	s_and_b32 exec_lo, exec_lo, vcc_lo
	s_cbranch_execz .LBB117_109
; %bb.114:                              ;   in Loop: Header=BB117_110 Depth=2
	v_mov_b32_e32 v2, v19
	ds_store_b128 v19, v[2:5] offset:3072
	s_branch .LBB117_109
.LBB117_115:                            ;   in Loop: Header=BB117_27 Depth=1
	s_mov_b32 s4, -1
                                        ; implicit-def: $sgpr5
                                        ; implicit-def: $sgpr19
                                        ; implicit-def: $sgpr18
	s_branch .LBB117_132
.LBB117_116:                            ;   in Loop: Header=BB117_27 Depth=1
	s_mov_b32 s5, -1
	s_mov_b32 s4, 0
                                        ; implicit-def: $sgpr18
                                        ; implicit-def: $vgpr6_vgpr7
	s_mov_b32 s19, s5
	s_cbranch_execnz .LBB117_119
	s_branch .LBB117_132
.LBB117_117:                            ;   in Loop: Header=BB117_27 Depth=1
	s_set_inst_prefetch_distance 0x2
	s_or_b32 exec_lo, exec_lo, s54
	s_delay_alu instid0(SALU_CYCLE_1)
	s_and_b32 s4, s20, exec_lo
.LBB117_118:                            ;   in Loop: Header=BB117_27 Depth=1
	s_or_b32 exec_lo, exec_lo, s5
	s_mov_b32 s18, -1
	s_mov_b32 s5, 0
	s_delay_alu instid0(SALU_CYCLE_1)
	s_mov_b32 s19, s5
	s_branch .LBB117_132
.LBB117_119:                            ;   in Loop: Header=BB117_27 Depth=1
	s_mov_b32 s56, s55
	s_delay_alu instid0(SALU_CYCLE_1)
	s_cmp_lg_u64 s[56:57], 0
	s_cbranch_scc0 .LBB117_162
; %bb.120:                              ;   in Loop: Header=BB117_27 Depth=1
	v_cvt_f32_u32_e32 v2, s41
	s_sub_u32 s18, 0, s41
	s_subb_u32 s19, 0, 0
	s_delay_alu instid0(VALU_DEP_1) | instskip(NEXT) | instid1(VALU_DEP_1)
	v_fmac_f32_e64 v2, 0, 0x4f800000
	v_rcp_f32_e32 v2, v2
	s_waitcnt_depctr 0xfff
	v_mul_f32_e32 v2, 0x5f7ffffc, v2
	s_delay_alu instid0(VALU_DEP_1) | instskip(NEXT) | instid1(VALU_DEP_1)
	v_mul_f32_e32 v4, 0x2f800000, v2
	v_trunc_f32_e32 v4, v4
	s_delay_alu instid0(VALU_DEP_1) | instskip(SKIP_1) | instid1(VALU_DEP_2)
	v_fmac_f32_e32 v2, 0xcf800000, v4
	v_cvt_u32_f32_e32 v4, v4
	v_cvt_u32_f32_e32 v2, v2
	s_delay_alu instid0(VALU_DEP_2) | instskip(NEXT) | instid1(VALU_DEP_2)
	v_readfirstlane_b32 s4, v4
	v_readfirstlane_b32 s5, v2
	s_delay_alu instid0(VALU_DEP_2) | instskip(NEXT) | instid1(VALU_DEP_1)
	s_mul_i32 s20, s18, s4
	s_mul_hi_u32 s56, s18, s5
	s_mul_i32 s54, s19, s5
	s_add_i32 s20, s56, s20
	s_mul_i32 s64, s18, s5
	s_add_i32 s20, s20, s54
	s_mul_hi_u32 s56, s5, s64
	s_mul_hi_u32 s65, s4, s64
	s_mul_i32 s54, s4, s64
	s_mul_hi_u32 s64, s5, s20
	s_mul_i32 s5, s5, s20
	s_mul_hi_u32 s66, s4, s20
	s_add_u32 s5, s56, s5
	s_addc_u32 s56, 0, s64
	s_add_u32 s5, s5, s54
	s_mul_i32 s20, s4, s20
	s_addc_u32 s5, s56, s65
	s_addc_u32 s54, s66, 0
	s_add_u32 s5, s5, s20
	s_addc_u32 s20, 0, s54
	v_add_co_u32 v2, s5, v2, s5
	s_delay_alu instid0(VALU_DEP_1) | instskip(SKIP_1) | instid1(VALU_DEP_1)
	s_cmp_lg_u32 s5, 0
	s_addc_u32 s4, s4, s20
	v_readfirstlane_b32 s5, v2
	s_mul_i32 s20, s18, s4
	s_delay_alu instid0(VALU_DEP_1)
	s_mul_hi_u32 s54, s18, s5
	s_mul_i32 s19, s19, s5
	s_add_i32 s20, s54, s20
	s_mul_i32 s18, s18, s5
	s_add_i32 s20, s20, s19
	s_mul_hi_u32 s54, s4, s18
	s_mul_i32 s56, s4, s18
	s_mul_hi_u32 s18, s5, s18
	s_mul_hi_u32 s64, s5, s20
	s_mul_i32 s5, s5, s20
	s_mul_hi_u32 s19, s4, s20
	s_add_u32 s5, s18, s5
	s_addc_u32 s18, 0, s64
	s_add_u32 s5, s5, s56
	s_mul_i32 s20, s4, s20
	s_addc_u32 s5, s18, s54
	s_addc_u32 s18, s19, 0
	s_add_u32 s5, s5, s20
	s_addc_u32 s18, 0, s18
	v_add_co_u32 v2, s5, v2, s5
	s_delay_alu instid0(VALU_DEP_1) | instskip(SKIP_1) | instid1(VALU_DEP_1)
	s_cmp_lg_u32 s5, 0
	s_addc_u32 s4, s4, s18
	v_readfirstlane_b32 s5, v2
	s_mul_i32 s19, s77, s4
	s_mul_hi_u32 s18, s77, s4
	s_mul_hi_u32 s20, s57, s4
	s_mul_i32 s4, s57, s4
	s_mul_hi_u32 s54, s77, s5
	s_mul_hi_u32 s56, s57, s5
	s_mul_i32 s5, s57, s5
	s_add_u32 s19, s54, s19
	s_addc_u32 s18, 0, s18
	s_add_u32 s5, s19, s5
	s_addc_u32 s5, s18, s56
	s_addc_u32 s18, s20, 0
	s_add_u32 s4, s5, s4
	s_addc_u32 s5, 0, s18
	s_mul_hi_u32 s18, s41, s4
	s_mul_i32 s4, s41, s4
	s_mul_i32 s5, s41, s5
	v_sub_co_u32 v2, s4, s77, s4
	s_add_i32 s18, s18, s5
	s_cmp_lg_u32 s4, 0
	s_delay_alu instid0(VALU_DEP_1) | instskip(SKIP_2) | instid1(VALU_DEP_1)
	v_sub_co_u32 v4, s4, v2, s41
	s_subb_u32 s5, s57, s18
	s_cmp_lg_u32 s4, 0
	v_cmp_le_u32_e32 vcc_lo, s41, v4
	v_sub_co_u32 v5, s4, v4, s41
	s_subb_u32 s18, s5, 0
	s_cmp_lg_u32 s4, 0
	v_cndmask_b32_e64 v6, 0, -1, vcc_lo
	s_subb_u32 s4, s18, 0
	s_cmp_eq_u32 s18, 0
	v_mov_b32_e32 v8, s4
	s_cselect_b32 vcc_lo, -1, 0
	s_cmp_eq_u32 s5, 0
	v_cndmask_b32_e32 v6, -1, v6, vcc_lo
	v_cmp_le_u32_e32 vcc_lo, s41, v2
	s_cselect_b32 s4, -1, 0
	v_cndmask_b32_e64 v7, 0, -1, vcc_lo
	s_delay_alu instid0(VALU_DEP_3) | instskip(NEXT) | instid1(VALU_DEP_2)
	v_cmp_ne_u32_e32 vcc_lo, 0, v6
	v_cndmask_b32_e64 v6, -1, v7, s4
	v_cndmask_b32_e32 v7, s18, v8, vcc_lo
	v_cndmask_b32_e32 v4, v4, v5, vcc_lo
	s_delay_alu instid0(VALU_DEP_3) | instskip(NEXT) | instid1(VALU_DEP_3)
	v_cmp_ne_u32_e32 vcc_lo, 0, v6
	v_cndmask_b32_e32 v5, s5, v7, vcc_lo
	s_delay_alu instid0(VALU_DEP_3)
	v_cndmask_b32_e32 v4, v2, v4, vcc_lo
	s_cbranch_execnz .LBB117_122
.LBB117_121:                            ;   in Loop: Header=BB117_27 Depth=1
	v_cvt_f32_u32_e32 v2, s41
	s_sub_i32 s4, 0, s41
	s_delay_alu instid0(VALU_DEP_1) | instskip(SKIP_2) | instid1(VALU_DEP_1)
	v_rcp_iflag_f32_e32 v2, v2
	s_waitcnt_depctr 0xfff
	v_mul_f32_e32 v2, 0x4f7ffffe, v2
	v_cvt_u32_f32_e32 v2, v2
	s_delay_alu instid0(VALU_DEP_1) | instskip(NEXT) | instid1(VALU_DEP_1)
	v_mul_lo_u32 v4, s4, v2
	v_mul_hi_u32 v4, v2, v4
	s_delay_alu instid0(VALU_DEP_1) | instskip(NEXT) | instid1(VALU_DEP_1)
	v_add_nc_u32_e32 v2, v2, v4
	v_mul_hi_u32 v2, s77, v2
	s_delay_alu instid0(VALU_DEP_1) | instskip(NEXT) | instid1(VALU_DEP_1)
	v_mul_lo_u32 v2, v2, s41
	v_sub_nc_u32_e32 v2, s77, v2
	s_delay_alu instid0(VALU_DEP_1) | instskip(SKIP_1) | instid1(VALU_DEP_2)
	v_subrev_nc_u32_e32 v4, s41, v2
	v_cmp_le_u32_e32 vcc_lo, s41, v2
	v_cndmask_b32_e32 v2, v2, v4, vcc_lo
	s_delay_alu instid0(VALU_DEP_1) | instskip(SKIP_1) | instid1(VALU_DEP_2)
	v_subrev_nc_u32_e32 v4, s41, v2
	v_cmp_le_u32_e32 vcc_lo, s41, v2
	v_cndmask_b32_e32 v18, v2, v4, vcc_lo
	s_delay_alu instid0(VALU_DEP_1)
	v_dual_mov_b32 v4, v18 :: v_dual_mov_b32 v5, v19
.LBB117_122:                            ;   in Loop: Header=BB117_27 Depth=1
	s_delay_alu instid0(VALU_DEP_1) | instskip(NEXT) | instid1(VALU_DEP_2)
	v_sub_co_u32 v8, vcc_lo, s77, v4
	v_sub_co_ci_u32_e32 v9, vcc_lo, s57, v5, vcc_lo
	s_mov_b32 s4, 0
	s_mov_b32 s5, exec_lo
                                        ; implicit-def: $vgpr6_vgpr7
	s_delay_alu instid0(VALU_DEP_1)
	v_cmpx_gt_u64_e64 v[8:9], v[0:1]
	s_cbranch_execz .LBB117_131
; %bb.123:                              ;   in Loop: Header=BB117_27 Depth=1
	v_dual_mov_b32 v11, v1 :: v_dual_mov_b32 v10, v0
	s_mov_b32 s19, 0
                                        ; implicit-def: $sgpr18
	s_branch .LBB117_125
.LBB117_124:                            ;   in Loop: Header=BB117_125 Depth=2
	s_or_b32 exec_lo, exec_lo, s4
	s_waitcnt vmcnt(0) lgkmcnt(0)
	s_barrier
	buffer_gl0_inv
	ds_load_b128 v[4:7], v19 offset:3072
	v_add_co_u32 v10, s4, v10, s41
	s_delay_alu instid0(VALU_DEP_1)
	v_add_co_ci_u32_e64 v11, s4, 0, v11, s4
	s_waitcnt lgkmcnt(0)
	s_barrier
	buffer_gl0_inv
	v_cmp_ge_u64_e64 s4, v[10:11], v[8:9]
	v_cmp_neq_f64_e32 vcc_lo, 0, v[4:5]
	s_delay_alu instid0(VALU_DEP_2) | instskip(NEXT) | instid1(SALU_CYCLE_1)
	s_or_b32 s4, s4, vcc_lo
	s_and_b32 s4, exec_lo, s4
	s_delay_alu instid0(SALU_CYCLE_1) | instskip(SKIP_2) | instid1(SALU_CYCLE_1)
	s_or_b32 s19, s4, s19
	s_and_not1_b32 s4, s18, exec_lo
	s_and_b32 s18, vcc_lo, exec_lo
	s_or_b32 s18, s4, s18
	s_and_not1_b32 exec_lo, exec_lo, s19
	s_cbranch_execz .LBB117_130
.LBB117_125:                            ;   Parent Loop BB117_27 Depth=1
                                        ; =>  This Inner Loop Header: Depth=2
	s_delay_alu instid0(VALU_DEP_1)
	v_cmp_gt_u64_e32 vcc_lo, s[24:25], v[10:11]
	v_mov_b32_e32 v4, 0
	v_mov_b32_e32 v5, 0
	s_and_saveexec_b32 s20, vcc_lo
	s_cbranch_execz .LBB117_127
; %bb.126:                              ;   in Loop: Header=BB117_125 Depth=2
	v_mul_lo_u32 v2, v11, s42
	v_mul_lo_u32 v6, v10, s43
	v_mad_u64_u32 v[4:5], null, v10, s42, 0
	s_delay_alu instid0(VALU_DEP_1) | instskip(NEXT) | instid1(VALU_DEP_1)
	v_add3_u32 v5, v5, v6, v2
	v_lshlrev_b64 v[4:5], 3, v[4:5]
	s_delay_alu instid0(VALU_DEP_1) | instskip(NEXT) | instid1(VALU_DEP_1)
	v_add_co_u32 v4, s4, s33, v4
	v_add_co_ci_u32_e64 v5, s4, s35, v5, s4
	global_load_b64 v[4:5], v[4:5], off
.LBB117_127:                            ;   in Loop: Header=BB117_125 Depth=2
	s_or_b32 exec_lo, exec_lo, s20
	s_and_saveexec_b32 s4, vcc_lo
	s_cbranch_execz .LBB117_124
; %bb.128:                              ;   in Loop: Header=BB117_125 Depth=2
	s_waitcnt vmcnt(0)
	v_cmp_o_f64_e32 vcc_lo, v[4:5], v[4:5]
	v_ashrrev_i32_e32 v2, 31, v5
	s_delay_alu instid0(VALU_DEP_1) | instskip(SKIP_1) | instid1(VALU_DEP_2)
	v_or_b32_e32 v6, 0x80000000, v2
	v_xor_b32_e32 v2, v2, v4
	v_xor_b32_e32 v6, v6, v5
	s_delay_alu instid0(VALU_DEP_1) | instskip(NEXT) | instid1(VALU_DEP_3)
	v_cndmask_b32_e32 v6, -1, v6, vcc_lo
	v_cndmask_b32_e32 v2, -1, v2, vcc_lo
	s_delay_alu instid0(VALU_DEP_2) | instskip(NEXT) | instid1(VALU_DEP_2)
	v_and_b32_e32 v7, s63, v6
	v_and_b32_e32 v6, s62, v2
	s_delay_alu instid0(VALU_DEP_1)
	v_cmp_eq_u64_e32 vcc_lo, s[60:61], v[6:7]
	s_and_b32 exec_lo, exec_lo, vcc_lo
	s_cbranch_execz .LBB117_124
; %bb.129:                              ;   in Loop: Header=BB117_125 Depth=2
	v_mov_b32_e32 v2, v19
	ds_store_b128 v19, v[2:5] offset:3072
	s_branch .LBB117_124
.LBB117_130:                            ;   in Loop: Header=BB117_27 Depth=1
	s_or_b32 exec_lo, exec_lo, s19
	s_delay_alu instid0(SALU_CYCLE_1)
	s_and_b32 s4, s18, exec_lo
.LBB117_131:                            ;   in Loop: Header=BB117_27 Depth=1
	s_or_b32 exec_lo, exec_lo, s5
	s_mov_b32 s19, -1
	s_mov_b32 s5, 0
	s_mov_b32 s18, 0
.LBB117_132:                            ;   in Loop: Header=BB117_27 Depth=1
	s_and_not1_b32 s20, s89, exec_lo
	s_and_b32 s5, s5, exec_lo
	s_and_b32 s19, s19, exec_lo
	s_or_b32 s89, s20, s5
	s_and_not1_b32 s5, s92, exec_lo
	s_and_not1_b32 s20, s90, exec_lo
	s_and_b32 s18, s18, exec_lo
	s_or_b32 s92, s5, s19
	s_or_b32 s90, s20, s18
	s_and_saveexec_b32 s20, s4
	s_cbranch_execz .LBB117_26
; %bb.133:                              ;   in Loop: Header=BB117_27 Depth=1
	s_xor_b32 s4, s23, -1
	s_mov_b32 s56, 1
	s_and_not1_b32 vcc_lo, exec_lo, s4
	s_cbranch_vccnz .LBB117_144
; %bb.134:                              ;   in Loop: Header=BB117_27 Depth=1
	v_cmp_gt_u64_e64 s4, s[52:53], s[16:17]
	s_mov_b32 s22, -1
                                        ; implicit-def: $sgpr56
                                        ; implicit-def: $sgpr18_sgpr19
	s_delay_alu instid0(VALU_DEP_1)
	s_and_b32 vcc_lo, exec_lo, s4
                                        ; implicit-def: $sgpr4_sgpr5
	s_cbranch_vccnz .LBB117_140
; %bb.135:                              ;   in Loop: Header=BB117_27 Depth=1
	ds_load_b64 v[4:5], v19 offset:5120
	s_waitcnt lgkmcnt(0)
	v_cmp_ne_u64_e32 vcc_lo, 0, v[4:5]
	s_cbranch_vccnz .LBB117_139
; %bb.136:                              ;   in Loop: Header=BB117_27 Depth=1
	s_and_saveexec_b32 s4, s3
	s_cbranch_execz .LBB117_138
; %bb.137:                              ;   in Loop: Header=BB117_27 Depth=1
	v_dual_mov_b32 v4, s16 :: v_dual_mov_b32 v5, s17
	ds_store_b64 v19, v[4:5] offset:5128
.LBB117_138:                            ;   in Loop: Header=BB117_27 Depth=1
	s_or_b32 exec_lo, exec_lo, s4
	s_waitcnt lgkmcnt(0)
	s_barrier
	buffer_gl0_inv
.LBB117_139:                            ;   in Loop: Header=BB117_27 Depth=1
	s_and_b64 s[4:5], s[60:61], s[12:13]
	s_or_b64 s[18:19], s[62:63], s[8:9]
	s_mov_b32 s22, 0
	s_mov_b32 s56, 8
.LBB117_140:                            ;   in Loop: Header=BB117_27 Depth=1
	s_and_not1_b32 vcc_lo, exec_lo, s22
	s_cbranch_vccnz .LBB117_142
; %bb.141:                              ;   in Loop: Header=BB117_27 Depth=1
	s_sub_u32 s52, s52, s16
	s_subb_u32 s53, s53, s17
	s_mov_b32 s22, -1
	s_mov_b32 s56, 0
	s_mov_b64 s[4:5], s[60:61]
	s_mov_b64 s[18:19], s[62:63]
.LBB117_142:                            ;   in Loop: Header=BB117_27 Depth=1
	s_delay_alu instid0(SALU_CYCLE_1)
	s_mov_b64 s[62:63], s[18:19]
	s_mov_b64 s[60:61], s[4:5]
	s_and_b32 vcc_lo, exec_lo, s22
	s_mov_b32 s18, -1
	s_cbranch_vccnz .LBB117_145
.LBB117_143:                            ;   in Loop: Header=BB117_27 Depth=1
	s_mov_b32 s5, -1
                                        ; implicit-def: $sgpr19
                                        ; implicit-def: $sgpr23
                                        ; implicit-def: $sgpr22
	s_delay_alu instid0(SALU_CYCLE_1) | instskip(NEXT) | instid1(SALU_CYCLE_1)
	s_and_saveexec_b32 s4, s5
	s_xor_b32 s4, exec_lo, s4
	s_cbranch_execz .LBB117_25
	s_branch .LBB117_291
.LBB117_144:                            ;   in Loop: Header=BB117_27 Depth=1
	s_mov_b64 s[52:53], 1
	s_mov_b32 s18, -1
	s_branch .LBB117_143
.LBB117_145:                            ;   in Loop: Header=BB117_27 Depth=1
	s_cmp_eq_u64 s[14:15], 1
	s_cselect_b32 s4, -1, 0
	s_cmp_eq_u64 s[52:53], 1
	s_cselect_b32 s5, -1, 0
	s_delay_alu instid0(SALU_CYCLE_1)
	s_and_b32 s64, s4, s5
	s_mov_b32 s4, -1
	s_and_b32 vcc_lo, exec_lo, s64
	s_cbranch_vccz .LBB117_160
; %bb.146:                              ;   in Loop: Header=BB117_27 Depth=1
	ds_load_b64 v[4:5], v19 offset:5120
	s_waitcnt lgkmcnt(0)
	s_barrier
	buffer_gl0_inv
	v_readfirstlane_b32 s16, v4
	v_readfirstlane_b32 s17, v5
	s_and_saveexec_b32 s4, s0
	s_cbranch_execz .LBB117_148
; %bb.147:                              ;   in Loop: Header=BB117_27 Depth=1
	v_mov_b32_e32 v18, v19
	ds_store_b64 v28, v[18:19]
.LBB117_148:                            ;   in Loop: Header=BB117_27 Depth=1
	s_or_b32 exec_lo, exec_lo, s4
	s_lshl_b64 s[4:5], 1, s21
	s_and_b64 s[22:23], s[60:61], s[12:13]
	s_or_b64 s[62:63], s[62:63], s[8:9]
	s_or_b64 s[60:61], s[22:23], s[4:5]
	s_cmp_eq_u64 s[16:17], 0
	s_waitcnt lgkmcnt(0)
	s_barrier
	buffer_gl0_inv
	s_cbranch_scc1 .LBB117_163
; %bb.149:                              ;   in Loop: Header=BB117_27 Depth=1
	s_add_u32 s19, s75, s16
	s_addc_u32 s5, s76, s17
	s_mov_b32 s4, s55
	s_delay_alu instid0(SALU_CYCLE_1)
	s_cmp_lg_u64 s[4:5], 0
	s_cbranch_scc0 .LBB117_208
; %bb.150:                              ;   in Loop: Header=BB117_27 Depth=1
	v_cvt_f32_u32_e32 v2, s41
	s_sub_u32 s23, 0, s41
	s_subb_u32 s54, 0, 0
	s_delay_alu instid0(VALU_DEP_1) | instskip(NEXT) | instid1(VALU_DEP_1)
	v_fmac_f32_e64 v2, 0, 0x4f800000
	v_rcp_f32_e32 v2, v2
	s_waitcnt_depctr 0xfff
	v_mul_f32_e32 v2, 0x5f7ffffc, v2
	s_delay_alu instid0(VALU_DEP_1) | instskip(NEXT) | instid1(VALU_DEP_1)
	v_mul_f32_e32 v4, 0x2f800000, v2
	v_trunc_f32_e32 v4, v4
	s_delay_alu instid0(VALU_DEP_1) | instskip(SKIP_1) | instid1(VALU_DEP_2)
	v_fmac_f32_e32 v2, 0xcf800000, v4
	v_cvt_u32_f32_e32 v4, v4
	v_cvt_u32_f32_e32 v2, v2
	s_delay_alu instid0(VALU_DEP_2) | instskip(NEXT) | instid1(VALU_DEP_2)
	v_readfirstlane_b32 s4, v4
	v_readfirstlane_b32 s22, v2
	s_delay_alu instid0(VALU_DEP_2) | instskip(NEXT) | instid1(VALU_DEP_1)
	s_mul_i32 s56, s23, s4
	s_mul_hi_u32 s66, s23, s22
	s_mul_i32 s65, s54, s22
	s_add_i32 s56, s66, s56
	s_mul_i32 s67, s23, s22
	s_add_i32 s56, s56, s65
	s_mul_hi_u32 s66, s22, s67
	s_mul_hi_u32 s68, s4, s67
	s_mul_i32 s65, s4, s67
	s_mul_hi_u32 s67, s22, s56
	s_mul_i32 s22, s22, s56
	s_mul_hi_u32 s69, s4, s56
	s_add_u32 s22, s66, s22
	s_addc_u32 s66, 0, s67
	s_add_u32 s22, s22, s65
	s_mul_i32 s56, s4, s56
	s_addc_u32 s22, s66, s68
	s_addc_u32 s65, s69, 0
	s_add_u32 s22, s22, s56
	s_addc_u32 s56, 0, s65
	v_add_co_u32 v2, s22, v2, s22
	s_delay_alu instid0(VALU_DEP_1) | instskip(SKIP_1) | instid1(VALU_DEP_1)
	s_cmp_lg_u32 s22, 0
	s_addc_u32 s4, s4, s56
	v_readfirstlane_b32 s22, v2
	s_mul_i32 s56, s23, s4
	s_delay_alu instid0(VALU_DEP_1)
	s_mul_hi_u32 s65, s23, s22
	s_mul_i32 s54, s54, s22
	s_add_i32 s56, s65, s56
	s_mul_i32 s23, s23, s22
	s_add_i32 s56, s56, s54
	s_mul_hi_u32 s65, s4, s23
	s_mul_i32 s66, s4, s23
	s_mul_hi_u32 s23, s22, s23
	s_mul_hi_u32 s67, s22, s56
	s_mul_i32 s22, s22, s56
	s_mul_hi_u32 s54, s4, s56
	s_add_u32 s22, s23, s22
	s_addc_u32 s23, 0, s67
	s_add_u32 s22, s22, s66
	s_mul_i32 s56, s4, s56
	s_addc_u32 s22, s23, s65
	s_addc_u32 s23, s54, 0
	s_add_u32 s22, s22, s56
	s_addc_u32 s23, 0, s23
	v_add_co_u32 v2, s22, v2, s22
	s_delay_alu instid0(VALU_DEP_1) | instskip(SKIP_1) | instid1(VALU_DEP_1)
	s_cmp_lg_u32 s22, 0
	s_addc_u32 s4, s4, s23
	v_readfirstlane_b32 s22, v2
	s_mul_i32 s54, s19, s4
	s_mul_hi_u32 s23, s19, s4
	s_mul_hi_u32 s56, s5, s4
	s_mul_i32 s4, s5, s4
	s_mul_hi_u32 s65, s19, s22
	s_mul_hi_u32 s66, s5, s22
	s_mul_i32 s22, s5, s22
	s_add_u32 s54, s65, s54
	s_addc_u32 s23, 0, s23
	s_add_u32 s22, s54, s22
	s_addc_u32 s22, s23, s66
	s_addc_u32 s23, s56, 0
	s_add_u32 s4, s22, s4
	s_addc_u32 s22, 0, s23
	s_mul_hi_u32 s23, s41, s4
	s_mul_i32 s4, s41, s4
	s_mul_i32 s22, s41, s22
	v_sub_co_u32 v2, s4, s19, s4
	s_add_i32 s23, s23, s22
	s_cmp_lg_u32 s4, 0
	s_delay_alu instid0(VALU_DEP_1) | instskip(SKIP_2) | instid1(VALU_DEP_1)
	v_sub_co_u32 v4, s4, v2, s41
	s_subb_u32 s22, s5, s23
	s_cmp_lg_u32 s4, 0
	v_cmp_le_u32_e32 vcc_lo, s41, v4
	v_sub_co_u32 v5, s4, v4, s41
	s_subb_u32 s23, s22, 0
	s_cmp_lg_u32 s4, 0
	v_cndmask_b32_e64 v6, 0, -1, vcc_lo
	s_subb_u32 s4, s23, 0
	s_cmp_eq_u32 s23, 0
	v_mov_b32_e32 v8, s4
	s_cselect_b32 vcc_lo, -1, 0
	s_cmp_eq_u32 s22, 0
	v_cndmask_b32_e32 v6, -1, v6, vcc_lo
	v_cmp_le_u32_e32 vcc_lo, s41, v2
	s_cselect_b32 s4, -1, 0
	v_cndmask_b32_e64 v7, 0, -1, vcc_lo
	s_delay_alu instid0(VALU_DEP_3) | instskip(NEXT) | instid1(VALU_DEP_2)
	v_cmp_ne_u32_e32 vcc_lo, 0, v6
	v_cndmask_b32_e64 v6, -1, v7, s4
	v_cndmask_b32_e32 v7, s23, v8, vcc_lo
	v_cndmask_b32_e32 v4, v4, v5, vcc_lo
	s_delay_alu instid0(VALU_DEP_3) | instskip(NEXT) | instid1(VALU_DEP_3)
	v_cmp_ne_u32_e32 vcc_lo, 0, v6
	v_cndmask_b32_e32 v5, s22, v7, vcc_lo
	s_delay_alu instid0(VALU_DEP_3)
	v_cndmask_b32_e32 v4, v2, v4, vcc_lo
	s_cbranch_execnz .LBB117_152
.LBB117_151:                            ;   in Loop: Header=BB117_27 Depth=1
	v_cvt_f32_u32_e32 v2, s41
	s_sub_i32 s4, 0, s41
	s_delay_alu instid0(VALU_DEP_1) | instskip(SKIP_2) | instid1(VALU_DEP_1)
	v_rcp_iflag_f32_e32 v2, v2
	s_waitcnt_depctr 0xfff
	v_mul_f32_e32 v2, 0x4f7ffffe, v2
	v_cvt_u32_f32_e32 v2, v2
	s_delay_alu instid0(VALU_DEP_1) | instskip(NEXT) | instid1(VALU_DEP_1)
	v_mul_lo_u32 v4, s4, v2
	v_mul_hi_u32 v4, v2, v4
	s_delay_alu instid0(VALU_DEP_1) | instskip(NEXT) | instid1(VALU_DEP_1)
	v_add_nc_u32_e32 v2, v2, v4
	v_mul_hi_u32 v2, s19, v2
	s_delay_alu instid0(VALU_DEP_1) | instskip(NEXT) | instid1(VALU_DEP_1)
	v_mul_lo_u32 v2, v2, s41
	v_sub_nc_u32_e32 v2, s19, v2
	s_delay_alu instid0(VALU_DEP_1) | instskip(SKIP_1) | instid1(VALU_DEP_2)
	v_subrev_nc_u32_e32 v4, s41, v2
	v_cmp_le_u32_e32 vcc_lo, s41, v2
	v_cndmask_b32_e32 v2, v2, v4, vcc_lo
	s_delay_alu instid0(VALU_DEP_1) | instskip(SKIP_1) | instid1(VALU_DEP_2)
	v_subrev_nc_u32_e32 v4, s41, v2
	v_cmp_le_u32_e32 vcc_lo, s41, v2
	v_cndmask_b32_e32 v18, v2, v4, vcc_lo
	s_delay_alu instid0(VALU_DEP_1)
	v_dual_mov_b32 v4, v18 :: v_dual_mov_b32 v5, v19
.LBB117_152:                            ;   in Loop: Header=BB117_27 Depth=1
	s_delay_alu instid0(VALU_DEP_1) | instskip(NEXT) | instid1(VALU_DEP_2)
	v_sub_co_u32 v8, vcc_lo, s19, v4
	v_sub_co_ci_u32_e32 v9, vcc_lo, s5, v5, vcc_lo
	s_mov_b32 s4, 0
	s_mov_b32 s5, exec_lo
                                        ; implicit-def: $vgpr6_vgpr7
	s_delay_alu instid0(VALU_DEP_1)
	v_cmpx_gt_u64_e64 v[8:9], v[0:1]
	s_cbranch_execz .LBB117_165
; %bb.153:                              ;   in Loop: Header=BB117_27 Depth=1
	v_dual_mov_b32 v12, v27 :: v_dual_mov_b32 v11, v1
	v_mov_b32_e32 v10, v0
	s_mov_b32 s22, 0
                                        ; implicit-def: $sgpr19
	s_set_inst_prefetch_distance 0x1
	s_branch .LBB117_155
	.p2align	6
.LBB117_154:                            ;   in Loop: Header=BB117_155 Depth=2
	s_or_b32 exec_lo, exec_lo, s4
	s_waitcnt lgkmcnt(0)
	s_barrier
	buffer_gl0_inv
	ds_load_b128 v[4:7], v19 offset:3072
	v_add_co_u32 v10, s4, v10, s41
	s_delay_alu instid0(VALU_DEP_1) | instskip(SKIP_3) | instid1(VALU_DEP_2)
	v_add_co_ci_u32_e64 v11, s4, 0, v11, s4
	v_add_nc_u32_e32 v12, s83, v12
	s_waitcnt lgkmcnt(0)
	s_barrier
	v_cmp_ge_u64_e64 s4, v[10:11], v[8:9]
	buffer_gl0_inv
	v_cmp_neq_f64_e32 vcc_lo, 0, v[4:5]
	s_or_b32 s4, s4, vcc_lo
	s_delay_alu instid0(SALU_CYCLE_1) | instskip(NEXT) | instid1(SALU_CYCLE_1)
	s_and_b32 s4, exec_lo, s4
	s_or_b32 s22, s4, s22
	s_and_not1_b32 s4, s19, exec_lo
	s_and_b32 s19, vcc_lo, exec_lo
	s_delay_alu instid0(SALU_CYCLE_1)
	s_or_b32 s19, s4, s19
	s_and_not1_b32 exec_lo, exec_lo, s22
	s_cbranch_execz .LBB117_164
.LBB117_155:                            ;   Parent Loop BB117_27 Depth=1
                                        ; =>  This Inner Loop Header: Depth=2
	s_delay_alu instid0(VALU_DEP_1)
	v_cmp_gt_u64_e32 vcc_lo, s[16:17], v[10:11]
	v_mov_b32_e32 v4, 0
	v_mov_b32_e32 v5, 0
	s_and_saveexec_b32 s4, vcc_lo
	s_cbranch_execz .LBB117_157
; %bb.156:                              ;   in Loop: Header=BB117_155 Depth=2
	ds_load_b64 v[4:5], v12
.LBB117_157:                            ;   in Loop: Header=BB117_155 Depth=2
	s_or_b32 exec_lo, exec_lo, s4
	s_and_saveexec_b32 s4, vcc_lo
	s_cbranch_execz .LBB117_154
; %bb.158:                              ;   in Loop: Header=BB117_155 Depth=2
	s_waitcnt lgkmcnt(0)
	v_cmp_o_f64_e32 vcc_lo, v[4:5], v[4:5]
	v_ashrrev_i32_e32 v2, 31, v5
	s_delay_alu instid0(VALU_DEP_1) | instskip(SKIP_1) | instid1(VALU_DEP_2)
	v_or_b32_e32 v6, 0x80000000, v2
	v_xor_b32_e32 v2, v2, v4
	v_xor_b32_e32 v6, v6, v5
	s_delay_alu instid0(VALU_DEP_1) | instskip(NEXT) | instid1(VALU_DEP_3)
	v_cndmask_b32_e32 v6, -1, v6, vcc_lo
	v_cndmask_b32_e32 v2, -1, v2, vcc_lo
	s_delay_alu instid0(VALU_DEP_2) | instskip(NEXT) | instid1(VALU_DEP_2)
	v_and_b32_e32 v7, s63, v6
	v_and_b32_e32 v6, s62, v2
	s_delay_alu instid0(VALU_DEP_1)
	v_cmp_eq_u64_e32 vcc_lo, s[60:61], v[6:7]
	s_and_b32 exec_lo, exec_lo, vcc_lo
	s_cbranch_execz .LBB117_154
; %bb.159:                              ;   in Loop: Header=BB117_155 Depth=2
	v_mov_b32_e32 v2, v19
	ds_store_b128 v19, v[2:5] offset:3072
	s_branch .LBB117_154
.LBB117_160:                            ;   in Loop: Header=BB117_27 Depth=1
                                        ; implicit-def: $sgpr22
                                        ; implicit-def: $sgpr23
                                        ; implicit-def: $sgpr19
	s_branch .LBB117_179
.LBB117_161:                            ;   in Loop: Header=BB117_27 Depth=1
                                        ; implicit-def: $vgpr4_vgpr5
	s_branch .LBB117_106
.LBB117_162:                            ;   in Loop: Header=BB117_27 Depth=1
                                        ; implicit-def: $vgpr4_vgpr5
	s_branch .LBB117_121
.LBB117_163:                            ;   in Loop: Header=BB117_27 Depth=1
	s_mov_b32 s22, -1
	s_mov_b32 s4, 0
                                        ; implicit-def: $sgpr19
                                        ; implicit-def: $vgpr6_vgpr7
	s_mov_b32 s23, s22
	s_cbranch_execnz .LBB117_166
	s_branch .LBB117_179
.LBB117_164:                            ;   in Loop: Header=BB117_27 Depth=1
	s_set_inst_prefetch_distance 0x2
	s_or_b32 exec_lo, exec_lo, s22
	s_delay_alu instid0(SALU_CYCLE_1)
	s_and_b32 s4, s19, exec_lo
.LBB117_165:                            ;   in Loop: Header=BB117_27 Depth=1
	s_or_b32 exec_lo, exec_lo, s5
	s_mov_b32 s19, -1
	s_mov_b32 s22, 0
	s_delay_alu instid0(SALU_CYCLE_1)
	s_mov_b32 s23, s22
	s_branch .LBB117_179
.LBB117_166:                            ;   in Loop: Header=BB117_27 Depth=1
	s_mov_b32 s56, s55
	s_delay_alu instid0(SALU_CYCLE_1)
	s_cmp_lg_u64 s[56:57], 0
	s_cbranch_scc0 .LBB117_209
; %bb.167:                              ;   in Loop: Header=BB117_27 Depth=1
	v_cvt_f32_u32_e32 v2, s41
	s_sub_u32 s16, 0, s41
	s_subb_u32 s17, 0, 0
	s_delay_alu instid0(VALU_DEP_1) | instskip(NEXT) | instid1(VALU_DEP_1)
	v_fmac_f32_e64 v2, 0, 0x4f800000
	v_rcp_f32_e32 v2, v2
	s_waitcnt_depctr 0xfff
	v_mul_f32_e32 v2, 0x5f7ffffc, v2
	s_delay_alu instid0(VALU_DEP_1) | instskip(NEXT) | instid1(VALU_DEP_1)
	v_mul_f32_e32 v4, 0x2f800000, v2
	v_trunc_f32_e32 v4, v4
	s_delay_alu instid0(VALU_DEP_1) | instskip(SKIP_1) | instid1(VALU_DEP_2)
	v_fmac_f32_e32 v2, 0xcf800000, v4
	v_cvt_u32_f32_e32 v4, v4
	v_cvt_u32_f32_e32 v2, v2
	s_delay_alu instid0(VALU_DEP_2) | instskip(NEXT) | instid1(VALU_DEP_2)
	v_readfirstlane_b32 s4, v4
	v_readfirstlane_b32 s5, v2
	s_delay_alu instid0(VALU_DEP_2) | instskip(NEXT) | instid1(VALU_DEP_1)
	s_mul_i32 s19, s16, s4
	s_mul_hi_u32 s23, s16, s5
	s_mul_i32 s22, s17, s5
	s_add_i32 s19, s23, s19
	s_mul_i32 s54, s16, s5
	s_add_i32 s19, s19, s22
	s_mul_hi_u32 s23, s5, s54
	s_mul_hi_u32 s56, s4, s54
	s_mul_i32 s22, s4, s54
	s_mul_hi_u32 s54, s5, s19
	s_mul_i32 s5, s5, s19
	s_mul_hi_u32 s65, s4, s19
	s_add_u32 s5, s23, s5
	s_addc_u32 s23, 0, s54
	s_add_u32 s5, s5, s22
	s_mul_i32 s19, s4, s19
	s_addc_u32 s5, s23, s56
	s_addc_u32 s22, s65, 0
	s_add_u32 s5, s5, s19
	s_addc_u32 s19, 0, s22
	v_add_co_u32 v2, s5, v2, s5
	s_delay_alu instid0(VALU_DEP_1) | instskip(SKIP_1) | instid1(VALU_DEP_1)
	s_cmp_lg_u32 s5, 0
	s_addc_u32 s4, s4, s19
	v_readfirstlane_b32 s5, v2
	s_mul_i32 s19, s16, s4
	s_delay_alu instid0(VALU_DEP_1)
	s_mul_hi_u32 s22, s16, s5
	s_mul_i32 s17, s17, s5
	s_add_i32 s19, s22, s19
	s_mul_i32 s16, s16, s5
	s_add_i32 s19, s19, s17
	s_mul_hi_u32 s22, s4, s16
	s_mul_i32 s23, s4, s16
	s_mul_hi_u32 s16, s5, s16
	s_mul_hi_u32 s54, s5, s19
	s_mul_i32 s5, s5, s19
	s_mul_hi_u32 s17, s4, s19
	s_add_u32 s5, s16, s5
	s_addc_u32 s16, 0, s54
	s_add_u32 s5, s5, s23
	s_mul_i32 s19, s4, s19
	s_addc_u32 s5, s16, s22
	s_addc_u32 s16, s17, 0
	s_add_u32 s5, s5, s19
	s_addc_u32 s16, 0, s16
	v_add_co_u32 v2, s5, v2, s5
	s_delay_alu instid0(VALU_DEP_1) | instskip(SKIP_1) | instid1(VALU_DEP_1)
	s_cmp_lg_u32 s5, 0
	s_addc_u32 s4, s4, s16
	v_readfirstlane_b32 s5, v2
	s_mul_i32 s17, s77, s4
	s_mul_hi_u32 s16, s77, s4
	s_mul_hi_u32 s19, s57, s4
	s_mul_i32 s4, s57, s4
	s_mul_hi_u32 s22, s77, s5
	s_mul_hi_u32 s23, s57, s5
	s_mul_i32 s5, s57, s5
	s_add_u32 s17, s22, s17
	s_addc_u32 s16, 0, s16
	s_add_u32 s5, s17, s5
	s_addc_u32 s5, s16, s23
	s_addc_u32 s16, s19, 0
	s_add_u32 s4, s5, s4
	s_addc_u32 s5, 0, s16
	s_mul_hi_u32 s16, s41, s4
	s_mul_i32 s4, s41, s4
	s_mul_i32 s5, s41, s5
	v_sub_co_u32 v2, s4, s77, s4
	s_add_i32 s16, s16, s5
	s_cmp_lg_u32 s4, 0
	s_delay_alu instid0(VALU_DEP_1) | instskip(SKIP_2) | instid1(VALU_DEP_1)
	v_sub_co_u32 v4, s4, v2, s41
	s_subb_u32 s5, s57, s16
	s_cmp_lg_u32 s4, 0
	v_cmp_le_u32_e32 vcc_lo, s41, v4
	v_sub_co_u32 v5, s4, v4, s41
	s_subb_u32 s16, s5, 0
	s_cmp_lg_u32 s4, 0
	v_cndmask_b32_e64 v6, 0, -1, vcc_lo
	s_subb_u32 s4, s16, 0
	s_cmp_eq_u32 s16, 0
	v_mov_b32_e32 v8, s4
	s_cselect_b32 vcc_lo, -1, 0
	s_cmp_eq_u32 s5, 0
	v_cndmask_b32_e32 v6, -1, v6, vcc_lo
	v_cmp_le_u32_e32 vcc_lo, s41, v2
	s_cselect_b32 s4, -1, 0
	v_cndmask_b32_e64 v7, 0, -1, vcc_lo
	s_delay_alu instid0(VALU_DEP_3) | instskip(NEXT) | instid1(VALU_DEP_2)
	v_cmp_ne_u32_e32 vcc_lo, 0, v6
	v_cndmask_b32_e64 v6, -1, v7, s4
	v_cndmask_b32_e32 v7, s16, v8, vcc_lo
	v_cndmask_b32_e32 v4, v4, v5, vcc_lo
	s_delay_alu instid0(VALU_DEP_3) | instskip(NEXT) | instid1(VALU_DEP_3)
	v_cmp_ne_u32_e32 vcc_lo, 0, v6
	v_cndmask_b32_e32 v5, s5, v7, vcc_lo
	s_delay_alu instid0(VALU_DEP_3)
	v_cndmask_b32_e32 v4, v2, v4, vcc_lo
	s_cbranch_execnz .LBB117_169
.LBB117_168:                            ;   in Loop: Header=BB117_27 Depth=1
	v_cvt_f32_u32_e32 v2, s41
	s_sub_i32 s4, 0, s41
	s_delay_alu instid0(VALU_DEP_1) | instskip(SKIP_2) | instid1(VALU_DEP_1)
	v_rcp_iflag_f32_e32 v2, v2
	s_waitcnt_depctr 0xfff
	v_mul_f32_e32 v2, 0x4f7ffffe, v2
	v_cvt_u32_f32_e32 v2, v2
	s_delay_alu instid0(VALU_DEP_1) | instskip(NEXT) | instid1(VALU_DEP_1)
	v_mul_lo_u32 v4, s4, v2
	v_mul_hi_u32 v4, v2, v4
	s_delay_alu instid0(VALU_DEP_1) | instskip(NEXT) | instid1(VALU_DEP_1)
	v_add_nc_u32_e32 v2, v2, v4
	v_mul_hi_u32 v2, s77, v2
	s_delay_alu instid0(VALU_DEP_1) | instskip(NEXT) | instid1(VALU_DEP_1)
	v_mul_lo_u32 v2, v2, s41
	v_sub_nc_u32_e32 v2, s77, v2
	s_delay_alu instid0(VALU_DEP_1) | instskip(SKIP_1) | instid1(VALU_DEP_2)
	v_subrev_nc_u32_e32 v4, s41, v2
	v_cmp_le_u32_e32 vcc_lo, s41, v2
	v_cndmask_b32_e32 v2, v2, v4, vcc_lo
	s_delay_alu instid0(VALU_DEP_1) | instskip(SKIP_1) | instid1(VALU_DEP_2)
	v_subrev_nc_u32_e32 v4, s41, v2
	v_cmp_le_u32_e32 vcc_lo, s41, v2
	v_cndmask_b32_e32 v18, v2, v4, vcc_lo
	s_delay_alu instid0(VALU_DEP_1)
	v_dual_mov_b32 v4, v18 :: v_dual_mov_b32 v5, v19
.LBB117_169:                            ;   in Loop: Header=BB117_27 Depth=1
	s_delay_alu instid0(VALU_DEP_1) | instskip(NEXT) | instid1(VALU_DEP_2)
	v_sub_co_u32 v8, vcc_lo, s77, v4
	v_sub_co_ci_u32_e32 v9, vcc_lo, s57, v5, vcc_lo
	s_mov_b32 s4, 0
	s_mov_b32 s5, exec_lo
                                        ; implicit-def: $vgpr6_vgpr7
	s_delay_alu instid0(VALU_DEP_1)
	v_cmpx_gt_u64_e64 v[8:9], v[0:1]
	s_cbranch_execz .LBB117_178
; %bb.170:                              ;   in Loop: Header=BB117_27 Depth=1
	v_dual_mov_b32 v11, v1 :: v_dual_mov_b32 v10, v0
	s_mov_b32 s17, 0
                                        ; implicit-def: $sgpr16
	s_branch .LBB117_172
.LBB117_171:                            ;   in Loop: Header=BB117_172 Depth=2
	s_or_b32 exec_lo, exec_lo, s4
	s_waitcnt vmcnt(0) lgkmcnt(0)
	s_barrier
	buffer_gl0_inv
	ds_load_b128 v[4:7], v19 offset:3072
	v_add_co_u32 v10, s4, v10, s41
	s_delay_alu instid0(VALU_DEP_1)
	v_add_co_ci_u32_e64 v11, s4, 0, v11, s4
	s_waitcnt lgkmcnt(0)
	s_barrier
	buffer_gl0_inv
	v_cmp_ge_u64_e64 s4, v[10:11], v[8:9]
	v_cmp_neq_f64_e32 vcc_lo, 0, v[4:5]
	s_delay_alu instid0(VALU_DEP_2) | instskip(NEXT) | instid1(SALU_CYCLE_1)
	s_or_b32 s4, s4, vcc_lo
	s_and_b32 s4, exec_lo, s4
	s_delay_alu instid0(SALU_CYCLE_1) | instskip(SKIP_2) | instid1(SALU_CYCLE_1)
	s_or_b32 s17, s4, s17
	s_and_not1_b32 s4, s16, exec_lo
	s_and_b32 s16, vcc_lo, exec_lo
	s_or_b32 s16, s4, s16
	s_and_not1_b32 exec_lo, exec_lo, s17
	s_cbranch_execz .LBB117_177
.LBB117_172:                            ;   Parent Loop BB117_27 Depth=1
                                        ; =>  This Inner Loop Header: Depth=2
	s_delay_alu instid0(VALU_DEP_1)
	v_cmp_gt_u64_e32 vcc_lo, s[24:25], v[10:11]
	v_mov_b32_e32 v4, 0
	v_mov_b32_e32 v5, 0
	s_and_saveexec_b32 s19, vcc_lo
	s_cbranch_execz .LBB117_174
; %bb.173:                              ;   in Loop: Header=BB117_172 Depth=2
	v_mul_lo_u32 v2, v11, s42
	v_mul_lo_u32 v6, v10, s43
	v_mad_u64_u32 v[4:5], null, v10, s42, 0
	s_delay_alu instid0(VALU_DEP_1) | instskip(NEXT) | instid1(VALU_DEP_1)
	v_add3_u32 v5, v5, v6, v2
	v_lshlrev_b64 v[4:5], 3, v[4:5]
	s_delay_alu instid0(VALU_DEP_1) | instskip(NEXT) | instid1(VALU_DEP_1)
	v_add_co_u32 v4, s4, s33, v4
	v_add_co_ci_u32_e64 v5, s4, s35, v5, s4
	global_load_b64 v[4:5], v[4:5], off
.LBB117_174:                            ;   in Loop: Header=BB117_172 Depth=2
	s_or_b32 exec_lo, exec_lo, s19
	s_and_saveexec_b32 s4, vcc_lo
	s_cbranch_execz .LBB117_171
; %bb.175:                              ;   in Loop: Header=BB117_172 Depth=2
	s_waitcnt vmcnt(0)
	v_cmp_o_f64_e32 vcc_lo, v[4:5], v[4:5]
	v_ashrrev_i32_e32 v2, 31, v5
	s_delay_alu instid0(VALU_DEP_1) | instskip(SKIP_1) | instid1(VALU_DEP_2)
	v_or_b32_e32 v6, 0x80000000, v2
	v_xor_b32_e32 v2, v2, v4
	v_xor_b32_e32 v6, v6, v5
	s_delay_alu instid0(VALU_DEP_1) | instskip(NEXT) | instid1(VALU_DEP_3)
	v_cndmask_b32_e32 v6, -1, v6, vcc_lo
	v_cndmask_b32_e32 v2, -1, v2, vcc_lo
	s_delay_alu instid0(VALU_DEP_2) | instskip(NEXT) | instid1(VALU_DEP_2)
	v_and_b32_e32 v7, s63, v6
	v_and_b32_e32 v6, s62, v2
	s_delay_alu instid0(VALU_DEP_1)
	v_cmp_eq_u64_e32 vcc_lo, s[60:61], v[6:7]
	s_and_b32 exec_lo, exec_lo, vcc_lo
	s_cbranch_execz .LBB117_171
; %bb.176:                              ;   in Loop: Header=BB117_172 Depth=2
	v_mov_b32_e32 v2, v19
	ds_store_b128 v19, v[2:5] offset:3072
	s_branch .LBB117_171
.LBB117_177:                            ;   in Loop: Header=BB117_27 Depth=1
	s_or_b32 exec_lo, exec_lo, s17
	s_delay_alu instid0(SALU_CYCLE_1)
	s_and_b32 s4, s16, exec_lo
.LBB117_178:                            ;   in Loop: Header=BB117_27 Depth=1
	s_or_b32 exec_lo, exec_lo, s5
	s_mov_b32 s23, -1
	s_mov_b32 s22, 0
	s_mov_b32 s19, 0
.LBB117_179:                            ;   in Loop: Header=BB117_27 Depth=1
	s_mov_b32 s5, 0
                                        ; implicit-def: $sgpr56
	s_and_saveexec_b32 s54, s4
	s_cbranch_execz .LBB117_290
; %bb.180:                              ;   in Loop: Header=BB117_27 Depth=1
	s_xor_b32 s4, s64, -1
	s_mov_b32 s56, 1
	s_and_not1_b32 vcc_lo, exec_lo, s4
	s_cbranch_vccnz .LBB117_191
; %bb.181:                              ;   in Loop: Header=BB117_27 Depth=1
	v_cmp_gt_u64_e64 s4, s[52:53], s[14:15]
	s_mov_b32 s64, -1
                                        ; implicit-def: $sgpr56
                                        ; implicit-def: $sgpr16_sgpr17
	s_delay_alu instid0(VALU_DEP_1)
	s_and_b32 vcc_lo, exec_lo, s4
                                        ; implicit-def: $sgpr4_sgpr5
	s_cbranch_vccnz .LBB117_187
; %bb.182:                              ;   in Loop: Header=BB117_27 Depth=1
	ds_load_b64 v[4:5], v19 offset:5120
	s_waitcnt lgkmcnt(0)
	v_cmp_ne_u64_e32 vcc_lo, 0, v[4:5]
	s_cbranch_vccnz .LBB117_186
; %bb.183:                              ;   in Loop: Header=BB117_27 Depth=1
	s_and_saveexec_b32 s4, s3
	s_cbranch_execz .LBB117_185
; %bb.184:                              ;   in Loop: Header=BB117_27 Depth=1
	v_dual_mov_b32 v4, s14 :: v_dual_mov_b32 v5, s15
	ds_store_b64 v19, v[4:5] offset:5128
.LBB117_185:                            ;   in Loop: Header=BB117_27 Depth=1
	s_or_b32 exec_lo, exec_lo, s4
	s_waitcnt lgkmcnt(0)
	s_barrier
	buffer_gl0_inv
.LBB117_186:                            ;   in Loop: Header=BB117_27 Depth=1
	s_lshl_b64 s[4:5], 1, s21
	s_and_b64 s[16:17], s[60:61], s[12:13]
	s_mov_b32 s64, 0
	s_or_b64 s[4:5], s[16:17], s[4:5]
	s_or_b64 s[16:17], s[62:63], s[8:9]
	s_mov_b32 s56, 8
.LBB117_187:                            ;   in Loop: Header=BB117_27 Depth=1
	s_and_not1_b32 vcc_lo, exec_lo, s64
	s_cbranch_vccnz .LBB117_189
; %bb.188:                              ;   in Loop: Header=BB117_27 Depth=1
	s_sub_u32 s52, s52, s14
	s_subb_u32 s53, s53, s15
	s_mov_b32 s64, -1
	s_mov_b32 s56, 0
	s_mov_b64 s[4:5], s[60:61]
	s_mov_b64 s[16:17], s[62:63]
.LBB117_189:                            ;   in Loop: Header=BB117_27 Depth=1
	s_delay_alu instid0(SALU_CYCLE_1)
	s_mov_b64 s[62:63], s[16:17]
	s_mov_b64 s[60:61], s[4:5]
	s_and_not1_b32 vcc_lo, exec_lo, s64
	s_mov_b32 s5, -1
	s_cbranch_vccz .LBB117_192
.LBB117_190:                            ;   in Loop: Header=BB117_27 Depth=1
                                        ; implicit-def: $sgpr17
                                        ; implicit-def: $sgpr64
                                        ; implicit-def: $sgpr16
	s_branch .LBB117_289
.LBB117_191:                            ;   in Loop: Header=BB117_27 Depth=1
	s_mov_b64 s[52:53], 1
	s_mov_b32 s5, -1
	s_cbranch_execnz .LBB117_190
.LBB117_192:                            ;   in Loop: Header=BB117_27 Depth=1
	s_cmp_eq_u64 s[10:11], 1
	s_cselect_b32 s4, -1, 0
	s_cmp_eq_u64 s[52:53], 1
	s_cselect_b32 s5, -1, 0
	s_delay_alu instid0(SALU_CYCLE_1)
	s_and_b32 s66, s4, s5
	s_mov_b32 s4, -1
	s_and_b32 vcc_lo, exec_lo, s66
	s_cbranch_vccz .LBB117_207
; %bb.193:                              ;   in Loop: Header=BB117_27 Depth=1
	ds_load_b64 v[4:5], v19 offset:5120
	s_waitcnt lgkmcnt(0)
	s_barrier
	buffer_gl0_inv
	v_readfirstlane_b32 s14, v4
	v_readfirstlane_b32 s15, v5
	s_and_saveexec_b32 s4, s0
	s_cbranch_execz .LBB117_195
; %bb.194:                              ;   in Loop: Header=BB117_27 Depth=1
	v_mov_b32_e32 v18, v19
	ds_store_b64 v28, v[18:19]
.LBB117_195:                            ;   in Loop: Header=BB117_27 Depth=1
	s_or_b32 exec_lo, exec_lo, s4
	s_lshl_b64 s[4:5], 2, s21
	s_and_b64 s[16:17], s[60:61], s[12:13]
	s_or_b64 s[62:63], s[62:63], s[8:9]
	s_or_b64 s[60:61], s[16:17], s[4:5]
	s_cmp_eq_u64 s[14:15], 0
	s_waitcnt lgkmcnt(0)
	s_barrier
	buffer_gl0_inv
	s_cbranch_scc1 .LBB117_210
; %bb.196:                              ;   in Loop: Header=BB117_27 Depth=1
	s_add_u32 s16, s75, s14
	s_addc_u32 s5, s76, s15
	s_mov_b32 s4, s55
	s_delay_alu instid0(SALU_CYCLE_1)
	s_cmp_lg_u64 s[4:5], 0
	s_cbranch_scc0 .LBB117_255
; %bb.197:                              ;   in Loop: Header=BB117_27 Depth=1
	v_cvt_f32_u32_e32 v2, s41
	s_sub_u32 s56, 0, s41
	s_subb_u32 s64, 0, 0
	s_delay_alu instid0(VALU_DEP_1) | instskip(NEXT) | instid1(VALU_DEP_1)
	v_fmac_f32_e64 v2, 0, 0x4f800000
	v_rcp_f32_e32 v2, v2
	s_waitcnt_depctr 0xfff
	v_mul_f32_e32 v2, 0x5f7ffffc, v2
	s_delay_alu instid0(VALU_DEP_1) | instskip(NEXT) | instid1(VALU_DEP_1)
	v_mul_f32_e32 v4, 0x2f800000, v2
	v_trunc_f32_e32 v4, v4
	s_delay_alu instid0(VALU_DEP_1) | instskip(SKIP_1) | instid1(VALU_DEP_2)
	v_fmac_f32_e32 v2, 0xcf800000, v4
	v_cvt_u32_f32_e32 v4, v4
	v_cvt_u32_f32_e32 v2, v2
	s_delay_alu instid0(VALU_DEP_2) | instskip(NEXT) | instid1(VALU_DEP_2)
	v_readfirstlane_b32 s4, v4
	v_readfirstlane_b32 s17, v2
	s_delay_alu instid0(VALU_DEP_2) | instskip(NEXT) | instid1(VALU_DEP_1)
	s_mul_i32 s65, s56, s4
	s_mul_hi_u32 s68, s56, s17
	s_mul_i32 s67, s64, s17
	s_add_i32 s65, s68, s65
	s_mul_i32 s69, s56, s17
	s_add_i32 s65, s65, s67
	s_mul_hi_u32 s68, s17, s69
	s_mul_hi_u32 s70, s4, s69
	s_mul_i32 s67, s4, s69
	s_mul_hi_u32 s69, s17, s65
	s_mul_i32 s17, s17, s65
	s_mul_hi_u32 s71, s4, s65
	s_add_u32 s17, s68, s17
	s_addc_u32 s68, 0, s69
	s_add_u32 s17, s17, s67
	s_mul_i32 s65, s4, s65
	s_addc_u32 s17, s68, s70
	s_addc_u32 s67, s71, 0
	s_add_u32 s17, s17, s65
	s_addc_u32 s65, 0, s67
	v_add_co_u32 v2, s17, v2, s17
	s_delay_alu instid0(VALU_DEP_1) | instskip(SKIP_1) | instid1(VALU_DEP_1)
	s_cmp_lg_u32 s17, 0
	s_addc_u32 s4, s4, s65
	v_readfirstlane_b32 s17, v2
	s_mul_i32 s65, s56, s4
	s_delay_alu instid0(VALU_DEP_1)
	s_mul_hi_u32 s67, s56, s17
	s_mul_i32 s64, s64, s17
	s_add_i32 s65, s67, s65
	s_mul_i32 s56, s56, s17
	s_add_i32 s65, s65, s64
	s_mul_hi_u32 s67, s4, s56
	s_mul_i32 s68, s4, s56
	s_mul_hi_u32 s56, s17, s56
	s_mul_hi_u32 s69, s17, s65
	s_mul_i32 s17, s17, s65
	s_mul_hi_u32 s64, s4, s65
	s_add_u32 s17, s56, s17
	s_addc_u32 s56, 0, s69
	s_add_u32 s17, s17, s68
	s_mul_i32 s65, s4, s65
	s_addc_u32 s17, s56, s67
	s_addc_u32 s56, s64, 0
	s_add_u32 s17, s17, s65
	s_addc_u32 s56, 0, s56
	v_add_co_u32 v2, s17, v2, s17
	s_delay_alu instid0(VALU_DEP_1) | instskip(SKIP_1) | instid1(VALU_DEP_1)
	s_cmp_lg_u32 s17, 0
	s_addc_u32 s4, s4, s56
	v_readfirstlane_b32 s17, v2
	s_mul_i32 s64, s16, s4
	s_mul_hi_u32 s56, s16, s4
	s_mul_hi_u32 s65, s5, s4
	s_mul_i32 s4, s5, s4
	s_mul_hi_u32 s67, s16, s17
	s_mul_hi_u32 s68, s5, s17
	s_mul_i32 s17, s5, s17
	s_add_u32 s64, s67, s64
	s_addc_u32 s56, 0, s56
	s_add_u32 s17, s64, s17
	s_addc_u32 s17, s56, s68
	s_addc_u32 s56, s65, 0
	s_add_u32 s4, s17, s4
	s_addc_u32 s17, 0, s56
	s_mul_hi_u32 s56, s41, s4
	s_mul_i32 s4, s41, s4
	s_mul_i32 s17, s41, s17
	v_sub_co_u32 v2, s4, s16, s4
	s_add_i32 s56, s56, s17
	s_cmp_lg_u32 s4, 0
	s_delay_alu instid0(VALU_DEP_1) | instskip(SKIP_2) | instid1(VALU_DEP_1)
	v_sub_co_u32 v4, s4, v2, s41
	s_subb_u32 s17, s5, s56
	s_cmp_lg_u32 s4, 0
	v_cmp_le_u32_e32 vcc_lo, s41, v4
	v_sub_co_u32 v5, s4, v4, s41
	s_subb_u32 s56, s17, 0
	s_cmp_lg_u32 s4, 0
	v_cndmask_b32_e64 v6, 0, -1, vcc_lo
	s_subb_u32 s4, s56, 0
	s_cmp_eq_u32 s56, 0
	v_mov_b32_e32 v8, s4
	s_cselect_b32 vcc_lo, -1, 0
	s_cmp_eq_u32 s17, 0
	v_cndmask_b32_e32 v6, -1, v6, vcc_lo
	v_cmp_le_u32_e32 vcc_lo, s41, v2
	s_cselect_b32 s4, -1, 0
	v_cndmask_b32_e64 v7, 0, -1, vcc_lo
	s_delay_alu instid0(VALU_DEP_3) | instskip(NEXT) | instid1(VALU_DEP_2)
	v_cmp_ne_u32_e32 vcc_lo, 0, v6
	v_cndmask_b32_e64 v6, -1, v7, s4
	v_cndmask_b32_e32 v7, s56, v8, vcc_lo
	v_cndmask_b32_e32 v4, v4, v5, vcc_lo
	s_delay_alu instid0(VALU_DEP_3) | instskip(NEXT) | instid1(VALU_DEP_3)
	v_cmp_ne_u32_e32 vcc_lo, 0, v6
	v_cndmask_b32_e32 v5, s17, v7, vcc_lo
	s_delay_alu instid0(VALU_DEP_3)
	v_cndmask_b32_e32 v4, v2, v4, vcc_lo
	s_cbranch_execnz .LBB117_199
.LBB117_198:                            ;   in Loop: Header=BB117_27 Depth=1
	v_cvt_f32_u32_e32 v2, s41
	s_sub_i32 s4, 0, s41
	s_delay_alu instid0(VALU_DEP_1) | instskip(SKIP_2) | instid1(VALU_DEP_1)
	v_rcp_iflag_f32_e32 v2, v2
	s_waitcnt_depctr 0xfff
	v_mul_f32_e32 v2, 0x4f7ffffe, v2
	v_cvt_u32_f32_e32 v2, v2
	s_delay_alu instid0(VALU_DEP_1) | instskip(NEXT) | instid1(VALU_DEP_1)
	v_mul_lo_u32 v4, s4, v2
	v_mul_hi_u32 v4, v2, v4
	s_delay_alu instid0(VALU_DEP_1) | instskip(NEXT) | instid1(VALU_DEP_1)
	v_add_nc_u32_e32 v2, v2, v4
	v_mul_hi_u32 v2, s16, v2
	s_delay_alu instid0(VALU_DEP_1) | instskip(NEXT) | instid1(VALU_DEP_1)
	v_mul_lo_u32 v2, v2, s41
	v_sub_nc_u32_e32 v2, s16, v2
	s_delay_alu instid0(VALU_DEP_1) | instskip(SKIP_1) | instid1(VALU_DEP_2)
	v_subrev_nc_u32_e32 v4, s41, v2
	v_cmp_le_u32_e32 vcc_lo, s41, v2
	v_cndmask_b32_e32 v2, v2, v4, vcc_lo
	s_delay_alu instid0(VALU_DEP_1) | instskip(SKIP_1) | instid1(VALU_DEP_2)
	v_subrev_nc_u32_e32 v4, s41, v2
	v_cmp_le_u32_e32 vcc_lo, s41, v2
	v_cndmask_b32_e32 v18, v2, v4, vcc_lo
	s_delay_alu instid0(VALU_DEP_1)
	v_dual_mov_b32 v4, v18 :: v_dual_mov_b32 v5, v19
.LBB117_199:                            ;   in Loop: Header=BB117_27 Depth=1
	s_delay_alu instid0(VALU_DEP_1) | instskip(NEXT) | instid1(VALU_DEP_2)
	v_sub_co_u32 v8, vcc_lo, s16, v4
	v_sub_co_ci_u32_e32 v9, vcc_lo, s5, v5, vcc_lo
	s_mov_b32 s4, 0
	s_mov_b32 s5, exec_lo
                                        ; implicit-def: $vgpr6_vgpr7
	s_delay_alu instid0(VALU_DEP_1)
	v_cmpx_gt_u64_e64 v[8:9], v[0:1]
	s_cbranch_execz .LBB117_212
; %bb.200:                              ;   in Loop: Header=BB117_27 Depth=1
	v_dual_mov_b32 v12, v27 :: v_dual_mov_b32 v11, v1
	v_mov_b32_e32 v10, v0
	s_mov_b32 s17, 0
                                        ; implicit-def: $sgpr16
	s_set_inst_prefetch_distance 0x1
	s_branch .LBB117_202
	.p2align	6
.LBB117_201:                            ;   in Loop: Header=BB117_202 Depth=2
	s_or_b32 exec_lo, exec_lo, s4
	s_waitcnt lgkmcnt(0)
	s_barrier
	buffer_gl0_inv
	ds_load_b128 v[4:7], v19 offset:3072
	v_add_co_u32 v10, s4, v10, s41
	s_delay_alu instid0(VALU_DEP_1) | instskip(SKIP_3) | instid1(VALU_DEP_2)
	v_add_co_ci_u32_e64 v11, s4, 0, v11, s4
	v_add_nc_u32_e32 v12, s83, v12
	s_waitcnt lgkmcnt(0)
	s_barrier
	v_cmp_ge_u64_e64 s4, v[10:11], v[8:9]
	buffer_gl0_inv
	v_cmp_neq_f64_e32 vcc_lo, 0, v[4:5]
	s_or_b32 s4, s4, vcc_lo
	s_delay_alu instid0(SALU_CYCLE_1) | instskip(NEXT) | instid1(SALU_CYCLE_1)
	s_and_b32 s4, exec_lo, s4
	s_or_b32 s17, s4, s17
	s_and_not1_b32 s4, s16, exec_lo
	s_and_b32 s16, vcc_lo, exec_lo
	s_delay_alu instid0(SALU_CYCLE_1)
	s_or_b32 s16, s4, s16
	s_and_not1_b32 exec_lo, exec_lo, s17
	s_cbranch_execz .LBB117_211
.LBB117_202:                            ;   Parent Loop BB117_27 Depth=1
                                        ; =>  This Inner Loop Header: Depth=2
	s_delay_alu instid0(VALU_DEP_1)
	v_cmp_gt_u64_e32 vcc_lo, s[14:15], v[10:11]
	v_mov_b32_e32 v4, 0
	v_mov_b32_e32 v5, 0
	s_and_saveexec_b32 s4, vcc_lo
	s_cbranch_execz .LBB117_204
; %bb.203:                              ;   in Loop: Header=BB117_202 Depth=2
	ds_load_b64 v[4:5], v12
.LBB117_204:                            ;   in Loop: Header=BB117_202 Depth=2
	s_or_b32 exec_lo, exec_lo, s4
	s_and_saveexec_b32 s4, vcc_lo
	s_cbranch_execz .LBB117_201
; %bb.205:                              ;   in Loop: Header=BB117_202 Depth=2
	s_waitcnt lgkmcnt(0)
	v_cmp_o_f64_e32 vcc_lo, v[4:5], v[4:5]
	v_ashrrev_i32_e32 v2, 31, v5
	s_delay_alu instid0(VALU_DEP_1) | instskip(SKIP_1) | instid1(VALU_DEP_2)
	v_or_b32_e32 v6, 0x80000000, v2
	v_xor_b32_e32 v2, v2, v4
	v_xor_b32_e32 v6, v6, v5
	s_delay_alu instid0(VALU_DEP_1) | instskip(NEXT) | instid1(VALU_DEP_3)
	v_cndmask_b32_e32 v6, -1, v6, vcc_lo
	v_cndmask_b32_e32 v2, -1, v2, vcc_lo
	s_delay_alu instid0(VALU_DEP_2) | instskip(NEXT) | instid1(VALU_DEP_2)
	v_and_b32_e32 v7, s63, v6
	v_and_b32_e32 v6, s62, v2
	s_delay_alu instid0(VALU_DEP_1)
	v_cmp_eq_u64_e32 vcc_lo, s[60:61], v[6:7]
	s_and_b32 exec_lo, exec_lo, vcc_lo
	s_cbranch_execz .LBB117_201
; %bb.206:                              ;   in Loop: Header=BB117_202 Depth=2
	v_mov_b32_e32 v2, v19
	ds_store_b128 v19, v[2:5] offset:3072
	s_branch .LBB117_201
.LBB117_207:                            ;   in Loop: Header=BB117_27 Depth=1
                                        ; implicit-def: $sgpr16
                                        ; implicit-def: $sgpr64
                                        ; implicit-def: $sgpr17
	s_branch .LBB117_226
.LBB117_208:                            ;   in Loop: Header=BB117_27 Depth=1
                                        ; implicit-def: $vgpr4_vgpr5
	s_branch .LBB117_151
.LBB117_209:                            ;   in Loop: Header=BB117_27 Depth=1
                                        ; implicit-def: $vgpr4_vgpr5
	s_branch .LBB117_168
.LBB117_210:                            ;   in Loop: Header=BB117_27 Depth=1
	s_mov_b32 s16, -1
	s_mov_b32 s4, 0
                                        ; implicit-def: $sgpr17
                                        ; implicit-def: $vgpr6_vgpr7
	s_mov_b32 s64, s16
	s_cbranch_execnz .LBB117_213
	s_branch .LBB117_226
.LBB117_211:                            ;   in Loop: Header=BB117_27 Depth=1
	s_set_inst_prefetch_distance 0x2
	s_or_b32 exec_lo, exec_lo, s17
	s_delay_alu instid0(SALU_CYCLE_1)
	s_and_b32 s4, s16, exec_lo
.LBB117_212:                            ;   in Loop: Header=BB117_27 Depth=1
	s_or_b32 exec_lo, exec_lo, s5
	s_mov_b32 s17, -1
	s_mov_b32 s16, 0
	s_delay_alu instid0(SALU_CYCLE_1)
	s_mov_b32 s64, s16
	s_branch .LBB117_226
.LBB117_213:                            ;   in Loop: Header=BB117_27 Depth=1
	s_mov_b32 s56, s55
	s_delay_alu instid0(SALU_CYCLE_1)
	s_cmp_lg_u64 s[56:57], 0
	s_cbranch_scc0 .LBB117_256
; %bb.214:                              ;   in Loop: Header=BB117_27 Depth=1
	v_cvt_f32_u32_e32 v2, s41
	s_sub_u32 s14, 0, s41
	s_subb_u32 s15, 0, 0
	s_delay_alu instid0(VALU_DEP_1) | instskip(NEXT) | instid1(VALU_DEP_1)
	v_fmac_f32_e64 v2, 0, 0x4f800000
	v_rcp_f32_e32 v2, v2
	s_waitcnt_depctr 0xfff
	v_mul_f32_e32 v2, 0x5f7ffffc, v2
	s_delay_alu instid0(VALU_DEP_1) | instskip(NEXT) | instid1(VALU_DEP_1)
	v_mul_f32_e32 v4, 0x2f800000, v2
	v_trunc_f32_e32 v4, v4
	s_delay_alu instid0(VALU_DEP_1) | instskip(SKIP_1) | instid1(VALU_DEP_2)
	v_fmac_f32_e32 v2, 0xcf800000, v4
	v_cvt_u32_f32_e32 v4, v4
	v_cvt_u32_f32_e32 v2, v2
	s_delay_alu instid0(VALU_DEP_2) | instskip(NEXT) | instid1(VALU_DEP_2)
	v_readfirstlane_b32 s4, v4
	v_readfirstlane_b32 s5, v2
	s_delay_alu instid0(VALU_DEP_2) | instskip(NEXT) | instid1(VALU_DEP_1)
	s_mul_i32 s16, s14, s4
	s_mul_hi_u32 s56, s14, s5
	s_mul_i32 s17, s15, s5
	s_add_i32 s16, s56, s16
	s_mul_i32 s64, s14, s5
	s_add_i32 s16, s16, s17
	s_mul_hi_u32 s56, s5, s64
	s_mul_hi_u32 s65, s4, s64
	s_mul_i32 s17, s4, s64
	s_mul_hi_u32 s64, s5, s16
	s_mul_i32 s5, s5, s16
	s_mul_hi_u32 s67, s4, s16
	s_add_u32 s5, s56, s5
	s_addc_u32 s56, 0, s64
	s_add_u32 s5, s5, s17
	s_mul_i32 s16, s4, s16
	s_addc_u32 s5, s56, s65
	s_addc_u32 s17, s67, 0
	s_add_u32 s5, s5, s16
	s_addc_u32 s16, 0, s17
	v_add_co_u32 v2, s5, v2, s5
	s_delay_alu instid0(VALU_DEP_1) | instskip(SKIP_1) | instid1(VALU_DEP_1)
	s_cmp_lg_u32 s5, 0
	s_addc_u32 s4, s4, s16
	v_readfirstlane_b32 s5, v2
	s_mul_i32 s16, s14, s4
	s_delay_alu instid0(VALU_DEP_1)
	s_mul_hi_u32 s17, s14, s5
	s_mul_i32 s15, s15, s5
	s_add_i32 s16, s17, s16
	s_mul_i32 s14, s14, s5
	s_add_i32 s16, s16, s15
	s_mul_hi_u32 s17, s4, s14
	s_mul_i32 s56, s4, s14
	s_mul_hi_u32 s14, s5, s14
	s_mul_hi_u32 s64, s5, s16
	s_mul_i32 s5, s5, s16
	s_mul_hi_u32 s15, s4, s16
	s_add_u32 s5, s14, s5
	s_addc_u32 s14, 0, s64
	s_add_u32 s5, s5, s56
	s_mul_i32 s16, s4, s16
	s_addc_u32 s5, s14, s17
	s_addc_u32 s14, s15, 0
	s_add_u32 s5, s5, s16
	s_addc_u32 s14, 0, s14
	v_add_co_u32 v2, s5, v2, s5
	s_delay_alu instid0(VALU_DEP_1) | instskip(SKIP_1) | instid1(VALU_DEP_1)
	s_cmp_lg_u32 s5, 0
	s_addc_u32 s4, s4, s14
	v_readfirstlane_b32 s5, v2
	s_mul_i32 s15, s77, s4
	s_mul_hi_u32 s14, s77, s4
	s_mul_hi_u32 s16, s57, s4
	s_mul_i32 s4, s57, s4
	s_mul_hi_u32 s17, s77, s5
	s_mul_hi_u32 s56, s57, s5
	s_mul_i32 s5, s57, s5
	s_add_u32 s15, s17, s15
	s_addc_u32 s14, 0, s14
	s_add_u32 s5, s15, s5
	s_addc_u32 s5, s14, s56
	s_addc_u32 s14, s16, 0
	s_add_u32 s4, s5, s4
	s_addc_u32 s5, 0, s14
	s_mul_hi_u32 s14, s41, s4
	s_mul_i32 s4, s41, s4
	s_mul_i32 s5, s41, s5
	v_sub_co_u32 v2, s4, s77, s4
	s_add_i32 s14, s14, s5
	s_cmp_lg_u32 s4, 0
	s_delay_alu instid0(VALU_DEP_1) | instskip(SKIP_2) | instid1(VALU_DEP_1)
	v_sub_co_u32 v4, s4, v2, s41
	s_subb_u32 s5, s57, s14
	s_cmp_lg_u32 s4, 0
	v_cmp_le_u32_e32 vcc_lo, s41, v4
	v_sub_co_u32 v5, s4, v4, s41
	s_subb_u32 s14, s5, 0
	s_cmp_lg_u32 s4, 0
	v_cndmask_b32_e64 v6, 0, -1, vcc_lo
	s_subb_u32 s4, s14, 0
	s_cmp_eq_u32 s14, 0
	v_mov_b32_e32 v8, s4
	s_cselect_b32 vcc_lo, -1, 0
	s_cmp_eq_u32 s5, 0
	v_cndmask_b32_e32 v6, -1, v6, vcc_lo
	v_cmp_le_u32_e32 vcc_lo, s41, v2
	s_cselect_b32 s4, -1, 0
	v_cndmask_b32_e64 v7, 0, -1, vcc_lo
	s_delay_alu instid0(VALU_DEP_3) | instskip(NEXT) | instid1(VALU_DEP_2)
	v_cmp_ne_u32_e32 vcc_lo, 0, v6
	v_cndmask_b32_e64 v6, -1, v7, s4
	v_cndmask_b32_e32 v7, s14, v8, vcc_lo
	v_cndmask_b32_e32 v4, v4, v5, vcc_lo
	s_delay_alu instid0(VALU_DEP_3) | instskip(NEXT) | instid1(VALU_DEP_3)
	v_cmp_ne_u32_e32 vcc_lo, 0, v6
	v_cndmask_b32_e32 v5, s5, v7, vcc_lo
	s_delay_alu instid0(VALU_DEP_3)
	v_cndmask_b32_e32 v4, v2, v4, vcc_lo
	s_cbranch_execnz .LBB117_216
.LBB117_215:                            ;   in Loop: Header=BB117_27 Depth=1
	v_cvt_f32_u32_e32 v2, s41
	s_sub_i32 s4, 0, s41
	s_delay_alu instid0(VALU_DEP_1) | instskip(SKIP_2) | instid1(VALU_DEP_1)
	v_rcp_iflag_f32_e32 v2, v2
	s_waitcnt_depctr 0xfff
	v_mul_f32_e32 v2, 0x4f7ffffe, v2
	v_cvt_u32_f32_e32 v2, v2
	s_delay_alu instid0(VALU_DEP_1) | instskip(NEXT) | instid1(VALU_DEP_1)
	v_mul_lo_u32 v4, s4, v2
	v_mul_hi_u32 v4, v2, v4
	s_delay_alu instid0(VALU_DEP_1) | instskip(NEXT) | instid1(VALU_DEP_1)
	v_add_nc_u32_e32 v2, v2, v4
	v_mul_hi_u32 v2, s77, v2
	s_delay_alu instid0(VALU_DEP_1) | instskip(NEXT) | instid1(VALU_DEP_1)
	v_mul_lo_u32 v2, v2, s41
	v_sub_nc_u32_e32 v2, s77, v2
	s_delay_alu instid0(VALU_DEP_1) | instskip(SKIP_1) | instid1(VALU_DEP_2)
	v_subrev_nc_u32_e32 v4, s41, v2
	v_cmp_le_u32_e32 vcc_lo, s41, v2
	v_cndmask_b32_e32 v2, v2, v4, vcc_lo
	s_delay_alu instid0(VALU_DEP_1) | instskip(SKIP_1) | instid1(VALU_DEP_2)
	v_subrev_nc_u32_e32 v4, s41, v2
	v_cmp_le_u32_e32 vcc_lo, s41, v2
	v_cndmask_b32_e32 v18, v2, v4, vcc_lo
	s_delay_alu instid0(VALU_DEP_1)
	v_dual_mov_b32 v4, v18 :: v_dual_mov_b32 v5, v19
.LBB117_216:                            ;   in Loop: Header=BB117_27 Depth=1
	s_delay_alu instid0(VALU_DEP_1) | instskip(NEXT) | instid1(VALU_DEP_2)
	v_sub_co_u32 v8, vcc_lo, s77, v4
	v_sub_co_ci_u32_e32 v9, vcc_lo, s57, v5, vcc_lo
	s_mov_b32 s4, 0
	s_mov_b32 s5, exec_lo
                                        ; implicit-def: $vgpr6_vgpr7
	s_delay_alu instid0(VALU_DEP_1)
	v_cmpx_gt_u64_e64 v[8:9], v[0:1]
	s_cbranch_execz .LBB117_225
; %bb.217:                              ;   in Loop: Header=BB117_27 Depth=1
	v_dual_mov_b32 v11, v1 :: v_dual_mov_b32 v10, v0
	s_mov_b32 s15, 0
                                        ; implicit-def: $sgpr14
	s_branch .LBB117_219
.LBB117_218:                            ;   in Loop: Header=BB117_219 Depth=2
	s_or_b32 exec_lo, exec_lo, s4
	s_waitcnt vmcnt(0) lgkmcnt(0)
	s_barrier
	buffer_gl0_inv
	ds_load_b128 v[4:7], v19 offset:3072
	v_add_co_u32 v10, s4, v10, s41
	s_delay_alu instid0(VALU_DEP_1)
	v_add_co_ci_u32_e64 v11, s4, 0, v11, s4
	s_waitcnt lgkmcnt(0)
	s_barrier
	buffer_gl0_inv
	v_cmp_ge_u64_e64 s4, v[10:11], v[8:9]
	v_cmp_neq_f64_e32 vcc_lo, 0, v[4:5]
	s_delay_alu instid0(VALU_DEP_2) | instskip(NEXT) | instid1(SALU_CYCLE_1)
	s_or_b32 s4, s4, vcc_lo
	s_and_b32 s4, exec_lo, s4
	s_delay_alu instid0(SALU_CYCLE_1) | instskip(SKIP_2) | instid1(SALU_CYCLE_1)
	s_or_b32 s15, s4, s15
	s_and_not1_b32 s4, s14, exec_lo
	s_and_b32 s14, vcc_lo, exec_lo
	s_or_b32 s14, s4, s14
	s_and_not1_b32 exec_lo, exec_lo, s15
	s_cbranch_execz .LBB117_224
.LBB117_219:                            ;   Parent Loop BB117_27 Depth=1
                                        ; =>  This Inner Loop Header: Depth=2
	s_delay_alu instid0(VALU_DEP_1)
	v_cmp_gt_u64_e32 vcc_lo, s[24:25], v[10:11]
	v_mov_b32_e32 v4, 0
	v_mov_b32_e32 v5, 0
	s_and_saveexec_b32 s16, vcc_lo
	s_cbranch_execz .LBB117_221
; %bb.220:                              ;   in Loop: Header=BB117_219 Depth=2
	v_mul_lo_u32 v2, v11, s42
	v_mul_lo_u32 v6, v10, s43
	v_mad_u64_u32 v[4:5], null, v10, s42, 0
	s_delay_alu instid0(VALU_DEP_1) | instskip(NEXT) | instid1(VALU_DEP_1)
	v_add3_u32 v5, v5, v6, v2
	v_lshlrev_b64 v[4:5], 3, v[4:5]
	s_delay_alu instid0(VALU_DEP_1) | instskip(NEXT) | instid1(VALU_DEP_1)
	v_add_co_u32 v4, s4, s33, v4
	v_add_co_ci_u32_e64 v5, s4, s35, v5, s4
	global_load_b64 v[4:5], v[4:5], off
.LBB117_221:                            ;   in Loop: Header=BB117_219 Depth=2
	s_or_b32 exec_lo, exec_lo, s16
	s_and_saveexec_b32 s4, vcc_lo
	s_cbranch_execz .LBB117_218
; %bb.222:                              ;   in Loop: Header=BB117_219 Depth=2
	s_waitcnt vmcnt(0)
	v_cmp_o_f64_e32 vcc_lo, v[4:5], v[4:5]
	v_ashrrev_i32_e32 v2, 31, v5
	s_delay_alu instid0(VALU_DEP_1) | instskip(SKIP_1) | instid1(VALU_DEP_2)
	v_or_b32_e32 v6, 0x80000000, v2
	v_xor_b32_e32 v2, v2, v4
	v_xor_b32_e32 v6, v6, v5
	s_delay_alu instid0(VALU_DEP_1) | instskip(NEXT) | instid1(VALU_DEP_3)
	v_cndmask_b32_e32 v6, -1, v6, vcc_lo
	v_cndmask_b32_e32 v2, -1, v2, vcc_lo
	s_delay_alu instid0(VALU_DEP_2) | instskip(NEXT) | instid1(VALU_DEP_2)
	v_and_b32_e32 v7, s63, v6
	v_and_b32_e32 v6, s62, v2
	s_delay_alu instid0(VALU_DEP_1)
	v_cmp_eq_u64_e32 vcc_lo, s[60:61], v[6:7]
	s_and_b32 exec_lo, exec_lo, vcc_lo
	s_cbranch_execz .LBB117_218
; %bb.223:                              ;   in Loop: Header=BB117_219 Depth=2
	v_mov_b32_e32 v2, v19
	ds_store_b128 v19, v[2:5] offset:3072
	s_branch .LBB117_218
.LBB117_224:                            ;   in Loop: Header=BB117_27 Depth=1
	s_or_b32 exec_lo, exec_lo, s15
	s_delay_alu instid0(SALU_CYCLE_1)
	s_and_b32 s4, s14, exec_lo
.LBB117_225:                            ;   in Loop: Header=BB117_27 Depth=1
	s_or_b32 exec_lo, exec_lo, s5
	s_mov_b32 s64, -1
	s_mov_b32 s16, 0
	s_mov_b32 s17, 0
.LBB117_226:                            ;   in Loop: Header=BB117_27 Depth=1
	s_mov_b32 s5, 0
                                        ; implicit-def: $sgpr56
	s_and_saveexec_b32 s65, s4
	s_cbranch_execz .LBB117_288
; %bb.227:                              ;   in Loop: Header=BB117_27 Depth=1
	s_xor_b32 s4, s66, -1
	s_mov_b32 s56, 1
	s_and_not1_b32 vcc_lo, exec_lo, s4
	s_cbranch_vccnz .LBB117_238
; %bb.228:                              ;   in Loop: Header=BB117_27 Depth=1
	v_cmp_gt_u64_e64 s4, s[52:53], s[10:11]
	s_mov_b32 s66, -1
                                        ; implicit-def: $sgpr56
                                        ; implicit-def: $sgpr14_sgpr15
	s_delay_alu instid0(VALU_DEP_1)
	s_and_b32 vcc_lo, exec_lo, s4
                                        ; implicit-def: $sgpr4_sgpr5
	s_cbranch_vccnz .LBB117_234
; %bb.229:                              ;   in Loop: Header=BB117_27 Depth=1
	ds_load_b64 v[4:5], v19 offset:5120
	s_waitcnt lgkmcnt(0)
	v_cmp_ne_u64_e32 vcc_lo, 0, v[4:5]
	s_cbranch_vccnz .LBB117_233
; %bb.230:                              ;   in Loop: Header=BB117_27 Depth=1
	s_and_saveexec_b32 s4, s3
	s_cbranch_execz .LBB117_232
; %bb.231:                              ;   in Loop: Header=BB117_27 Depth=1
	v_dual_mov_b32 v4, s10 :: v_dual_mov_b32 v5, s11
	ds_store_b64 v19, v[4:5] offset:5128
.LBB117_232:                            ;   in Loop: Header=BB117_27 Depth=1
	s_or_b32 exec_lo, exec_lo, s4
	s_waitcnt lgkmcnt(0)
	s_barrier
	buffer_gl0_inv
.LBB117_233:                            ;   in Loop: Header=BB117_27 Depth=1
	s_lshl_b64 s[4:5], 2, s21
	s_and_b64 s[12:13], s[60:61], s[12:13]
	s_or_b64 s[14:15], s[62:63], s[8:9]
	s_or_b64 s[4:5], s[12:13], s[4:5]
	s_mov_b32 s66, 0
	s_mov_b32 s56, 8
.LBB117_234:                            ;   in Loop: Header=BB117_27 Depth=1
	s_and_not1_b32 vcc_lo, exec_lo, s66
	s_cbranch_vccnz .LBB117_236
; %bb.235:                              ;   in Loop: Header=BB117_27 Depth=1
	s_sub_u32 s52, s52, s10
	s_subb_u32 s53, s53, s11
	s_mov_b32 s66, -1
	s_mov_b32 s56, 0
	s_mov_b64 s[4:5], s[60:61]
	s_mov_b64 s[14:15], s[62:63]
.LBB117_236:                            ;   in Loop: Header=BB117_27 Depth=1
	s_delay_alu instid0(SALU_CYCLE_1)
	s_mov_b64 s[62:63], s[14:15]
	s_mov_b64 s[60:61], s[4:5]
	s_and_not1_b32 vcc_lo, exec_lo, s66
	s_mov_b32 s10, -1
	s_cbranch_vccz .LBB117_239
.LBB117_237:                            ;   in Loop: Header=BB117_27 Depth=1
                                        ; implicit-def: $sgpr13
                                        ; implicit-def: $sgpr15
                                        ; implicit-def: $sgpr14
	s_branch .LBB117_287
.LBB117_238:                            ;   in Loop: Header=BB117_27 Depth=1
	s_mov_b64 s[52:53], 1
	s_mov_b32 s10, -1
	s_cbranch_execnz .LBB117_237
.LBB117_239:                            ;   in Loop: Header=BB117_27 Depth=1
	s_cmp_eq_u64 s[6:7], 1
	s_mov_b32 s21, -1
	s_cselect_b32 s4, -1, 0
	s_cmp_eq_u64 s[52:53], 1
	s_cselect_b32 s5, -1, 0
	s_delay_alu instid0(SALU_CYCLE_1) | instskip(NEXT) | instid1(SALU_CYCLE_1)
	s_and_b32 s12, s4, s5
	s_and_b32 vcc_lo, exec_lo, s12
	s_cbranch_vccz .LBB117_254
; %bb.240:                              ;   in Loop: Header=BB117_27 Depth=1
	ds_load_b64 v[4:5], v19 offset:5120
	s_waitcnt lgkmcnt(0)
	s_barrier
	buffer_gl0_inv
	v_readfirstlane_b32 s10, v4
	v_readfirstlane_b32 s11, v5
	s_and_saveexec_b32 s4, s0
	s_cbranch_execz .LBB117_242
; %bb.241:                              ;   in Loop: Header=BB117_27 Depth=1
	v_mov_b32_e32 v18, v19
	ds_store_b64 v28, v[18:19]
.LBB117_242:                            ;   in Loop: Header=BB117_27 Depth=1
	s_or_b32 exec_lo, exec_lo, s4
	s_or_b64 s[60:61], s[60:61], s[8:9]
	s_or_b64 s[62:63], s[62:63], s[8:9]
	s_cmp_eq_u64 s[10:11], 0
	s_waitcnt lgkmcnt(0)
	s_barrier
	buffer_gl0_inv
	s_cbranch_scc1 .LBB117_257
; %bb.243:                              ;   in Loop: Header=BB117_27 Depth=1
	s_add_u32 s13, s75, s10
	s_addc_u32 s5, s76, s11
	s_mov_b32 s4, s55
	s_delay_alu instid0(SALU_CYCLE_1)
	s_cmp_lg_u64 s[4:5], 0
	s_cbranch_scc0 .LBB117_293
; %bb.244:                              ;   in Loop: Header=BB117_27 Depth=1
	v_cvt_f32_u32_e32 v2, s41
	s_sub_u32 s15, 0, s41
	s_subb_u32 s21, 0, 0
	s_delay_alu instid0(VALU_DEP_1) | instskip(NEXT) | instid1(VALU_DEP_1)
	v_fmac_f32_e64 v2, 0, 0x4f800000
	v_rcp_f32_e32 v2, v2
	s_waitcnt_depctr 0xfff
	v_mul_f32_e32 v2, 0x5f7ffffc, v2
	s_delay_alu instid0(VALU_DEP_1) | instskip(NEXT) | instid1(VALU_DEP_1)
	v_mul_f32_e32 v4, 0x2f800000, v2
	v_trunc_f32_e32 v4, v4
	s_delay_alu instid0(VALU_DEP_1) | instskip(SKIP_1) | instid1(VALU_DEP_2)
	v_fmac_f32_e32 v2, 0xcf800000, v4
	v_cvt_u32_f32_e32 v4, v4
	v_cvt_u32_f32_e32 v2, v2
	s_delay_alu instid0(VALU_DEP_2) | instskip(NEXT) | instid1(VALU_DEP_2)
	v_readfirstlane_b32 s4, v4
	v_readfirstlane_b32 s14, v2
	s_delay_alu instid0(VALU_DEP_2) | instskip(NEXT) | instid1(VALU_DEP_1)
	s_mul_i32 s56, s15, s4
	s_mul_hi_u32 s67, s15, s14
	s_mul_i32 s66, s21, s14
	s_add_i32 s56, s67, s56
	s_mul_i32 s68, s15, s14
	s_add_i32 s56, s56, s66
	s_mul_hi_u32 s67, s14, s68
	s_mul_hi_u32 s69, s4, s68
	s_mul_i32 s66, s4, s68
	s_mul_hi_u32 s68, s14, s56
	s_mul_i32 s14, s14, s56
	s_mul_hi_u32 s70, s4, s56
	s_add_u32 s14, s67, s14
	s_addc_u32 s67, 0, s68
	s_add_u32 s14, s14, s66
	s_mul_i32 s56, s4, s56
	s_addc_u32 s14, s67, s69
	s_addc_u32 s66, s70, 0
	s_add_u32 s14, s14, s56
	s_addc_u32 s56, 0, s66
	v_add_co_u32 v2, s14, v2, s14
	s_delay_alu instid0(VALU_DEP_1) | instskip(SKIP_1) | instid1(VALU_DEP_1)
	s_cmp_lg_u32 s14, 0
	s_addc_u32 s4, s4, s56
	v_readfirstlane_b32 s14, v2
	s_mul_i32 s56, s15, s4
	s_delay_alu instid0(VALU_DEP_1)
	s_mul_hi_u32 s66, s15, s14
	s_mul_i32 s21, s21, s14
	s_add_i32 s56, s66, s56
	s_mul_i32 s15, s15, s14
	s_add_i32 s56, s56, s21
	s_mul_hi_u32 s66, s4, s15
	s_mul_i32 s67, s4, s15
	s_mul_hi_u32 s15, s14, s15
	s_mul_hi_u32 s68, s14, s56
	s_mul_i32 s14, s14, s56
	s_mul_hi_u32 s21, s4, s56
	s_add_u32 s14, s15, s14
	s_addc_u32 s15, 0, s68
	s_add_u32 s14, s14, s67
	s_mul_i32 s56, s4, s56
	s_addc_u32 s14, s15, s66
	s_addc_u32 s15, s21, 0
	s_add_u32 s14, s14, s56
	s_addc_u32 s15, 0, s15
	v_add_co_u32 v2, s14, v2, s14
	s_delay_alu instid0(VALU_DEP_1) | instskip(SKIP_1) | instid1(VALU_DEP_1)
	s_cmp_lg_u32 s14, 0
	s_addc_u32 s4, s4, s15
	v_readfirstlane_b32 s14, v2
	s_mul_i32 s21, s13, s4
	s_mul_hi_u32 s15, s13, s4
	s_mul_hi_u32 s56, s5, s4
	s_mul_i32 s4, s5, s4
	s_mul_hi_u32 s66, s13, s14
	s_mul_hi_u32 s67, s5, s14
	s_mul_i32 s14, s5, s14
	s_add_u32 s21, s66, s21
	s_addc_u32 s15, 0, s15
	s_add_u32 s14, s21, s14
	s_addc_u32 s14, s15, s67
	s_addc_u32 s15, s56, 0
	s_add_u32 s4, s14, s4
	s_addc_u32 s14, 0, s15
	s_mul_hi_u32 s15, s41, s4
	s_mul_i32 s4, s41, s4
	s_mul_i32 s14, s41, s14
	v_sub_co_u32 v2, s4, s13, s4
	s_add_i32 s15, s15, s14
	s_cmp_lg_u32 s4, 0
	s_delay_alu instid0(VALU_DEP_1) | instskip(SKIP_2) | instid1(VALU_DEP_1)
	v_sub_co_u32 v4, s4, v2, s41
	s_subb_u32 s14, s5, s15
	s_cmp_lg_u32 s4, 0
	v_cmp_le_u32_e32 vcc_lo, s41, v4
	v_sub_co_u32 v5, s4, v4, s41
	s_subb_u32 s15, s14, 0
	s_cmp_lg_u32 s4, 0
	v_cndmask_b32_e64 v6, 0, -1, vcc_lo
	s_subb_u32 s4, s15, 0
	s_cmp_eq_u32 s15, 0
	v_mov_b32_e32 v8, s4
	s_cselect_b32 vcc_lo, -1, 0
	s_cmp_eq_u32 s14, 0
	v_cndmask_b32_e32 v6, -1, v6, vcc_lo
	v_cmp_le_u32_e32 vcc_lo, s41, v2
	s_cselect_b32 s4, -1, 0
	v_cndmask_b32_e64 v7, 0, -1, vcc_lo
	s_delay_alu instid0(VALU_DEP_3) | instskip(NEXT) | instid1(VALU_DEP_2)
	v_cmp_ne_u32_e32 vcc_lo, 0, v6
	v_cndmask_b32_e64 v6, -1, v7, s4
	v_cndmask_b32_e32 v7, s15, v8, vcc_lo
	v_cndmask_b32_e32 v4, v4, v5, vcc_lo
	s_delay_alu instid0(VALU_DEP_3) | instskip(NEXT) | instid1(VALU_DEP_3)
	v_cmp_ne_u32_e32 vcc_lo, 0, v6
	v_cndmask_b32_e32 v5, s14, v7, vcc_lo
	s_delay_alu instid0(VALU_DEP_3)
	v_cndmask_b32_e32 v4, v2, v4, vcc_lo
	s_cbranch_execnz .LBB117_246
.LBB117_245:                            ;   in Loop: Header=BB117_27 Depth=1
	v_cvt_f32_u32_e32 v2, s41
	s_sub_i32 s4, 0, s41
	s_delay_alu instid0(VALU_DEP_1) | instskip(SKIP_2) | instid1(VALU_DEP_1)
	v_rcp_iflag_f32_e32 v2, v2
	s_waitcnt_depctr 0xfff
	v_mul_f32_e32 v2, 0x4f7ffffe, v2
	v_cvt_u32_f32_e32 v2, v2
	s_delay_alu instid0(VALU_DEP_1) | instskip(NEXT) | instid1(VALU_DEP_1)
	v_mul_lo_u32 v4, s4, v2
	v_mul_hi_u32 v4, v2, v4
	s_delay_alu instid0(VALU_DEP_1) | instskip(NEXT) | instid1(VALU_DEP_1)
	v_add_nc_u32_e32 v2, v2, v4
	v_mul_hi_u32 v2, s13, v2
	s_delay_alu instid0(VALU_DEP_1) | instskip(NEXT) | instid1(VALU_DEP_1)
	v_mul_lo_u32 v2, v2, s41
	v_sub_nc_u32_e32 v2, s13, v2
	s_delay_alu instid0(VALU_DEP_1) | instskip(SKIP_1) | instid1(VALU_DEP_2)
	v_subrev_nc_u32_e32 v4, s41, v2
	v_cmp_le_u32_e32 vcc_lo, s41, v2
	v_cndmask_b32_e32 v2, v2, v4, vcc_lo
	s_delay_alu instid0(VALU_DEP_1) | instskip(SKIP_1) | instid1(VALU_DEP_2)
	v_subrev_nc_u32_e32 v4, s41, v2
	v_cmp_le_u32_e32 vcc_lo, s41, v2
	v_cndmask_b32_e32 v18, v2, v4, vcc_lo
	s_delay_alu instid0(VALU_DEP_1)
	v_dual_mov_b32 v4, v18 :: v_dual_mov_b32 v5, v19
.LBB117_246:                            ;   in Loop: Header=BB117_27 Depth=1
	s_delay_alu instid0(VALU_DEP_1) | instskip(NEXT) | instid1(VALU_DEP_2)
	v_sub_co_u32 v8, vcc_lo, s13, v4
	v_sub_co_ci_u32_e32 v9, vcc_lo, s5, v5, vcc_lo
	s_mov_b32 s21, 0
	s_mov_b32 s5, exec_lo
                                        ; implicit-def: $vgpr6_vgpr7
	s_delay_alu instid0(VALU_DEP_1)
	v_cmpx_gt_u64_e64 v[8:9], v[0:1]
	s_cbranch_execz .LBB117_259
; %bb.247:                              ;   in Loop: Header=BB117_27 Depth=1
	v_dual_mov_b32 v12, v27 :: v_dual_mov_b32 v11, v1
	v_mov_b32_e32 v10, v0
	s_mov_b32 s14, 0
                                        ; implicit-def: $sgpr13
	s_set_inst_prefetch_distance 0x1
	s_branch .LBB117_249
	.p2align	6
.LBB117_248:                            ;   in Loop: Header=BB117_249 Depth=2
	s_or_b32 exec_lo, exec_lo, s4
	s_waitcnt lgkmcnt(0)
	s_barrier
	buffer_gl0_inv
	ds_load_b128 v[4:7], v19 offset:3072
	v_add_co_u32 v10, s4, v10, s41
	s_delay_alu instid0(VALU_DEP_1) | instskip(SKIP_3) | instid1(VALU_DEP_2)
	v_add_co_ci_u32_e64 v11, s4, 0, v11, s4
	v_add_nc_u32_e32 v12, s83, v12
	s_waitcnt lgkmcnt(0)
	s_barrier
	v_cmp_ge_u64_e64 s4, v[10:11], v[8:9]
	buffer_gl0_inv
	v_cmp_neq_f64_e32 vcc_lo, 0, v[4:5]
	s_or_b32 s4, s4, vcc_lo
	s_delay_alu instid0(SALU_CYCLE_1) | instskip(NEXT) | instid1(SALU_CYCLE_1)
	s_and_b32 s4, exec_lo, s4
	s_or_b32 s14, s4, s14
	s_and_not1_b32 s4, s13, exec_lo
	s_and_b32 s13, vcc_lo, exec_lo
	s_delay_alu instid0(SALU_CYCLE_1)
	s_or_b32 s13, s4, s13
	s_and_not1_b32 exec_lo, exec_lo, s14
	s_cbranch_execz .LBB117_258
.LBB117_249:                            ;   Parent Loop BB117_27 Depth=1
                                        ; =>  This Inner Loop Header: Depth=2
	s_delay_alu instid0(VALU_DEP_1)
	v_cmp_gt_u64_e32 vcc_lo, s[10:11], v[10:11]
	v_mov_b32_e32 v4, 0
	v_mov_b32_e32 v5, 0
	s_and_saveexec_b32 s4, vcc_lo
	s_cbranch_execz .LBB117_251
; %bb.250:                              ;   in Loop: Header=BB117_249 Depth=2
	ds_load_b64 v[4:5], v12
.LBB117_251:                            ;   in Loop: Header=BB117_249 Depth=2
	s_or_b32 exec_lo, exec_lo, s4
	s_and_saveexec_b32 s4, vcc_lo
	s_cbranch_execz .LBB117_248
; %bb.252:                              ;   in Loop: Header=BB117_249 Depth=2
	s_waitcnt lgkmcnt(0)
	v_cmp_o_f64_e32 vcc_lo, v[4:5], v[4:5]
	v_ashrrev_i32_e32 v2, 31, v5
	s_delay_alu instid0(VALU_DEP_1) | instskip(SKIP_1) | instid1(VALU_DEP_2)
	v_or_b32_e32 v6, 0x80000000, v2
	v_xor_b32_e32 v2, v2, v4
	v_xor_b32_e32 v6, v6, v5
	s_delay_alu instid0(VALU_DEP_1) | instskip(NEXT) | instid1(VALU_DEP_3)
	v_cndmask_b32_e32 v6, -1, v6, vcc_lo
	v_cndmask_b32_e32 v2, -1, v2, vcc_lo
	s_delay_alu instid0(VALU_DEP_2) | instskip(NEXT) | instid1(VALU_DEP_2)
	v_and_b32_e32 v7, s63, v6
	v_and_b32_e32 v6, s62, v2
	s_delay_alu instid0(VALU_DEP_1)
	v_cmp_eq_u64_e32 vcc_lo, s[60:61], v[6:7]
	s_and_b32 exec_lo, exec_lo, vcc_lo
	s_cbranch_execz .LBB117_248
; %bb.253:                              ;   in Loop: Header=BB117_249 Depth=2
	v_mov_b32_e32 v2, v19
	ds_store_b128 v19, v[2:5] offset:3072
	s_branch .LBB117_248
.LBB117_254:                            ;   in Loop: Header=BB117_27 Depth=1
                                        ; implicit-def: $sgpr13
                                        ; implicit-def: $sgpr15
                                        ; implicit-def: $sgpr14
	s_branch .LBB117_273
.LBB117_255:                            ;   in Loop: Header=BB117_27 Depth=1
                                        ; implicit-def: $vgpr4_vgpr5
	s_branch .LBB117_198
.LBB117_256:                            ;   in Loop: Header=BB117_27 Depth=1
                                        ; implicit-def: $vgpr4_vgpr5
	s_branch .LBB117_215
.LBB117_257:                            ;   in Loop: Header=BB117_27 Depth=1
	s_mov_b32 s13, -1
	s_mov_b32 s21, 0
                                        ; implicit-def: $sgpr14
                                        ; implicit-def: $vgpr6_vgpr7
	s_mov_b32 s15, s13
	s_cbranch_execnz .LBB117_260
	s_branch .LBB117_273
.LBB117_258:                            ;   in Loop: Header=BB117_27 Depth=1
	s_set_inst_prefetch_distance 0x2
	s_or_b32 exec_lo, exec_lo, s14
	s_delay_alu instid0(SALU_CYCLE_1)
	s_and_b32 s21, s13, exec_lo
.LBB117_259:                            ;   in Loop: Header=BB117_27 Depth=1
	s_or_b32 exec_lo, exec_lo, s5
	s_mov_b32 s14, -1
	s_mov_b32 s13, 0
	s_delay_alu instid0(SALU_CYCLE_1)
	s_mov_b32 s15, s13
	s_branch .LBB117_273
.LBB117_260:                            ;   in Loop: Header=BB117_27 Depth=1
	s_mov_b32 s56, s55
	s_delay_alu instid0(SALU_CYCLE_1)
	s_cmp_lg_u64 s[56:57], 0
	s_cbranch_scc0 .LBB117_294
; %bb.261:                              ;   in Loop: Header=BB117_27 Depth=1
	v_cvt_f32_u32_e32 v2, s41
	s_sub_u32 s10, 0, s41
	s_subb_u32 s11, 0, 0
	s_delay_alu instid0(VALU_DEP_1) | instskip(NEXT) | instid1(VALU_DEP_1)
	v_fmac_f32_e64 v2, 0, 0x4f800000
	v_rcp_f32_e32 v2, v2
	s_waitcnt_depctr 0xfff
	v_mul_f32_e32 v2, 0x5f7ffffc, v2
	s_delay_alu instid0(VALU_DEP_1) | instskip(NEXT) | instid1(VALU_DEP_1)
	v_mul_f32_e32 v4, 0x2f800000, v2
	v_trunc_f32_e32 v4, v4
	s_delay_alu instid0(VALU_DEP_1) | instskip(SKIP_1) | instid1(VALU_DEP_2)
	v_fmac_f32_e32 v2, 0xcf800000, v4
	v_cvt_u32_f32_e32 v4, v4
	v_cvt_u32_f32_e32 v2, v2
	s_delay_alu instid0(VALU_DEP_2) | instskip(NEXT) | instid1(VALU_DEP_2)
	v_readfirstlane_b32 s4, v4
	v_readfirstlane_b32 s5, v2
	s_delay_alu instid0(VALU_DEP_2) | instskip(NEXT) | instid1(VALU_DEP_1)
	s_mul_i32 s13, s10, s4
	s_mul_hi_u32 s15, s10, s5
	s_mul_i32 s14, s11, s5
	s_add_i32 s13, s15, s13
	s_mul_i32 s21, s10, s5
	s_add_i32 s13, s13, s14
	s_mul_hi_u32 s15, s5, s21
	s_mul_hi_u32 s56, s4, s21
	s_mul_i32 s14, s4, s21
	s_mul_hi_u32 s21, s5, s13
	s_mul_i32 s5, s5, s13
	s_mul_hi_u32 s66, s4, s13
	s_add_u32 s5, s15, s5
	s_addc_u32 s15, 0, s21
	s_add_u32 s5, s5, s14
	s_mul_i32 s13, s4, s13
	s_addc_u32 s5, s15, s56
	s_addc_u32 s14, s66, 0
	s_add_u32 s5, s5, s13
	s_addc_u32 s13, 0, s14
	v_add_co_u32 v2, s5, v2, s5
	s_delay_alu instid0(VALU_DEP_1) | instskip(SKIP_1) | instid1(VALU_DEP_1)
	s_cmp_lg_u32 s5, 0
	s_addc_u32 s4, s4, s13
	v_readfirstlane_b32 s5, v2
	s_mul_i32 s13, s10, s4
	s_delay_alu instid0(VALU_DEP_1)
	s_mul_hi_u32 s14, s10, s5
	s_mul_i32 s11, s11, s5
	s_add_i32 s13, s14, s13
	s_mul_i32 s10, s10, s5
	s_add_i32 s13, s13, s11
	s_mul_hi_u32 s14, s4, s10
	s_mul_i32 s15, s4, s10
	s_mul_hi_u32 s10, s5, s10
	s_mul_hi_u32 s21, s5, s13
	s_mul_i32 s5, s5, s13
	s_mul_hi_u32 s11, s4, s13
	s_add_u32 s5, s10, s5
	s_addc_u32 s10, 0, s21
	s_add_u32 s5, s5, s15
	s_mul_i32 s13, s4, s13
	s_addc_u32 s5, s10, s14
	s_addc_u32 s10, s11, 0
	s_add_u32 s5, s5, s13
	s_addc_u32 s10, 0, s10
	v_add_co_u32 v2, s5, v2, s5
	s_delay_alu instid0(VALU_DEP_1) | instskip(SKIP_1) | instid1(VALU_DEP_1)
	s_cmp_lg_u32 s5, 0
	s_addc_u32 s4, s4, s10
	v_readfirstlane_b32 s5, v2
	s_mul_i32 s11, s77, s4
	s_mul_hi_u32 s10, s77, s4
	s_mul_hi_u32 s13, s57, s4
	s_mul_i32 s4, s57, s4
	s_mul_hi_u32 s14, s77, s5
	s_mul_hi_u32 s15, s57, s5
	s_mul_i32 s5, s57, s5
	s_add_u32 s11, s14, s11
	s_addc_u32 s10, 0, s10
	s_add_u32 s5, s11, s5
	s_addc_u32 s5, s10, s15
	s_addc_u32 s10, s13, 0
	s_add_u32 s4, s5, s4
	s_addc_u32 s5, 0, s10
	s_mul_hi_u32 s10, s41, s4
	s_mul_i32 s4, s41, s4
	s_mul_i32 s5, s41, s5
	v_sub_co_u32 v2, s4, s77, s4
	s_add_i32 s10, s10, s5
	s_cmp_lg_u32 s4, 0
	s_delay_alu instid0(VALU_DEP_1) | instskip(SKIP_2) | instid1(VALU_DEP_1)
	v_sub_co_u32 v4, s4, v2, s41
	s_subb_u32 s5, s57, s10
	s_cmp_lg_u32 s4, 0
	v_cmp_le_u32_e32 vcc_lo, s41, v4
	v_sub_co_u32 v5, s4, v4, s41
	s_subb_u32 s10, s5, 0
	s_cmp_lg_u32 s4, 0
	v_cndmask_b32_e64 v6, 0, -1, vcc_lo
	s_subb_u32 s4, s10, 0
	s_cmp_eq_u32 s10, 0
	v_mov_b32_e32 v8, s4
	s_cselect_b32 vcc_lo, -1, 0
	s_cmp_eq_u32 s5, 0
	v_cndmask_b32_e32 v6, -1, v6, vcc_lo
	v_cmp_le_u32_e32 vcc_lo, s41, v2
	s_cselect_b32 s4, -1, 0
	v_cndmask_b32_e64 v7, 0, -1, vcc_lo
	s_delay_alu instid0(VALU_DEP_3) | instskip(NEXT) | instid1(VALU_DEP_2)
	v_cmp_ne_u32_e32 vcc_lo, 0, v6
	v_cndmask_b32_e64 v6, -1, v7, s4
	v_cndmask_b32_e32 v7, s10, v8, vcc_lo
	v_cndmask_b32_e32 v4, v4, v5, vcc_lo
	s_delay_alu instid0(VALU_DEP_3) | instskip(NEXT) | instid1(VALU_DEP_3)
	v_cmp_ne_u32_e32 vcc_lo, 0, v6
	v_cndmask_b32_e32 v5, s5, v7, vcc_lo
	s_delay_alu instid0(VALU_DEP_3)
	v_cndmask_b32_e32 v4, v2, v4, vcc_lo
	s_cbranch_execnz .LBB117_263
.LBB117_262:                            ;   in Loop: Header=BB117_27 Depth=1
	v_cvt_f32_u32_e32 v2, s41
	s_sub_i32 s4, 0, s41
	s_delay_alu instid0(VALU_DEP_1) | instskip(SKIP_2) | instid1(VALU_DEP_1)
	v_rcp_iflag_f32_e32 v2, v2
	s_waitcnt_depctr 0xfff
	v_mul_f32_e32 v2, 0x4f7ffffe, v2
	v_cvt_u32_f32_e32 v2, v2
	s_delay_alu instid0(VALU_DEP_1) | instskip(NEXT) | instid1(VALU_DEP_1)
	v_mul_lo_u32 v4, s4, v2
	v_mul_hi_u32 v4, v2, v4
	s_delay_alu instid0(VALU_DEP_1) | instskip(NEXT) | instid1(VALU_DEP_1)
	v_add_nc_u32_e32 v2, v2, v4
	v_mul_hi_u32 v2, s77, v2
	s_delay_alu instid0(VALU_DEP_1) | instskip(NEXT) | instid1(VALU_DEP_1)
	v_mul_lo_u32 v2, v2, s41
	v_sub_nc_u32_e32 v2, s77, v2
	s_delay_alu instid0(VALU_DEP_1) | instskip(SKIP_1) | instid1(VALU_DEP_2)
	v_subrev_nc_u32_e32 v4, s41, v2
	v_cmp_le_u32_e32 vcc_lo, s41, v2
	v_cndmask_b32_e32 v2, v2, v4, vcc_lo
	s_delay_alu instid0(VALU_DEP_1) | instskip(SKIP_1) | instid1(VALU_DEP_2)
	v_subrev_nc_u32_e32 v4, s41, v2
	v_cmp_le_u32_e32 vcc_lo, s41, v2
	v_cndmask_b32_e32 v18, v2, v4, vcc_lo
	s_delay_alu instid0(VALU_DEP_1)
	v_dual_mov_b32 v4, v18 :: v_dual_mov_b32 v5, v19
.LBB117_263:                            ;   in Loop: Header=BB117_27 Depth=1
	s_delay_alu instid0(VALU_DEP_1) | instskip(NEXT) | instid1(VALU_DEP_2)
	v_sub_co_u32 v8, vcc_lo, s77, v4
	v_sub_co_ci_u32_e32 v9, vcc_lo, s57, v5, vcc_lo
	s_mov_b32 s21, 0
	s_mov_b32 s5, exec_lo
                                        ; implicit-def: $vgpr6_vgpr7
	s_delay_alu instid0(VALU_DEP_1)
	v_cmpx_gt_u64_e64 v[8:9], v[0:1]
	s_cbranch_execz .LBB117_272
; %bb.264:                              ;   in Loop: Header=BB117_27 Depth=1
	v_dual_mov_b32 v11, v1 :: v_dual_mov_b32 v10, v0
	s_mov_b32 s11, 0
                                        ; implicit-def: $sgpr10
	s_branch .LBB117_266
.LBB117_265:                            ;   in Loop: Header=BB117_266 Depth=2
	s_or_b32 exec_lo, exec_lo, s4
	s_waitcnt vmcnt(0) lgkmcnt(0)
	s_barrier
	buffer_gl0_inv
	ds_load_b128 v[4:7], v19 offset:3072
	v_add_co_u32 v10, s4, v10, s41
	s_delay_alu instid0(VALU_DEP_1)
	v_add_co_ci_u32_e64 v11, s4, 0, v11, s4
	s_waitcnt lgkmcnt(0)
	s_barrier
	buffer_gl0_inv
	v_cmp_ge_u64_e64 s4, v[10:11], v[8:9]
	v_cmp_neq_f64_e32 vcc_lo, 0, v[4:5]
	s_delay_alu instid0(VALU_DEP_2) | instskip(NEXT) | instid1(SALU_CYCLE_1)
	s_or_b32 s4, s4, vcc_lo
	s_and_b32 s4, exec_lo, s4
	s_delay_alu instid0(SALU_CYCLE_1) | instskip(SKIP_2) | instid1(SALU_CYCLE_1)
	s_or_b32 s11, s4, s11
	s_and_not1_b32 s4, s10, exec_lo
	s_and_b32 s10, vcc_lo, exec_lo
	s_or_b32 s10, s4, s10
	s_and_not1_b32 exec_lo, exec_lo, s11
	s_cbranch_execz .LBB117_271
.LBB117_266:                            ;   Parent Loop BB117_27 Depth=1
                                        ; =>  This Inner Loop Header: Depth=2
	s_delay_alu instid0(VALU_DEP_1)
	v_cmp_gt_u64_e32 vcc_lo, s[24:25], v[10:11]
	v_mov_b32_e32 v4, 0
	v_mov_b32_e32 v5, 0
	s_and_saveexec_b32 s13, vcc_lo
	s_cbranch_execz .LBB117_268
; %bb.267:                              ;   in Loop: Header=BB117_266 Depth=2
	v_mul_lo_u32 v2, v11, s42
	v_mul_lo_u32 v6, v10, s43
	v_mad_u64_u32 v[4:5], null, v10, s42, 0
	s_delay_alu instid0(VALU_DEP_1) | instskip(NEXT) | instid1(VALU_DEP_1)
	v_add3_u32 v5, v5, v6, v2
	v_lshlrev_b64 v[4:5], 3, v[4:5]
	s_delay_alu instid0(VALU_DEP_1) | instskip(NEXT) | instid1(VALU_DEP_1)
	v_add_co_u32 v4, s4, s33, v4
	v_add_co_ci_u32_e64 v5, s4, s35, v5, s4
	global_load_b64 v[4:5], v[4:5], off
.LBB117_268:                            ;   in Loop: Header=BB117_266 Depth=2
	s_or_b32 exec_lo, exec_lo, s13
	s_and_saveexec_b32 s4, vcc_lo
	s_cbranch_execz .LBB117_265
; %bb.269:                              ;   in Loop: Header=BB117_266 Depth=2
	s_waitcnt vmcnt(0)
	v_cmp_o_f64_e32 vcc_lo, v[4:5], v[4:5]
	v_ashrrev_i32_e32 v2, 31, v5
	s_delay_alu instid0(VALU_DEP_1) | instskip(SKIP_1) | instid1(VALU_DEP_2)
	v_or_b32_e32 v6, 0x80000000, v2
	v_xor_b32_e32 v2, v2, v4
	v_xor_b32_e32 v6, v6, v5
	s_delay_alu instid0(VALU_DEP_1) | instskip(NEXT) | instid1(VALU_DEP_3)
	v_cndmask_b32_e32 v6, -1, v6, vcc_lo
	v_cndmask_b32_e32 v2, -1, v2, vcc_lo
	s_delay_alu instid0(VALU_DEP_2) | instskip(NEXT) | instid1(VALU_DEP_2)
	v_and_b32_e32 v7, s63, v6
	v_and_b32_e32 v6, s62, v2
	s_delay_alu instid0(VALU_DEP_1)
	v_cmp_eq_u64_e32 vcc_lo, s[60:61], v[6:7]
	s_and_b32 exec_lo, exec_lo, vcc_lo
	s_cbranch_execz .LBB117_265
; %bb.270:                              ;   in Loop: Header=BB117_266 Depth=2
	v_mov_b32_e32 v2, v19
	ds_store_b128 v19, v[2:5] offset:3072
	s_branch .LBB117_265
.LBB117_271:                            ;   in Loop: Header=BB117_27 Depth=1
	s_or_b32 exec_lo, exec_lo, s11
	s_delay_alu instid0(SALU_CYCLE_1)
	s_and_b32 s21, s10, exec_lo
.LBB117_272:                            ;   in Loop: Header=BB117_27 Depth=1
	s_or_b32 exec_lo, exec_lo, s5
	s_mov_b32 s15, -1
	s_mov_b32 s13, 0
	s_mov_b32 s14, 0
.LBB117_273:                            ;   in Loop: Header=BB117_27 Depth=1
	s_mov_b32 s10, 0
                                        ; implicit-def: $sgpr56
                                        ; implicit-def: $sgpr4_sgpr5
	s_and_saveexec_b32 s66, s21
	s_cbranch_execz .LBB117_286
; %bb.274:                              ;   in Loop: Header=BB117_27 Depth=1
	s_xor_b32 s10, s12, -1
	s_mov_b64 s[4:5], 1
	s_and_not1_b32 vcc_lo, exec_lo, s10
	s_mov_b32 s56, 1
	s_cbranch_vccnz .LBB117_285
; %bb.275:                              ;   in Loop: Header=BB117_27 Depth=1
	v_cmp_gt_u64_e64 s4, s[52:53], s[6:7]
	s_delay_alu instid0(VALU_DEP_1)
	s_and_b32 vcc_lo, exec_lo, s4
	s_cbranch_vccnz .LBB117_281
; %bb.276:                              ;   in Loop: Header=BB117_27 Depth=1
	ds_load_b64 v[4:5], v19 offset:5120
	s_waitcnt lgkmcnt(0)
	v_cmp_ne_u64_e32 vcc_lo, 0, v[4:5]
	s_cbranch_vccnz .LBB117_280
; %bb.277:                              ;   in Loop: Header=BB117_27 Depth=1
	s_and_saveexec_b32 s4, s3
	s_cbranch_execz .LBB117_279
; %bb.278:                              ;   in Loop: Header=BB117_27 Depth=1
	v_dual_mov_b32 v4, s6 :: v_dual_mov_b32 v5, s7
	ds_store_b64 v19, v[4:5] offset:5128
.LBB117_279:                            ;   in Loop: Header=BB117_27 Depth=1
	s_or_b32 exec_lo, exec_lo, s4
	s_waitcnt lgkmcnt(0)
	s_barrier
	buffer_gl0_inv
.LBB117_280:                            ;   in Loop: Header=BB117_27 Depth=1
	s_or_b64 s[10:11], s[60:61], s[8:9]
	s_or_b64 s[8:9], s[62:63], s[8:9]
	s_mov_b32 s4, 0
	s_mov_b32 s56, 8
	s_branch .LBB117_282
.LBB117_281:                            ;   in Loop: Header=BB117_27 Depth=1
	s_mov_b32 s4, -1
                                        ; implicit-def: $sgpr56
                                        ; implicit-def: $sgpr10_sgpr11
                                        ; implicit-def: $sgpr8_sgpr9
.LBB117_282:                            ;   in Loop: Header=BB117_27 Depth=1
	s_delay_alu instid0(SALU_CYCLE_1)
	s_and_not1_b32 vcc_lo, exec_lo, s4
	s_cbranch_vccnz .LBB117_284
; %bb.283:                              ;   in Loop: Header=BB117_27 Depth=1
	s_sub_u32 s52, s52, s6
	s_subb_u32 s53, s53, s7
	s_mov_b32 s56, 8
	s_mov_b64 s[10:11], s[60:61]
	s_mov_b64 s[8:9], s[62:63]
.LBB117_284:                            ;   in Loop: Header=BB117_27 Depth=1
	s_mov_b64 s[4:5], s[52:53]
	s_mov_b64 s[60:61], s[10:11]
	;; [unrolled: 1-line block ×3, first 2 shown]
.LBB117_285:                            ;   in Loop: Header=BB117_27 Depth=1
	s_mov_b32 s10, exec_lo
.LBB117_286:                            ;   in Loop: Header=BB117_27 Depth=1
	s_or_b32 exec_lo, exec_lo, s66
	s_mov_b64 s[52:53], s[4:5]
.LBB117_287:                            ;   in Loop: Header=BB117_27 Depth=1
	s_and_not1_b32 s4, s16, exec_lo
	s_and_b32 s5, s13, exec_lo
	s_and_not1_b32 s6, s17, exec_lo
	s_or_b32 s16, s4, s5
	s_and_not1_b32 s4, s64, exec_lo
	s_and_b32 s5, s15, exec_lo
	s_and_b32 s7, s14, exec_lo
	s_or_b32 s64, s4, s5
	s_or_b32 s17, s6, s7
	s_and_b32 s5, s10, exec_lo
.LBB117_288:                            ;   in Loop: Header=BB117_27 Depth=1
	s_or_b32 exec_lo, exec_lo, s65
.LBB117_289:                            ;   in Loop: Header=BB117_27 Depth=1
	s_delay_alu instid0(SALU_CYCLE_1)
	s_and_not1_b32 s4, s22, exec_lo
	s_and_b32 s6, s16, exec_lo
	s_and_not1_b32 s7, s19, exec_lo
	s_or_b32 s22, s4, s6
	s_and_not1_b32 s4, s23, exec_lo
	s_and_b32 s6, s64, exec_lo
	s_and_b32 s8, s17, exec_lo
	s_or_b32 s23, s4, s6
	s_or_b32 s19, s7, s8
	s_and_b32 s5, s5, exec_lo
.LBB117_290:                            ;   in Loop: Header=BB117_27 Depth=1
	s_or_b32 exec_lo, exec_lo, s54
	s_and_saveexec_b32 s4, s5
	s_delay_alu instid0(SALU_CYCLE_1)
	s_xor_b32 s4, exec_lo, s4
	s_cbranch_execz .LBB117_25
.LBB117_291:                            ;   in Loop: Header=BB117_27 Depth=1
	s_and_b32 s5, s56, -9
	s_delay_alu instid0(SALU_CYCLE_1)
	s_cmp_eq_u32 s5, 0
	s_cbranch_scc1 .LBB117_23
; %bb.292:                              ;   in Loop: Header=BB117_27 Depth=1
	s_mov_b32 s5, -1
	s_mov_b32 s6, -1
                                        ; implicit-def: $sgpr62_sgpr63
                                        ; implicit-def: $sgpr52_sgpr53
                                        ; implicit-def: $sgpr88
                                        ; implicit-def: $sgpr91
	s_branch .LBB117_24
.LBB117_293:                            ;   in Loop: Header=BB117_27 Depth=1
                                        ; implicit-def: $vgpr4_vgpr5
	s_branch .LBB117_245
.LBB117_294:                            ;   in Loop: Header=BB117_27 Depth=1
                                        ; implicit-def: $vgpr4_vgpr5
	s_branch .LBB117_262
.LBB117_295:
	s_or_b32 exec_lo, exec_lo, s84
	s_xor_b32 s3, s87, -1
	s_xor_b32 s1, s85, -1
	s_xor_b32 s4, s86, -1
	s_mov_b32 s0, 0
	s_and_saveexec_b32 s5, s1
	s_delay_alu instid0(SALU_CYCLE_1)
	s_xor_b32 s1, exec_lo, s5
	s_cbranch_execz .LBB117_309
; %bb.296:
	s_and_saveexec_b32 s0, s3
	s_delay_alu instid0(SALU_CYCLE_1)
	s_xor_b32 s3, exec_lo, s0
	s_cbranch_execz .LBB117_307
; %bb.297:
	s_and_saveexec_b32 s0, s4
	s_delay_alu instid0(SALU_CYCLE_1)
	s_xor_b32 s0, exec_lo, s0
; %bb.298:
	v_lshrrev_b32_e32 v2, 31, v5
	s_delay_alu instid0(VALU_DEP_1) | instskip(NEXT) | instid1(VALU_DEP_1)
	v_add_co_u32 v2, s4, v2, -1
	v_add_co_ci_u32_e64 v3, null, 0, -1, s4
	s_delay_alu instid0(VALU_DEP_2) | instskip(NEXT) | instid1(VALU_DEP_2)
	v_xor_b32_e32 v6, v2, v4
	v_or_b32_e32 v3, 0x80000000, v3
	s_delay_alu instid0(VALU_DEP_1)
	v_xor_b32_e32 v7, v3, v5
; %bb.299:
	s_or_b32 exec_lo, exec_lo, s0
	s_mul_i32 s0, s48, s47
	s_mul_hi_u32 s4, s48, s46
	s_mul_i32 s5, s48, s46
	s_add_i32 s4, s4, s0
	s_sub_u32 s0, s34, s5
	s_subb_u32 s4, 0, s4
	s_mul_i32 s5, s0, s39
	s_mul_hi_u32 s6, s0, s38
	s_mul_hi_u32 s7, s48, s36
	s_add_i32 s6, s6, s5
	s_mul_i32 s5, s48, s37
	s_mul_i32 s8, s4, s38
	s_add_i32 s5, s7, s5
	s_mul_i32 s4, s48, s36
	s_add_i32 s7, s6, s8
	s_lshl_b64 s[4:5], s[4:5], 3
	s_mul_i32 s6, s0, s38
	s_add_u32 s0, s50, s4
	s_addc_u32 s8, s51, s5
	s_lshl_b64 s[4:5], s[6:7], 3
	v_mov_b32_e32 v2, 0
	s_add_u32 s4, s0, s4
	s_addc_u32 s5, s8, s5
	global_store_b64 v2, v[6:7], s[4:5]
	s_and_saveexec_b32 s4, s2
	s_cbranch_execz .LBB117_306
; %bb.300:
	v_cmp_u_f64_e32 vcc_lo, v[6:7], v[6:7]
	s_mov_b32 s2, 0
                                        ; implicit-def: $sgpr5
                                        ; implicit-def: $sgpr8
                                        ; implicit-def: $sgpr7
	s_xor_b32 s6, vcc_lo, -1
	s_set_inst_prefetch_distance 0x1
	s_branch .LBB117_302
	.p2align	6
.LBB117_301:                            ;   in Loop: Header=BB117_302 Depth=1
	s_or_b32 exec_lo, exec_lo, s0
	s_delay_alu instid0(SALU_CYCLE_1) | instskip(NEXT) | instid1(SALU_CYCLE_1)
	s_and_b32 s0, exec_lo, s8
	s_or_b32 s2, s0, s2
	s_and_not1_b32 s0, s5, exec_lo
	s_and_b32 s5, s7, exec_lo
	s_delay_alu instid0(SALU_CYCLE_1)
	s_or_b32 s5, s0, s5
	s_and_not1_b32 exec_lo, exec_lo, s2
	s_cbranch_execz .LBB117_304
.LBB117_302:                            ; =>This Inner Loop Header: Depth=1
	v_dual_mov_b32 v3, v1 :: v_dual_mov_b32 v2, v0
	s_or_b32 s7, s7, exec_lo
	s_or_b32 s8, s8, exec_lo
	s_delay_alu instid0(VALU_DEP_1) | instskip(NEXT) | instid1(VALU_DEP_2)
	v_mul_lo_u32 v4, v3, s42
	v_mul_lo_u32 v5, v2, s43
	v_mad_u64_u32 v[0:1], null, v2, s42, 0
	s_delay_alu instid0(VALU_DEP_1) | instskip(NEXT) | instid1(VALU_DEP_1)
	v_add3_u32 v1, v1, v5, v4
	v_lshlrev_b64 v[0:1], 3, v[0:1]
	s_delay_alu instid0(VALU_DEP_1) | instskip(NEXT) | instid1(VALU_DEP_2)
	v_add_co_u32 v0, vcc_lo, s33, v0
	v_add_co_ci_u32_e32 v1, vcc_lo, s35, v1, vcc_lo
	global_load_b64 v[0:1], v[0:1], off
	s_waitcnt vmcnt(0)
	v_cmp_o_f64_e32 vcc_lo, v[0:1], v[0:1]
	v_cmp_neq_f64_e64 s0, v[0:1], v[6:7]
                                        ; implicit-def: $vgpr0_vgpr1
	s_or_b32 s9, vcc_lo, s6
	s_delay_alu instid0(VALU_DEP_1) | instid1(SALU_CYCLE_1)
	s_and_b32 s9, s0, s9
	s_delay_alu instid0(SALU_CYCLE_1)
	s_and_saveexec_b32 s0, s9
	s_cbranch_execz .LBB117_301
; %bb.303:                              ;   in Loop: Header=BB117_302 Depth=1
	v_add_co_u32 v0, vcc_lo, v2, s41
	v_add_co_ci_u32_e32 v1, vcc_lo, 0, v3, vcc_lo
	s_and_not1_b32 s8, s8, exec_lo
	s_and_not1_b32 s7, s7, exec_lo
	s_delay_alu instid0(VALU_DEP_1) | instskip(SKIP_1) | instid1(SALU_CYCLE_1)
	v_cmp_le_u64_e32 vcc_lo, s[24:25], v[0:1]
	s_and_b32 s9, vcc_lo, exec_lo
	s_or_b32 s8, s8, s9
	s_branch .LBB117_301
.LBB117_304:
	s_set_inst_prefetch_distance 0x2
	s_or_b32 exec_lo, exec_lo, s2
	s_and_saveexec_b32 s0, s5
	s_delay_alu instid0(SALU_CYCLE_1)
	s_xor_b32 s0, exec_lo, s0
	s_cbranch_execz .LBB117_306
; %bb.305:
	s_mul_i32 s0, s40, s27
	s_mul_hi_u32 s2, s40, s26
	s_mul_i32 s5, s40, s26
	s_add_i32 s2, s2, s0
	s_sub_u32 s0, s34, s5
	s_subb_u32 s2, 0, s2
	s_mul_i32 s5, s0, s31
	s_mul_hi_u32 s6, s0, s30
	s_mul_hi_u32 s7, s40, s28
	s_add_i32 s5, s6, s5
	s_mul_i32 s6, s40, s29
	s_mul_i32 s2, s2, s30
	s_add_i32 s7, s7, s6
	s_mul_i32 s6, s40, s28
	s_add_i32 s9, s5, s2
	s_lshl_b64 s[6:7], s[6:7], 3
	s_mul_i32 s8, s0, s30
	s_add_u32 s0, s44, s6
	s_addc_u32 s2, s45, s7
	s_lshl_b64 s[6:7], s[8:9], 3
	v_mov_b32_e32 v0, 0
	s_add_u32 s6, s0, s6
	s_addc_u32 s7, s2, s7
	global_store_b64 v0, v[2:3], s[6:7]
.LBB117_306:
	s_or_b32 exec_lo, exec_lo, s4
.LBB117_307:
	s_or_saveexec_b32 s0, s3
	s_mov_b32 s2, 0
	s_xor_b32 exec_lo, exec_lo, s0
	s_cbranch_execnz .LBB117_315
.LBB117_308:
	s_or_b32 exec_lo, exec_lo, s0
	s_delay_alu instid0(SALU_CYCLE_1)
	s_and_b32 s0, s2, exec_lo
.LBB117_309:
	s_and_not1_saveexec_b32 s1, s1
	s_cbranch_execnz .LBB117_313
; %bb.310:
	s_or_b32 exec_lo, exec_lo, s1
	s_and_saveexec_b32 s1, s0
.LBB117_311:
	; divergent unreachable
.LBB117_312:
	s_nop 0
	s_sendmsg sendmsg(MSG_DEALLOC_VGPRS)
	s_endpgm
.LBB117_313:
	s_cbranch_execnz .LBB117_317
; %bb.314:
	s_or_b32 s0, s0, exec_lo
	s_or_b32 exec_lo, exec_lo, s1
	s_and_saveexec_b32 s1, s0
	s_cbranch_execnz .LBB117_311
	s_branch .LBB117_312
.LBB117_315:
	s_cbranch_execnz .LBB117_319
; %bb.316:
	s_mov_b32 s2, exec_lo
	s_branch .LBB117_308
.LBB117_317:
	s_trap 2
	s_sendmsg_rtn_b32 s0, sendmsg(MSG_RTN_GET_DOORBELL)
	s_mov_b32 ttmp2, m0
	s_waitcnt lgkmcnt(0)
	s_and_b32 s0, s0, 0x3ff
	s_delay_alu instid0(SALU_CYCLE_1) | instskip(NEXT) | instid1(SALU_CYCLE_1)
	s_bitset1_b32 s0, 10
	s_mov_b32 m0, s0
	s_sendmsg sendmsg(MSG_INTERRUPT)
	s_mov_b32 m0, ttmp2
.LBB117_318:                            ; =>This Inner Loop Header: Depth=1
	s_sethalt 5
	s_branch .LBB117_318
.LBB117_319:
	s_trap 2
	s_sendmsg_rtn_b32 s0, sendmsg(MSG_RTN_GET_DOORBELL)
	s_mov_b32 ttmp2, m0
	s_waitcnt lgkmcnt(0)
	s_and_b32 s0, s0, 0x3ff
	s_delay_alu instid0(SALU_CYCLE_1) | instskip(NEXT) | instid1(SALU_CYCLE_1)
	s_bitset1_b32 s0, 10
	s_mov_b32 m0, s0
	s_sendmsg sendmsg(MSG_INTERRUPT)
	s_mov_b32 m0, ttmp2
.LBB117_320:                            ; =>This Inner Loop Header: Depth=1
	s_sethalt 5
	s_branch .LBB117_320
	.section	.rodata,"a",@progbits
	.p2align	6, 0x0
	.amdhsa_kernel _ZN2at6native12_GLOBAL__N_112gatherMedianIdmLi2EEEvNS_4cuda6detail10TensorInfoIT_T0_EENS5_IlS7_EENS5_IKS6_S7_EES7_S7_S7_b
		.amdhsa_group_segment_fixed_size 5152
		.amdhsa_private_segment_fixed_size 0
		.amdhsa_kernarg_size 1536
		.amdhsa_user_sgpr_count 13
		.amdhsa_user_sgpr_dispatch_ptr 0
		.amdhsa_user_sgpr_queue_ptr 0
		.amdhsa_user_sgpr_kernarg_segment_ptr 1
		.amdhsa_user_sgpr_dispatch_id 0
		.amdhsa_user_sgpr_private_segment_size 0
		.amdhsa_wavefront_size32 1
		.amdhsa_uses_dynamic_stack 0
		.amdhsa_enable_private_segment 0
		.amdhsa_system_sgpr_workgroup_id_x 1
		.amdhsa_system_sgpr_workgroup_id_y 1
		.amdhsa_system_sgpr_workgroup_id_z 1
		.amdhsa_system_sgpr_workgroup_info 0
		.amdhsa_system_vgpr_workitem_id 0
		.amdhsa_next_free_vgpr 45
		.amdhsa_next_free_sgpr 95
		.amdhsa_reserve_vcc 1
		.amdhsa_float_round_mode_32 0
		.amdhsa_float_round_mode_16_64 0
		.amdhsa_float_denorm_mode_32 3
		.amdhsa_float_denorm_mode_16_64 3
		.amdhsa_dx10_clamp 1
		.amdhsa_ieee_mode 1
		.amdhsa_fp16_overflow 0
		.amdhsa_workgroup_processor_mode 1
		.amdhsa_memory_ordered 1
		.amdhsa_forward_progress 0
		.amdhsa_shared_vgpr_count 0
		.amdhsa_exception_fp_ieee_invalid_op 0
		.amdhsa_exception_fp_denorm_src 0
		.amdhsa_exception_fp_ieee_div_zero 0
		.amdhsa_exception_fp_ieee_overflow 0
		.amdhsa_exception_fp_ieee_underflow 0
		.amdhsa_exception_fp_ieee_inexact 0
		.amdhsa_exception_int_div_zero 0
	.end_amdhsa_kernel
	.section	.text._ZN2at6native12_GLOBAL__N_112gatherMedianIdmLi2EEEvNS_4cuda6detail10TensorInfoIT_T0_EENS5_IlS7_EENS5_IKS6_S7_EES7_S7_S7_b,"axG",@progbits,_ZN2at6native12_GLOBAL__N_112gatherMedianIdmLi2EEEvNS_4cuda6detail10TensorInfoIT_T0_EENS5_IlS7_EENS5_IKS6_S7_EES7_S7_S7_b,comdat
.Lfunc_end117:
	.size	_ZN2at6native12_GLOBAL__N_112gatherMedianIdmLi2EEEvNS_4cuda6detail10TensorInfoIT_T0_EENS5_IlS7_EENS5_IKS6_S7_EES7_S7_S7_b, .Lfunc_end117-_ZN2at6native12_GLOBAL__N_112gatherMedianIdmLi2EEEvNS_4cuda6detail10TensorInfoIT_T0_EENS5_IlS7_EENS5_IKS6_S7_EES7_S7_S7_b
                                        ; -- End function
	.section	.AMDGPU.csdata,"",@progbits
; Kernel info:
; codeLenInByte = 18380
; NumSgprs: 97
; NumVgprs: 45
; ScratchSize: 0
; MemoryBound: 0
; FloatMode: 240
; IeeeMode: 1
; LDSByteSize: 5152 bytes/workgroup (compile time only)
; SGPRBlocks: 12
; VGPRBlocks: 5
; NumSGPRsForWavesPerEU: 97
; NumVGPRsForWavesPerEU: 45
; Occupancy: 16
; WaveLimiterHint : 1
; COMPUTE_PGM_RSRC2:SCRATCH_EN: 0
; COMPUTE_PGM_RSRC2:USER_SGPR: 13
; COMPUTE_PGM_RSRC2:TRAP_HANDLER: 0
; COMPUTE_PGM_RSRC2:TGID_X_EN: 1
; COMPUTE_PGM_RSRC2:TGID_Y_EN: 1
; COMPUTE_PGM_RSRC2:TGID_Z_EN: 1
; COMPUTE_PGM_RSRC2:TIDIG_COMP_CNT: 0
	.section	.text._ZN2at6native12_GLOBAL__N_112gatherMedianIdmLi3EEEvNS_4cuda6detail10TensorInfoIT_T0_EENS5_IlS7_EENS5_IKS6_S7_EES7_S7_S7_b,"axG",@progbits,_ZN2at6native12_GLOBAL__N_112gatherMedianIdmLi3EEEvNS_4cuda6detail10TensorInfoIT_T0_EENS5_IlS7_EENS5_IKS6_S7_EES7_S7_S7_b,comdat
	.globl	_ZN2at6native12_GLOBAL__N_112gatherMedianIdmLi3EEEvNS_4cuda6detail10TensorInfoIT_T0_EENS5_IlS7_EENS5_IKS6_S7_EES7_S7_S7_b ; -- Begin function _ZN2at6native12_GLOBAL__N_112gatherMedianIdmLi3EEEvNS_4cuda6detail10TensorInfoIT_T0_EENS5_IlS7_EENS5_IKS6_S7_EES7_S7_S7_b
	.p2align	8
	.type	_ZN2at6native12_GLOBAL__N_112gatherMedianIdmLi3EEEvNS_4cuda6detail10TensorInfoIT_T0_EENS5_IlS7_EENS5_IKS6_S7_EES7_S7_S7_b,@function
_ZN2at6native12_GLOBAL__N_112gatherMedianIdmLi3EEEvNS_4cuda6detail10TensorInfoIT_T0_EENS5_IlS7_EENS5_IKS6_S7_EES7_S7_S7_b: ; @_ZN2at6native12_GLOBAL__N_112gatherMedianIdmLi3EEEvNS_4cuda6detail10TensorInfoIT_T0_EENS5_IlS7_EENS5_IKS6_S7_EES7_S7_S7_b
; %bb.0:
	s_clause 0x1
	s_load_b64 s[16:17], s[0:1], 0x500
	s_load_b128 s[24:27], s[0:1], 0x4e0
	s_add_u32 s18, s0, 0x500
	s_addc_u32 s19, s1, 0
	s_mov_b32 s35, 0
	s_waitcnt lgkmcnt(0)
	s_mul_i32 s2, s17, s15
	s_delay_alu instid0(SALU_CYCLE_1) | instskip(NEXT) | instid1(SALU_CYCLE_1)
	s_add_i32 s2, s2, s14
	s_mul_i32 s2, s2, s16
	s_delay_alu instid0(SALU_CYCLE_1) | instskip(NEXT) | instid1(SALU_CYCLE_1)
	s_add_i32 s34, s2, s13
	v_cmp_ge_u64_e64 s2, s[34:35], s[26:27]
	s_delay_alu instid0(VALU_DEP_1)
	s_and_b32 vcc_lo, exec_lo, s2
	s_cbranch_vccnz .LBB118_318
; %bb.1:
	s_load_b128 s[36:39], s[0:1], 0x10
	s_mov_b64 s[52:53], 0
	s_mov_b64 s[54:55], 0
	s_waitcnt lgkmcnt(0)
	v_cmp_lt_u64_e64 s2, s[34:35], s[38:39]
	s_delay_alu instid0(VALU_DEP_1)
	s_and_b32 vcc_lo, exec_lo, s2
	s_cbranch_vccnz .LBB118_3
; %bb.2:
	v_cvt_f32_u32_e32 v1, s38
	s_sub_i32 s3, 0, s38
	s_mov_b32 s55, 0
	s_delay_alu instid0(VALU_DEP_1) | instskip(SKIP_2) | instid1(VALU_DEP_1)
	v_rcp_iflag_f32_e32 v1, v1
	s_waitcnt_depctr 0xfff
	v_mul_f32_e32 v1, 0x4f7ffffe, v1
	v_cvt_u32_f32_e32 v1, v1
	s_delay_alu instid0(VALU_DEP_1) | instskip(NEXT) | instid1(VALU_DEP_1)
	v_readfirstlane_b32 s2, v1
	s_mul_i32 s3, s3, s2
	s_delay_alu instid0(SALU_CYCLE_1) | instskip(NEXT) | instid1(SALU_CYCLE_1)
	s_mul_hi_u32 s3, s2, s3
	s_add_i32 s2, s2, s3
	s_delay_alu instid0(SALU_CYCLE_1) | instskip(NEXT) | instid1(SALU_CYCLE_1)
	s_mul_hi_u32 s2, s34, s2
	s_mul_i32 s3, s2, s38
	s_add_i32 s4, s2, 1
	s_sub_i32 s3, s34, s3
	s_delay_alu instid0(SALU_CYCLE_1)
	s_sub_i32 s5, s3, s38
	s_cmp_ge_u32 s3, s38
	s_cselect_b32 s2, s4, s2
	s_cselect_b32 s3, s5, s3
	s_add_i32 s4, s2, 1
	s_cmp_ge_u32 s3, s38
	s_cselect_b32 s54, s4, s2
.LBB118_3:
	s_load_b128 s[28:31], s[0:1], 0x1b0
	v_cmp_lt_u64_e64 s2, s[54:55], s[36:37]
	s_delay_alu instid0(VALU_DEP_1)
	s_and_b32 vcc_lo, exec_lo, s2
	s_cbranch_vccnz .LBB118_5
; %bb.4:
	v_cvt_f32_u32_e32 v1, s36
	s_sub_i32 s3, 0, s36
	s_delay_alu instid0(VALU_DEP_1) | instskip(SKIP_2) | instid1(VALU_DEP_1)
	v_rcp_iflag_f32_e32 v1, v1
	s_waitcnt_depctr 0xfff
	v_mul_f32_e32 v1, 0x4f7ffffe, v1
	v_cvt_u32_f32_e32 v1, v1
	s_delay_alu instid0(VALU_DEP_1) | instskip(NEXT) | instid1(VALU_DEP_1)
	v_readfirstlane_b32 s2, v1
	s_mul_i32 s3, s3, s2
	s_delay_alu instid0(SALU_CYCLE_1) | instskip(NEXT) | instid1(SALU_CYCLE_1)
	s_mul_hi_u32 s3, s2, s3
	s_add_i32 s2, s2, s3
	s_delay_alu instid0(SALU_CYCLE_1) | instskip(NEXT) | instid1(SALU_CYCLE_1)
	s_mul_hi_u32 s2, s54, s2
	s_mul_i32 s3, s2, s36
	s_add_i32 s4, s2, 1
	s_sub_i32 s3, s54, s3
	s_delay_alu instid0(SALU_CYCLE_1)
	s_sub_i32 s5, s3, s36
	s_cmp_ge_u32 s3, s36
	s_cselect_b32 s2, s4, s2
	s_cselect_b32 s3, s5, s3
	s_add_i32 s4, s2, 1
	s_cmp_ge_u32 s3, s36
	s_cselect_b32 s52, s4, s2
.LBB118_5:
	s_waitcnt lgkmcnt(0)
	v_cmp_lt_u64_e64 s2, s[34:35], s[30:31]
	s_mov_b64 s[26:27], 0
	s_mov_b64 s[48:49], 0
	s_delay_alu instid0(VALU_DEP_1)
	s_and_b32 vcc_lo, exec_lo, s2
	s_cbranch_vccnz .LBB118_7
; %bb.6:
	v_cvt_f32_u32_e32 v1, s30
	s_sub_i32 s3, 0, s30
	s_mov_b32 s49, 0
	s_delay_alu instid0(VALU_DEP_1) | instskip(SKIP_2) | instid1(VALU_DEP_1)
	v_rcp_iflag_f32_e32 v1, v1
	s_waitcnt_depctr 0xfff
	v_mul_f32_e32 v1, 0x4f7ffffe, v1
	v_cvt_u32_f32_e32 v1, v1
	s_delay_alu instid0(VALU_DEP_1) | instskip(NEXT) | instid1(VALU_DEP_1)
	v_readfirstlane_b32 s2, v1
	s_mul_i32 s3, s3, s2
	s_delay_alu instid0(SALU_CYCLE_1) | instskip(NEXT) | instid1(SALU_CYCLE_1)
	s_mul_hi_u32 s3, s2, s3
	s_add_i32 s2, s2, s3
	s_delay_alu instid0(SALU_CYCLE_1) | instskip(NEXT) | instid1(SALU_CYCLE_1)
	s_mul_hi_u32 s2, s34, s2
	s_mul_i32 s3, s2, s30
	s_add_i32 s4, s2, 1
	s_sub_i32 s3, s34, s3
	s_delay_alu instid0(SALU_CYCLE_1)
	s_sub_i32 s5, s3, s30
	s_cmp_ge_u32 s3, s30
	s_cselect_b32 s2, s4, s2
	s_cselect_b32 s3, s5, s3
	s_add_i32 s4, s2, 1
	s_cmp_ge_u32 s3, s30
	s_cselect_b32 s48, s4, s2
.LBB118_7:
	s_clause 0x3
	s_load_b64 s[50:51], s[0:1], 0x4f0
	s_load_b64 s[2:3], s[0:1], 0x420
	s_load_b128 s[4:7], s[0:1], 0x410
	s_load_b128 s[8:11], s[0:1], 0x350
	v_cmp_lt_u64_e64 s12, s[48:49], s[28:29]
	s_delay_alu instid0(VALU_DEP_1)
	s_and_b32 vcc_lo, exec_lo, s12
	s_cbranch_vccnz .LBB118_9
; %bb.8:
	v_cvt_f32_u32_e32 v1, s28
	s_sub_i32 s14, 0, s28
	s_delay_alu instid0(VALU_DEP_1) | instskip(SKIP_2) | instid1(VALU_DEP_1)
	v_rcp_iflag_f32_e32 v1, v1
	s_waitcnt_depctr 0xfff
	v_mul_f32_e32 v1, 0x4f7ffffe, v1
	v_cvt_u32_f32_e32 v1, v1
	s_delay_alu instid0(VALU_DEP_1) | instskip(NEXT) | instid1(VALU_DEP_1)
	v_readfirstlane_b32 s12, v1
	s_mul_i32 s14, s14, s12
	s_delay_alu instid0(SALU_CYCLE_1) | instskip(NEXT) | instid1(SALU_CYCLE_1)
	s_mul_hi_u32 s14, s12, s14
	s_add_i32 s12, s12, s14
	s_delay_alu instid0(SALU_CYCLE_1) | instskip(NEXT) | instid1(SALU_CYCLE_1)
	s_mul_hi_u32 s12, s48, s12
	s_mul_i32 s14, s12, s28
	s_add_i32 s15, s12, 1
	s_sub_i32 s14, s48, s14
	s_delay_alu instid0(SALU_CYCLE_1)
	s_sub_i32 s17, s14, s28
	s_cmp_ge_u32 s14, s28
	s_cselect_b32 s12, s15, s12
	s_cselect_b32 s14, s17, s14
	s_add_i32 s15, s12, 1
	s_cmp_ge_u32 s14, s28
	s_cselect_b32 s26, s15, s12
.LBB118_9:
	s_load_b64 s[14:15], s[0:1], 0x340
	s_waitcnt lgkmcnt(0)
	v_cmp_lt_u64_e64 s12, s[34:35], s[10:11]
	s_mov_b64 s[20:21], 0
	s_mov_b64 s[22:23], 0
	s_delay_alu instid0(VALU_DEP_1)
	s_and_b32 vcc_lo, exec_lo, s12
	s_cbranch_vccnz .LBB118_11
; %bb.10:
	v_cvt_f32_u32_e32 v1, s10
	s_sub_i32 s17, 0, s10
	s_mov_b32 s23, 0
	s_delay_alu instid0(VALU_DEP_1) | instskip(SKIP_2) | instid1(VALU_DEP_1)
	v_rcp_iflag_f32_e32 v1, v1
	s_waitcnt_depctr 0xfff
	v_mul_f32_e32 v1, 0x4f7ffffe, v1
	v_cvt_u32_f32_e32 v1, v1
	s_delay_alu instid0(VALU_DEP_1) | instskip(NEXT) | instid1(VALU_DEP_1)
	v_readfirstlane_b32 s12, v1
	s_mul_i32 s17, s17, s12
	s_delay_alu instid0(SALU_CYCLE_1) | instskip(NEXT) | instid1(SALU_CYCLE_1)
	s_mul_hi_u32 s17, s12, s17
	s_add_i32 s12, s12, s17
	s_delay_alu instid0(SALU_CYCLE_1) | instskip(NEXT) | instid1(SALU_CYCLE_1)
	s_mul_hi_u32 s12, s34, s12
	s_mul_i32 s17, s12, s10
	s_add_i32 s21, s12, 1
	s_sub_i32 s17, s34, s17
	s_delay_alu instid0(SALU_CYCLE_1)
	s_sub_i32 s22, s17, s10
	s_cmp_ge_u32 s17, s10
	s_cselect_b32 s12, s21, s12
	s_cselect_b32 s17, s22, s17
	s_add_i32 s21, s12, 1
	s_cmp_ge_u32 s17, s10
	s_cselect_b32 s22, s21, s12
.LBB118_11:
	s_clause 0x3
	s_load_b64 s[56:57], s[0:1], 0x280
	s_load_b128 s[40:43], s[0:1], 0x270
	s_load_b64 s[60:61], s[0:1], 0xe0
	s_load_b128 s[44:47], s[0:1], 0xd0
	v_cmp_lt_u64_e64 s12, s[22:23], s[8:9]
	s_delay_alu instid0(VALU_DEP_1)
	s_and_b32 vcc_lo, exec_lo, s12
	s_cbranch_vccnz .LBB118_13
; %bb.12:
	v_cvt_f32_u32_e32 v1, s8
	s_sub_i32 s17, 0, s8
	s_delay_alu instid0(VALU_DEP_1) | instskip(SKIP_2) | instid1(VALU_DEP_1)
	v_rcp_iflag_f32_e32 v1, v1
	s_waitcnt_depctr 0xfff
	v_mul_f32_e32 v1, 0x4f7ffffe, v1
	v_cvt_u32_f32_e32 v1, v1
	s_delay_alu instid0(VALU_DEP_1) | instskip(NEXT) | instid1(VALU_DEP_1)
	v_readfirstlane_b32 s12, v1
	s_mul_i32 s17, s17, s12
	s_delay_alu instid0(SALU_CYCLE_1) | instskip(NEXT) | instid1(SALU_CYCLE_1)
	s_mul_hi_u32 s17, s12, s17
	s_add_i32 s12, s12, s17
	s_delay_alu instid0(SALU_CYCLE_1) | instskip(NEXT) | instid1(SALU_CYCLE_1)
	s_mul_hi_u32 s12, s22, s12
	s_mul_i32 s17, s12, s8
	s_add_i32 s20, s12, 1
	s_sub_i32 s17, s22, s17
	s_delay_alu instid0(SALU_CYCLE_1)
	s_sub_i32 s21, s17, s8
	s_cmp_ge_u32 s17, s8
	s_cselect_b32 s12, s20, s12
	s_cselect_b32 s17, s21, s17
	s_add_i32 s20, s12, 1
	s_cmp_ge_u32 s17, s8
	s_cselect_b32 s20, s20, s12
.LBB118_13:
	s_mul_i32 s11, s22, s11
	s_mul_hi_u32 s12, s22, s10
	s_mul_i32 s10, s22, s10
	s_add_i32 s12, s12, s11
	s_sub_u32 s10, s34, s10
	s_subb_u32 s12, 0, s12
	s_mul_i32 s3, s10, s3
	s_mul_hi_u32 s11, s10, s2
	s_clause 0x1
	s_load_b64 s[58:59], s[0:1], 0x1a0
	s_load_b64 s[62:63], s[0:1], 0x0
	s_add_i32 s3, s11, s3
	s_mul_i32 s12, s12, s2
	s_mul_i32 s5, s20, s5
	s_add_i32 s11, s3, s12
	s_mul_i32 s3, s20, s9
	s_mul_hi_u32 s9, s20, s8
	s_mul_i32 s8, s20, s8
	s_add_i32 s9, s9, s3
	s_sub_u32 s3, s22, s8
	s_subb_u32 s9, s23, s9
	s_mul_i32 s7, s3, s7
	s_mul_hi_u32 s8, s3, s6
	s_mul_i32 s9, s9, s6
	s_add_i32 s7, s8, s7
	s_mul_hi_u32 s8, s20, s4
	s_mul_i32 s4, s20, s4
	s_add_i32 s5, s8, s5
	v_dual_mov_b32 v1, 0 :: v_dual_mov_b32 v2, 0
	s_lshl_b64 s[4:5], s[4:5], 3
	s_add_i32 s7, s7, s9
	s_mul_i32 s6, s3, s6
	s_add_u32 s3, s14, s4
	s_addc_u32 s8, s15, s5
	s_lshl_b64 s[4:5], s[6:7], 3
	s_mul_i32 s10, s10, s2
                                        ; implicit-def: $vgpr35 : SGPR spill to VGPR lane
	s_add_u32 s3, s3, s4
	v_cmp_gt_u64_e64 s2, s[24:25], v[0:1]
	s_waitcnt lgkmcnt(0)
	v_writelane_b32 v35, s58, 0
	s_addc_u32 s6, s8, s5
	v_mov_b32_e32 v3, 0
	s_lshl_b64 s[4:5], s[10:11], 3
	s_delay_alu instid0(SALU_CYCLE_1)
	s_add_u32 s27, s3, s4
	s_addc_u32 s33, s6, s5
	v_writelane_b32 v35, s59, 1
	s_and_saveexec_b32 s4, s2
	s_cbranch_execz .LBB118_17
; %bb.14:
	s_load_b32 s3, s[18:19], 0xc
	v_dual_mov_b32 v2, 0 :: v_dual_mov_b32 v5, v1
	v_dual_mov_b32 v3, 0 :: v_dual_mov_b32 v4, v0
	s_mov_b32 s5, 0
	s_waitcnt lgkmcnt(0)
	s_and_b32 s6, s3, 0xffff
	.p2align	6
.LBB118_15:                             ; =>This Inner Loop Header: Depth=1
	v_mul_lo_u32 v8, v5, s50
	v_mul_lo_u32 v9, v4, s51
	v_mad_u64_u32 v[6:7], null, v4, s50, 0
	s_delay_alu instid0(VALU_DEP_1) | instskip(NEXT) | instid1(VALU_DEP_1)
	v_add3_u32 v7, v7, v9, v8
	v_lshlrev_b64 v[6:7], 3, v[6:7]
	s_delay_alu instid0(VALU_DEP_1) | instskip(NEXT) | instid1(VALU_DEP_2)
	v_add_co_u32 v6, vcc_lo, s27, v6
	v_add_co_ci_u32_e32 v7, vcc_lo, s33, v7, vcc_lo
	v_add_co_u32 v4, vcc_lo, v4, s6
	v_add_co_ci_u32_e32 v5, vcc_lo, 0, v5, vcc_lo
	global_load_b64 v[6:7], v[6:7], off
	s_waitcnt vmcnt(0)
	v_cmp_u_f64_e32 vcc_lo, v[6:7], v[6:7]
	v_cndmask_b32_e64 v6, 0, 1, vcc_lo
	v_cmp_le_u64_e32 vcc_lo, s[24:25], v[4:5]
	s_delay_alu instid0(VALU_DEP_2) | instskip(NEXT) | instid1(VALU_DEP_1)
	v_add_co_u32 v2, s3, v2, v6
	v_add_co_ci_u32_e64 v3, s3, 0, v3, s3
	s_or_b32 s5, vcc_lo, s5
	s_delay_alu instid0(SALU_CYCLE_1)
	s_and_not1_b32 exec_lo, exec_lo, s5
	s_cbranch_execnz .LBB118_15
; %bb.16:
	s_or_b32 exec_lo, exec_lo, s5
.LBB118_17:
	s_delay_alu instid0(SALU_CYCLE_1) | instskip(SKIP_1) | instid1(VALU_DEP_1)
	s_or_b32 exec_lo, exec_lo, s4
	v_cmp_eq_u32_e64 s3, 0, v0
	s_and_saveexec_b32 s4, s3
	s_cbranch_execz .LBB118_19
; %bb.18:
	v_mov_b32_e32 v4, 0
	s_delay_alu instid0(VALU_DEP_1)
	v_mov_b32_e32 v5, v4
	ds_store_b64 v4, v[4:5] offset:5136
.LBB118_19:
	s_or_b32 exec_lo, exec_lo, s4
	s_mov_b64 s[4:5], 0
	s_mov_b32 s6, exec_lo
	s_waitcnt lgkmcnt(0)
	s_barrier
	buffer_gl0_inv
	v_cmpx_ne_u64_e32 0, v[2:3]
	s_cbranch_execz .LBB118_24
; %bb.20:
	s_mov_b32 s7, exec_lo
.LBB118_21:                             ; =>This Inner Loop Header: Depth=1
	s_delay_alu instid0(SALU_CYCLE_1) | instskip(NEXT) | instid1(SALU_CYCLE_1)
	s_ctz_i32_b32 s8, s7
	v_readlane_b32 s9, v2, s8
	v_readlane_b32 s10, v3, s8
	s_delay_alu instid0(VALU_DEP_2) | instskip(NEXT) | instid1(VALU_DEP_1)
	s_add_u32 s4, s4, s9
	s_addc_u32 s5, s5, s10
	s_lshl_b32 s8, 1, s8
	s_delay_alu instid0(SALU_CYCLE_1) | instskip(NEXT) | instid1(SALU_CYCLE_1)
	s_and_not1_b32 s7, s7, s8
	s_cmp_lg_u32 s7, 0
	s_cbranch_scc1 .LBB118_21
; %bb.22:
	v_mbcnt_lo_u32_b32 v2, exec_lo, 0
	s_mov_b32 s7, exec_lo
	s_delay_alu instid0(VALU_DEP_1)
	v_cmpx_eq_u32_e32 0, v2
	s_xor_b32 s7, exec_lo, s7
	s_cbranch_execz .LBB118_24
; %bb.23:
	v_mov_b32_e32 v2, s4
	v_dual_mov_b32 v4, 0 :: v_dual_mov_b32 v3, s5
	ds_add_u64 v4, v[2:3] offset:5136
.LBB118_24:
	s_or_b32 exec_lo, exec_lo, s6
	v_mov_b32_e32 v2, 0
	s_waitcnt lgkmcnt(0)
	s_barrier
	buffer_gl0_inv
	s_load_b32 s4, s[0:1], 0x4f8
	ds_load_b64 v[2:3], v2 offset:5136
	s_mov_b64 s[64:65], s[24:25]
	s_waitcnt lgkmcnt(0)
	s_bitcmp1_b32 s4, 0
	v_readfirstlane_b32 s0, v2
	v_readfirstlane_b32 s1, v3
	s_cselect_b32 s4, -1, 0
	s_delay_alu instid0(VALU_DEP_1) | instskip(NEXT) | instid1(VALU_DEP_1)
	v_cmp_lt_i64_e64 s5, s[0:1], 1
	s_or_b32 s4, s4, s5
	s_delay_alu instid0(SALU_CYCLE_1)
	s_and_not1_b32 vcc_lo, exec_lo, s4
	s_cbranch_vccnz .LBB118_26
; %bb.25:
	s_not_b64 s[0:1], s[0:1]
	s_delay_alu instid0(SALU_CYCLE_1) | instskip(SKIP_1) | instid1(SALU_CYCLE_1)
	s_add_u32 s0, s0, s24
	s_addc_u32 s1, s1, s25
	s_lshr_b64 s[0:1], s[0:1], 1
	s_delay_alu instid0(SALU_CYCLE_1)
	s_add_u32 s64, s0, 1
	s_addc_u32 s65, s1, 0
.LBB118_26:
	s_and_saveexec_b32 s0, s3
	s_cbranch_execz .LBB118_28
; %bb.27:
	v_dual_mov_b32 v2, 0 :: v_dual_mov_b32 v5, s25
	s_delay_alu instid0(VALU_DEP_1)
	v_dual_mov_b32 v4, s24 :: v_dual_mov_b32 v3, v2
	ds_store_b32 v2, v2 offset:5144
	ds_store_b128 v2, v[2:5] offset:5120
.LBB118_28:
	s_or_b32 exec_lo, exec_lo, s0
	v_mad_u64_u32 v[2:3], null, v0, s50, 0
	s_waitcnt lgkmcnt(0)
	s_barrier
	buffer_gl0_inv
	s_load_b32 s5, s[18:19], 0xc
	v_mbcnt_lo_u32_b32 v26, -1, 0
	v_cmp_gt_u32_e32 vcc_lo, 32, v0
	v_mad_u64_u32 v[4:5], null, v0, s51, v[3:4]
	v_dual_mov_b32 v6, 0 :: v_dual_lshlrev_b32 v27, 3, v0
	s_delay_alu instid0(VALU_DEP_4) | instskip(SKIP_2) | instid1(VALU_DEP_4)
	v_cmp_gt_i32_e64 s4, 4, v26
	v_dual_mov_b32 v19, 0 :: v_dual_lshlrev_b32 v16, 2, v0
	v_lshrrev_b32_e32 v5, 3, v0
	v_dual_mov_b32 v3, v4 :: v_dual_add_nc_u32 v28, 0xc00, v27
	s_delay_alu instid0(VALU_DEP_4) | instskip(SKIP_2) | instid1(VALU_DEP_3)
	s_and_b32 s86, vcc_lo, s4
	v_cmp_lt_u64_e64 s53, 0x180, s[24:25]
	v_cmp_gt_u32_e64 s0, 2, v0
	v_lshlrev_b64 v[2:3], 3, v[2:3]
	v_cmp_eq_u32_e64 s1, 0, v26
	v_mov_b32_e32 v17, v19
	v_and_b32_e32 v29, 0x7c, v5
	s_waitcnt lgkmcnt(0)
	s_and_b32 s35, s5, 0xffff
	s_bfe_u32 s4, s5, 0xb0005
	s_add_u32 s87, s35, -1
	s_addc_u32 s88, 0, -1
	s_add_u32 s89, s87, s24
	s_addc_u32 s69, s88, s25
	s_cmp_lt_u32 s13, s16
	v_add_co_u32 v20, vcc_lo, s27, v2
	s_cselect_b32 s6, 12, 18
	v_add_co_ci_u32_e32 v21, vcc_lo, s33, v3, vcc_lo
	v_lshlrev_b64 v[2:3], v26, -1
	s_add_u32 s70, s18, s6
	s_addc_u32 s71, s19, 0
	s_add_i32 s6, s4, -1
	s_bfe_u32 s90, s35, 0x30005
	s_cmp_gt_u32 s6, 6
	v_not_b32_e32 v30, v2
	s_cselect_b32 s91, -1, 0
	s_and_b32 s92, s4, 0x7f8
	v_cmp_gt_u16_e64 s93, s5, 31
	v_lshlrev_b32_e32 v31, 5, v0
	v_lshl_or_b32 v32, v26, 3, 0xc00
	v_mov_b32_e32 v7, 0
	v_mov_b32_e32 v3, 0x3ff00000
	s_cmp_lg_u32 s90, 0
	s_mov_b32 s67, 0
	s_cselect_b32 s94, -1, 0
	s_lshl_b32 s95, s35, 3
	s_mov_b64 s[72:73], 0
	s_mov_b32 s100, 62
	s_mov_b32 s96, 0
	;; [unrolled: 1-line block ×3, first 2 shown]
	s_mov_b64 s[74:75], 0
                                        ; implicit-def: $sgpr97
                                        ; implicit-def: $sgpr99
                                        ; implicit-def: $sgpr98
                                        ; implicit-def: $sgpr102
                                        ; implicit-def: $sgpr104
                                        ; implicit-def: $sgpr101
	s_branch .LBB118_33
.LBB118_29:                             ;   in Loop: Header=BB118_33 Depth=1
	s_xor_b32 s103, s103, 1
	s_add_i32 s7, s100, -2
	s_cmp_eq_u32 s100, 0
	s_mov_b32 s5, 0
	s_cselect_b32 s6, -1, 0
	s_mov_b32 s100, s7
.LBB118_30:                             ;   in Loop: Header=BB118_33 Depth=1
	s_and_not1_b32 s7, s22, exec_lo
	s_and_b32 s5, s5, exec_lo
	s_and_not1_b32 s23, s23, exec_lo
	s_or_b32 s22, s7, s5
	s_and_not1_b32 s19, s19, exec_lo
	s_or_not1_b32 s18, s6, exec_lo
.LBB118_31:                             ;   in Loop: Header=BB118_33 Depth=1
	s_or_b32 exec_lo, exec_lo, s4
	s_delay_alu instid0(SALU_CYCLE_1)
	s_and_not1_b32 s4, s101, exec_lo
	s_and_b32 s5, s22, exec_lo
	s_and_not1_b32 s6, s102, exec_lo
	s_or_b32 s101, s4, s5
	s_and_not1_b32 s4, s104, exec_lo
	s_and_b32 s5, s23, exec_lo
	s_and_b32 s7, s19, exec_lo
	s_or_b32 s104, s4, s5
	s_or_b32 s102, s6, s7
	s_or_not1_b32 s22, s18, exec_lo
.LBB118_32:                             ;   in Loop: Header=BB118_33 Depth=1
	s_or_b32 exec_lo, exec_lo, s20
	s_delay_alu instid0(SALU_CYCLE_1)
	s_and_b32 s4, exec_lo, s22
	v_dual_mov_b32 v4, s72 :: v_dual_mov_b32 v5, s73
	s_or_b32 s96, s4, s96
	s_and_not1_b32 s4, s98, exec_lo
	s_and_b32 s5, s101, exec_lo
	s_and_not1_b32 s6, s97, exec_lo
	s_or_b32 s98, s4, s5
	s_and_not1_b32 s4, s99, exec_lo
	s_and_b32 s5, s104, exec_lo
	s_and_b32 s7, s102, exec_lo
	s_or_b32 s99, s4, s5
	s_or_b32 s97, s6, s7
	s_and_not1_b32 exec_lo, exec_lo, s96
	s_cbranch_execz .LBB118_301
.LBB118_33:                             ; =>This Loop Header: Depth=1
                                        ;     Child Loop BB118_41 Depth 2
                                        ;     Child Loop BB118_59 Depth 2
	;; [unrolled: 1-line block ×16, first 2 shown]
	ds_load_b128 v[8:11], v19 offset:5120
	s_waitcnt lgkmcnt(0)
	v_readfirstlane_b32 s77, v9
	v_readfirstlane_b32 s76, v8
	s_delay_alu instid0(VALU_DEP_1)
	s_cmp_lg_u64 s[76:77], 0
	s_cbranch_scc1 .LBB118_66
; %bb.34:                               ;   in Loop: Header=BB118_33 Depth=1
	s_and_b32 vcc_lo, exec_lo, s53
	s_cbranch_vccz .LBB118_49
; %bb.35:                               ;   in Loop: Header=BB118_33 Depth=1
	v_cmp_gt_u64_e32 vcc_lo, 0x181, v[10:11]
	s_mov_b32 s6, 0
	s_mov_b32 s4, 0
	s_cbranch_vccz .LBB118_50
; %bb.36:                               ;   in Loop: Header=BB118_33 Depth=1
	v_mov_b32_e32 v4, 0
	v_mov_b32_e32 v5, 0
	s_and_saveexec_b32 s4, s2
	s_cbranch_execz .LBB118_38
; %bb.37:                               ;   in Loop: Header=BB118_33 Depth=1
	global_load_b64 v[4:5], v[20:21], off
.LBB118_38:                             ;   in Loop: Header=BB118_33 Depth=1
	s_or_b32 exec_lo, exec_lo, s4
	s_and_saveexec_b32 s7, s2
	s_cbranch_execz .LBB118_51
; %bb.39:                               ;   in Loop: Header=BB118_33 Depth=1
	global_load_u16 v2, v19, s[70:71]
	s_mov_b32 s8, 0
	v_dual_mov_b32 v9, v1 :: v_dual_mov_b32 v8, v0
	s_waitcnt vmcnt(0)
	v_and_b32_e32 v2, 0xffff, v2
	s_branch .LBB118_41
.LBB118_40:                             ;   in Loop: Header=BB118_41 Depth=2
	s_or_b32 exec_lo, exec_lo, s5
	s_waitcnt vmcnt(0)
	v_dual_mov_b32 v4, v10 :: v_dual_mov_b32 v5, v11
	s_and_not1_b32 exec_lo, exec_lo, s8
	s_cbranch_execz .LBB118_51
.LBB118_41:                             ;   Parent Loop BB118_33 Depth=1
                                        ; =>  This Inner Loop Header: Depth=2
	s_delay_alu instid0(VALU_DEP_1) | instskip(SKIP_4) | instid1(VALU_DEP_3)
	v_add_co_u32 v8, vcc_lo, v8, v2
	v_add_co_ci_u32_e32 v9, vcc_lo, 0, v9, vcc_lo
	v_mov_b32_e32 v10, 0
	v_mov_b32_e32 v11, 0
	s_mov_b32 s5, exec_lo
	v_cmp_le_u64_e32 vcc_lo, s[24:25], v[8:9]
	v_cmpx_gt_u64_e64 s[24:25], v[8:9]
	s_cbranch_execz .LBB118_43
; %bb.42:                               ;   in Loop: Header=BB118_41 Depth=2
	s_waitcnt lgkmcnt(0)
	v_mul_lo_u32 v12, v9, s50
	v_mul_lo_u32 v13, v8, s51
	v_mad_u64_u32 v[10:11], null, v8, s50, 0
	s_delay_alu instid0(VALU_DEP_1) | instskip(NEXT) | instid1(VALU_DEP_1)
	v_add3_u32 v11, v11, v13, v12
	v_lshlrev_b64 v[10:11], 3, v[10:11]
	s_delay_alu instid0(VALU_DEP_1) | instskip(NEXT) | instid1(VALU_DEP_1)
	v_add_co_u32 v10, s4, s27, v10
	v_add_co_ci_u32_e64 v11, s4, s33, v11, s4
	global_load_b64 v[10:11], v[10:11], off
.LBB118_43:                             ;   in Loop: Header=BB118_41 Depth=2
	s_or_b32 exec_lo, exec_lo, s5
	v_cmp_o_f64_e64 s4, v[4:5], v[4:5]
	s_waitcnt lgkmcnt(0)
	v_ashrrev_i32_e32 v12, 31, v5
	s_delay_alu instid0(VALU_DEP_1) | instskip(SKIP_1) | instid1(VALU_DEP_2)
	v_or_b32_e32 v13, 0x80000000, v12
	v_xor_b32_e32 v12, v12, v4
	v_xor_b32_e32 v13, v13, v5
	s_delay_alu instid0(VALU_DEP_1) | instskip(NEXT) | instid1(VALU_DEP_3)
	v_cndmask_b32_e64 v13, -1, v13, s4
	v_cndmask_b32_e64 v12, -1, v12, s4
	s_delay_alu instid0(VALU_DEP_2) | instskip(NEXT) | instid1(VALU_DEP_2)
	v_and_b32_e32 v13, s75, v13
	v_and_b32_e32 v12, s74, v12
	s_delay_alu instid0(VALU_DEP_1) | instskip(SKIP_1) | instid1(VALU_DEP_2)
	v_cmp_eq_u64_e64 s4, s[72:73], v[12:13]
	v_mov_b32_e32 v12, 0
	s_cmp_lg_u32 s4, 0
	s_cselect_b32 s5, -1, 0
	s_delay_alu instid0(SALU_CYCLE_1) | instskip(NEXT) | instid1(SALU_CYCLE_1)
	s_and_b32 s5, s1, s5
	s_and_saveexec_b32 s9, s5
	s_cbranch_execz .LBB118_47
; %bb.44:                               ;   in Loop: Header=BB118_41 Depth=2
	s_mov_b32 s12, exec_lo
	s_bcnt1_i32_b32 s10, s4
	v_mbcnt_lo_u32_b32 v12, s12, 0
	s_mov_b32 s11, exec_lo
                                        ; implicit-def: $vgpr13
	s_delay_alu instid0(VALU_DEP_1)
	v_cmpx_eq_u32_e32 0, v12
	s_cbranch_execz .LBB118_46
; %bb.45:                               ;   in Loop: Header=BB118_41 Depth=2
	s_bcnt1_i32_b32 s5, s12
	s_delay_alu instid0(SALU_CYCLE_1) | instskip(NEXT) | instid1(SALU_CYCLE_1)
	s_mul_i32 s5, s10, s5
	v_mov_b32_e32 v13, s5
	ds_add_rtn_u32 v13, v19, v13 offset:5144
.LBB118_46:                             ;   in Loop: Header=BB118_41 Depth=2
	s_or_b32 exec_lo, exec_lo, s11
	s_waitcnt lgkmcnt(0)
	v_readfirstlane_b32 s5, v13
	s_delay_alu instid0(VALU_DEP_1)
	v_mad_u32_u24 v12, s10, v12, s5
.LBB118_47:                             ;   in Loop: Header=BB118_41 Depth=2
	s_or_b32 exec_lo, exec_lo, s9
	ds_bpermute_b32 v12, v19, v12
	s_and_b32 s5, exec_lo, vcc_lo
	s_delay_alu instid0(SALU_CYCLE_1)
	s_or_b32 s8, s5, s8
	s_and_saveexec_b32 s5, s4
	s_cbranch_execz .LBB118_40
; %bb.48:                               ;   in Loop: Header=BB118_41 Depth=2
	v_and_b32_e32 v13, s4, v30
	s_delay_alu instid0(VALU_DEP_1) | instskip(NEXT) | instid1(VALU_DEP_1)
	v_bcnt_u32_b32 v13, v13, 0
	v_lshlrev_b32_e32 v13, 3, v13
	s_waitcnt lgkmcnt(0)
	s_delay_alu instid0(VALU_DEP_1)
	v_lshl_add_u32 v12, v12, 3, v13
	ds_store_b64 v12, v[4:5]
	s_branch .LBB118_40
.LBB118_49:                             ;   in Loop: Header=BB118_33 Depth=1
	s_mov_b32 s4, 0
                                        ; implicit-def: $sgpr76_sgpr77
	s_cbranch_execnz .LBB118_54
	s_branch .LBB118_64
.LBB118_50:                             ;   in Loop: Header=BB118_33 Depth=1
	s_mov_b64 s[76:77], 0
	s_and_b32 vcc_lo, exec_lo, s6
	s_cbranch_vccnz .LBB118_54
	s_branch .LBB118_64
.LBB118_51:                             ;   in Loop: Header=BB118_33 Depth=1
	s_or_b32 exec_lo, exec_lo, s7
	s_waitcnt vmcnt(0) lgkmcnt(0)
	s_barrier
	buffer_gl0_inv
	s_and_saveexec_b32 s4, s3
	s_cbranch_execz .LBB118_53
; %bb.52:                               ;   in Loop: Header=BB118_33 Depth=1
	ds_load_b32 v4, v19 offset:5144
	s_waitcnt lgkmcnt(0)
	v_ashrrev_i32_e32 v5, 31, v4
	ds_store_b64 v19, v[4:5] offset:5120
.LBB118_53:                             ;   in Loop: Header=BB118_33 Depth=1
	s_or_b32 exec_lo, exec_lo, s4
	s_waitcnt lgkmcnt(0)
	s_mov_b32 s4, -1
	s_barrier
	s_mov_b64 s[76:77], 0
	s_and_b32 vcc_lo, exec_lo, s6
	s_cbranch_vccz .LBB118_64
.LBB118_54:                             ;   in Loop: Header=BB118_33 Depth=1
	v_mov_b32_e32 v4, 0
	v_mov_b32_e32 v5, 0
	s_and_saveexec_b32 s4, s2
	s_cbranch_execz .LBB118_56
; %bb.55:                               ;   in Loop: Header=BB118_33 Depth=1
	global_load_b64 v[4:5], v[20:21], off
.LBB118_56:                             ;   in Loop: Header=BB118_33 Depth=1
	s_or_b32 exec_lo, exec_lo, s4
	s_and_saveexec_b32 s5, s2
	s_cbranch_execz .LBB118_61
; %bb.57:                               ;   in Loop: Header=BB118_33 Depth=1
	global_load_u16 v2, v19, s[70:71]
	s_mov_b32 s6, 0
	v_dual_mov_b32 v9, v1 :: v_dual_mov_b32 v8, v0
	s_waitcnt vmcnt(0)
	v_and_b32_e32 v2, 0xffff, v2
	s_delay_alu instid0(VALU_DEP_1)
	v_dual_mov_b32 v12, v27 :: v_dual_lshlrev_b32 v13, 3, v2
	s_set_inst_prefetch_distance 0x1
	s_branch .LBB118_59
	.p2align	6
.LBB118_58:                             ;   in Loop: Header=BB118_59 Depth=2
	s_or_b32 exec_lo, exec_lo, s7
	ds_store_b64 v12, v[4:5]
	s_waitcnt vmcnt(0)
	v_mov_b32_e32 v4, v10
	v_dual_mov_b32 v5, v11 :: v_dual_add_nc_u32 v12, v12, v13
	s_and_b32 s4, exec_lo, vcc_lo
	s_delay_alu instid0(SALU_CYCLE_1) | instskip(NEXT) | instid1(SALU_CYCLE_1)
	s_or_b32 s6, s4, s6
	s_and_not1_b32 exec_lo, exec_lo, s6
	s_cbranch_execz .LBB118_61
.LBB118_59:                             ;   Parent Loop BB118_33 Depth=1
                                        ; =>  This Inner Loop Header: Depth=2
	v_add_co_u32 v8, vcc_lo, v8, v2
	v_add_co_ci_u32_e32 v9, vcc_lo, 0, v9, vcc_lo
	v_mov_b32_e32 v10, 0
	v_mov_b32_e32 v11, 0
	s_mov_b32 s7, exec_lo
	s_delay_alu instid0(VALU_DEP_3)
	v_cmp_le_u64_e32 vcc_lo, s[24:25], v[8:9]
	v_cmpx_gt_u64_e64 s[24:25], v[8:9]
	s_cbranch_execz .LBB118_58
; %bb.60:                               ;   in Loop: Header=BB118_59 Depth=2
	v_mul_lo_u32 v14, v9, s50
	v_mul_lo_u32 v15, v8, s51
	v_mad_u64_u32 v[10:11], null, v8, s50, 0
	s_delay_alu instid0(VALU_DEP_1) | instskip(NEXT) | instid1(VALU_DEP_1)
	v_add3_u32 v11, v11, v15, v14
	v_lshlrev_b64 v[10:11], 3, v[10:11]
	s_delay_alu instid0(VALU_DEP_1) | instskip(NEXT) | instid1(VALU_DEP_1)
	v_add_co_u32 v10, s4, s27, v10
	v_add_co_ci_u32_e64 v11, s4, s33, v11, s4
	global_load_b64 v[10:11], v[10:11], off
	s_branch .LBB118_58
.LBB118_61:                             ;   in Loop: Header=BB118_33 Depth=1
	s_set_inst_prefetch_distance 0x2
	s_or_b32 exec_lo, exec_lo, s5
	s_waitcnt vmcnt(0) lgkmcnt(0)
	s_barrier
	buffer_gl0_inv
	s_and_saveexec_b32 s4, s3
	s_cbranch_execz .LBB118_63
; %bb.62:                               ;   in Loop: Header=BB118_33 Depth=1
	v_dual_mov_b32 v4, s24 :: v_dual_mov_b32 v5, s25
	ds_store_b64 v19, v[4:5] offset:5120
.LBB118_63:                             ;   in Loop: Header=BB118_33 Depth=1
	s_or_b32 exec_lo, exec_lo, s4
	s_mov_b32 s4, -1
	s_waitcnt lgkmcnt(0)
	s_barrier
                                        ; implicit-def: $sgpr76_sgpr77
.LBB118_64:                             ;   in Loop: Header=BB118_33 Depth=1
	s_and_b32 vcc_lo, exec_lo, s4
	s_cbranch_vccz .LBB118_66
; %bb.65:                               ;   in Loop: Header=BB118_33 Depth=1
	buffer_gl0_inv
	ds_load_b64 v[4:5], v19 offset:5120
	s_waitcnt lgkmcnt(0)
	v_readfirstlane_b32 s76, v4
.LBB118_66:                             ;   in Loop: Header=BB118_33 Depth=1
	s_delay_alu instid0(VALU_DEP_1)
	s_cmp_lt_i32 s76, 1
	s_cbranch_scc0 .LBB118_81
; %bb.67:                               ;   in Loop: Header=BB118_33 Depth=1
	global_load_u16 v2, v19, s[70:71]
	s_mov_b32 s5, s25
	s_waitcnt vmcnt(0)
	v_readfirstlane_b32 s4, v2
	s_delay_alu instid0(VALU_DEP_1)
	s_and_b32 s6, 0xffff, s4
	s_mov_b32 s4, s67
	s_lshl_b32 s23, s6, 2
	s_cmp_lg_u64 s[4:5], 0
	s_cbranch_scc0 .LBB118_101
; %bb.68:                               ;   in Loop: Header=BB118_33 Depth=1
	v_cvt_f32_u32_e32 v4, s23
	s_sub_u32 s6, 0, s23
	s_subb_u32 s7, 0, 0
	s_delay_alu instid0(VALU_DEP_1) | instskip(NEXT) | instid1(VALU_DEP_1)
	v_fmac_f32_e64 v4, 0, 0x4f800000
	v_rcp_f32_e32 v4, v4
	s_waitcnt_depctr 0xfff
	v_mul_f32_e32 v4, 0x5f7ffffc, v4
	s_delay_alu instid0(VALU_DEP_1) | instskip(NEXT) | instid1(VALU_DEP_1)
	v_mul_f32_e32 v5, 0x2f800000, v4
	v_trunc_f32_e32 v5, v5
	s_delay_alu instid0(VALU_DEP_1) | instskip(SKIP_1) | instid1(VALU_DEP_2)
	v_fmac_f32_e32 v4, 0xcf800000, v5
	v_cvt_u32_f32_e32 v5, v5
	v_cvt_u32_f32_e32 v4, v4
	s_delay_alu instid0(VALU_DEP_2) | instskip(NEXT) | instid1(VALU_DEP_2)
	v_readfirstlane_b32 s4, v5
	v_readfirstlane_b32 s5, v4
	s_delay_alu instid0(VALU_DEP_2) | instskip(NEXT) | instid1(VALU_DEP_1)
	s_mul_i32 s8, s6, s4
	s_mul_hi_u32 s10, s6, s5
	s_mul_i32 s9, s7, s5
	s_add_i32 s8, s10, s8
	s_mul_i32 s11, s6, s5
	s_add_i32 s8, s8, s9
	s_mul_hi_u32 s10, s5, s11
	s_mul_hi_u32 s12, s4, s11
	s_mul_i32 s9, s4, s11
	s_mul_hi_u32 s11, s5, s8
	s_mul_i32 s5, s5, s8
	s_mul_hi_u32 s13, s4, s8
	s_add_u32 s5, s10, s5
	s_addc_u32 s10, 0, s11
	s_add_u32 s5, s5, s9
	s_mul_i32 s8, s4, s8
	s_addc_u32 s5, s10, s12
	s_addc_u32 s9, s13, 0
	s_add_u32 s5, s5, s8
	s_addc_u32 s8, 0, s9
	v_add_co_u32 v4, s5, v4, s5
	s_delay_alu instid0(VALU_DEP_1) | instskip(SKIP_1) | instid1(VALU_DEP_1)
	s_cmp_lg_u32 s5, 0
	s_addc_u32 s4, s4, s8
	v_readfirstlane_b32 s5, v4
	s_mul_i32 s8, s6, s4
	s_delay_alu instid0(VALU_DEP_1)
	s_mul_hi_u32 s9, s6, s5
	s_mul_i32 s7, s7, s5
	s_add_i32 s8, s9, s8
	s_mul_i32 s6, s6, s5
	s_add_i32 s8, s8, s7
	s_mul_hi_u32 s9, s4, s6
	s_mul_i32 s10, s4, s6
	s_mul_hi_u32 s6, s5, s6
	s_mul_hi_u32 s11, s5, s8
	s_mul_i32 s5, s5, s8
	s_mul_hi_u32 s7, s4, s8
	s_add_u32 s5, s6, s5
	s_addc_u32 s6, 0, s11
	s_add_u32 s5, s5, s10
	s_mul_i32 s8, s4, s8
	s_addc_u32 s5, s6, s9
	s_addc_u32 s6, s7, 0
	s_add_u32 s5, s5, s8
	s_addc_u32 s6, 0, s6
	v_add_co_u32 v4, s5, v4, s5
	s_delay_alu instid0(VALU_DEP_1) | instskip(SKIP_1) | instid1(VALU_DEP_1)
	s_cmp_lg_u32 s5, 0
	s_addc_u32 s4, s4, s6
	v_readfirstlane_b32 s5, v4
	s_mul_i32 s7, s24, s4
	s_mul_hi_u32 s6, s24, s4
	s_mul_hi_u32 s8, s25, s4
	s_mul_i32 s4, s25, s4
	s_mul_hi_u32 s9, s24, s5
	s_mul_hi_u32 s10, s25, s5
	s_mul_i32 s5, s25, s5
	s_add_u32 s7, s9, s7
	s_addc_u32 s6, 0, s6
	s_add_u32 s5, s7, s5
	s_addc_u32 s5, s6, s10
	s_addc_u32 s6, s8, 0
	s_add_u32 s4, s5, s4
	s_addc_u32 s5, 0, s6
	s_mul_hi_u32 s6, s23, s4
	s_mul_i32 s4, s23, s4
	s_mul_i32 s5, s23, s5
	v_sub_co_u32 v4, s4, s24, s4
	s_add_i32 s6, s6, s5
	s_cmp_lg_u32 s4, 0
	s_delay_alu instid0(VALU_DEP_1) | instskip(SKIP_2) | instid1(VALU_DEP_1)
	v_sub_co_u32 v5, s4, v4, s23
	s_subb_u32 s5, s25, s6
	s_cmp_lg_u32 s4, 0
	v_cmp_le_u32_e32 vcc_lo, s23, v5
	v_sub_co_u32 v8, s4, v5, s23
	s_subb_u32 s6, s5, 0
	s_cmp_lg_u32 s4, 0
	v_cndmask_b32_e64 v9, 0, -1, vcc_lo
	s_subb_u32 s4, s6, 0
	s_cmp_eq_u32 s6, 0
	v_mov_b32_e32 v11, s4
	s_cselect_b32 vcc_lo, -1, 0
	s_cmp_eq_u32 s5, 0
	v_cndmask_b32_e32 v9, -1, v9, vcc_lo
	v_cmp_le_u32_e32 vcc_lo, s23, v4
	s_cselect_b32 s4, -1, 0
	v_cndmask_b32_e64 v10, 0, -1, vcc_lo
	s_delay_alu instid0(VALU_DEP_3) | instskip(NEXT) | instid1(VALU_DEP_2)
	v_cmp_ne_u32_e32 vcc_lo, 0, v9
	v_cndmask_b32_e64 v9, -1, v10, s4
	v_cndmask_b32_e32 v10, s6, v11, vcc_lo
	v_cndmask_b32_e32 v8, v5, v8, vcc_lo
	s_delay_alu instid0(VALU_DEP_3) | instskip(NEXT) | instid1(VALU_DEP_3)
	v_cmp_ne_u32_e32 vcc_lo, 0, v9
	v_cndmask_b32_e32 v5, s5, v10, vcc_lo
	s_delay_alu instid0(VALU_DEP_3)
	v_cndmask_b32_e32 v4, v4, v8, vcc_lo
	s_cbranch_execnz .LBB118_70
.LBB118_69:                             ;   in Loop: Header=BB118_33 Depth=1
	v_cvt_f32_u32_e32 v4, s23
	s_sub_i32 s4, 0, s23
	s_delay_alu instid0(VALU_DEP_1) | instskip(SKIP_2) | instid1(VALU_DEP_1)
	v_rcp_iflag_f32_e32 v4, v4
	s_waitcnt_depctr 0xfff
	v_mul_f32_e32 v4, 0x4f7ffffe, v4
	v_cvt_u32_f32_e32 v4, v4
	s_delay_alu instid0(VALU_DEP_1) | instskip(NEXT) | instid1(VALU_DEP_1)
	v_mul_lo_u32 v5, s4, v4
	v_mul_hi_u32 v5, v4, v5
	s_delay_alu instid0(VALU_DEP_1) | instskip(NEXT) | instid1(VALU_DEP_1)
	v_add_nc_u32_e32 v4, v4, v5
	v_mul_hi_u32 v4, s24, v4
	s_delay_alu instid0(VALU_DEP_1) | instskip(NEXT) | instid1(VALU_DEP_1)
	v_mul_lo_u32 v4, v4, s23
	v_sub_nc_u32_e32 v4, s24, v4
	s_delay_alu instid0(VALU_DEP_1) | instskip(SKIP_1) | instid1(VALU_DEP_2)
	v_subrev_nc_u32_e32 v5, s23, v4
	v_cmp_le_u32_e32 vcc_lo, s23, v4
	v_cndmask_b32_e32 v4, v4, v5, vcc_lo
	s_delay_alu instid0(VALU_DEP_1) | instskip(SKIP_1) | instid1(VALU_DEP_2)
	v_subrev_nc_u32_e32 v5, s23, v4
	v_cmp_le_u32_e32 vcc_lo, s23, v4
	v_cndmask_b32_e32 v18, v4, v5, vcc_lo
	s_delay_alu instid0(VALU_DEP_1)
	v_dual_mov_b32 v4, v18 :: v_dual_mov_b32 v5, v19
.LBB118_70:                             ;   in Loop: Header=BB118_33 Depth=1
	v_mov_b32_e32 v8, 0
	v_mov_b32_e32 v9, 0
	s_delay_alu instid0(VALU_DEP_3) | instskip(NEXT) | instid1(VALU_DEP_4)
	v_sub_co_u32 v4, vcc_lo, s24, v4
	v_sub_co_ci_u32_e32 v5, vcc_lo, s25, v5, vcc_lo
	s_delay_alu instid0(VALU_DEP_3)
	v_dual_mov_b32 v11, v9 :: v_dual_mov_b32 v10, v8
	v_dual_mov_b32 v13, v9 :: v_dual_mov_b32 v12, v8
	;; [unrolled: 1-line block ×3, first 2 shown]
	s_mov_b64 s[78:79], 0
	s_mov_b32 s66, exec_lo
	v_cmpx_gt_u64_e64 v[4:5], v[16:17]
	s_cbranch_execz .LBB118_74
; %bb.71:                               ;   in Loop: Header=BB118_33 Depth=1
	v_dual_mov_b32 v23, v17 :: v_dual_mov_b32 v22, v16
	s_and_b32 s68, s100, 0xfe
	s_mov_b32 s77, 0
	s_mov_b64 s[80:81], 0
	s_mov_b64 s[82:83], 0
	;; [unrolled: 1-line block ×3, first 2 shown]
.LBB118_72:                             ;   Parent Loop BB118_33 Depth=1
                                        ; =>  This Inner Loop Header: Depth=2
	v_mul_lo_u32 v10, v23, s50
	v_mul_lo_u32 v11, v22, s51
	v_mad_u64_u32 v[8:9], null, v22, s50, 0
	s_lshl_b64 s[6:7], s[50:51], 3
	s_delay_alu instid0(VALU_DEP_1) | instskip(NEXT) | instid1(VALU_DEP_1)
	v_add3_u32 v9, v9, v11, v10
	v_lshlrev_b64 v[8:9], 3, v[8:9]
	s_delay_alu instid0(VALU_DEP_1) | instskip(NEXT) | instid1(VALU_DEP_2)
	v_add_co_u32 v8, vcc_lo, s27, v8
	v_add_co_ci_u32_e32 v9, vcc_lo, s33, v9, vcc_lo
	s_delay_alu instid0(VALU_DEP_2)
	v_add_co_u32 v10, vcc_lo, v8, s6
	global_load_b64 v[12:13], v[8:9], off
	v_add_co_ci_u32_e32 v11, vcc_lo, s7, v9, vcc_lo
	s_waitcnt vmcnt(0)
	v_ashrrev_i32_e32 v8, 31, v13
	v_cmp_o_f64_e32 vcc_lo, v[12:13], v[12:13]
	s_delay_alu instid0(VALU_DEP_2) | instskip(SKIP_2) | instid1(VALU_DEP_3)
	v_or_b32_e32 v9, 0x80000000, v8
	v_xor_b32_e32 v12, v8, v12
	v_add_co_u32 v8, s4, v10, s6
	v_xor_b32_e32 v13, v9, v13
	v_add_co_ci_u32_e64 v9, s4, s7, v11, s4
	global_load_b64 v[10:11], v[10:11], off
	s_waitcnt vmcnt(0)
	v_ashrrev_i32_e32 v14, 31, v11
	v_cmp_o_f64_e64 s4, v[10:11], v[10:11]
	s_delay_alu instid0(VALU_DEP_2) | instskip(SKIP_2) | instid1(VALU_DEP_3)
	v_or_b32_e32 v15, 0x80000000, v14
	v_xor_b32_e32 v14, v14, v10
	v_add_co_u32 v10, s5, v8, s6
	v_xor_b32_e32 v15, v15, v11
	v_add_co_ci_u32_e64 v11, s5, s7, v9, s5
	global_load_b64 v[8:9], v[8:9], off
	v_add_co_u32 v22, s7, v22, s23
	s_delay_alu instid0(VALU_DEP_1) | instskip(NEXT) | instid1(VALU_DEP_1)
	v_add_co_ci_u32_e64 v23, s7, 0, v23, s7
	v_cmp_ge_u64_e64 s7, v[22:23], v[4:5]
	s_waitcnt vmcnt(0)
	v_ashrrev_i32_e32 v18, 31, v9
	v_cmp_o_f64_e64 s5, v[8:9], v[8:9]
	s_delay_alu instid0(VALU_DEP_2) | instskip(SKIP_1) | instid1(VALU_DEP_2)
	v_or_b32_e32 v24, 0x80000000, v18
	v_xor_b32_e32 v25, v18, v8
	v_xor_b32_e32 v24, v24, v9
	global_load_b64 v[8:9], v[10:11], off
	s_waitcnt vmcnt(0)
	v_ashrrev_i32_e32 v10, 31, v9
	v_cmp_o_f64_e64 s6, v[8:9], v[8:9]
	s_delay_alu instid0(VALU_DEP_2) | instskip(SKIP_2) | instid1(VALU_DEP_3)
	v_or_b32_e32 v11, 0x80000000, v10
	v_xor_b32_e32 v33, v10, v8
	v_cndmask_b32_e32 v8, -1, v12, vcc_lo
	v_xor_b32_e32 v34, v11, v9
	s_delay_alu instid0(VALU_DEP_2) | instskip(NEXT) | instid1(VALU_DEP_1)
	v_dual_cndmask_b32 v9, -1, v13 :: v_dual_and_b32 v10, s74, v8
	v_and_b32_e32 v11, s75, v9
	v_lshrrev_b64 v[8:9], s68, v[8:9]
	v_cndmask_b32_e64 v9, -1, v15, s4
	s_delay_alu instid0(VALU_DEP_3) | instskip(NEXT) | instid1(VALU_DEP_3)
	v_cmp_eq_u64_e32 vcc_lo, s[72:73], v[10:11]
	v_and_b32_e32 v18, 3, v8
	v_cndmask_b32_e64 v8, -1, v14, s4
	s_delay_alu instid0(VALU_DEP_4) | instskip(NEXT) | instid1(VALU_DEP_2)
	v_and_b32_e32 v11, s75, v9
	v_and_b32_e32 v10, s74, v8
	v_lshrrev_b64 v[8:9], s68, v[8:9]
	v_mov_b32_e32 v9, v19
	s_delay_alu instid0(VALU_DEP_3) | instskip(SKIP_3) | instid1(VALU_DEP_3)
	v_cmp_eq_u64_e64 s4, s[72:73], v[10:11]
	v_cndmask_b32_e64 v11, -1, v24, s5
	v_cndmask_b32_e64 v10, -1, v25, s5
	v_and_b32_e32 v8, 3, v8
	v_and_b32_e32 v13, s75, v11
	s_delay_alu instid0(VALU_DEP_3)
	v_and_b32_e32 v12, s74, v10
	v_lshrrev_b64 v[10:11], s68, v[10:11]
	v_mov_b32_e32 v11, v19
	v_cmp_eq_u64_e64 s12, 0, v[18:19]
	v_cmp_eq_u64_e64 s8, 1, v[8:9]
	v_cmp_eq_u64_e64 s5, s[72:73], v[12:13]
	v_cndmask_b32_e64 v13, -1, v34, s6
	v_cndmask_b32_e64 v12, -1, v33, s6
	v_cmp_eq_u64_e64 s6, 0, v[8:9]
	v_cmp_eq_u64_e64 s9, 2, v[8:9]
	;; [unrolled: 1-line block ×3, first 2 shown]
	v_and_b32_e32 v9, s75, v13
	v_and_b32_e32 v8, s74, v12
	v_lshrrev_b64 v[12:13], s68, v[12:13]
	v_and_b32_e32 v10, 3, v10
	s_and_b32 s12, vcc_lo, s12
	s_and_b32 s19, s4, s6
	v_cmp_eq_u64_e64 s11, s[72:73], v[8:9]
	s_delay_alu instid0(VALU_DEP_3)
	v_dual_mov_b32 v9, v19 :: v_dual_and_b32 v8, 3, v12
	v_cndmask_b32_e64 v13, 0, 1, s12
	v_cmp_eq_u64_e64 s12, 0, v[10:11]
	v_cmp_eq_u64_e64 s16, 1, v[10:11]
	;; [unrolled: 1-line block ×4, first 2 shown]
	v_cndmask_b32_e64 v10, 0, 1, s19
	v_cmp_eq_u64_e64 s19, 0, v[8:9]
	v_cmp_ne_u32_e64 s6, 0, v13
	s_and_b32 s58, s5, s12
	v_cmp_eq_u64_e64 s20, 1, v[8:9]
	v_cmp_eq_u64_e64 s21, 2, v[8:9]
	;; [unrolled: 1-line block ×3, first 2 shown]
	v_cmp_ne_u32_e64 s12, 0, v10
	v_cndmask_b32_e64 v8, 0, 1, s58
	s_bcnt1_i32_b32 s58, s6
	s_and_b32 s6, s11, s19
	v_cmp_eq_u64_e64 s13, 1, v[18:19]
	v_cndmask_b32_e64 v9, 0, 1, s6
	s_bcnt1_i32_b32 s12, s12
	v_cmp_ne_u32_e64 s6, 0, v8
	s_add_i32 s19, s12, s58
	v_cmp_eq_u64_e64 s14, 2, v[18:19]
	v_cmp_ne_u32_e64 s12, 0, v9
	v_cmp_eq_u64_e64 s15, 3, v[18:19]
	s_bcnt1_i32_b32 s6, s6
	s_delay_alu instid0(SALU_CYCLE_1) | instskip(NEXT) | instid1(VALU_DEP_2)
	s_add_i32 s6, s19, s6
	s_bcnt1_i32_b32 s12, s12
	s_delay_alu instid0(SALU_CYCLE_1) | instskip(NEXT) | instid1(SALU_CYCLE_1)
	s_add_i32 s6, s6, s12
	s_add_u32 s84, s84, s6
	s_addc_u32 s85, s85, 0
	s_and_b32 s6, vcc_lo, s13
	s_and_b32 s8, s4, s8
	s_and_b32 s12, s5, s16
	v_cndmask_b32_e64 v8, 0, 1, s6
	v_cndmask_b32_e64 v9, 0, 1, s8
	s_and_b32 s13, s11, s20
	v_cndmask_b32_e64 v10, 0, 1, s12
	v_cndmask_b32_e64 v11, 0, 1, s13
	v_cmp_ne_u32_e64 s6, 0, v8
	v_cmp_ne_u32_e64 s8, 0, v9
	s_delay_alu instid0(VALU_DEP_4) | instskip(NEXT) | instid1(VALU_DEP_4)
	v_cmp_ne_u32_e64 s12, 0, v10
	v_cmp_ne_u32_e64 s13, 0, v11
	s_delay_alu instid0(VALU_DEP_4) | instskip(NEXT) | instid1(VALU_DEP_3)
	s_bcnt1_i32_b32 s6, s6
	s_bcnt1_i32_b32 s8, s8
	s_delay_alu instid0(VALU_DEP_2) | instskip(SKIP_3) | instid1(SALU_CYCLE_1)
	s_bcnt1_i32_b32 s12, s12
	s_add_i32 s6, s8, s6
	s_bcnt1_i32_b32 s13, s13
	s_add_i32 s6, s6, s12
	s_add_i32 s6, s6, s13
	s_delay_alu instid0(SALU_CYCLE_1)
	s_add_u32 s82, s82, s6
	s_addc_u32 s83, s83, 0
	s_and_b32 s6, vcc_lo, s14
	s_and_b32 s8, s4, s9
	s_and_b32 s9, s5, s17
	v_cndmask_b32_e64 v8, 0, 1, s6
	v_cndmask_b32_e64 v9, 0, 1, s8
	s_and_b32 s12, s11, s21
	v_cndmask_b32_e64 v10, 0, 1, s9
	v_cndmask_b32_e64 v11, 0, 1, s12
	v_cmp_ne_u32_e64 s6, 0, v8
	v_cmp_ne_u32_e64 s8, 0, v9
	s_delay_alu instid0(VALU_DEP_4) | instskip(NEXT) | instid1(VALU_DEP_4)
	v_cmp_ne_u32_e64 s9, 0, v10
	v_cmp_ne_u32_e64 s12, 0, v11
	s_delay_alu instid0(VALU_DEP_4) | instskip(NEXT) | instid1(VALU_DEP_3)
	s_bcnt1_i32_b32 s6, s6
	s_bcnt1_i32_b32 s8, s8
	s_delay_alu instid0(VALU_DEP_2) | instskip(SKIP_3) | instid1(SALU_CYCLE_1)
	s_bcnt1_i32_b32 s9, s9
	s_add_i32 s6, s8, s6
	s_bcnt1_i32_b32 s12, s12
	s_add_i32 s6, s6, s9
	s_add_i32 s6, s6, s12
	s_delay_alu instid0(SALU_CYCLE_1)
	s_add_u32 s80, s80, s6
	s_addc_u32 s81, s81, 0
	s_and_b32 s6, vcc_lo, s15
	s_and_b32 s4, s4, s10
	s_and_b32 s5, s5, s18
	v_cndmask_b32_e64 v8, 0, 1, s6
	v_cndmask_b32_e64 v9, 0, 1, s4
	s_and_b32 s8, s11, s22
	v_cndmask_b32_e64 v10, 0, 1, s5
	v_cndmask_b32_e64 v11, 0, 1, s8
	v_cmp_ne_u32_e32 vcc_lo, 0, v8
	v_cmp_ne_u32_e64 s4, 0, v9
	v_mov_b32_e32 v8, s84
	v_cmp_ne_u32_e64 s5, 0, v10
	v_cmp_ne_u32_e64 s6, 0, v11
	s_bcnt1_i32_b32 s8, vcc_lo
	s_bcnt1_i32_b32 s4, s4
	v_mov_b32_e32 v10, s82
	s_bcnt1_i32_b32 s5, s5
	s_add_i32 s4, s4, s8
	s_bcnt1_i32_b32 s6, s6
	s_add_i32 s4, s4, s5
	v_dual_mov_b32 v12, s80 :: v_dual_mov_b32 v13, s81
	s_add_i32 s4, s4, s6
	v_mov_b32_e32 v9, s85
	s_add_u32 s78, s78, s4
	s_addc_u32 s79, s79, 0
	v_dual_mov_b32 v14, s78 :: v_dual_mov_b32 v11, s83
	v_mov_b32_e32 v15, s79
	s_or_b32 s77, s7, s77
	s_delay_alu instid0(SALU_CYCLE_1)
	s_and_not1_b32 exec_lo, exec_lo, s77
	s_cbranch_execnz .LBB118_72
; %bb.73:                               ;   in Loop: Header=BB118_33 Depth=1
	s_or_b32 exec_lo, exec_lo, s77
.LBB118_74:                             ;   in Loop: Header=BB118_33 Depth=1
	s_delay_alu instid0(SALU_CYCLE_1) | instskip(SKIP_4) | instid1(VALU_DEP_3)
	s_or_b32 exec_lo, exec_lo, s66
	v_add_co_u32 v4, vcc_lo, v4, v0
	v_add_co_ci_u32_e32 v5, vcc_lo, 0, v5, vcc_lo
	v_mov_b32_e32 v24, 0
	v_dual_mov_b32 v25, 0 :: v_dual_and_b32 v2, 0xffff, v2
	v_cmp_gt_u64_e32 vcc_lo, s[24:25], v[4:5]
	s_and_saveexec_b32 s5, vcc_lo
	s_cbranch_execz .LBB118_76
; %bb.75:                               ;   in Loop: Header=BB118_33 Depth=1
	v_mul_lo_u32 v18, v5, s50
	v_mul_lo_u32 v24, v4, s51
	v_mad_u64_u32 v[22:23], null, v4, s50, 0
	s_delay_alu instid0(VALU_DEP_1) | instskip(NEXT) | instid1(VALU_DEP_1)
	v_add3_u32 v23, v23, v24, v18
	v_lshlrev_b64 v[22:23], 3, v[22:23]
	s_delay_alu instid0(VALU_DEP_1) | instskip(NEXT) | instid1(VALU_DEP_1)
	v_add_co_u32 v22, s4, s27, v22
	v_add_co_ci_u32_e64 v23, s4, s33, v23, s4
	global_load_b64 v[24:25], v[22:23], off
.LBB118_76:                             ;   in Loop: Header=BB118_33 Depth=1
	s_or_b32 exec_lo, exec_lo, s5
	s_and_saveexec_b32 s8, vcc_lo
	s_cbranch_execz .LBB118_83
; %bb.77:                               ;   in Loop: Header=BB118_33 Depth=1
	s_and_b32 s9, s100, 0xfe
	s_mov_b32 s10, 0
	s_branch .LBB118_79
.LBB118_78:                             ;   in Loop: Header=BB118_79 Depth=2
	s_or_b32 exec_lo, exec_lo, s5
	s_waitcnt vmcnt(0)
	v_cmp_o_f64_e64 s4, v[24:25], v[24:25]
	v_ashrrev_i32_e32 v18, 31, v25
	s_and_b32 s6, exec_lo, vcc_lo
	s_delay_alu instid0(SALU_CYCLE_1) | instskip(NEXT) | instid1(VALU_DEP_1)
	s_or_b32 s10, s6, s10
	v_or_b32_e32 v33, 0x80000000, v18
	v_xor_b32_e32 v18, v18, v24
	s_delay_alu instid0(VALU_DEP_2) | instskip(NEXT) | instid1(VALU_DEP_1)
	v_xor_b32_e32 v33, v33, v25
	v_cndmask_b32_e64 v25, -1, v33, s4
	s_delay_alu instid0(VALU_DEP_3) | instskip(NEXT) | instid1(VALU_DEP_1)
	v_cndmask_b32_e64 v24, -1, v18, s4
	v_lshrrev_b64 v[33:34], s9, v[24:25]
	v_and_b32_e32 v25, s75, v25
	v_and_b32_e32 v24, s74, v24
	s_delay_alu instid0(VALU_DEP_3) | instskip(NEXT) | instid1(VALU_DEP_2)
	v_and_b32_e32 v18, 3, v33
	v_cmp_eq_u64_e64 s4, s[72:73], v[24:25]
	s_delay_alu instid0(VALU_DEP_2) | instskip(SKIP_3) | instid1(VALU_DEP_4)
	v_cmp_eq_u64_e64 s5, 0, v[18:19]
	v_cmp_eq_u64_e32 vcc_lo, 1, v[18:19]
	v_cmp_eq_u64_e64 s6, 2, v[18:19]
	v_cmp_eq_u64_e64 s7, 3, v[18:19]
	s_and_b32 s5, s4, s5
	s_delay_alu instid0(SALU_CYCLE_1) | instskip(SKIP_1) | instid1(SALU_CYCLE_1)
	v_cndmask_b32_e64 v18, 0, 1, s5
	s_and_b32 s5, s4, vcc_lo
	v_cndmask_b32_e64 v24, 0, 1, s5
	s_and_b32 s5, s4, s6
	s_delay_alu instid0(VALU_DEP_2) | instskip(SKIP_2) | instid1(SALU_CYCLE_1)
	v_cmp_ne_u32_e32 vcc_lo, 0, v18
	v_cndmask_b32_e64 v25, 0, 1, s5
	s_and_b32 s4, s4, s7
	v_cndmask_b32_e64 v33, 0, 1, s4
	v_cmp_ne_u32_e64 s4, 0, v24
	s_bcnt1_i32_b32 s7, vcc_lo
	v_cmp_ne_u32_e64 s5, 0, v25
	v_mov_b32_e32 v25, v23
	v_add_co_u32 v8, vcc_lo, v8, s7
	s_bcnt1_i32_b32 s4, s4
	v_cmp_ne_u32_e64 s6, 0, v33
	v_add_co_ci_u32_e32 v9, vcc_lo, 0, v9, vcc_lo
	v_add_co_u32 v10, vcc_lo, v10, s4
	s_bcnt1_i32_b32 s5, s5
	v_add_co_ci_u32_e32 v11, vcc_lo, 0, v11, vcc_lo
	v_add_co_u32 v12, vcc_lo, v12, s5
	s_bcnt1_i32_b32 s6, s6
	v_add_co_ci_u32_e32 v13, vcc_lo, 0, v13, vcc_lo
	v_add_co_u32 v14, vcc_lo, v14, s6
	v_add_co_ci_u32_e32 v15, vcc_lo, 0, v15, vcc_lo
	v_mov_b32_e32 v24, v22
	s_and_not1_b32 exec_lo, exec_lo, s10
	s_cbranch_execz .LBB118_82
.LBB118_79:                             ;   Parent Loop BB118_33 Depth=1
                                        ; =>  This Inner Loop Header: Depth=2
	v_add_co_u32 v4, vcc_lo, v4, v2
	v_add_co_ci_u32_e32 v5, vcc_lo, 0, v5, vcc_lo
	v_mov_b32_e32 v22, 0
	v_mov_b32_e32 v23, 0
	s_mov_b32 s5, exec_lo
	s_delay_alu instid0(VALU_DEP_3)
	v_cmp_le_u64_e32 vcc_lo, s[24:25], v[4:5]
	v_cmpx_gt_u64_e64 s[24:25], v[4:5]
	s_cbranch_execz .LBB118_78
; %bb.80:                               ;   in Loop: Header=BB118_79 Depth=2
	v_mul_lo_u32 v18, v5, s50
	v_mul_lo_u32 v33, v4, s51
	v_mad_u64_u32 v[22:23], null, v4, s50, 0
	s_delay_alu instid0(VALU_DEP_1) | instskip(NEXT) | instid1(VALU_DEP_1)
	v_add3_u32 v23, v23, v33, v18
	v_lshlrev_b64 v[22:23], 3, v[22:23]
	s_delay_alu instid0(VALU_DEP_1) | instskip(NEXT) | instid1(VALU_DEP_1)
	v_add_co_u32 v22, s4, s27, v22
	v_add_co_ci_u32_e64 v23, s4, s33, v23, s4
	global_load_b64 v[22:23], v[22:23], off
	s_branch .LBB118_78
.LBB118_81:                             ;   in Loop: Header=BB118_33 Depth=1
                                        ; implicit-def: $vgpr14_vgpr15
                                        ; implicit-def: $vgpr10_vgpr11
	s_cbranch_execnz .LBB118_84
	s_branch .LBB118_93
.LBB118_82:                             ;   in Loop: Header=BB118_33 Depth=1
	s_or_b32 exec_lo, exec_lo, s10
.LBB118_83:                             ;   in Loop: Header=BB118_33 Depth=1
	s_delay_alu instid0(SALU_CYCLE_1)
	s_or_b32 exec_lo, exec_lo, s8
	s_branch .LBB118_93
.LBB118_84:                             ;   in Loop: Header=BB118_33 Depth=1
	global_load_u16 v2, v19, s[70:71]
	v_mov_b32_e32 v8, 0
	s_mov_b64 s[78:79], 0
	s_mov_b32 s77, exec_lo
	v_mov_b32_e32 v9, 0
	s_delay_alu instid0(VALU_DEP_1)
	v_mov_b32_e32 v15, v9
	v_dual_mov_b32 v11, v9 :: v_dual_mov_b32 v10, v8
	v_dual_mov_b32 v13, v9 :: v_dual_mov_b32 v12, v8
	v_mov_b32_e32 v14, v8
	s_waitcnt vmcnt(0)
	v_readfirstlane_b32 s4, v2
	v_and_b32_e32 v2, 0xffff, v2
	s_delay_alu instid0(VALU_DEP_2) | instskip(NEXT) | instid1(SALU_CYCLE_1)
	s_and_b32 s4, 0xffff, s4
	s_lshl_b32 s68, s4, 2
	s_delay_alu instid0(SALU_CYCLE_1) | instskip(SKIP_1) | instid1(VALU_DEP_1)
	v_cvt_f32_u32_e32 v4, s68
	s_sub_i32 s5, 0, s68
	v_rcp_iflag_f32_e32 v4, v4
	s_waitcnt_depctr 0xfff
	v_mul_f32_e32 v4, 0x4f7ffffe, v4
	s_delay_alu instid0(VALU_DEP_1) | instskip(NEXT) | instid1(VALU_DEP_1)
	v_cvt_u32_f32_e32 v4, v4
	v_readfirstlane_b32 s4, v4
	s_delay_alu instid0(VALU_DEP_1) | instskip(NEXT) | instid1(SALU_CYCLE_1)
	s_mul_i32 s5, s5, s4
	s_mul_hi_u32 s5, s4, s5
	s_delay_alu instid0(SALU_CYCLE_1) | instskip(NEXT) | instid1(SALU_CYCLE_1)
	s_add_i32 s4, s4, s5
	s_mul_hi_u32 s4, s76, s4
	s_delay_alu instid0(SALU_CYCLE_1) | instskip(NEXT) | instid1(SALU_CYCLE_1)
	s_mul_i32 s4, s4, s68
	s_sub_i32 s4, s76, s4
	s_delay_alu instid0(SALU_CYCLE_1) | instskip(SKIP_2) | instid1(SALU_CYCLE_1)
	s_sub_i32 s5, s4, s68
	s_cmp_ge_u32 s4, s68
	s_cselect_b32 s4, s5, s4
	s_sub_i32 s5, s4, s68
	s_cmp_ge_u32 s4, s68
	s_cselect_b32 s4, s5, s4
	s_delay_alu instid0(SALU_CYCLE_1) | instskip(NEXT) | instid1(SALU_CYCLE_1)
	s_sub_i32 s66, s76, s4
	v_cmpx_gt_u32_e64 s66, v16
	s_cbranch_execz .LBB118_88
; %bb.85:                               ;   in Loop: Header=BB118_33 Depth=1
	v_dual_mov_b32 v23, v31 :: v_dual_lshlrev_b32 v22, 5, v2
	v_dual_mov_b32 v4, v16 :: v_dual_mov_b32 v5, v17
	s_and_b32 vcc_hi, s100, 0xfe
	s_mov_b32 s58, 0
	s_mov_b64 s[80:81], 0
	s_mov_b64 s[82:83], 0
	;; [unrolled: 1-line block ×3, first 2 shown]
.LBB118_86:                             ;   Parent Loop BB118_33 Depth=1
                                        ; =>  This Inner Loop Header: Depth=2
	ds_load_b128 v[8:11], v23
	v_add_co_u32 v4, s7, v4, s68
	s_delay_alu instid0(VALU_DEP_1) | instskip(NEXT) | instid1(VALU_DEP_1)
	v_add_co_ci_u32_e64 v5, s7, 0, v5, s7
	v_cmp_le_u64_e64 s7, s[66:67], v[4:5]
	s_waitcnt lgkmcnt(0)
	v_ashrrev_i32_e32 v12, 31, v9
	v_ashrrev_i32_e32 v13, 31, v11
	v_cmp_o_f64_e64 s4, v[8:9], v[8:9]
	v_cmp_o_f64_e32 vcc_lo, v[10:11], v[10:11]
	s_delay_alu instid0(VALU_DEP_4) | instskip(SKIP_3) | instid1(VALU_DEP_4)
	v_or_b32_e32 v14, 0x80000000, v12
	v_xor_b32_e32 v12, v12, v8
	v_or_b32_e32 v8, 0x80000000, v13
	v_xor_b32_e32 v13, v13, v10
	v_xor_b32_e32 v14, v14, v9
	s_delay_alu instid0(VALU_DEP_3)
	v_xor_b32_e32 v15, v8, v11
	ds_load_b128 v[8:11], v23 offset:16
	s_waitcnt lgkmcnt(0)
	v_cmp_o_f64_e64 s5, v[8:9], v[8:9]
	v_ashrrev_i32_e32 v18, 31, v9
	v_cmp_o_f64_e64 s6, v[10:11], v[10:11]
	s_delay_alu instid0(VALU_DEP_2) | instskip(SKIP_2) | instid1(VALU_DEP_3)
	v_or_b32_e32 v24, 0x80000000, v18
	v_xor_b32_e32 v18, v18, v8
	v_ashrrev_i32_e32 v8, 31, v11
	v_xor_b32_e32 v24, v24, v9
	v_cndmask_b32_e64 v9, -1, v14, s4
	s_delay_alu instid0(VALU_DEP_3) | instskip(SKIP_2) | instid1(VALU_DEP_3)
	v_or_b32_e32 v25, 0x80000000, v8
	v_xor_b32_e32 v33, v8, v10
	v_cndmask_b32_e64 v8, -1, v12, s4
	v_xor_b32_e32 v25, v25, v11
	v_and_b32_e32 v11, s75, v9
	s_delay_alu instid0(VALU_DEP_3) | instskip(NEXT) | instid1(VALU_DEP_1)
	v_and_b32_e32 v10, s74, v8
	v_cmp_eq_u64_e64 s4, s[72:73], v[10:11]
	v_dual_cndmask_b32 v11, -1, v15 :: v_dual_cndmask_b32 v10, -1, v13
	s_delay_alu instid0(VALU_DEP_1) | instskip(NEXT) | instid1(VALU_DEP_2)
	v_and_b32_e32 v13, s75, v11
	v_and_b32_e32 v12, s74, v10
	s_delay_alu instid0(VALU_DEP_1) | instskip(SKIP_3) | instid1(VALU_DEP_3)
	v_cmp_eq_u64_e32 vcc_lo, s[72:73], v[12:13]
	v_cndmask_b32_e64 v13, -1, v24, s5
	v_cndmask_b32_e64 v12, -1, v18, s5
	v_lshrrev_b64 v[8:9], vcc_hi, v[8:9]
	v_and_b32_e32 v15, s75, v13
	s_delay_alu instid0(VALU_DEP_3) | instskip(NEXT) | instid1(VALU_DEP_3)
	v_and_b32_e32 v14, s74, v12
	v_and_b32_e32 v18, 3, v8
	v_lshrrev_b64 v[8:9], vcc_hi, v[10:11]
	v_lshrrev_b64 v[10:11], vcc_hi, v[12:13]
	v_mov_b32_e32 v11, v19
	v_cmp_eq_u64_e64 s5, s[72:73], v[14:15]
	v_cndmask_b32_e64 v15, -1, v25, s6
	v_cndmask_b32_e64 v14, -1, v33, s6
	v_dual_mov_b32 v9, v19 :: v_dual_and_b32 v8, 3, v8
	v_and_b32_e32 v10, 3, v10
	s_delay_alu instid0(VALU_DEP_4) | instskip(NEXT) | instid1(VALU_DEP_4)
	v_and_b32_e32 v25, s75, v15
	v_lshrrev_b64 v[12:13], vcc_hi, v[14:15]
	v_dual_mov_b32 v13, v19 :: v_dual_and_b32 v24, s74, v14
	v_cmp_eq_u64_e64 s8, 0, v[18:19]
	v_cmp_eq_u64_e64 s9, 0, v[8:9]
	;; [unrolled: 1-line block ×3, first 2 shown]
	v_and_b32_e32 v12, 3, v12
	v_cmp_eq_u64_e64 s6, s[72:73], v[24:25]
	v_cmp_eq_u64_e64 s13, 1, v[8:9]
	s_and_b32 s8, s4, s8
	s_and_b32 s9, vcc_lo, s9
	v_cmp_eq_u64_e64 s11, 0, v[12:13]
	v_cmp_eq_u64_e64 s17, 2, v[8:9]
	;; [unrolled: 1-line block ×3, first 2 shown]
	s_and_b32 s10, s5, s10
	v_cndmask_b32_e64 v8, 0, 1, s8
	v_cndmask_b32_e64 v9, 0, 1, s9
	v_cmp_eq_u64_e64 s14, 1, v[10:11]
	v_cmp_eq_u64_e64 s18, 2, v[10:11]
	;; [unrolled: 1-line block ×3, first 2 shown]
	s_and_b32 s11, s6, s11
	v_cndmask_b32_e64 v10, 0, 1, s10
	v_cndmask_b32_e64 v11, 0, 1, s11
	v_cmp_ne_u32_e64 s8, 0, v8
	v_cmp_ne_u32_e64 s9, 0, v9
	v_cmp_eq_u64_e64 s12, 1, v[18:19]
	v_cmp_ne_u32_e64 s10, 0, v10
	v_cmp_ne_u32_e64 s11, 0, v11
	s_bcnt1_i32_b32 s8, s8
	s_bcnt1_i32_b32 s9, s9
	v_cmp_eq_u64_e64 s15, 1, v[12:13]
	s_bcnt1_i32_b32 s10, s10
	s_add_i32 s8, s9, s8
	s_bcnt1_i32_b32 s11, s11
	s_add_i32 s8, s8, s10
	v_cmp_eq_u64_e64 s16, 2, v[18:19]
	s_add_i32 s8, s8, s11
	v_cmp_eq_u64_e64 s19, 2, v[12:13]
	s_add_u32 s84, s84, s8
	s_addc_u32 s85, s85, 0
	s_and_b32 s8, s4, s12
	s_and_b32 s9, vcc_lo, s13
	s_and_b32 s10, s5, s14
	v_cndmask_b32_e64 v8, 0, 1, s8
	v_cndmask_b32_e64 v9, 0, 1, s9
	s_and_b32 s11, s6, s15
	v_cndmask_b32_e64 v10, 0, 1, s10
	v_cndmask_b32_e64 v11, 0, 1, s11
	v_cmp_ne_u32_e64 s8, 0, v8
	v_cmp_ne_u32_e64 s9, 0, v9
	v_cmp_eq_u64_e64 s20, 3, v[18:19]
	v_cmp_ne_u32_e64 s10, 0, v10
	v_cmp_ne_u32_e64 s11, 0, v11
	s_bcnt1_i32_b32 s8, s8
	s_bcnt1_i32_b32 s9, s9
	v_cmp_eq_u64_e64 s23, 3, v[12:13]
	s_bcnt1_i32_b32 s10, s10
	s_add_i32 s8, s9, s8
	s_bcnt1_i32_b32 s11, s11
	s_add_i32 s8, s8, s10
	s_delay_alu instid0(SALU_CYCLE_1) | instskip(NEXT) | instid1(SALU_CYCLE_1)
	s_add_i32 s8, s8, s11
	s_add_u32 s82, s82, s8
	s_addc_u32 s83, s83, 0
	s_and_b32 s8, s4, s16
	s_and_b32 s9, vcc_lo, s17
	s_and_b32 s10, s5, s18
	v_cndmask_b32_e64 v8, 0, 1, s8
	v_cndmask_b32_e64 v9, 0, 1, s9
	s_and_b32 s11, s6, s19
	v_cndmask_b32_e64 v10, 0, 1, s10
	v_cndmask_b32_e64 v11, 0, 1, s11
	v_cmp_ne_u32_e64 s8, 0, v8
	v_cmp_ne_u32_e64 s9, 0, v9
	s_delay_alu instid0(VALU_DEP_4) | instskip(NEXT) | instid1(VALU_DEP_4)
	v_cmp_ne_u32_e64 s10, 0, v10
	v_cmp_ne_u32_e64 s11, 0, v11
	s_delay_alu instid0(VALU_DEP_4) | instskip(NEXT) | instid1(VALU_DEP_3)
	s_bcnt1_i32_b32 s8, s8
	s_bcnt1_i32_b32 s9, s9
	s_delay_alu instid0(VALU_DEP_2) | instskip(SKIP_3) | instid1(SALU_CYCLE_1)
	s_bcnt1_i32_b32 s10, s10
	s_add_i32 s8, s9, s8
	s_bcnt1_i32_b32 s11, s11
	s_add_i32 s8, s8, s10
	s_add_i32 s8, s8, s11
	s_delay_alu instid0(SALU_CYCLE_1)
	s_add_u32 s80, s80, s8
	s_addc_u32 s81, s81, 0
	s_and_b32 s4, s4, s20
	s_and_b32 s8, vcc_lo, s21
	s_and_b32 s5, s5, s22
	v_cndmask_b32_e64 v8, 0, 1, s4
	v_cndmask_b32_e64 v9, 0, 1, s8
	s_and_b32 s6, s6, s23
	v_cndmask_b32_e64 v10, 0, 1, s5
	v_cndmask_b32_e64 v11, 0, 1, s6
	v_cmp_ne_u32_e32 vcc_lo, 0, v8
	v_cmp_ne_u32_e64 s4, 0, v9
	v_mov_b32_e32 v8, s84
	v_cmp_ne_u32_e64 s5, 0, v10
	v_cmp_ne_u32_e64 s6, 0, v11
	s_bcnt1_i32_b32 s8, vcc_lo
	s_bcnt1_i32_b32 s4, s4
	v_mov_b32_e32 v10, s82
	s_bcnt1_i32_b32 s5, s5
	s_add_i32 s4, s4, s8
	s_bcnt1_i32_b32 s6, s6
	s_add_i32 s4, s4, s5
	v_mov_b32_e32 v12, s80
	s_add_i32 s4, s4, s6
	v_mov_b32_e32 v9, s85
	s_add_u32 s78, s78, s4
	s_addc_u32 s79, s79, 0
	v_dual_mov_b32 v14, s78 :: v_dual_add_nc_u32 v23, v23, v22
	v_mov_b32_e32 v11, s83
	v_mov_b32_e32 v13, s81
	;; [unrolled: 1-line block ×3, first 2 shown]
	s_or_b32 s58, s7, s58
	s_delay_alu instid0(SALU_CYCLE_1)
	s_and_not1_b32 exec_lo, exec_lo, s58
	s_cbranch_execnz .LBB118_86
; %bb.87:                               ;   in Loop: Header=BB118_33 Depth=1
	s_or_b32 exec_lo, exec_lo, s58
.LBB118_88:                             ;   in Loop: Header=BB118_33 Depth=1
	s_delay_alu instid0(SALU_CYCLE_1) | instskip(SKIP_2) | instid1(VALU_DEP_1)
	s_or_b32 exec_lo, exec_lo, s77
	v_add_nc_u32_e32 v18, s66, v0
	s_mov_b32 s9, exec_lo
	v_cmpx_gt_u32_e64 s76, v18
	s_cbranch_execz .LBB118_92
; %bb.89:                               ;   in Loop: Header=BB118_33 Depth=1
	v_dual_mov_b32 v4, v18 :: v_dual_lshlrev_b32 v23, 3, v2
	v_dual_mov_b32 v5, v19 :: v_dual_lshlrev_b32 v22, 3, v18
	s_mov_b32 s11, 0
	s_and_b32 s10, s76, 0x7fffffff
	s_and_b32 s13, s100, 0xfe
	s_mov_b32 s12, s11
.LBB118_90:                             ;   Parent Loop BB118_33 Depth=1
                                        ; =>  This Inner Loop Header: Depth=2
	ds_load_b64 v[24:25], v22
	v_add_co_u32 v4, s4, v4, v2
	s_delay_alu instid0(VALU_DEP_1) | instskip(NEXT) | instid1(VALU_DEP_1)
	v_add_co_ci_u32_e64 v5, s4, 0, v5, s4
	v_cmp_le_u64_e64 s4, s[10:11], v[4:5]
	s_waitcnt lgkmcnt(0)
	v_cmp_o_f64_e32 vcc_lo, v[24:25], v[24:25]
	v_ashrrev_i32_e32 v18, 31, v25
	s_delay_alu instid0(VALU_DEP_1) | instskip(SKIP_1) | instid1(VALU_DEP_2)
	v_or_b32_e32 v33, 0x80000000, v18
	v_xor_b32_e32 v18, v18, v24
	v_xor_b32_e32 v33, v33, v25
	s_delay_alu instid0(VALU_DEP_1) | instskip(NEXT) | instid1(VALU_DEP_3)
	v_dual_cndmask_b32 v25, -1, v33 :: v_dual_add_nc_u32 v22, v22, v23
	v_cndmask_b32_e32 v24, -1, v18, vcc_lo
	s_delay_alu instid0(VALU_DEP_2) | instskip(NEXT) | instid1(VALU_DEP_2)
	v_and_b32_e32 v34, s75, v25
	v_and_b32_e32 v33, s74, v24
	v_lshrrev_b64 v[24:25], s13, v[24:25]
	s_delay_alu instid0(VALU_DEP_2) | instskip(NEXT) | instid1(VALU_DEP_2)
	v_cmp_eq_u64_e32 vcc_lo, s[72:73], v[33:34]
	v_and_b32_e32 v18, 3, v24
	s_delay_alu instid0(VALU_DEP_1) | instskip(SKIP_3) | instid1(VALU_DEP_4)
	v_cmp_eq_u64_e64 s5, 0, v[18:19]
	v_cmp_eq_u64_e64 s6, 1, v[18:19]
	;; [unrolled: 1-line block ×4, first 2 shown]
	s_and_b32 s5, vcc_lo, s5
	s_delay_alu instid0(SALU_CYCLE_1) | instskip(NEXT) | instid1(VALU_DEP_4)
	v_cndmask_b32_e64 v18, 0, 1, s5
	s_and_b32 s5, vcc_lo, s6
	s_delay_alu instid0(SALU_CYCLE_1) | instskip(SKIP_1) | instid1(SALU_CYCLE_1)
	v_cndmask_b32_e64 v24, 0, 1, s5
	s_and_b32 s5, vcc_lo, s7
	v_cndmask_b32_e64 v25, 0, 1, s5
	s_and_b32 s5, vcc_lo, s8
	v_cmp_ne_u32_e32 vcc_lo, 0, v18
	v_cndmask_b32_e64 v33, 0, 1, s5
	v_cmp_ne_u32_e64 s5, 0, v24
	v_cmp_ne_u32_e64 s6, 0, v25
	s_bcnt1_i32_b32 s8, vcc_lo
	s_delay_alu instid0(VALU_DEP_3)
	v_cmp_ne_u32_e64 s7, 0, v33
	v_add_co_u32 v8, vcc_lo, v8, s8
	s_bcnt1_i32_b32 s5, s5
	v_add_co_ci_u32_e32 v9, vcc_lo, 0, v9, vcc_lo
	v_add_co_u32 v10, vcc_lo, v10, s5
	s_bcnt1_i32_b32 s6, s6
	v_add_co_ci_u32_e32 v11, vcc_lo, 0, v11, vcc_lo
	;; [unrolled: 3-line block ×3, first 2 shown]
	v_add_co_u32 v14, vcc_lo, v14, s7
	v_add_co_ci_u32_e32 v15, vcc_lo, 0, v15, vcc_lo
	s_or_b32 s12, s4, s12
	s_delay_alu instid0(SALU_CYCLE_1)
	s_and_not1_b32 exec_lo, exec_lo, s12
	s_cbranch_execnz .LBB118_90
; %bb.91:                               ;   in Loop: Header=BB118_33 Depth=1
	s_or_b32 exec_lo, exec_lo, s12
.LBB118_92:                             ;   in Loop: Header=BB118_33 Depth=1
	s_delay_alu instid0(SALU_CYCLE_1)
	s_or_b32 exec_lo, exec_lo, s9
.LBB118_93:                             ;   in Loop: Header=BB118_33 Depth=1
	s_lshl_b32 s4, s103, 7
	s_and_saveexec_b32 s5, s1
	s_cbranch_execz .LBB118_95
; %bb.94:                               ;   in Loop: Header=BB118_33 Depth=1
	v_or_b32_e32 v2, s4, v29
	s_delay_alu instid0(VALU_DEP_1)
	v_lshlrev_b32_e32 v2, 3, v2
	ds_store_b128 v2, v[8:11] offset:3072
	ds_store_b128 v2, v[12:15] offset:3088
.LBB118_95:                             ;   in Loop: Header=BB118_33 Depth=1
	s_or_b32 exec_lo, exec_lo, s5
	s_waitcnt vmcnt(0) lgkmcnt(0)
	s_barrier
	buffer_gl0_inv
	s_and_saveexec_b32 s5, s86
	s_cbranch_execz .LBB118_106
; %bb.96:                               ;   in Loop: Header=BB118_33 Depth=1
	v_mov_b32_e32 v4, 0
	v_mov_b32_e32 v5, 0
	s_and_not1_b32 vcc_lo, exec_lo, s93
	s_cbranch_vccnz .LBB118_105
; %bb.97:                               ;   in Loop: Header=BB118_33 Depth=1
	v_mov_b32_e32 v4, 0
	v_mov_b32_e32 v5, 0
	s_and_not1_b32 vcc_lo, exec_lo, s91
	s_cbranch_vccnz .LBB118_102
; %bb.98:                               ;   in Loop: Header=BB118_33 Depth=1
	v_lshl_add_u32 v2, s103, 10, v32
	s_mov_b32 s6, 0
	s_set_inst_prefetch_distance 0x1
	.p2align	6
.LBB118_99:                             ;   Parent Loop BB118_33 Depth=1
                                        ; =>  This Inner Loop Header: Depth=2
	ds_load_2addr_b64 v[8:11], v2 offset1:4
	ds_load_2addr_b64 v[12:15], v2 offset0:8 offset1:12
	ds_load_2addr_b64 v[22:25], v2 offset0:16 offset1:20
	s_add_i32 s6, s6, 8
	s_delay_alu instid0(SALU_CYCLE_1) | instskip(SKIP_3) | instid1(VALU_DEP_2)
	s_cmp_eq_u32 s92, s6
	s_waitcnt lgkmcnt(2)
	v_add_co_u32 v4, vcc_lo, v8, v4
	v_add_co_ci_u32_e32 v5, vcc_lo, v9, v5, vcc_lo
	v_add_co_u32 v4, vcc_lo, v10, v4
	s_delay_alu instid0(VALU_DEP_2)
	v_add_co_ci_u32_e32 v5, vcc_lo, v11, v5, vcc_lo
	ds_load_2addr_b64 v[8:11], v2 offset0:24 offset1:28
	s_waitcnt lgkmcnt(2)
	v_add_co_u32 v4, vcc_lo, v12, v4
	v_add_co_ci_u32_e32 v5, vcc_lo, v13, v5, vcc_lo
	v_add_nc_u32_e32 v2, 0x100, v2
	s_delay_alu instid0(VALU_DEP_3) | instskip(NEXT) | instid1(VALU_DEP_3)
	v_add_co_u32 v4, vcc_lo, v14, v4
	v_add_co_ci_u32_e32 v5, vcc_lo, v15, v5, vcc_lo
	s_waitcnt lgkmcnt(1)
	s_delay_alu instid0(VALU_DEP_2) | instskip(NEXT) | instid1(VALU_DEP_2)
	v_add_co_u32 v4, vcc_lo, v22, v4
	v_add_co_ci_u32_e32 v5, vcc_lo, v23, v5, vcc_lo
	s_delay_alu instid0(VALU_DEP_2) | instskip(NEXT) | instid1(VALU_DEP_2)
	v_add_co_u32 v4, vcc_lo, v24, v4
	v_add_co_ci_u32_e32 v5, vcc_lo, v25, v5, vcc_lo
	s_waitcnt lgkmcnt(0)
	s_delay_alu instid0(VALU_DEP_2) | instskip(NEXT) | instid1(VALU_DEP_2)
	v_add_co_u32 v4, vcc_lo, v8, v4
	v_add_co_ci_u32_e32 v5, vcc_lo, v9, v5, vcc_lo
	s_delay_alu instid0(VALU_DEP_2) | instskip(NEXT) | instid1(VALU_DEP_2)
	v_add_co_u32 v4, vcc_lo, v10, v4
	v_add_co_ci_u32_e32 v5, vcc_lo, v11, v5, vcc_lo
	s_cbranch_scc0 .LBB118_99
; %bb.100:                              ;   in Loop: Header=BB118_33 Depth=1
	s_set_inst_prefetch_distance 0x2
	s_mov_b32 s6, s92
	s_and_not1_b32 vcc_lo, exec_lo, s94
	s_cbranch_vccz .LBB118_103
	s_branch .LBB118_105
.LBB118_101:                            ;   in Loop: Header=BB118_33 Depth=1
                                        ; implicit-def: $vgpr4_vgpr5
	s_branch .LBB118_69
.LBB118_102:                            ;   in Loop: Header=BB118_33 Depth=1
	s_mov_b32 s6, 0
	s_and_not1_b32 vcc_lo, exec_lo, s94
	s_cbranch_vccnz .LBB118_105
.LBB118_103:                            ;   in Loop: Header=BB118_33 Depth=1
	s_lshl_b32 s7, s103, 10
	s_lshl_b32 s6, s6, 5
	s_delay_alu instid0(SALU_CYCLE_1)
	v_add3_u32 v2, s7, s6, v32
	s_mov_b32 s6, s90
.LBB118_104:                            ;   Parent Loop BB118_33 Depth=1
                                        ; =>  This Inner Loop Header: Depth=2
	ds_load_b64 v[8:9], v2
	v_add_nc_u32_e32 v2, 32, v2
	s_add_i32 s6, s6, -1
	s_delay_alu instid0(SALU_CYCLE_1)
	s_cmp_lg_u32 s6, 0
	s_waitcnt lgkmcnt(0)
	v_add_co_u32 v4, vcc_lo, v8, v4
	v_add_co_ci_u32_e32 v5, vcc_lo, v9, v5, vcc_lo
	s_cbranch_scc1 .LBB118_104
.LBB118_105:                            ;   in Loop: Header=BB118_33 Depth=1
	v_add_lshl_u32 v2, s4, v26, 3
	ds_store_b64 v2, v[4:5] offset:3072
.LBB118_106:                            ;   in Loop: Header=BB118_33 Depth=1
	s_or_b32 exec_lo, exec_lo, s5
	s_lshl_b32 s4, s4, 3
	s_waitcnt lgkmcnt(0)
	v_mov_b32_e32 v2, s4
	s_barrier
	buffer_gl0_inv
	s_and_b32 s21, s100, 0xfe
	s_mov_b32 s22, -1
	ds_load_b128 v[8:11], v2 offset:3072
	ds_load_b128 v[12:15], v2 offset:3088
	s_lshl_b64 s[8:9], 3, s21
	s_delay_alu instid0(SALU_CYCLE_1)
	s_not_b64 s[12:13], s[8:9]
	s_waitcnt lgkmcnt(1)
	v_readfirstlane_b32 s17, v9
	v_readfirstlane_b32 s16, v8
	;; [unrolled: 1-line block ×4, first 2 shown]
	s_waitcnt lgkmcnt(0)
	v_readfirstlane_b32 s10, v12
	v_readfirstlane_b32 s11, v13
	s_cmp_eq_u64 s[16:17], 1
	v_readfirstlane_b32 s6, v14
	s_cselect_b32 s4, -1, 0
	s_cmp_eq_u64 s[64:65], 1
	v_readfirstlane_b32 s7, v15
	s_cselect_b32 s5, -1, 0
	s_delay_alu instid0(SALU_CYCLE_1) | instskip(NEXT) | instid1(SALU_CYCLE_1)
	s_and_b32 s23, s4, s5
	s_and_b32 vcc_lo, exec_lo, s23
	s_cbranch_vccz .LBB118_121
; %bb.107:                              ;   in Loop: Header=BB118_33 Depth=1
	ds_load_b64 v[4:5], v19 offset:5120
	s_waitcnt lgkmcnt(0)
	s_barrier
	buffer_gl0_inv
	v_readfirstlane_b32 s18, v4
	v_readfirstlane_b32 s19, v5
	s_and_saveexec_b32 s4, s0
	s_cbranch_execz .LBB118_109
; %bb.108:                              ;   in Loop: Header=BB118_33 Depth=1
	v_mov_b32_e32 v18, v19
	ds_store_b64 v28, v[18:19]
.LBB118_109:                            ;   in Loop: Header=BB118_33 Depth=1
	s_or_b32 exec_lo, exec_lo, s4
	s_and_b64 s[72:73], s[72:73], s[12:13]
	s_or_b64 s[74:75], s[74:75], s[8:9]
	s_cmp_eq_u64 s[18:19], 0
	s_waitcnt lgkmcnt(0)
	s_barrier
	buffer_gl0_inv
	s_cbranch_scc1 .LBB118_122
; %bb.110:                              ;   in Loop: Header=BB118_33 Depth=1
	s_add_u32 s20, s87, s18
	s_addc_u32 s5, s88, s19
	s_mov_b32 s4, s67
	s_delay_alu instid0(SALU_CYCLE_1)
	s_cmp_lg_u64 s[4:5], 0
	s_cbranch_scc0 .LBB118_167
; %bb.111:                              ;   in Loop: Header=BB118_33 Depth=1
	v_cvt_f32_u32_e32 v2, s35
	s_sub_u32 s59, 0, s35
	s_subb_u32 s66, 0, 0
	s_delay_alu instid0(VALU_DEP_1) | instskip(NEXT) | instid1(VALU_DEP_1)
	v_fmac_f32_e64 v2, 0, 0x4f800000
	v_rcp_f32_e32 v2, v2
	s_waitcnt_depctr 0xfff
	v_mul_f32_e32 v2, 0x5f7ffffc, v2
	s_delay_alu instid0(VALU_DEP_1) | instskip(NEXT) | instid1(VALU_DEP_1)
	v_mul_f32_e32 v4, 0x2f800000, v2
	v_trunc_f32_e32 v4, v4
	s_delay_alu instid0(VALU_DEP_1) | instskip(SKIP_1) | instid1(VALU_DEP_2)
	v_fmac_f32_e32 v2, 0xcf800000, v4
	v_cvt_u32_f32_e32 v4, v4
	v_cvt_u32_f32_e32 v2, v2
	s_delay_alu instid0(VALU_DEP_2) | instskip(NEXT) | instid1(VALU_DEP_2)
	v_readfirstlane_b32 s4, v4
	v_readfirstlane_b32 s58, v2
	s_delay_alu instid0(VALU_DEP_2) | instskip(NEXT) | instid1(VALU_DEP_1)
	s_mul_i32 s68, s59, s4
	s_mul_hi_u32 s77, s59, s58
	s_mul_i32 s76, s66, s58
	s_add_i32 s68, s77, s68
	s_mul_i32 s78, s59, s58
	s_add_i32 s68, s68, s76
	s_mul_hi_u32 s77, s58, s78
	s_mul_hi_u32 s79, s4, s78
	s_mul_i32 s76, s4, s78
	s_mul_hi_u32 s78, s58, s68
	s_mul_i32 s58, s58, s68
	s_mul_hi_u32 s80, s4, s68
	s_add_u32 s58, s77, s58
	s_addc_u32 s77, 0, s78
	s_add_u32 s58, s58, s76
	s_mul_i32 s68, s4, s68
	s_addc_u32 s58, s77, s79
	s_addc_u32 s76, s80, 0
	s_add_u32 s58, s58, s68
	s_addc_u32 s68, 0, s76
	v_add_co_u32 v2, s58, v2, s58
	s_delay_alu instid0(VALU_DEP_1) | instskip(SKIP_1) | instid1(VALU_DEP_1)
	s_cmp_lg_u32 s58, 0
	s_addc_u32 s4, s4, s68
	v_readfirstlane_b32 s58, v2
	s_mul_i32 s68, s59, s4
	s_delay_alu instid0(VALU_DEP_1)
	s_mul_hi_u32 s76, s59, s58
	s_mul_i32 s66, s66, s58
	s_add_i32 s68, s76, s68
	s_mul_i32 s59, s59, s58
	s_add_i32 s68, s68, s66
	s_mul_hi_u32 s76, s4, s59
	s_mul_i32 s77, s4, s59
	s_mul_hi_u32 s59, s58, s59
	s_mul_hi_u32 s78, s58, s68
	s_mul_i32 s58, s58, s68
	s_mul_hi_u32 s66, s4, s68
	s_add_u32 s58, s59, s58
	s_addc_u32 s59, 0, s78
	s_add_u32 s58, s58, s77
	s_mul_i32 s68, s4, s68
	s_addc_u32 s58, s59, s76
	s_addc_u32 s59, s66, 0
	s_add_u32 s58, s58, s68
	s_addc_u32 s59, 0, s59
	v_add_co_u32 v2, s58, v2, s58
	s_delay_alu instid0(VALU_DEP_1) | instskip(SKIP_1) | instid1(VALU_DEP_1)
	s_cmp_lg_u32 s58, 0
	s_addc_u32 s4, s4, s59
	v_readfirstlane_b32 s58, v2
	s_mul_i32 s66, s20, s4
	s_mul_hi_u32 s59, s20, s4
	s_mul_hi_u32 s68, s5, s4
	s_mul_i32 s4, s5, s4
	s_mul_hi_u32 s76, s20, s58
	s_mul_hi_u32 s77, s5, s58
	s_mul_i32 s58, s5, s58
	s_add_u32 s66, s76, s66
	s_addc_u32 s59, 0, s59
	s_add_u32 s58, s66, s58
	s_addc_u32 s58, s59, s77
	s_addc_u32 s59, s68, 0
	s_add_u32 s4, s58, s4
	s_addc_u32 s58, 0, s59
	s_mul_hi_u32 s59, s35, s4
	s_mul_i32 s4, s35, s4
	s_mul_i32 s58, s35, s58
	v_sub_co_u32 v2, s4, s20, s4
	s_add_i32 s59, s59, s58
	s_cmp_lg_u32 s4, 0
	s_delay_alu instid0(VALU_DEP_1) | instskip(SKIP_2) | instid1(VALU_DEP_1)
	v_sub_co_u32 v4, s4, v2, s35
	s_subb_u32 s58, s5, s59
	s_cmp_lg_u32 s4, 0
	v_cmp_le_u32_e32 vcc_lo, s35, v4
	v_sub_co_u32 v5, s4, v4, s35
	s_subb_u32 s59, s58, 0
	s_cmp_lg_u32 s4, 0
	v_cndmask_b32_e64 v6, 0, -1, vcc_lo
	s_subb_u32 s4, s59, 0
	s_cmp_eq_u32 s59, 0
	v_mov_b32_e32 v8, s4
	s_cselect_b32 vcc_lo, -1, 0
	s_cmp_eq_u32 s58, 0
	v_cndmask_b32_e32 v6, -1, v6, vcc_lo
	v_cmp_le_u32_e32 vcc_lo, s35, v2
	s_cselect_b32 s4, -1, 0
	v_cndmask_b32_e64 v7, 0, -1, vcc_lo
	s_delay_alu instid0(VALU_DEP_3) | instskip(NEXT) | instid1(VALU_DEP_2)
	v_cmp_ne_u32_e32 vcc_lo, 0, v6
	v_cndmask_b32_e64 v6, -1, v7, s4
	v_cndmask_b32_e32 v7, s59, v8, vcc_lo
	v_cndmask_b32_e32 v4, v4, v5, vcc_lo
	s_delay_alu instid0(VALU_DEP_3) | instskip(NEXT) | instid1(VALU_DEP_3)
	v_cmp_ne_u32_e32 vcc_lo, 0, v6
	v_cndmask_b32_e32 v5, s58, v7, vcc_lo
	s_delay_alu instid0(VALU_DEP_3)
	v_cndmask_b32_e32 v4, v2, v4, vcc_lo
	s_cbranch_execnz .LBB118_113
.LBB118_112:                            ;   in Loop: Header=BB118_33 Depth=1
	v_cvt_f32_u32_e32 v2, s35
	s_sub_i32 s4, 0, s35
	s_delay_alu instid0(VALU_DEP_1) | instskip(SKIP_2) | instid1(VALU_DEP_1)
	v_rcp_iflag_f32_e32 v2, v2
	s_waitcnt_depctr 0xfff
	v_mul_f32_e32 v2, 0x4f7ffffe, v2
	v_cvt_u32_f32_e32 v2, v2
	s_delay_alu instid0(VALU_DEP_1) | instskip(NEXT) | instid1(VALU_DEP_1)
	v_mul_lo_u32 v4, s4, v2
	v_mul_hi_u32 v4, v2, v4
	s_delay_alu instid0(VALU_DEP_1) | instskip(NEXT) | instid1(VALU_DEP_1)
	v_add_nc_u32_e32 v2, v2, v4
	v_mul_hi_u32 v2, s20, v2
	s_delay_alu instid0(VALU_DEP_1) | instskip(NEXT) | instid1(VALU_DEP_1)
	v_mul_lo_u32 v2, v2, s35
	v_sub_nc_u32_e32 v2, s20, v2
	s_delay_alu instid0(VALU_DEP_1) | instskip(SKIP_1) | instid1(VALU_DEP_2)
	v_subrev_nc_u32_e32 v4, s35, v2
	v_cmp_le_u32_e32 vcc_lo, s35, v2
	v_cndmask_b32_e32 v2, v2, v4, vcc_lo
	s_delay_alu instid0(VALU_DEP_1) | instskip(SKIP_1) | instid1(VALU_DEP_2)
	v_subrev_nc_u32_e32 v4, s35, v2
	v_cmp_le_u32_e32 vcc_lo, s35, v2
	v_cndmask_b32_e32 v18, v2, v4, vcc_lo
	s_delay_alu instid0(VALU_DEP_1)
	v_dual_mov_b32 v4, v18 :: v_dual_mov_b32 v5, v19
.LBB118_113:                            ;   in Loop: Header=BB118_33 Depth=1
	s_delay_alu instid0(VALU_DEP_1) | instskip(NEXT) | instid1(VALU_DEP_2)
	v_sub_co_u32 v8, vcc_lo, s20, v4
	v_sub_co_ci_u32_e32 v9, vcc_lo, s5, v5, vcc_lo
	s_mov_b32 s4, 0
	s_mov_b32 s5, exec_lo
                                        ; implicit-def: $vgpr6_vgpr7
	s_delay_alu instid0(VALU_DEP_1)
	v_cmpx_gt_u64_e64 v[8:9], v[0:1]
	s_cbranch_execz .LBB118_124
; %bb.114:                              ;   in Loop: Header=BB118_33 Depth=1
	v_dual_mov_b32 v12, v27 :: v_dual_mov_b32 v11, v1
	v_mov_b32_e32 v10, v0
	s_mov_b32 s58, 0
                                        ; implicit-def: $sgpr20
	s_set_inst_prefetch_distance 0x1
	s_branch .LBB118_116
	.p2align	6
.LBB118_115:                            ;   in Loop: Header=BB118_116 Depth=2
	s_or_b32 exec_lo, exec_lo, s4
	s_waitcnt lgkmcnt(0)
	s_barrier
	buffer_gl0_inv
	ds_load_b128 v[4:7], v19 offset:3072
	v_add_co_u32 v10, s4, v10, s35
	s_delay_alu instid0(VALU_DEP_1) | instskip(SKIP_3) | instid1(VALU_DEP_2)
	v_add_co_ci_u32_e64 v11, s4, 0, v11, s4
	v_add_nc_u32_e32 v12, s95, v12
	s_waitcnt lgkmcnt(0)
	s_barrier
	v_cmp_ge_u64_e64 s4, v[10:11], v[8:9]
	buffer_gl0_inv
	v_cmp_neq_f64_e32 vcc_lo, 0, v[4:5]
	s_or_b32 s4, s4, vcc_lo
	s_delay_alu instid0(SALU_CYCLE_1) | instskip(NEXT) | instid1(SALU_CYCLE_1)
	s_and_b32 s4, exec_lo, s4
	s_or_b32 s58, s4, s58
	s_and_not1_b32 s4, s20, exec_lo
	s_and_b32 s20, vcc_lo, exec_lo
	s_delay_alu instid0(SALU_CYCLE_1)
	s_or_b32 s20, s4, s20
	s_and_not1_b32 exec_lo, exec_lo, s58
	s_cbranch_execz .LBB118_123
.LBB118_116:                            ;   Parent Loop BB118_33 Depth=1
                                        ; =>  This Inner Loop Header: Depth=2
	s_delay_alu instid0(VALU_DEP_1)
	v_cmp_gt_u64_e32 vcc_lo, s[18:19], v[10:11]
	v_mov_b32_e32 v4, 0
	v_mov_b32_e32 v5, 0
	s_and_saveexec_b32 s4, vcc_lo
	s_cbranch_execz .LBB118_118
; %bb.117:                              ;   in Loop: Header=BB118_116 Depth=2
	ds_load_b64 v[4:5], v12
.LBB118_118:                            ;   in Loop: Header=BB118_116 Depth=2
	s_or_b32 exec_lo, exec_lo, s4
	s_and_saveexec_b32 s4, vcc_lo
	s_cbranch_execz .LBB118_115
; %bb.119:                              ;   in Loop: Header=BB118_116 Depth=2
	s_waitcnt lgkmcnt(0)
	v_cmp_o_f64_e32 vcc_lo, v[4:5], v[4:5]
	v_ashrrev_i32_e32 v2, 31, v5
	s_delay_alu instid0(VALU_DEP_1) | instskip(SKIP_1) | instid1(VALU_DEP_2)
	v_or_b32_e32 v6, 0x80000000, v2
	v_xor_b32_e32 v2, v2, v4
	v_xor_b32_e32 v6, v6, v5
	s_delay_alu instid0(VALU_DEP_1) | instskip(NEXT) | instid1(VALU_DEP_3)
	v_cndmask_b32_e32 v6, -1, v6, vcc_lo
	v_cndmask_b32_e32 v2, -1, v2, vcc_lo
	s_delay_alu instid0(VALU_DEP_2) | instskip(NEXT) | instid1(VALU_DEP_2)
	v_and_b32_e32 v7, s75, v6
	v_and_b32_e32 v6, s74, v2
	s_delay_alu instid0(VALU_DEP_1)
	v_cmp_eq_u64_e32 vcc_lo, s[72:73], v[6:7]
	s_and_b32 exec_lo, exec_lo, vcc_lo
	s_cbranch_execz .LBB118_115
; %bb.120:                              ;   in Loop: Header=BB118_116 Depth=2
	v_mov_b32_e32 v2, v19
	ds_store_b128 v19, v[2:5] offset:3072
	s_branch .LBB118_115
.LBB118_121:                            ;   in Loop: Header=BB118_33 Depth=1
	s_mov_b32 s4, -1
                                        ; implicit-def: $sgpr5
                                        ; implicit-def: $sgpr19
                                        ; implicit-def: $sgpr18
	s_branch .LBB118_138
.LBB118_122:                            ;   in Loop: Header=BB118_33 Depth=1
	s_mov_b32 s5, -1
	s_mov_b32 s4, 0
                                        ; implicit-def: $sgpr18
                                        ; implicit-def: $vgpr6_vgpr7
	s_mov_b32 s19, s5
	s_cbranch_execnz .LBB118_125
	s_branch .LBB118_138
.LBB118_123:                            ;   in Loop: Header=BB118_33 Depth=1
	s_set_inst_prefetch_distance 0x2
	s_or_b32 exec_lo, exec_lo, s58
	s_delay_alu instid0(SALU_CYCLE_1)
	s_and_b32 s4, s20, exec_lo
.LBB118_124:                            ;   in Loop: Header=BB118_33 Depth=1
	s_or_b32 exec_lo, exec_lo, s5
	s_mov_b32 s18, -1
	s_mov_b32 s5, 0
	s_delay_alu instid0(SALU_CYCLE_1)
	s_mov_b32 s19, s5
	s_branch .LBB118_138
.LBB118_125:                            ;   in Loop: Header=BB118_33 Depth=1
	s_mov_b32 s68, s67
	s_delay_alu instid0(SALU_CYCLE_1)
	s_cmp_lg_u64 s[68:69], 0
	s_cbranch_scc0 .LBB118_168
; %bb.126:                              ;   in Loop: Header=BB118_33 Depth=1
	v_cvt_f32_u32_e32 v2, s35
	s_sub_u32 s18, 0, s35
	s_subb_u32 s19, 0, 0
	s_delay_alu instid0(VALU_DEP_1) | instskip(NEXT) | instid1(VALU_DEP_1)
	v_fmac_f32_e64 v2, 0, 0x4f800000
	v_rcp_f32_e32 v2, v2
	s_waitcnt_depctr 0xfff
	v_mul_f32_e32 v2, 0x5f7ffffc, v2
	s_delay_alu instid0(VALU_DEP_1) | instskip(NEXT) | instid1(VALU_DEP_1)
	v_mul_f32_e32 v4, 0x2f800000, v2
	v_trunc_f32_e32 v4, v4
	s_delay_alu instid0(VALU_DEP_1) | instskip(SKIP_1) | instid1(VALU_DEP_2)
	v_fmac_f32_e32 v2, 0xcf800000, v4
	v_cvt_u32_f32_e32 v4, v4
	v_cvt_u32_f32_e32 v2, v2
	s_delay_alu instid0(VALU_DEP_2) | instskip(NEXT) | instid1(VALU_DEP_2)
	v_readfirstlane_b32 s4, v4
	v_readfirstlane_b32 s5, v2
	s_delay_alu instid0(VALU_DEP_2) | instskip(NEXT) | instid1(VALU_DEP_1)
	s_mul_i32 s20, s18, s4
	s_mul_hi_u32 s59, s18, s5
	s_mul_i32 s58, s19, s5
	s_add_i32 s20, s59, s20
	s_mul_i32 s66, s18, s5
	s_add_i32 s20, s20, s58
	s_mul_hi_u32 s59, s5, s66
	s_mul_hi_u32 s68, s4, s66
	s_mul_i32 s58, s4, s66
	s_mul_hi_u32 s66, s5, s20
	s_mul_i32 s5, s5, s20
	s_mul_hi_u32 s76, s4, s20
	s_add_u32 s5, s59, s5
	s_addc_u32 s59, 0, s66
	s_add_u32 s5, s5, s58
	s_mul_i32 s20, s4, s20
	s_addc_u32 s5, s59, s68
	s_addc_u32 s58, s76, 0
	s_add_u32 s5, s5, s20
	s_addc_u32 s20, 0, s58
	v_add_co_u32 v2, s5, v2, s5
	s_delay_alu instid0(VALU_DEP_1) | instskip(SKIP_1) | instid1(VALU_DEP_1)
	s_cmp_lg_u32 s5, 0
	s_addc_u32 s4, s4, s20
	v_readfirstlane_b32 s5, v2
	s_mul_i32 s20, s18, s4
	s_delay_alu instid0(VALU_DEP_1)
	s_mul_hi_u32 s58, s18, s5
	s_mul_i32 s19, s19, s5
	s_add_i32 s20, s58, s20
	s_mul_i32 s18, s18, s5
	s_add_i32 s20, s20, s19
	s_mul_hi_u32 s58, s4, s18
	s_mul_i32 s59, s4, s18
	s_mul_hi_u32 s18, s5, s18
	s_mul_hi_u32 s66, s5, s20
	s_mul_i32 s5, s5, s20
	s_mul_hi_u32 s19, s4, s20
	s_add_u32 s5, s18, s5
	s_addc_u32 s18, 0, s66
	s_add_u32 s5, s5, s59
	s_mul_i32 s20, s4, s20
	s_addc_u32 s5, s18, s58
	s_addc_u32 s18, s19, 0
	s_add_u32 s5, s5, s20
	s_addc_u32 s18, 0, s18
	v_add_co_u32 v2, s5, v2, s5
	s_delay_alu instid0(VALU_DEP_1) | instskip(SKIP_1) | instid1(VALU_DEP_1)
	s_cmp_lg_u32 s5, 0
	s_addc_u32 s4, s4, s18
	v_readfirstlane_b32 s5, v2
	s_mul_i32 s19, s89, s4
	s_mul_hi_u32 s18, s89, s4
	s_mul_hi_u32 s20, s69, s4
	s_mul_i32 s4, s69, s4
	s_mul_hi_u32 s58, s89, s5
	s_mul_hi_u32 s59, s69, s5
	s_mul_i32 s5, s69, s5
	s_add_u32 s19, s58, s19
	s_addc_u32 s18, 0, s18
	s_add_u32 s5, s19, s5
	s_addc_u32 s5, s18, s59
	s_addc_u32 s18, s20, 0
	s_add_u32 s4, s5, s4
	s_addc_u32 s5, 0, s18
	s_mul_hi_u32 s18, s35, s4
	s_mul_i32 s4, s35, s4
	s_mul_i32 s5, s35, s5
	v_sub_co_u32 v2, s4, s89, s4
	s_add_i32 s18, s18, s5
	s_cmp_lg_u32 s4, 0
	s_delay_alu instid0(VALU_DEP_1) | instskip(SKIP_2) | instid1(VALU_DEP_1)
	v_sub_co_u32 v4, s4, v2, s35
	s_subb_u32 s5, s69, s18
	s_cmp_lg_u32 s4, 0
	v_cmp_le_u32_e32 vcc_lo, s35, v4
	v_sub_co_u32 v5, s4, v4, s35
	s_subb_u32 s18, s5, 0
	s_cmp_lg_u32 s4, 0
	v_cndmask_b32_e64 v6, 0, -1, vcc_lo
	s_subb_u32 s4, s18, 0
	s_cmp_eq_u32 s18, 0
	v_mov_b32_e32 v8, s4
	s_cselect_b32 vcc_lo, -1, 0
	s_cmp_eq_u32 s5, 0
	v_cndmask_b32_e32 v6, -1, v6, vcc_lo
	v_cmp_le_u32_e32 vcc_lo, s35, v2
	s_cselect_b32 s4, -1, 0
	v_cndmask_b32_e64 v7, 0, -1, vcc_lo
	s_delay_alu instid0(VALU_DEP_3) | instskip(NEXT) | instid1(VALU_DEP_2)
	v_cmp_ne_u32_e32 vcc_lo, 0, v6
	v_cndmask_b32_e64 v6, -1, v7, s4
	v_cndmask_b32_e32 v7, s18, v8, vcc_lo
	v_cndmask_b32_e32 v4, v4, v5, vcc_lo
	s_delay_alu instid0(VALU_DEP_3) | instskip(NEXT) | instid1(VALU_DEP_3)
	v_cmp_ne_u32_e32 vcc_lo, 0, v6
	v_cndmask_b32_e32 v5, s5, v7, vcc_lo
	s_delay_alu instid0(VALU_DEP_3)
	v_cndmask_b32_e32 v4, v2, v4, vcc_lo
	s_cbranch_execnz .LBB118_128
.LBB118_127:                            ;   in Loop: Header=BB118_33 Depth=1
	v_cvt_f32_u32_e32 v2, s35
	s_sub_i32 s4, 0, s35
	s_delay_alu instid0(VALU_DEP_1) | instskip(SKIP_2) | instid1(VALU_DEP_1)
	v_rcp_iflag_f32_e32 v2, v2
	s_waitcnt_depctr 0xfff
	v_mul_f32_e32 v2, 0x4f7ffffe, v2
	v_cvt_u32_f32_e32 v2, v2
	s_delay_alu instid0(VALU_DEP_1) | instskip(NEXT) | instid1(VALU_DEP_1)
	v_mul_lo_u32 v4, s4, v2
	v_mul_hi_u32 v4, v2, v4
	s_delay_alu instid0(VALU_DEP_1) | instskip(NEXT) | instid1(VALU_DEP_1)
	v_add_nc_u32_e32 v2, v2, v4
	v_mul_hi_u32 v2, s89, v2
	s_delay_alu instid0(VALU_DEP_1) | instskip(NEXT) | instid1(VALU_DEP_1)
	v_mul_lo_u32 v2, v2, s35
	v_sub_nc_u32_e32 v2, s89, v2
	s_delay_alu instid0(VALU_DEP_1) | instskip(SKIP_1) | instid1(VALU_DEP_2)
	v_subrev_nc_u32_e32 v4, s35, v2
	v_cmp_le_u32_e32 vcc_lo, s35, v2
	v_cndmask_b32_e32 v2, v2, v4, vcc_lo
	s_delay_alu instid0(VALU_DEP_1) | instskip(SKIP_1) | instid1(VALU_DEP_2)
	v_subrev_nc_u32_e32 v4, s35, v2
	v_cmp_le_u32_e32 vcc_lo, s35, v2
	v_cndmask_b32_e32 v18, v2, v4, vcc_lo
	s_delay_alu instid0(VALU_DEP_1)
	v_dual_mov_b32 v4, v18 :: v_dual_mov_b32 v5, v19
.LBB118_128:                            ;   in Loop: Header=BB118_33 Depth=1
	s_delay_alu instid0(VALU_DEP_1) | instskip(NEXT) | instid1(VALU_DEP_2)
	v_sub_co_u32 v8, vcc_lo, s89, v4
	v_sub_co_ci_u32_e32 v9, vcc_lo, s69, v5, vcc_lo
	s_mov_b32 s4, 0
	s_mov_b32 s5, exec_lo
                                        ; implicit-def: $vgpr6_vgpr7
	s_delay_alu instid0(VALU_DEP_1)
	v_cmpx_gt_u64_e64 v[8:9], v[0:1]
	s_cbranch_execz .LBB118_137
; %bb.129:                              ;   in Loop: Header=BB118_33 Depth=1
	v_dual_mov_b32 v11, v1 :: v_dual_mov_b32 v10, v0
	s_mov_b32 s19, 0
                                        ; implicit-def: $sgpr18
	s_branch .LBB118_131
.LBB118_130:                            ;   in Loop: Header=BB118_131 Depth=2
	s_or_b32 exec_lo, exec_lo, s4
	s_waitcnt vmcnt(0) lgkmcnt(0)
	s_barrier
	buffer_gl0_inv
	ds_load_b128 v[4:7], v19 offset:3072
	v_add_co_u32 v10, s4, v10, s35
	s_delay_alu instid0(VALU_DEP_1)
	v_add_co_ci_u32_e64 v11, s4, 0, v11, s4
	s_waitcnt lgkmcnt(0)
	s_barrier
	buffer_gl0_inv
	v_cmp_ge_u64_e64 s4, v[10:11], v[8:9]
	v_cmp_neq_f64_e32 vcc_lo, 0, v[4:5]
	s_delay_alu instid0(VALU_DEP_2) | instskip(NEXT) | instid1(SALU_CYCLE_1)
	s_or_b32 s4, s4, vcc_lo
	s_and_b32 s4, exec_lo, s4
	s_delay_alu instid0(SALU_CYCLE_1) | instskip(SKIP_2) | instid1(SALU_CYCLE_1)
	s_or_b32 s19, s4, s19
	s_and_not1_b32 s4, s18, exec_lo
	s_and_b32 s18, vcc_lo, exec_lo
	s_or_b32 s18, s4, s18
	s_and_not1_b32 exec_lo, exec_lo, s19
	s_cbranch_execz .LBB118_136
.LBB118_131:                            ;   Parent Loop BB118_33 Depth=1
                                        ; =>  This Inner Loop Header: Depth=2
	s_delay_alu instid0(VALU_DEP_1)
	v_cmp_gt_u64_e32 vcc_lo, s[24:25], v[10:11]
	v_mov_b32_e32 v4, 0
	v_mov_b32_e32 v5, 0
	s_and_saveexec_b32 s20, vcc_lo
	s_cbranch_execz .LBB118_133
; %bb.132:                              ;   in Loop: Header=BB118_131 Depth=2
	v_mul_lo_u32 v2, v11, s50
	v_mul_lo_u32 v6, v10, s51
	v_mad_u64_u32 v[4:5], null, v10, s50, 0
	s_delay_alu instid0(VALU_DEP_1) | instskip(NEXT) | instid1(VALU_DEP_1)
	v_add3_u32 v5, v5, v6, v2
	v_lshlrev_b64 v[4:5], 3, v[4:5]
	s_delay_alu instid0(VALU_DEP_1) | instskip(NEXT) | instid1(VALU_DEP_1)
	v_add_co_u32 v4, s4, s27, v4
	v_add_co_ci_u32_e64 v5, s4, s33, v5, s4
	global_load_b64 v[4:5], v[4:5], off
.LBB118_133:                            ;   in Loop: Header=BB118_131 Depth=2
	s_or_b32 exec_lo, exec_lo, s20
	s_and_saveexec_b32 s4, vcc_lo
	s_cbranch_execz .LBB118_130
; %bb.134:                              ;   in Loop: Header=BB118_131 Depth=2
	s_waitcnt vmcnt(0)
	v_cmp_o_f64_e32 vcc_lo, v[4:5], v[4:5]
	v_ashrrev_i32_e32 v2, 31, v5
	s_delay_alu instid0(VALU_DEP_1) | instskip(SKIP_1) | instid1(VALU_DEP_2)
	v_or_b32_e32 v6, 0x80000000, v2
	v_xor_b32_e32 v2, v2, v4
	v_xor_b32_e32 v6, v6, v5
	s_delay_alu instid0(VALU_DEP_1) | instskip(NEXT) | instid1(VALU_DEP_3)
	v_cndmask_b32_e32 v6, -1, v6, vcc_lo
	v_cndmask_b32_e32 v2, -1, v2, vcc_lo
	s_delay_alu instid0(VALU_DEP_2) | instskip(NEXT) | instid1(VALU_DEP_2)
	v_and_b32_e32 v7, s75, v6
	v_and_b32_e32 v6, s74, v2
	s_delay_alu instid0(VALU_DEP_1)
	v_cmp_eq_u64_e32 vcc_lo, s[72:73], v[6:7]
	s_and_b32 exec_lo, exec_lo, vcc_lo
	s_cbranch_execz .LBB118_130
; %bb.135:                              ;   in Loop: Header=BB118_131 Depth=2
	v_mov_b32_e32 v2, v19
	ds_store_b128 v19, v[2:5] offset:3072
	s_branch .LBB118_130
.LBB118_136:                            ;   in Loop: Header=BB118_33 Depth=1
	s_or_b32 exec_lo, exec_lo, s19
	s_delay_alu instid0(SALU_CYCLE_1)
	s_and_b32 s4, s18, exec_lo
.LBB118_137:                            ;   in Loop: Header=BB118_33 Depth=1
	s_or_b32 exec_lo, exec_lo, s5
	s_mov_b32 s19, -1
	s_mov_b32 s5, 0
	s_mov_b32 s18, 0
.LBB118_138:                            ;   in Loop: Header=BB118_33 Depth=1
	s_and_not1_b32 s20, s101, exec_lo
	s_and_b32 s5, s5, exec_lo
	s_and_b32 s19, s19, exec_lo
	s_or_b32 s101, s20, s5
	s_and_not1_b32 s5, s104, exec_lo
	s_and_not1_b32 s20, s102, exec_lo
	s_and_b32 s18, s18, exec_lo
	s_or_b32 s104, s5, s19
	s_or_b32 s102, s20, s18
	s_and_saveexec_b32 s20, s4
	s_cbranch_execz .LBB118_32
; %bb.139:                              ;   in Loop: Header=BB118_33 Depth=1
	s_xor_b32 s4, s23, -1
	s_mov_b32 s68, 1
	s_and_not1_b32 vcc_lo, exec_lo, s4
	s_cbranch_vccnz .LBB118_150
; %bb.140:                              ;   in Loop: Header=BB118_33 Depth=1
	v_cmp_gt_u64_e64 s4, s[64:65], s[16:17]
	s_mov_b32 s22, -1
                                        ; implicit-def: $sgpr68
                                        ; implicit-def: $sgpr18_sgpr19
	s_delay_alu instid0(VALU_DEP_1)
	s_and_b32 vcc_lo, exec_lo, s4
                                        ; implicit-def: $sgpr4_sgpr5
	s_cbranch_vccnz .LBB118_146
; %bb.141:                              ;   in Loop: Header=BB118_33 Depth=1
	ds_load_b64 v[4:5], v19 offset:5120
	s_waitcnt lgkmcnt(0)
	v_cmp_ne_u64_e32 vcc_lo, 0, v[4:5]
	s_cbranch_vccnz .LBB118_145
; %bb.142:                              ;   in Loop: Header=BB118_33 Depth=1
	s_and_saveexec_b32 s4, s3
	s_cbranch_execz .LBB118_144
; %bb.143:                              ;   in Loop: Header=BB118_33 Depth=1
	v_dual_mov_b32 v4, s16 :: v_dual_mov_b32 v5, s17
	ds_store_b64 v19, v[4:5] offset:5128
.LBB118_144:                            ;   in Loop: Header=BB118_33 Depth=1
	s_or_b32 exec_lo, exec_lo, s4
	s_waitcnt lgkmcnt(0)
	s_barrier
	buffer_gl0_inv
.LBB118_145:                            ;   in Loop: Header=BB118_33 Depth=1
	s_and_b64 s[4:5], s[72:73], s[12:13]
	s_or_b64 s[18:19], s[74:75], s[8:9]
	s_mov_b32 s22, 0
	s_mov_b32 s68, 8
.LBB118_146:                            ;   in Loop: Header=BB118_33 Depth=1
	s_and_not1_b32 vcc_lo, exec_lo, s22
	s_cbranch_vccnz .LBB118_148
; %bb.147:                              ;   in Loop: Header=BB118_33 Depth=1
	s_sub_u32 s64, s64, s16
	s_subb_u32 s65, s65, s17
	s_mov_b32 s22, -1
	s_mov_b32 s68, 0
	s_mov_b64 s[4:5], s[72:73]
	s_mov_b64 s[18:19], s[74:75]
.LBB118_148:                            ;   in Loop: Header=BB118_33 Depth=1
	s_delay_alu instid0(SALU_CYCLE_1)
	s_mov_b64 s[74:75], s[18:19]
	s_mov_b64 s[72:73], s[4:5]
	s_and_b32 vcc_lo, exec_lo, s22
	s_mov_b32 s18, -1
	s_cbranch_vccnz .LBB118_151
.LBB118_149:                            ;   in Loop: Header=BB118_33 Depth=1
	s_mov_b32 s5, -1
                                        ; implicit-def: $sgpr19
                                        ; implicit-def: $sgpr23
                                        ; implicit-def: $sgpr22
	s_delay_alu instid0(SALU_CYCLE_1) | instskip(NEXT) | instid1(SALU_CYCLE_1)
	s_and_saveexec_b32 s4, s5
	s_xor_b32 s4, exec_lo, s4
	s_cbranch_execz .LBB118_31
	s_branch .LBB118_297
.LBB118_150:                            ;   in Loop: Header=BB118_33 Depth=1
	s_mov_b64 s[64:65], 1
	s_mov_b32 s18, -1
	s_branch .LBB118_149
.LBB118_151:                            ;   in Loop: Header=BB118_33 Depth=1
	s_cmp_eq_u64 s[14:15], 1
	s_cselect_b32 s4, -1, 0
	s_cmp_eq_u64 s[64:65], 1
	s_cselect_b32 s5, -1, 0
	s_delay_alu instid0(SALU_CYCLE_1)
	s_and_b32 s76, s4, s5
	s_mov_b32 s4, -1
	s_and_b32 vcc_lo, exec_lo, s76
	s_cbranch_vccz .LBB118_166
; %bb.152:                              ;   in Loop: Header=BB118_33 Depth=1
	ds_load_b64 v[4:5], v19 offset:5120
	s_waitcnt lgkmcnt(0)
	s_barrier
	buffer_gl0_inv
	v_readfirstlane_b32 s16, v4
	v_readfirstlane_b32 s17, v5
	s_and_saveexec_b32 s4, s0
	s_cbranch_execz .LBB118_154
; %bb.153:                              ;   in Loop: Header=BB118_33 Depth=1
	v_mov_b32_e32 v18, v19
	ds_store_b64 v28, v[18:19]
.LBB118_154:                            ;   in Loop: Header=BB118_33 Depth=1
	s_or_b32 exec_lo, exec_lo, s4
	s_lshl_b64 s[4:5], 1, s21
	s_and_b64 s[22:23], s[72:73], s[12:13]
	s_or_b64 s[74:75], s[74:75], s[8:9]
	s_or_b64 s[72:73], s[22:23], s[4:5]
	s_cmp_eq_u64 s[16:17], 0
	s_waitcnt lgkmcnt(0)
	s_barrier
	buffer_gl0_inv
	s_cbranch_scc1 .LBB118_169
; %bb.155:                              ;   in Loop: Header=BB118_33 Depth=1
	s_add_u32 s19, s87, s16
	s_addc_u32 s5, s88, s17
	s_mov_b32 s4, s67
	s_delay_alu instid0(SALU_CYCLE_1)
	s_cmp_lg_u64 s[4:5], 0
	s_cbranch_scc0 .LBB118_214
; %bb.156:                              ;   in Loop: Header=BB118_33 Depth=1
	v_cvt_f32_u32_e32 v2, s35
	s_sub_u32 s23, 0, s35
	s_subb_u32 s58, 0, 0
	s_delay_alu instid0(VALU_DEP_1) | instskip(NEXT) | instid1(VALU_DEP_1)
	v_fmac_f32_e64 v2, 0, 0x4f800000
	v_rcp_f32_e32 v2, v2
	s_waitcnt_depctr 0xfff
	v_mul_f32_e32 v2, 0x5f7ffffc, v2
	s_delay_alu instid0(VALU_DEP_1) | instskip(NEXT) | instid1(VALU_DEP_1)
	v_mul_f32_e32 v4, 0x2f800000, v2
	v_trunc_f32_e32 v4, v4
	s_delay_alu instid0(VALU_DEP_1) | instskip(SKIP_1) | instid1(VALU_DEP_2)
	v_fmac_f32_e32 v2, 0xcf800000, v4
	v_cvt_u32_f32_e32 v4, v4
	v_cvt_u32_f32_e32 v2, v2
	s_delay_alu instid0(VALU_DEP_2) | instskip(NEXT) | instid1(VALU_DEP_2)
	v_readfirstlane_b32 s4, v4
	v_readfirstlane_b32 s22, v2
	s_delay_alu instid0(VALU_DEP_2) | instskip(NEXT) | instid1(VALU_DEP_1)
	s_mul_i32 s59, s23, s4
	s_mul_hi_u32 s68, s23, s22
	s_mul_i32 s66, s58, s22
	s_add_i32 s59, s68, s59
	s_mul_i32 s77, s23, s22
	s_add_i32 s59, s59, s66
	s_mul_hi_u32 s68, s22, s77
	s_mul_hi_u32 s78, s4, s77
	s_mul_i32 s66, s4, s77
	s_mul_hi_u32 s77, s22, s59
	s_mul_i32 s22, s22, s59
	s_mul_hi_u32 s79, s4, s59
	s_add_u32 s22, s68, s22
	s_addc_u32 s68, 0, s77
	s_add_u32 s22, s22, s66
	s_mul_i32 s59, s4, s59
	s_addc_u32 s22, s68, s78
	s_addc_u32 s66, s79, 0
	s_add_u32 s22, s22, s59
	s_addc_u32 s59, 0, s66
	v_add_co_u32 v2, s22, v2, s22
	s_delay_alu instid0(VALU_DEP_1) | instskip(SKIP_1) | instid1(VALU_DEP_1)
	s_cmp_lg_u32 s22, 0
	s_addc_u32 s4, s4, s59
	v_readfirstlane_b32 s22, v2
	s_mul_i32 s59, s23, s4
	s_delay_alu instid0(VALU_DEP_1)
	s_mul_hi_u32 s66, s23, s22
	s_mul_i32 s58, s58, s22
	s_add_i32 s59, s66, s59
	s_mul_i32 s23, s23, s22
	s_add_i32 s59, s59, s58
	s_mul_hi_u32 s66, s4, s23
	s_mul_i32 s68, s4, s23
	s_mul_hi_u32 s23, s22, s23
	s_mul_hi_u32 s77, s22, s59
	s_mul_i32 s22, s22, s59
	s_mul_hi_u32 s58, s4, s59
	s_add_u32 s22, s23, s22
	s_addc_u32 s23, 0, s77
	s_add_u32 s22, s22, s68
	s_mul_i32 s59, s4, s59
	s_addc_u32 s22, s23, s66
	s_addc_u32 s23, s58, 0
	s_add_u32 s22, s22, s59
	s_addc_u32 s23, 0, s23
	v_add_co_u32 v2, s22, v2, s22
	s_delay_alu instid0(VALU_DEP_1) | instskip(SKIP_1) | instid1(VALU_DEP_1)
	s_cmp_lg_u32 s22, 0
	s_addc_u32 s4, s4, s23
	v_readfirstlane_b32 s22, v2
	s_mul_i32 s58, s19, s4
	s_mul_hi_u32 s23, s19, s4
	s_mul_hi_u32 s59, s5, s4
	s_mul_i32 s4, s5, s4
	s_mul_hi_u32 s66, s19, s22
	s_mul_hi_u32 s68, s5, s22
	s_mul_i32 s22, s5, s22
	s_add_u32 s58, s66, s58
	s_addc_u32 s23, 0, s23
	s_add_u32 s22, s58, s22
	s_addc_u32 s22, s23, s68
	s_addc_u32 s23, s59, 0
	s_add_u32 s4, s22, s4
	s_addc_u32 s22, 0, s23
	s_mul_hi_u32 s23, s35, s4
	s_mul_i32 s4, s35, s4
	s_mul_i32 s22, s35, s22
	v_sub_co_u32 v2, s4, s19, s4
	s_add_i32 s23, s23, s22
	s_cmp_lg_u32 s4, 0
	s_delay_alu instid0(VALU_DEP_1) | instskip(SKIP_2) | instid1(VALU_DEP_1)
	v_sub_co_u32 v4, s4, v2, s35
	s_subb_u32 s22, s5, s23
	s_cmp_lg_u32 s4, 0
	v_cmp_le_u32_e32 vcc_lo, s35, v4
	v_sub_co_u32 v5, s4, v4, s35
	s_subb_u32 s23, s22, 0
	s_cmp_lg_u32 s4, 0
	v_cndmask_b32_e64 v6, 0, -1, vcc_lo
	s_subb_u32 s4, s23, 0
	s_cmp_eq_u32 s23, 0
	v_mov_b32_e32 v8, s4
	s_cselect_b32 vcc_lo, -1, 0
	s_cmp_eq_u32 s22, 0
	v_cndmask_b32_e32 v6, -1, v6, vcc_lo
	v_cmp_le_u32_e32 vcc_lo, s35, v2
	s_cselect_b32 s4, -1, 0
	v_cndmask_b32_e64 v7, 0, -1, vcc_lo
	s_delay_alu instid0(VALU_DEP_3) | instskip(NEXT) | instid1(VALU_DEP_2)
	v_cmp_ne_u32_e32 vcc_lo, 0, v6
	v_cndmask_b32_e64 v6, -1, v7, s4
	v_cndmask_b32_e32 v7, s23, v8, vcc_lo
	v_cndmask_b32_e32 v4, v4, v5, vcc_lo
	s_delay_alu instid0(VALU_DEP_3) | instskip(NEXT) | instid1(VALU_DEP_3)
	v_cmp_ne_u32_e32 vcc_lo, 0, v6
	v_cndmask_b32_e32 v5, s22, v7, vcc_lo
	s_delay_alu instid0(VALU_DEP_3)
	v_cndmask_b32_e32 v4, v2, v4, vcc_lo
	s_cbranch_execnz .LBB118_158
.LBB118_157:                            ;   in Loop: Header=BB118_33 Depth=1
	v_cvt_f32_u32_e32 v2, s35
	s_sub_i32 s4, 0, s35
	s_delay_alu instid0(VALU_DEP_1) | instskip(SKIP_2) | instid1(VALU_DEP_1)
	v_rcp_iflag_f32_e32 v2, v2
	s_waitcnt_depctr 0xfff
	v_mul_f32_e32 v2, 0x4f7ffffe, v2
	v_cvt_u32_f32_e32 v2, v2
	s_delay_alu instid0(VALU_DEP_1) | instskip(NEXT) | instid1(VALU_DEP_1)
	v_mul_lo_u32 v4, s4, v2
	v_mul_hi_u32 v4, v2, v4
	s_delay_alu instid0(VALU_DEP_1) | instskip(NEXT) | instid1(VALU_DEP_1)
	v_add_nc_u32_e32 v2, v2, v4
	v_mul_hi_u32 v2, s19, v2
	s_delay_alu instid0(VALU_DEP_1) | instskip(NEXT) | instid1(VALU_DEP_1)
	v_mul_lo_u32 v2, v2, s35
	v_sub_nc_u32_e32 v2, s19, v2
	s_delay_alu instid0(VALU_DEP_1) | instskip(SKIP_1) | instid1(VALU_DEP_2)
	v_subrev_nc_u32_e32 v4, s35, v2
	v_cmp_le_u32_e32 vcc_lo, s35, v2
	v_cndmask_b32_e32 v2, v2, v4, vcc_lo
	s_delay_alu instid0(VALU_DEP_1) | instskip(SKIP_1) | instid1(VALU_DEP_2)
	v_subrev_nc_u32_e32 v4, s35, v2
	v_cmp_le_u32_e32 vcc_lo, s35, v2
	v_cndmask_b32_e32 v18, v2, v4, vcc_lo
	s_delay_alu instid0(VALU_DEP_1)
	v_dual_mov_b32 v4, v18 :: v_dual_mov_b32 v5, v19
.LBB118_158:                            ;   in Loop: Header=BB118_33 Depth=1
	s_delay_alu instid0(VALU_DEP_1) | instskip(NEXT) | instid1(VALU_DEP_2)
	v_sub_co_u32 v8, vcc_lo, s19, v4
	v_sub_co_ci_u32_e32 v9, vcc_lo, s5, v5, vcc_lo
	s_mov_b32 s4, 0
	s_mov_b32 s5, exec_lo
                                        ; implicit-def: $vgpr6_vgpr7
	s_delay_alu instid0(VALU_DEP_1)
	v_cmpx_gt_u64_e64 v[8:9], v[0:1]
	s_cbranch_execz .LBB118_171
; %bb.159:                              ;   in Loop: Header=BB118_33 Depth=1
	v_dual_mov_b32 v12, v27 :: v_dual_mov_b32 v11, v1
	v_mov_b32_e32 v10, v0
	s_mov_b32 s22, 0
                                        ; implicit-def: $sgpr19
	s_set_inst_prefetch_distance 0x1
	s_branch .LBB118_161
	.p2align	6
.LBB118_160:                            ;   in Loop: Header=BB118_161 Depth=2
	s_or_b32 exec_lo, exec_lo, s4
	s_waitcnt lgkmcnt(0)
	s_barrier
	buffer_gl0_inv
	ds_load_b128 v[4:7], v19 offset:3072
	v_add_co_u32 v10, s4, v10, s35
	s_delay_alu instid0(VALU_DEP_1) | instskip(SKIP_3) | instid1(VALU_DEP_2)
	v_add_co_ci_u32_e64 v11, s4, 0, v11, s4
	v_add_nc_u32_e32 v12, s95, v12
	s_waitcnt lgkmcnt(0)
	s_barrier
	v_cmp_ge_u64_e64 s4, v[10:11], v[8:9]
	buffer_gl0_inv
	v_cmp_neq_f64_e32 vcc_lo, 0, v[4:5]
	s_or_b32 s4, s4, vcc_lo
	s_delay_alu instid0(SALU_CYCLE_1) | instskip(NEXT) | instid1(SALU_CYCLE_1)
	s_and_b32 s4, exec_lo, s4
	s_or_b32 s22, s4, s22
	s_and_not1_b32 s4, s19, exec_lo
	s_and_b32 s19, vcc_lo, exec_lo
	s_delay_alu instid0(SALU_CYCLE_1)
	s_or_b32 s19, s4, s19
	s_and_not1_b32 exec_lo, exec_lo, s22
	s_cbranch_execz .LBB118_170
.LBB118_161:                            ;   Parent Loop BB118_33 Depth=1
                                        ; =>  This Inner Loop Header: Depth=2
	s_delay_alu instid0(VALU_DEP_1)
	v_cmp_gt_u64_e32 vcc_lo, s[16:17], v[10:11]
	v_mov_b32_e32 v4, 0
	v_mov_b32_e32 v5, 0
	s_and_saveexec_b32 s4, vcc_lo
	s_cbranch_execz .LBB118_163
; %bb.162:                              ;   in Loop: Header=BB118_161 Depth=2
	ds_load_b64 v[4:5], v12
.LBB118_163:                            ;   in Loop: Header=BB118_161 Depth=2
	s_or_b32 exec_lo, exec_lo, s4
	s_and_saveexec_b32 s4, vcc_lo
	s_cbranch_execz .LBB118_160
; %bb.164:                              ;   in Loop: Header=BB118_161 Depth=2
	s_waitcnt lgkmcnt(0)
	v_cmp_o_f64_e32 vcc_lo, v[4:5], v[4:5]
	v_ashrrev_i32_e32 v2, 31, v5
	s_delay_alu instid0(VALU_DEP_1) | instskip(SKIP_1) | instid1(VALU_DEP_2)
	v_or_b32_e32 v6, 0x80000000, v2
	v_xor_b32_e32 v2, v2, v4
	v_xor_b32_e32 v6, v6, v5
	s_delay_alu instid0(VALU_DEP_1) | instskip(NEXT) | instid1(VALU_DEP_3)
	v_cndmask_b32_e32 v6, -1, v6, vcc_lo
	v_cndmask_b32_e32 v2, -1, v2, vcc_lo
	s_delay_alu instid0(VALU_DEP_2) | instskip(NEXT) | instid1(VALU_DEP_2)
	v_and_b32_e32 v7, s75, v6
	v_and_b32_e32 v6, s74, v2
	s_delay_alu instid0(VALU_DEP_1)
	v_cmp_eq_u64_e32 vcc_lo, s[72:73], v[6:7]
	s_and_b32 exec_lo, exec_lo, vcc_lo
	s_cbranch_execz .LBB118_160
; %bb.165:                              ;   in Loop: Header=BB118_161 Depth=2
	v_mov_b32_e32 v2, v19
	ds_store_b128 v19, v[2:5] offset:3072
	s_branch .LBB118_160
.LBB118_166:                            ;   in Loop: Header=BB118_33 Depth=1
                                        ; implicit-def: $sgpr22
                                        ; implicit-def: $sgpr23
                                        ; implicit-def: $sgpr19
	s_branch .LBB118_185
.LBB118_167:                            ;   in Loop: Header=BB118_33 Depth=1
                                        ; implicit-def: $vgpr4_vgpr5
	s_branch .LBB118_112
.LBB118_168:                            ;   in Loop: Header=BB118_33 Depth=1
                                        ; implicit-def: $vgpr4_vgpr5
	s_branch .LBB118_127
.LBB118_169:                            ;   in Loop: Header=BB118_33 Depth=1
	s_mov_b32 s22, -1
	s_mov_b32 s4, 0
                                        ; implicit-def: $sgpr19
                                        ; implicit-def: $vgpr6_vgpr7
	s_mov_b32 s23, s22
	s_cbranch_execnz .LBB118_172
	s_branch .LBB118_185
.LBB118_170:                            ;   in Loop: Header=BB118_33 Depth=1
	s_set_inst_prefetch_distance 0x2
	s_or_b32 exec_lo, exec_lo, s22
	s_delay_alu instid0(SALU_CYCLE_1)
	s_and_b32 s4, s19, exec_lo
.LBB118_171:                            ;   in Loop: Header=BB118_33 Depth=1
	s_or_b32 exec_lo, exec_lo, s5
	s_mov_b32 s19, -1
	s_mov_b32 s22, 0
	s_delay_alu instid0(SALU_CYCLE_1)
	s_mov_b32 s23, s22
	s_branch .LBB118_185
.LBB118_172:                            ;   in Loop: Header=BB118_33 Depth=1
	s_mov_b32 s68, s67
	s_delay_alu instid0(SALU_CYCLE_1)
	s_cmp_lg_u64 s[68:69], 0
	s_cbranch_scc0 .LBB118_215
; %bb.173:                              ;   in Loop: Header=BB118_33 Depth=1
	v_cvt_f32_u32_e32 v2, s35
	s_sub_u32 s16, 0, s35
	s_subb_u32 s17, 0, 0
	s_delay_alu instid0(VALU_DEP_1) | instskip(NEXT) | instid1(VALU_DEP_1)
	v_fmac_f32_e64 v2, 0, 0x4f800000
	v_rcp_f32_e32 v2, v2
	s_waitcnt_depctr 0xfff
	v_mul_f32_e32 v2, 0x5f7ffffc, v2
	s_delay_alu instid0(VALU_DEP_1) | instskip(NEXT) | instid1(VALU_DEP_1)
	v_mul_f32_e32 v4, 0x2f800000, v2
	v_trunc_f32_e32 v4, v4
	s_delay_alu instid0(VALU_DEP_1) | instskip(SKIP_1) | instid1(VALU_DEP_2)
	v_fmac_f32_e32 v2, 0xcf800000, v4
	v_cvt_u32_f32_e32 v4, v4
	v_cvt_u32_f32_e32 v2, v2
	s_delay_alu instid0(VALU_DEP_2) | instskip(NEXT) | instid1(VALU_DEP_2)
	v_readfirstlane_b32 s4, v4
	v_readfirstlane_b32 s5, v2
	s_delay_alu instid0(VALU_DEP_2) | instskip(NEXT) | instid1(VALU_DEP_1)
	s_mul_i32 s19, s16, s4
	s_mul_hi_u32 s23, s16, s5
	s_mul_i32 s22, s17, s5
	s_add_i32 s19, s23, s19
	s_mul_i32 s58, s16, s5
	s_add_i32 s19, s19, s22
	s_mul_hi_u32 s23, s5, s58
	s_mul_hi_u32 s59, s4, s58
	s_mul_i32 s22, s4, s58
	s_mul_hi_u32 s58, s5, s19
	s_mul_i32 s5, s5, s19
	s_mul_hi_u32 s66, s4, s19
	s_add_u32 s5, s23, s5
	s_addc_u32 s23, 0, s58
	s_add_u32 s5, s5, s22
	s_mul_i32 s19, s4, s19
	s_addc_u32 s5, s23, s59
	s_addc_u32 s22, s66, 0
	s_add_u32 s5, s5, s19
	s_addc_u32 s19, 0, s22
	v_add_co_u32 v2, s5, v2, s5
	s_delay_alu instid0(VALU_DEP_1) | instskip(SKIP_1) | instid1(VALU_DEP_1)
	s_cmp_lg_u32 s5, 0
	s_addc_u32 s4, s4, s19
	v_readfirstlane_b32 s5, v2
	s_mul_i32 s19, s16, s4
	s_delay_alu instid0(VALU_DEP_1)
	s_mul_hi_u32 s22, s16, s5
	s_mul_i32 s17, s17, s5
	s_add_i32 s19, s22, s19
	s_mul_i32 s16, s16, s5
	s_add_i32 s19, s19, s17
	s_mul_hi_u32 s22, s4, s16
	s_mul_i32 s23, s4, s16
	s_mul_hi_u32 s16, s5, s16
	s_mul_hi_u32 s58, s5, s19
	s_mul_i32 s5, s5, s19
	s_mul_hi_u32 s17, s4, s19
	s_add_u32 s5, s16, s5
	s_addc_u32 s16, 0, s58
	s_add_u32 s5, s5, s23
	s_mul_i32 s19, s4, s19
	s_addc_u32 s5, s16, s22
	s_addc_u32 s16, s17, 0
	s_add_u32 s5, s5, s19
	s_addc_u32 s16, 0, s16
	v_add_co_u32 v2, s5, v2, s5
	s_delay_alu instid0(VALU_DEP_1) | instskip(SKIP_1) | instid1(VALU_DEP_1)
	s_cmp_lg_u32 s5, 0
	s_addc_u32 s4, s4, s16
	v_readfirstlane_b32 s5, v2
	s_mul_i32 s17, s89, s4
	s_mul_hi_u32 s16, s89, s4
	s_mul_hi_u32 s19, s69, s4
	s_mul_i32 s4, s69, s4
	s_mul_hi_u32 s22, s89, s5
	s_mul_hi_u32 s23, s69, s5
	s_mul_i32 s5, s69, s5
	s_add_u32 s17, s22, s17
	s_addc_u32 s16, 0, s16
	s_add_u32 s5, s17, s5
	s_addc_u32 s5, s16, s23
	s_addc_u32 s16, s19, 0
	s_add_u32 s4, s5, s4
	s_addc_u32 s5, 0, s16
	s_mul_hi_u32 s16, s35, s4
	s_mul_i32 s4, s35, s4
	s_mul_i32 s5, s35, s5
	v_sub_co_u32 v2, s4, s89, s4
	s_add_i32 s16, s16, s5
	s_cmp_lg_u32 s4, 0
	s_delay_alu instid0(VALU_DEP_1) | instskip(SKIP_2) | instid1(VALU_DEP_1)
	v_sub_co_u32 v4, s4, v2, s35
	s_subb_u32 s5, s69, s16
	s_cmp_lg_u32 s4, 0
	v_cmp_le_u32_e32 vcc_lo, s35, v4
	v_sub_co_u32 v5, s4, v4, s35
	s_subb_u32 s16, s5, 0
	s_cmp_lg_u32 s4, 0
	v_cndmask_b32_e64 v6, 0, -1, vcc_lo
	s_subb_u32 s4, s16, 0
	s_cmp_eq_u32 s16, 0
	v_mov_b32_e32 v8, s4
	s_cselect_b32 vcc_lo, -1, 0
	s_cmp_eq_u32 s5, 0
	v_cndmask_b32_e32 v6, -1, v6, vcc_lo
	v_cmp_le_u32_e32 vcc_lo, s35, v2
	s_cselect_b32 s4, -1, 0
	v_cndmask_b32_e64 v7, 0, -1, vcc_lo
	s_delay_alu instid0(VALU_DEP_3) | instskip(NEXT) | instid1(VALU_DEP_2)
	v_cmp_ne_u32_e32 vcc_lo, 0, v6
	v_cndmask_b32_e64 v6, -1, v7, s4
	v_cndmask_b32_e32 v7, s16, v8, vcc_lo
	v_cndmask_b32_e32 v4, v4, v5, vcc_lo
	s_delay_alu instid0(VALU_DEP_3) | instskip(NEXT) | instid1(VALU_DEP_3)
	v_cmp_ne_u32_e32 vcc_lo, 0, v6
	v_cndmask_b32_e32 v5, s5, v7, vcc_lo
	s_delay_alu instid0(VALU_DEP_3)
	v_cndmask_b32_e32 v4, v2, v4, vcc_lo
	s_cbranch_execnz .LBB118_175
.LBB118_174:                            ;   in Loop: Header=BB118_33 Depth=1
	v_cvt_f32_u32_e32 v2, s35
	s_sub_i32 s4, 0, s35
	s_delay_alu instid0(VALU_DEP_1) | instskip(SKIP_2) | instid1(VALU_DEP_1)
	v_rcp_iflag_f32_e32 v2, v2
	s_waitcnt_depctr 0xfff
	v_mul_f32_e32 v2, 0x4f7ffffe, v2
	v_cvt_u32_f32_e32 v2, v2
	s_delay_alu instid0(VALU_DEP_1) | instskip(NEXT) | instid1(VALU_DEP_1)
	v_mul_lo_u32 v4, s4, v2
	v_mul_hi_u32 v4, v2, v4
	s_delay_alu instid0(VALU_DEP_1) | instskip(NEXT) | instid1(VALU_DEP_1)
	v_add_nc_u32_e32 v2, v2, v4
	v_mul_hi_u32 v2, s89, v2
	s_delay_alu instid0(VALU_DEP_1) | instskip(NEXT) | instid1(VALU_DEP_1)
	v_mul_lo_u32 v2, v2, s35
	v_sub_nc_u32_e32 v2, s89, v2
	s_delay_alu instid0(VALU_DEP_1) | instskip(SKIP_1) | instid1(VALU_DEP_2)
	v_subrev_nc_u32_e32 v4, s35, v2
	v_cmp_le_u32_e32 vcc_lo, s35, v2
	v_cndmask_b32_e32 v2, v2, v4, vcc_lo
	s_delay_alu instid0(VALU_DEP_1) | instskip(SKIP_1) | instid1(VALU_DEP_2)
	v_subrev_nc_u32_e32 v4, s35, v2
	v_cmp_le_u32_e32 vcc_lo, s35, v2
	v_cndmask_b32_e32 v18, v2, v4, vcc_lo
	s_delay_alu instid0(VALU_DEP_1)
	v_dual_mov_b32 v4, v18 :: v_dual_mov_b32 v5, v19
.LBB118_175:                            ;   in Loop: Header=BB118_33 Depth=1
	s_delay_alu instid0(VALU_DEP_1) | instskip(NEXT) | instid1(VALU_DEP_2)
	v_sub_co_u32 v8, vcc_lo, s89, v4
	v_sub_co_ci_u32_e32 v9, vcc_lo, s69, v5, vcc_lo
	s_mov_b32 s4, 0
	s_mov_b32 s5, exec_lo
                                        ; implicit-def: $vgpr6_vgpr7
	s_delay_alu instid0(VALU_DEP_1)
	v_cmpx_gt_u64_e64 v[8:9], v[0:1]
	s_cbranch_execz .LBB118_184
; %bb.176:                              ;   in Loop: Header=BB118_33 Depth=1
	v_dual_mov_b32 v11, v1 :: v_dual_mov_b32 v10, v0
	s_mov_b32 s17, 0
                                        ; implicit-def: $sgpr16
	s_branch .LBB118_178
.LBB118_177:                            ;   in Loop: Header=BB118_178 Depth=2
	s_or_b32 exec_lo, exec_lo, s4
	s_waitcnt vmcnt(0) lgkmcnt(0)
	s_barrier
	buffer_gl0_inv
	ds_load_b128 v[4:7], v19 offset:3072
	v_add_co_u32 v10, s4, v10, s35
	s_delay_alu instid0(VALU_DEP_1)
	v_add_co_ci_u32_e64 v11, s4, 0, v11, s4
	s_waitcnt lgkmcnt(0)
	s_barrier
	buffer_gl0_inv
	v_cmp_ge_u64_e64 s4, v[10:11], v[8:9]
	v_cmp_neq_f64_e32 vcc_lo, 0, v[4:5]
	s_delay_alu instid0(VALU_DEP_2) | instskip(NEXT) | instid1(SALU_CYCLE_1)
	s_or_b32 s4, s4, vcc_lo
	s_and_b32 s4, exec_lo, s4
	s_delay_alu instid0(SALU_CYCLE_1) | instskip(SKIP_2) | instid1(SALU_CYCLE_1)
	s_or_b32 s17, s4, s17
	s_and_not1_b32 s4, s16, exec_lo
	s_and_b32 s16, vcc_lo, exec_lo
	s_or_b32 s16, s4, s16
	s_and_not1_b32 exec_lo, exec_lo, s17
	s_cbranch_execz .LBB118_183
.LBB118_178:                            ;   Parent Loop BB118_33 Depth=1
                                        ; =>  This Inner Loop Header: Depth=2
	s_delay_alu instid0(VALU_DEP_1)
	v_cmp_gt_u64_e32 vcc_lo, s[24:25], v[10:11]
	v_mov_b32_e32 v4, 0
	v_mov_b32_e32 v5, 0
	s_and_saveexec_b32 s19, vcc_lo
	s_cbranch_execz .LBB118_180
; %bb.179:                              ;   in Loop: Header=BB118_178 Depth=2
	v_mul_lo_u32 v2, v11, s50
	v_mul_lo_u32 v6, v10, s51
	v_mad_u64_u32 v[4:5], null, v10, s50, 0
	s_delay_alu instid0(VALU_DEP_1) | instskip(NEXT) | instid1(VALU_DEP_1)
	v_add3_u32 v5, v5, v6, v2
	v_lshlrev_b64 v[4:5], 3, v[4:5]
	s_delay_alu instid0(VALU_DEP_1) | instskip(NEXT) | instid1(VALU_DEP_1)
	v_add_co_u32 v4, s4, s27, v4
	v_add_co_ci_u32_e64 v5, s4, s33, v5, s4
	global_load_b64 v[4:5], v[4:5], off
.LBB118_180:                            ;   in Loop: Header=BB118_178 Depth=2
	s_or_b32 exec_lo, exec_lo, s19
	s_and_saveexec_b32 s4, vcc_lo
	s_cbranch_execz .LBB118_177
; %bb.181:                              ;   in Loop: Header=BB118_178 Depth=2
	s_waitcnt vmcnt(0)
	v_cmp_o_f64_e32 vcc_lo, v[4:5], v[4:5]
	v_ashrrev_i32_e32 v2, 31, v5
	s_delay_alu instid0(VALU_DEP_1) | instskip(SKIP_1) | instid1(VALU_DEP_2)
	v_or_b32_e32 v6, 0x80000000, v2
	v_xor_b32_e32 v2, v2, v4
	v_xor_b32_e32 v6, v6, v5
	s_delay_alu instid0(VALU_DEP_1) | instskip(NEXT) | instid1(VALU_DEP_3)
	v_cndmask_b32_e32 v6, -1, v6, vcc_lo
	v_cndmask_b32_e32 v2, -1, v2, vcc_lo
	s_delay_alu instid0(VALU_DEP_2) | instskip(NEXT) | instid1(VALU_DEP_2)
	v_and_b32_e32 v7, s75, v6
	v_and_b32_e32 v6, s74, v2
	s_delay_alu instid0(VALU_DEP_1)
	v_cmp_eq_u64_e32 vcc_lo, s[72:73], v[6:7]
	s_and_b32 exec_lo, exec_lo, vcc_lo
	s_cbranch_execz .LBB118_177
; %bb.182:                              ;   in Loop: Header=BB118_178 Depth=2
	v_mov_b32_e32 v2, v19
	ds_store_b128 v19, v[2:5] offset:3072
	s_branch .LBB118_177
.LBB118_183:                            ;   in Loop: Header=BB118_33 Depth=1
	s_or_b32 exec_lo, exec_lo, s17
	s_delay_alu instid0(SALU_CYCLE_1)
	s_and_b32 s4, s16, exec_lo
.LBB118_184:                            ;   in Loop: Header=BB118_33 Depth=1
	s_or_b32 exec_lo, exec_lo, s5
	s_mov_b32 s23, -1
	s_mov_b32 s22, 0
	s_mov_b32 s19, 0
.LBB118_185:                            ;   in Loop: Header=BB118_33 Depth=1
	s_mov_b32 s5, 0
                                        ; implicit-def: $sgpr68
	s_and_saveexec_b32 s66, s4
	s_cbranch_execz .LBB118_296
; %bb.186:                              ;   in Loop: Header=BB118_33 Depth=1
	s_xor_b32 s4, s76, -1
	s_mov_b32 s68, 1
	s_and_not1_b32 vcc_lo, exec_lo, s4
	s_cbranch_vccnz .LBB118_197
; %bb.187:                              ;   in Loop: Header=BB118_33 Depth=1
	v_cmp_gt_u64_e64 s4, s[64:65], s[14:15]
	s_mov_b32 s58, -1
                                        ; implicit-def: $sgpr68
                                        ; implicit-def: $sgpr16_sgpr17
	s_delay_alu instid0(VALU_DEP_1)
	s_and_b32 vcc_lo, exec_lo, s4
                                        ; implicit-def: $sgpr4_sgpr5
	s_cbranch_vccnz .LBB118_193
; %bb.188:                              ;   in Loop: Header=BB118_33 Depth=1
	ds_load_b64 v[4:5], v19 offset:5120
	s_waitcnt lgkmcnt(0)
	v_cmp_ne_u64_e32 vcc_lo, 0, v[4:5]
	s_cbranch_vccnz .LBB118_192
; %bb.189:                              ;   in Loop: Header=BB118_33 Depth=1
	s_and_saveexec_b32 s4, s3
	s_cbranch_execz .LBB118_191
; %bb.190:                              ;   in Loop: Header=BB118_33 Depth=1
	v_dual_mov_b32 v4, s14 :: v_dual_mov_b32 v5, s15
	ds_store_b64 v19, v[4:5] offset:5128
.LBB118_191:                            ;   in Loop: Header=BB118_33 Depth=1
	s_or_b32 exec_lo, exec_lo, s4
	s_waitcnt lgkmcnt(0)
	s_barrier
	buffer_gl0_inv
.LBB118_192:                            ;   in Loop: Header=BB118_33 Depth=1
	s_lshl_b64 s[4:5], 1, s21
	s_and_b64 s[16:17], s[72:73], s[12:13]
	s_mov_b32 s58, 0
	s_or_b64 s[4:5], s[16:17], s[4:5]
	s_or_b64 s[16:17], s[74:75], s[8:9]
	s_mov_b32 s68, 8
.LBB118_193:                            ;   in Loop: Header=BB118_33 Depth=1
	s_and_not1_b32 vcc_lo, exec_lo, s58
	s_cbranch_vccnz .LBB118_195
; %bb.194:                              ;   in Loop: Header=BB118_33 Depth=1
	s_sub_u32 s64, s64, s14
	s_subb_u32 s65, s65, s15
	s_mov_b32 s58, -1
	s_mov_b32 s68, 0
	s_mov_b64 s[4:5], s[72:73]
	s_mov_b64 s[16:17], s[74:75]
.LBB118_195:                            ;   in Loop: Header=BB118_33 Depth=1
	s_delay_alu instid0(SALU_CYCLE_1)
	s_mov_b64 s[74:75], s[16:17]
	s_mov_b64 s[72:73], s[4:5]
	s_and_not1_b32 vcc_lo, exec_lo, s58
	s_mov_b32 s5, -1
	s_cbranch_vccz .LBB118_198
.LBB118_196:                            ;   in Loop: Header=BB118_33 Depth=1
                                        ; implicit-def: $sgpr17
                                        ; implicit-def: $sgpr76
                                        ; implicit-def: $sgpr16
	s_branch .LBB118_295
.LBB118_197:                            ;   in Loop: Header=BB118_33 Depth=1
	s_mov_b64 s[64:65], 1
	s_mov_b32 s5, -1
	s_cbranch_execnz .LBB118_196
.LBB118_198:                            ;   in Loop: Header=BB118_33 Depth=1
	s_cmp_eq_u64 s[10:11], 1
	s_cselect_b32 s4, -1, 0
	s_cmp_eq_u64 s[64:65], 1
	s_cselect_b32 s5, -1, 0
	s_delay_alu instid0(SALU_CYCLE_1)
	s_and_b32 s78, s4, s5
	s_mov_b32 s4, -1
	s_and_b32 vcc_lo, exec_lo, s78
	s_cbranch_vccz .LBB118_213
; %bb.199:                              ;   in Loop: Header=BB118_33 Depth=1
	ds_load_b64 v[4:5], v19 offset:5120
	s_waitcnt lgkmcnt(0)
	s_barrier
	buffer_gl0_inv
	v_readfirstlane_b32 s14, v4
	v_readfirstlane_b32 s15, v5
	s_and_saveexec_b32 s4, s0
	s_cbranch_execz .LBB118_201
; %bb.200:                              ;   in Loop: Header=BB118_33 Depth=1
	v_mov_b32_e32 v18, v19
	ds_store_b64 v28, v[18:19]
.LBB118_201:                            ;   in Loop: Header=BB118_33 Depth=1
	s_or_b32 exec_lo, exec_lo, s4
	s_lshl_b64 s[4:5], 2, s21
	s_and_b64 s[16:17], s[72:73], s[12:13]
	s_or_b64 s[74:75], s[74:75], s[8:9]
	s_or_b64 s[72:73], s[16:17], s[4:5]
	s_cmp_eq_u64 s[14:15], 0
	s_waitcnt lgkmcnt(0)
	s_barrier
	buffer_gl0_inv
	s_cbranch_scc1 .LBB118_216
; %bb.202:                              ;   in Loop: Header=BB118_33 Depth=1
	s_add_u32 s16, s87, s14
	s_addc_u32 s5, s88, s15
	s_mov_b32 s4, s67
	s_delay_alu instid0(SALU_CYCLE_1)
	s_cmp_lg_u64 s[4:5], 0
	s_cbranch_scc0 .LBB118_261
; %bb.203:                              ;   in Loop: Header=BB118_33 Depth=1
	v_cvt_f32_u32_e32 v2, s35
	s_sub_u32 s58, 0, s35
	s_subb_u32 s59, 0, 0
	s_delay_alu instid0(VALU_DEP_1) | instskip(NEXT) | instid1(VALU_DEP_1)
	v_fmac_f32_e64 v2, 0, 0x4f800000
	v_rcp_f32_e32 v2, v2
	s_waitcnt_depctr 0xfff
	v_mul_f32_e32 v2, 0x5f7ffffc, v2
	s_delay_alu instid0(VALU_DEP_1) | instskip(NEXT) | instid1(VALU_DEP_1)
	v_mul_f32_e32 v4, 0x2f800000, v2
	v_trunc_f32_e32 v4, v4
	s_delay_alu instid0(VALU_DEP_1) | instskip(SKIP_1) | instid1(VALU_DEP_2)
	v_fmac_f32_e32 v2, 0xcf800000, v4
	v_cvt_u32_f32_e32 v4, v4
	v_cvt_u32_f32_e32 v2, v2
	s_delay_alu instid0(VALU_DEP_2) | instskip(NEXT) | instid1(VALU_DEP_2)
	v_readfirstlane_b32 s4, v4
	v_readfirstlane_b32 s17, v2
	s_delay_alu instid0(VALU_DEP_2) | instskip(NEXT) | instid1(VALU_DEP_1)
	s_mul_i32 s68, s58, s4
	s_mul_hi_u32 s77, s58, s17
	s_mul_i32 s76, s59, s17
	s_add_i32 s68, s77, s68
	s_mul_i32 s79, s58, s17
	s_add_i32 s68, s68, s76
	s_mul_hi_u32 s77, s17, s79
	s_mul_hi_u32 s80, s4, s79
	s_mul_i32 s76, s4, s79
	s_mul_hi_u32 s79, s17, s68
	s_mul_i32 s17, s17, s68
	s_mul_hi_u32 s81, s4, s68
	s_add_u32 s17, s77, s17
	s_addc_u32 s77, 0, s79
	s_add_u32 s17, s17, s76
	s_mul_i32 s68, s4, s68
	s_addc_u32 s17, s77, s80
	s_addc_u32 s76, s81, 0
	s_add_u32 s17, s17, s68
	s_addc_u32 s68, 0, s76
	v_add_co_u32 v2, s17, v2, s17
	s_delay_alu instid0(VALU_DEP_1) | instskip(SKIP_1) | instid1(VALU_DEP_1)
	s_cmp_lg_u32 s17, 0
	s_addc_u32 s4, s4, s68
	v_readfirstlane_b32 s17, v2
	s_mul_i32 s68, s58, s4
	s_delay_alu instid0(VALU_DEP_1)
	s_mul_hi_u32 s76, s58, s17
	s_mul_i32 s59, s59, s17
	s_add_i32 s68, s76, s68
	s_mul_i32 s58, s58, s17
	s_add_i32 s68, s68, s59
	s_mul_hi_u32 s76, s4, s58
	s_mul_i32 s77, s4, s58
	s_mul_hi_u32 s58, s17, s58
	s_mul_hi_u32 s79, s17, s68
	s_mul_i32 s17, s17, s68
	s_mul_hi_u32 s59, s4, s68
	s_add_u32 s17, s58, s17
	s_addc_u32 s58, 0, s79
	s_add_u32 s17, s17, s77
	s_mul_i32 s68, s4, s68
	s_addc_u32 s17, s58, s76
	s_addc_u32 s58, s59, 0
	s_add_u32 s17, s17, s68
	s_addc_u32 s58, 0, s58
	v_add_co_u32 v2, s17, v2, s17
	s_delay_alu instid0(VALU_DEP_1) | instskip(SKIP_1) | instid1(VALU_DEP_1)
	s_cmp_lg_u32 s17, 0
	s_addc_u32 s4, s4, s58
	v_readfirstlane_b32 s17, v2
	s_mul_i32 s59, s16, s4
	s_mul_hi_u32 s58, s16, s4
	s_mul_hi_u32 s68, s5, s4
	s_mul_i32 s4, s5, s4
	s_mul_hi_u32 s76, s16, s17
	s_mul_hi_u32 s77, s5, s17
	s_mul_i32 s17, s5, s17
	s_add_u32 s59, s76, s59
	s_addc_u32 s58, 0, s58
	s_add_u32 s17, s59, s17
	s_addc_u32 s17, s58, s77
	s_addc_u32 s58, s68, 0
	s_add_u32 s4, s17, s4
	s_addc_u32 s17, 0, s58
	s_mul_hi_u32 s58, s35, s4
	s_mul_i32 s4, s35, s4
	s_mul_i32 s17, s35, s17
	v_sub_co_u32 v2, s4, s16, s4
	s_add_i32 s58, s58, s17
	s_cmp_lg_u32 s4, 0
	s_delay_alu instid0(VALU_DEP_1) | instskip(SKIP_2) | instid1(VALU_DEP_1)
	v_sub_co_u32 v4, s4, v2, s35
	s_subb_u32 s17, s5, s58
	s_cmp_lg_u32 s4, 0
	v_cmp_le_u32_e32 vcc_lo, s35, v4
	v_sub_co_u32 v5, s4, v4, s35
	s_subb_u32 s58, s17, 0
	s_cmp_lg_u32 s4, 0
	v_cndmask_b32_e64 v6, 0, -1, vcc_lo
	s_subb_u32 s4, s58, 0
	s_cmp_eq_u32 s58, 0
	v_mov_b32_e32 v8, s4
	s_cselect_b32 vcc_lo, -1, 0
	s_cmp_eq_u32 s17, 0
	v_cndmask_b32_e32 v6, -1, v6, vcc_lo
	v_cmp_le_u32_e32 vcc_lo, s35, v2
	s_cselect_b32 s4, -1, 0
	v_cndmask_b32_e64 v7, 0, -1, vcc_lo
	s_delay_alu instid0(VALU_DEP_3) | instskip(NEXT) | instid1(VALU_DEP_2)
	v_cmp_ne_u32_e32 vcc_lo, 0, v6
	v_cndmask_b32_e64 v6, -1, v7, s4
	v_cndmask_b32_e32 v7, s58, v8, vcc_lo
	v_cndmask_b32_e32 v4, v4, v5, vcc_lo
	s_delay_alu instid0(VALU_DEP_3) | instskip(NEXT) | instid1(VALU_DEP_3)
	v_cmp_ne_u32_e32 vcc_lo, 0, v6
	v_cndmask_b32_e32 v5, s17, v7, vcc_lo
	s_delay_alu instid0(VALU_DEP_3)
	v_cndmask_b32_e32 v4, v2, v4, vcc_lo
	s_cbranch_execnz .LBB118_205
.LBB118_204:                            ;   in Loop: Header=BB118_33 Depth=1
	v_cvt_f32_u32_e32 v2, s35
	s_sub_i32 s4, 0, s35
	s_delay_alu instid0(VALU_DEP_1) | instskip(SKIP_2) | instid1(VALU_DEP_1)
	v_rcp_iflag_f32_e32 v2, v2
	s_waitcnt_depctr 0xfff
	v_mul_f32_e32 v2, 0x4f7ffffe, v2
	v_cvt_u32_f32_e32 v2, v2
	s_delay_alu instid0(VALU_DEP_1) | instskip(NEXT) | instid1(VALU_DEP_1)
	v_mul_lo_u32 v4, s4, v2
	v_mul_hi_u32 v4, v2, v4
	s_delay_alu instid0(VALU_DEP_1) | instskip(NEXT) | instid1(VALU_DEP_1)
	v_add_nc_u32_e32 v2, v2, v4
	v_mul_hi_u32 v2, s16, v2
	s_delay_alu instid0(VALU_DEP_1) | instskip(NEXT) | instid1(VALU_DEP_1)
	v_mul_lo_u32 v2, v2, s35
	v_sub_nc_u32_e32 v2, s16, v2
	s_delay_alu instid0(VALU_DEP_1) | instskip(SKIP_1) | instid1(VALU_DEP_2)
	v_subrev_nc_u32_e32 v4, s35, v2
	v_cmp_le_u32_e32 vcc_lo, s35, v2
	v_cndmask_b32_e32 v2, v2, v4, vcc_lo
	s_delay_alu instid0(VALU_DEP_1) | instskip(SKIP_1) | instid1(VALU_DEP_2)
	v_subrev_nc_u32_e32 v4, s35, v2
	v_cmp_le_u32_e32 vcc_lo, s35, v2
	v_cndmask_b32_e32 v18, v2, v4, vcc_lo
	s_delay_alu instid0(VALU_DEP_1)
	v_dual_mov_b32 v4, v18 :: v_dual_mov_b32 v5, v19
.LBB118_205:                            ;   in Loop: Header=BB118_33 Depth=1
	s_delay_alu instid0(VALU_DEP_1) | instskip(NEXT) | instid1(VALU_DEP_2)
	v_sub_co_u32 v8, vcc_lo, s16, v4
	v_sub_co_ci_u32_e32 v9, vcc_lo, s5, v5, vcc_lo
	s_mov_b32 s4, 0
	s_mov_b32 s5, exec_lo
                                        ; implicit-def: $vgpr6_vgpr7
	s_delay_alu instid0(VALU_DEP_1)
	v_cmpx_gt_u64_e64 v[8:9], v[0:1]
	s_cbranch_execz .LBB118_218
; %bb.206:                              ;   in Loop: Header=BB118_33 Depth=1
	v_dual_mov_b32 v12, v27 :: v_dual_mov_b32 v11, v1
	v_mov_b32_e32 v10, v0
	s_mov_b32 s17, 0
                                        ; implicit-def: $sgpr16
	s_set_inst_prefetch_distance 0x1
	s_branch .LBB118_208
	.p2align	6
.LBB118_207:                            ;   in Loop: Header=BB118_208 Depth=2
	s_or_b32 exec_lo, exec_lo, s4
	s_waitcnt lgkmcnt(0)
	s_barrier
	buffer_gl0_inv
	ds_load_b128 v[4:7], v19 offset:3072
	v_add_co_u32 v10, s4, v10, s35
	s_delay_alu instid0(VALU_DEP_1) | instskip(SKIP_3) | instid1(VALU_DEP_2)
	v_add_co_ci_u32_e64 v11, s4, 0, v11, s4
	v_add_nc_u32_e32 v12, s95, v12
	s_waitcnt lgkmcnt(0)
	s_barrier
	v_cmp_ge_u64_e64 s4, v[10:11], v[8:9]
	buffer_gl0_inv
	v_cmp_neq_f64_e32 vcc_lo, 0, v[4:5]
	s_or_b32 s4, s4, vcc_lo
	s_delay_alu instid0(SALU_CYCLE_1) | instskip(NEXT) | instid1(SALU_CYCLE_1)
	s_and_b32 s4, exec_lo, s4
	s_or_b32 s17, s4, s17
	s_and_not1_b32 s4, s16, exec_lo
	s_and_b32 s16, vcc_lo, exec_lo
	s_delay_alu instid0(SALU_CYCLE_1)
	s_or_b32 s16, s4, s16
	s_and_not1_b32 exec_lo, exec_lo, s17
	s_cbranch_execz .LBB118_217
.LBB118_208:                            ;   Parent Loop BB118_33 Depth=1
                                        ; =>  This Inner Loop Header: Depth=2
	s_delay_alu instid0(VALU_DEP_1)
	v_cmp_gt_u64_e32 vcc_lo, s[14:15], v[10:11]
	v_mov_b32_e32 v4, 0
	v_mov_b32_e32 v5, 0
	s_and_saveexec_b32 s4, vcc_lo
	s_cbranch_execz .LBB118_210
; %bb.209:                              ;   in Loop: Header=BB118_208 Depth=2
	ds_load_b64 v[4:5], v12
.LBB118_210:                            ;   in Loop: Header=BB118_208 Depth=2
	s_or_b32 exec_lo, exec_lo, s4
	s_and_saveexec_b32 s4, vcc_lo
	s_cbranch_execz .LBB118_207
; %bb.211:                              ;   in Loop: Header=BB118_208 Depth=2
	s_waitcnt lgkmcnt(0)
	v_cmp_o_f64_e32 vcc_lo, v[4:5], v[4:5]
	v_ashrrev_i32_e32 v2, 31, v5
	s_delay_alu instid0(VALU_DEP_1) | instskip(SKIP_1) | instid1(VALU_DEP_2)
	v_or_b32_e32 v6, 0x80000000, v2
	v_xor_b32_e32 v2, v2, v4
	v_xor_b32_e32 v6, v6, v5
	s_delay_alu instid0(VALU_DEP_1) | instskip(NEXT) | instid1(VALU_DEP_3)
	v_cndmask_b32_e32 v6, -1, v6, vcc_lo
	v_cndmask_b32_e32 v2, -1, v2, vcc_lo
	s_delay_alu instid0(VALU_DEP_2) | instskip(NEXT) | instid1(VALU_DEP_2)
	v_and_b32_e32 v7, s75, v6
	v_and_b32_e32 v6, s74, v2
	s_delay_alu instid0(VALU_DEP_1)
	v_cmp_eq_u64_e32 vcc_lo, s[72:73], v[6:7]
	s_and_b32 exec_lo, exec_lo, vcc_lo
	s_cbranch_execz .LBB118_207
; %bb.212:                              ;   in Loop: Header=BB118_208 Depth=2
	v_mov_b32_e32 v2, v19
	ds_store_b128 v19, v[2:5] offset:3072
	s_branch .LBB118_207
.LBB118_213:                            ;   in Loop: Header=BB118_33 Depth=1
                                        ; implicit-def: $sgpr16
                                        ; implicit-def: $sgpr76
                                        ; implicit-def: $sgpr17
	s_branch .LBB118_232
.LBB118_214:                            ;   in Loop: Header=BB118_33 Depth=1
                                        ; implicit-def: $vgpr4_vgpr5
	s_branch .LBB118_157
.LBB118_215:                            ;   in Loop: Header=BB118_33 Depth=1
                                        ; implicit-def: $vgpr4_vgpr5
	s_branch .LBB118_174
.LBB118_216:                            ;   in Loop: Header=BB118_33 Depth=1
	s_mov_b32 s16, -1
	s_mov_b32 s4, 0
                                        ; implicit-def: $sgpr17
                                        ; implicit-def: $vgpr6_vgpr7
	s_mov_b32 s76, s16
	s_cbranch_execnz .LBB118_219
	s_branch .LBB118_232
.LBB118_217:                            ;   in Loop: Header=BB118_33 Depth=1
	s_set_inst_prefetch_distance 0x2
	s_or_b32 exec_lo, exec_lo, s17
	s_delay_alu instid0(SALU_CYCLE_1)
	s_and_b32 s4, s16, exec_lo
.LBB118_218:                            ;   in Loop: Header=BB118_33 Depth=1
	s_or_b32 exec_lo, exec_lo, s5
	s_mov_b32 s17, -1
	s_mov_b32 s16, 0
	s_delay_alu instid0(SALU_CYCLE_1)
	s_mov_b32 s76, s16
	s_branch .LBB118_232
.LBB118_219:                            ;   in Loop: Header=BB118_33 Depth=1
	s_mov_b32 s68, s67
	s_delay_alu instid0(SALU_CYCLE_1)
	s_cmp_lg_u64 s[68:69], 0
	s_cbranch_scc0 .LBB118_262
; %bb.220:                              ;   in Loop: Header=BB118_33 Depth=1
	v_cvt_f32_u32_e32 v2, s35
	s_sub_u32 s14, 0, s35
	s_subb_u32 s15, 0, 0
	s_delay_alu instid0(VALU_DEP_1) | instskip(NEXT) | instid1(VALU_DEP_1)
	v_fmac_f32_e64 v2, 0, 0x4f800000
	v_rcp_f32_e32 v2, v2
	s_waitcnt_depctr 0xfff
	v_mul_f32_e32 v2, 0x5f7ffffc, v2
	s_delay_alu instid0(VALU_DEP_1) | instskip(NEXT) | instid1(VALU_DEP_1)
	v_mul_f32_e32 v4, 0x2f800000, v2
	v_trunc_f32_e32 v4, v4
	s_delay_alu instid0(VALU_DEP_1) | instskip(SKIP_1) | instid1(VALU_DEP_2)
	v_fmac_f32_e32 v2, 0xcf800000, v4
	v_cvt_u32_f32_e32 v4, v4
	v_cvt_u32_f32_e32 v2, v2
	s_delay_alu instid0(VALU_DEP_2) | instskip(NEXT) | instid1(VALU_DEP_2)
	v_readfirstlane_b32 s4, v4
	v_readfirstlane_b32 s5, v2
	s_delay_alu instid0(VALU_DEP_2) | instskip(NEXT) | instid1(VALU_DEP_1)
	s_mul_i32 s16, s14, s4
	s_mul_hi_u32 s58, s14, s5
	s_mul_i32 s17, s15, s5
	s_add_i32 s16, s58, s16
	s_mul_i32 s59, s14, s5
	s_add_i32 s16, s16, s17
	s_mul_hi_u32 s58, s5, s59
	s_mul_hi_u32 s68, s4, s59
	s_mul_i32 s17, s4, s59
	s_mul_hi_u32 s59, s5, s16
	s_mul_i32 s5, s5, s16
	s_mul_hi_u32 s76, s4, s16
	s_add_u32 s5, s58, s5
	s_addc_u32 s58, 0, s59
	s_add_u32 s5, s5, s17
	s_mul_i32 s16, s4, s16
	s_addc_u32 s5, s58, s68
	s_addc_u32 s17, s76, 0
	s_add_u32 s5, s5, s16
	s_addc_u32 s16, 0, s17
	v_add_co_u32 v2, s5, v2, s5
	s_delay_alu instid0(VALU_DEP_1) | instskip(SKIP_1) | instid1(VALU_DEP_1)
	s_cmp_lg_u32 s5, 0
	s_addc_u32 s4, s4, s16
	v_readfirstlane_b32 s5, v2
	s_mul_i32 s16, s14, s4
	s_delay_alu instid0(VALU_DEP_1)
	s_mul_hi_u32 s17, s14, s5
	s_mul_i32 s15, s15, s5
	s_add_i32 s16, s17, s16
	s_mul_i32 s14, s14, s5
	s_add_i32 s16, s16, s15
	s_mul_hi_u32 s17, s4, s14
	s_mul_i32 s58, s4, s14
	s_mul_hi_u32 s14, s5, s14
	s_mul_hi_u32 s59, s5, s16
	s_mul_i32 s5, s5, s16
	s_mul_hi_u32 s15, s4, s16
	s_add_u32 s5, s14, s5
	s_addc_u32 s14, 0, s59
	s_add_u32 s5, s5, s58
	s_mul_i32 s16, s4, s16
	s_addc_u32 s5, s14, s17
	s_addc_u32 s14, s15, 0
	s_add_u32 s5, s5, s16
	s_addc_u32 s14, 0, s14
	v_add_co_u32 v2, s5, v2, s5
	s_delay_alu instid0(VALU_DEP_1) | instskip(SKIP_1) | instid1(VALU_DEP_1)
	s_cmp_lg_u32 s5, 0
	s_addc_u32 s4, s4, s14
	v_readfirstlane_b32 s5, v2
	s_mul_i32 s15, s89, s4
	s_mul_hi_u32 s14, s89, s4
	s_mul_hi_u32 s16, s69, s4
	s_mul_i32 s4, s69, s4
	s_mul_hi_u32 s17, s89, s5
	s_mul_hi_u32 s58, s69, s5
	s_mul_i32 s5, s69, s5
	s_add_u32 s15, s17, s15
	s_addc_u32 s14, 0, s14
	s_add_u32 s5, s15, s5
	s_addc_u32 s5, s14, s58
	s_addc_u32 s14, s16, 0
	s_add_u32 s4, s5, s4
	s_addc_u32 s5, 0, s14
	s_mul_hi_u32 s14, s35, s4
	s_mul_i32 s4, s35, s4
	s_mul_i32 s5, s35, s5
	v_sub_co_u32 v2, s4, s89, s4
	s_add_i32 s14, s14, s5
	s_cmp_lg_u32 s4, 0
	s_delay_alu instid0(VALU_DEP_1) | instskip(SKIP_2) | instid1(VALU_DEP_1)
	v_sub_co_u32 v4, s4, v2, s35
	s_subb_u32 s5, s69, s14
	s_cmp_lg_u32 s4, 0
	v_cmp_le_u32_e32 vcc_lo, s35, v4
	v_sub_co_u32 v5, s4, v4, s35
	s_subb_u32 s14, s5, 0
	s_cmp_lg_u32 s4, 0
	v_cndmask_b32_e64 v6, 0, -1, vcc_lo
	s_subb_u32 s4, s14, 0
	s_cmp_eq_u32 s14, 0
	v_mov_b32_e32 v8, s4
	s_cselect_b32 vcc_lo, -1, 0
	s_cmp_eq_u32 s5, 0
	v_cndmask_b32_e32 v6, -1, v6, vcc_lo
	v_cmp_le_u32_e32 vcc_lo, s35, v2
	s_cselect_b32 s4, -1, 0
	v_cndmask_b32_e64 v7, 0, -1, vcc_lo
	s_delay_alu instid0(VALU_DEP_3) | instskip(NEXT) | instid1(VALU_DEP_2)
	v_cmp_ne_u32_e32 vcc_lo, 0, v6
	v_cndmask_b32_e64 v6, -1, v7, s4
	v_cndmask_b32_e32 v7, s14, v8, vcc_lo
	v_cndmask_b32_e32 v4, v4, v5, vcc_lo
	s_delay_alu instid0(VALU_DEP_3) | instskip(NEXT) | instid1(VALU_DEP_3)
	v_cmp_ne_u32_e32 vcc_lo, 0, v6
	v_cndmask_b32_e32 v5, s5, v7, vcc_lo
	s_delay_alu instid0(VALU_DEP_3)
	v_cndmask_b32_e32 v4, v2, v4, vcc_lo
	s_cbranch_execnz .LBB118_222
.LBB118_221:                            ;   in Loop: Header=BB118_33 Depth=1
	v_cvt_f32_u32_e32 v2, s35
	s_sub_i32 s4, 0, s35
	s_delay_alu instid0(VALU_DEP_1) | instskip(SKIP_2) | instid1(VALU_DEP_1)
	v_rcp_iflag_f32_e32 v2, v2
	s_waitcnt_depctr 0xfff
	v_mul_f32_e32 v2, 0x4f7ffffe, v2
	v_cvt_u32_f32_e32 v2, v2
	s_delay_alu instid0(VALU_DEP_1) | instskip(NEXT) | instid1(VALU_DEP_1)
	v_mul_lo_u32 v4, s4, v2
	v_mul_hi_u32 v4, v2, v4
	s_delay_alu instid0(VALU_DEP_1) | instskip(NEXT) | instid1(VALU_DEP_1)
	v_add_nc_u32_e32 v2, v2, v4
	v_mul_hi_u32 v2, s89, v2
	s_delay_alu instid0(VALU_DEP_1) | instskip(NEXT) | instid1(VALU_DEP_1)
	v_mul_lo_u32 v2, v2, s35
	v_sub_nc_u32_e32 v2, s89, v2
	s_delay_alu instid0(VALU_DEP_1) | instskip(SKIP_1) | instid1(VALU_DEP_2)
	v_subrev_nc_u32_e32 v4, s35, v2
	v_cmp_le_u32_e32 vcc_lo, s35, v2
	v_cndmask_b32_e32 v2, v2, v4, vcc_lo
	s_delay_alu instid0(VALU_DEP_1) | instskip(SKIP_1) | instid1(VALU_DEP_2)
	v_subrev_nc_u32_e32 v4, s35, v2
	v_cmp_le_u32_e32 vcc_lo, s35, v2
	v_cndmask_b32_e32 v18, v2, v4, vcc_lo
	s_delay_alu instid0(VALU_DEP_1)
	v_dual_mov_b32 v4, v18 :: v_dual_mov_b32 v5, v19
.LBB118_222:                            ;   in Loop: Header=BB118_33 Depth=1
	s_delay_alu instid0(VALU_DEP_1) | instskip(NEXT) | instid1(VALU_DEP_2)
	v_sub_co_u32 v8, vcc_lo, s89, v4
	v_sub_co_ci_u32_e32 v9, vcc_lo, s69, v5, vcc_lo
	s_mov_b32 s4, 0
	s_mov_b32 s5, exec_lo
                                        ; implicit-def: $vgpr6_vgpr7
	s_delay_alu instid0(VALU_DEP_1)
	v_cmpx_gt_u64_e64 v[8:9], v[0:1]
	s_cbranch_execz .LBB118_231
; %bb.223:                              ;   in Loop: Header=BB118_33 Depth=1
	v_dual_mov_b32 v11, v1 :: v_dual_mov_b32 v10, v0
	s_mov_b32 s15, 0
                                        ; implicit-def: $sgpr14
	s_branch .LBB118_225
.LBB118_224:                            ;   in Loop: Header=BB118_225 Depth=2
	s_or_b32 exec_lo, exec_lo, s4
	s_waitcnt vmcnt(0) lgkmcnt(0)
	s_barrier
	buffer_gl0_inv
	ds_load_b128 v[4:7], v19 offset:3072
	v_add_co_u32 v10, s4, v10, s35
	s_delay_alu instid0(VALU_DEP_1)
	v_add_co_ci_u32_e64 v11, s4, 0, v11, s4
	s_waitcnt lgkmcnt(0)
	s_barrier
	buffer_gl0_inv
	v_cmp_ge_u64_e64 s4, v[10:11], v[8:9]
	v_cmp_neq_f64_e32 vcc_lo, 0, v[4:5]
	s_delay_alu instid0(VALU_DEP_2) | instskip(NEXT) | instid1(SALU_CYCLE_1)
	s_or_b32 s4, s4, vcc_lo
	s_and_b32 s4, exec_lo, s4
	s_delay_alu instid0(SALU_CYCLE_1) | instskip(SKIP_2) | instid1(SALU_CYCLE_1)
	s_or_b32 s15, s4, s15
	s_and_not1_b32 s4, s14, exec_lo
	s_and_b32 s14, vcc_lo, exec_lo
	s_or_b32 s14, s4, s14
	s_and_not1_b32 exec_lo, exec_lo, s15
	s_cbranch_execz .LBB118_230
.LBB118_225:                            ;   Parent Loop BB118_33 Depth=1
                                        ; =>  This Inner Loop Header: Depth=2
	s_delay_alu instid0(VALU_DEP_1)
	v_cmp_gt_u64_e32 vcc_lo, s[24:25], v[10:11]
	v_mov_b32_e32 v4, 0
	v_mov_b32_e32 v5, 0
	s_and_saveexec_b32 s16, vcc_lo
	s_cbranch_execz .LBB118_227
; %bb.226:                              ;   in Loop: Header=BB118_225 Depth=2
	v_mul_lo_u32 v2, v11, s50
	v_mul_lo_u32 v6, v10, s51
	v_mad_u64_u32 v[4:5], null, v10, s50, 0
	s_delay_alu instid0(VALU_DEP_1) | instskip(NEXT) | instid1(VALU_DEP_1)
	v_add3_u32 v5, v5, v6, v2
	v_lshlrev_b64 v[4:5], 3, v[4:5]
	s_delay_alu instid0(VALU_DEP_1) | instskip(NEXT) | instid1(VALU_DEP_1)
	v_add_co_u32 v4, s4, s27, v4
	v_add_co_ci_u32_e64 v5, s4, s33, v5, s4
	global_load_b64 v[4:5], v[4:5], off
.LBB118_227:                            ;   in Loop: Header=BB118_225 Depth=2
	s_or_b32 exec_lo, exec_lo, s16
	s_and_saveexec_b32 s4, vcc_lo
	s_cbranch_execz .LBB118_224
; %bb.228:                              ;   in Loop: Header=BB118_225 Depth=2
	s_waitcnt vmcnt(0)
	v_cmp_o_f64_e32 vcc_lo, v[4:5], v[4:5]
	v_ashrrev_i32_e32 v2, 31, v5
	s_delay_alu instid0(VALU_DEP_1) | instskip(SKIP_1) | instid1(VALU_DEP_2)
	v_or_b32_e32 v6, 0x80000000, v2
	v_xor_b32_e32 v2, v2, v4
	v_xor_b32_e32 v6, v6, v5
	s_delay_alu instid0(VALU_DEP_1) | instskip(NEXT) | instid1(VALU_DEP_3)
	v_cndmask_b32_e32 v6, -1, v6, vcc_lo
	v_cndmask_b32_e32 v2, -1, v2, vcc_lo
	s_delay_alu instid0(VALU_DEP_2) | instskip(NEXT) | instid1(VALU_DEP_2)
	v_and_b32_e32 v7, s75, v6
	v_and_b32_e32 v6, s74, v2
	s_delay_alu instid0(VALU_DEP_1)
	v_cmp_eq_u64_e32 vcc_lo, s[72:73], v[6:7]
	s_and_b32 exec_lo, exec_lo, vcc_lo
	s_cbranch_execz .LBB118_224
; %bb.229:                              ;   in Loop: Header=BB118_225 Depth=2
	v_mov_b32_e32 v2, v19
	ds_store_b128 v19, v[2:5] offset:3072
	s_branch .LBB118_224
.LBB118_230:                            ;   in Loop: Header=BB118_33 Depth=1
	s_or_b32 exec_lo, exec_lo, s15
	s_delay_alu instid0(SALU_CYCLE_1)
	s_and_b32 s4, s14, exec_lo
.LBB118_231:                            ;   in Loop: Header=BB118_33 Depth=1
	s_or_b32 exec_lo, exec_lo, s5
	s_mov_b32 s76, -1
	s_mov_b32 s16, 0
	s_mov_b32 s17, 0
.LBB118_232:                            ;   in Loop: Header=BB118_33 Depth=1
	s_mov_b32 s5, 0
                                        ; implicit-def: $sgpr68
	s_and_saveexec_b32 s77, s4
	s_cbranch_execz .LBB118_294
; %bb.233:                              ;   in Loop: Header=BB118_33 Depth=1
	s_xor_b32 s4, s78, -1
	s_mov_b32 s68, 1
	s_and_not1_b32 vcc_lo, exec_lo, s4
	s_cbranch_vccnz .LBB118_244
; %bb.234:                              ;   in Loop: Header=BB118_33 Depth=1
	v_cmp_gt_u64_e64 s4, s[64:65], s[10:11]
	s_mov_b32 s58, -1
                                        ; implicit-def: $sgpr68
                                        ; implicit-def: $sgpr14_sgpr15
	s_delay_alu instid0(VALU_DEP_1)
	s_and_b32 vcc_lo, exec_lo, s4
                                        ; implicit-def: $sgpr4_sgpr5
	s_cbranch_vccnz .LBB118_240
; %bb.235:                              ;   in Loop: Header=BB118_33 Depth=1
	ds_load_b64 v[4:5], v19 offset:5120
	s_waitcnt lgkmcnt(0)
	v_cmp_ne_u64_e32 vcc_lo, 0, v[4:5]
	s_cbranch_vccnz .LBB118_239
; %bb.236:                              ;   in Loop: Header=BB118_33 Depth=1
	s_and_saveexec_b32 s4, s3
	s_cbranch_execz .LBB118_238
; %bb.237:                              ;   in Loop: Header=BB118_33 Depth=1
	v_dual_mov_b32 v4, s10 :: v_dual_mov_b32 v5, s11
	ds_store_b64 v19, v[4:5] offset:5128
.LBB118_238:                            ;   in Loop: Header=BB118_33 Depth=1
	s_or_b32 exec_lo, exec_lo, s4
	s_waitcnt lgkmcnt(0)
	s_barrier
	buffer_gl0_inv
.LBB118_239:                            ;   in Loop: Header=BB118_33 Depth=1
	s_lshl_b64 s[4:5], 2, s21
	s_and_b64 s[12:13], s[72:73], s[12:13]
	s_or_b64 s[14:15], s[74:75], s[8:9]
	s_or_b64 s[4:5], s[12:13], s[4:5]
	s_mov_b32 s58, 0
	s_mov_b32 s68, 8
.LBB118_240:                            ;   in Loop: Header=BB118_33 Depth=1
	s_and_not1_b32 vcc_lo, exec_lo, s58
	s_cbranch_vccnz .LBB118_242
; %bb.241:                              ;   in Loop: Header=BB118_33 Depth=1
	s_sub_u32 s64, s64, s10
	s_subb_u32 s65, s65, s11
	s_mov_b32 s58, -1
	s_mov_b32 s68, 0
	s_mov_b64 s[4:5], s[72:73]
	s_mov_b64 s[14:15], s[74:75]
.LBB118_242:                            ;   in Loop: Header=BB118_33 Depth=1
	s_delay_alu instid0(SALU_CYCLE_1)
	s_mov_b64 s[74:75], s[14:15]
	s_mov_b64 s[72:73], s[4:5]
	s_and_not1_b32 vcc_lo, exec_lo, s58
	s_mov_b32 s10, -1
	s_cbranch_vccz .LBB118_245
.LBB118_243:                            ;   in Loop: Header=BB118_33 Depth=1
                                        ; implicit-def: $sgpr13
                                        ; implicit-def: $sgpr15
                                        ; implicit-def: $sgpr14
	s_branch .LBB118_293
.LBB118_244:                            ;   in Loop: Header=BB118_33 Depth=1
	s_mov_b64 s[64:65], 1
	s_mov_b32 s10, -1
	s_cbranch_execnz .LBB118_243
.LBB118_245:                            ;   in Loop: Header=BB118_33 Depth=1
	s_cmp_eq_u64 s[6:7], 1
	s_mov_b32 s21, -1
	s_cselect_b32 s4, -1, 0
	s_cmp_eq_u64 s[64:65], 1
	s_cselect_b32 s5, -1, 0
	s_delay_alu instid0(SALU_CYCLE_1) | instskip(NEXT) | instid1(SALU_CYCLE_1)
	s_and_b32 s12, s4, s5
	s_and_b32 vcc_lo, exec_lo, s12
	s_cbranch_vccz .LBB118_260
; %bb.246:                              ;   in Loop: Header=BB118_33 Depth=1
	ds_load_b64 v[4:5], v19 offset:5120
	s_waitcnt lgkmcnt(0)
	s_barrier
	buffer_gl0_inv
	v_readfirstlane_b32 s10, v4
	v_readfirstlane_b32 s11, v5
	s_and_saveexec_b32 s4, s0
	s_cbranch_execz .LBB118_248
; %bb.247:                              ;   in Loop: Header=BB118_33 Depth=1
	v_mov_b32_e32 v18, v19
	ds_store_b64 v28, v[18:19]
.LBB118_248:                            ;   in Loop: Header=BB118_33 Depth=1
	s_or_b32 exec_lo, exec_lo, s4
	s_or_b64 s[72:73], s[72:73], s[8:9]
	s_or_b64 s[74:75], s[74:75], s[8:9]
	s_cmp_eq_u64 s[10:11], 0
	s_waitcnt lgkmcnt(0)
	s_barrier
	buffer_gl0_inv
	s_cbranch_scc1 .LBB118_263
; %bb.249:                              ;   in Loop: Header=BB118_33 Depth=1
	s_add_u32 s13, s87, s10
	s_addc_u32 s5, s88, s11
	s_mov_b32 s4, s67
	s_delay_alu instid0(SALU_CYCLE_1)
	s_cmp_lg_u64 s[4:5], 0
	s_cbranch_scc0 .LBB118_299
; %bb.250:                              ;   in Loop: Header=BB118_33 Depth=1
	v_cvt_f32_u32_e32 v2, s35
	s_sub_u32 s15, 0, s35
	s_subb_u32 s21, 0, 0
	s_delay_alu instid0(VALU_DEP_1) | instskip(NEXT) | instid1(VALU_DEP_1)
	v_fmac_f32_e64 v2, 0, 0x4f800000
	v_rcp_f32_e32 v2, v2
	s_waitcnt_depctr 0xfff
	v_mul_f32_e32 v2, 0x5f7ffffc, v2
	s_delay_alu instid0(VALU_DEP_1) | instskip(NEXT) | instid1(VALU_DEP_1)
	v_mul_f32_e32 v4, 0x2f800000, v2
	v_trunc_f32_e32 v4, v4
	s_delay_alu instid0(VALU_DEP_1) | instskip(SKIP_1) | instid1(VALU_DEP_2)
	v_fmac_f32_e32 v2, 0xcf800000, v4
	v_cvt_u32_f32_e32 v4, v4
	v_cvt_u32_f32_e32 v2, v2
	s_delay_alu instid0(VALU_DEP_2) | instskip(NEXT) | instid1(VALU_DEP_2)
	v_readfirstlane_b32 s4, v4
	v_readfirstlane_b32 s14, v2
	s_delay_alu instid0(VALU_DEP_2) | instskip(NEXT) | instid1(VALU_DEP_1)
	s_mul_i32 s58, s15, s4
	s_mul_hi_u32 s68, s15, s14
	s_mul_i32 s59, s21, s14
	s_add_i32 s58, s68, s58
	s_mul_i32 s78, s15, s14
	s_add_i32 s58, s58, s59
	s_mul_hi_u32 s68, s14, s78
	s_mul_hi_u32 s79, s4, s78
	s_mul_i32 s59, s4, s78
	s_mul_hi_u32 s78, s14, s58
	s_mul_i32 s14, s14, s58
	s_mul_hi_u32 s80, s4, s58
	s_add_u32 s14, s68, s14
	s_addc_u32 s68, 0, s78
	s_add_u32 s14, s14, s59
	s_mul_i32 s58, s4, s58
	s_addc_u32 s14, s68, s79
	s_addc_u32 s59, s80, 0
	s_add_u32 s14, s14, s58
	s_addc_u32 s58, 0, s59
	v_add_co_u32 v2, s14, v2, s14
	s_delay_alu instid0(VALU_DEP_1) | instskip(SKIP_1) | instid1(VALU_DEP_1)
	s_cmp_lg_u32 s14, 0
	s_addc_u32 s4, s4, s58
	v_readfirstlane_b32 s14, v2
	s_mul_i32 s58, s15, s4
	s_delay_alu instid0(VALU_DEP_1)
	s_mul_hi_u32 s59, s15, s14
	s_mul_i32 s21, s21, s14
	s_add_i32 s58, s59, s58
	s_mul_i32 s15, s15, s14
	s_add_i32 s58, s58, s21
	s_mul_hi_u32 s59, s4, s15
	s_mul_i32 s68, s4, s15
	s_mul_hi_u32 s15, s14, s15
	s_mul_hi_u32 s78, s14, s58
	s_mul_i32 s14, s14, s58
	s_mul_hi_u32 s21, s4, s58
	s_add_u32 s14, s15, s14
	s_addc_u32 s15, 0, s78
	s_add_u32 s14, s14, s68
	s_mul_i32 s58, s4, s58
	s_addc_u32 s14, s15, s59
	s_addc_u32 s15, s21, 0
	s_add_u32 s14, s14, s58
	s_addc_u32 s15, 0, s15
	v_add_co_u32 v2, s14, v2, s14
	s_delay_alu instid0(VALU_DEP_1) | instskip(SKIP_1) | instid1(VALU_DEP_1)
	s_cmp_lg_u32 s14, 0
	s_addc_u32 s4, s4, s15
	v_readfirstlane_b32 s14, v2
	s_mul_i32 s21, s13, s4
	s_mul_hi_u32 s15, s13, s4
	s_mul_hi_u32 s58, s5, s4
	s_mul_i32 s4, s5, s4
	s_mul_hi_u32 s59, s13, s14
	s_mul_hi_u32 s68, s5, s14
	s_mul_i32 s14, s5, s14
	s_add_u32 s21, s59, s21
	s_addc_u32 s15, 0, s15
	s_add_u32 s14, s21, s14
	s_addc_u32 s14, s15, s68
	s_addc_u32 s15, s58, 0
	s_add_u32 s4, s14, s4
	s_addc_u32 s14, 0, s15
	s_mul_hi_u32 s15, s35, s4
	s_mul_i32 s4, s35, s4
	s_mul_i32 s14, s35, s14
	v_sub_co_u32 v2, s4, s13, s4
	s_add_i32 s15, s15, s14
	s_cmp_lg_u32 s4, 0
	s_delay_alu instid0(VALU_DEP_1) | instskip(SKIP_2) | instid1(VALU_DEP_1)
	v_sub_co_u32 v4, s4, v2, s35
	s_subb_u32 s14, s5, s15
	s_cmp_lg_u32 s4, 0
	v_cmp_le_u32_e32 vcc_lo, s35, v4
	v_sub_co_u32 v5, s4, v4, s35
	s_subb_u32 s15, s14, 0
	s_cmp_lg_u32 s4, 0
	v_cndmask_b32_e64 v6, 0, -1, vcc_lo
	s_subb_u32 s4, s15, 0
	s_cmp_eq_u32 s15, 0
	v_mov_b32_e32 v8, s4
	s_cselect_b32 vcc_lo, -1, 0
	s_cmp_eq_u32 s14, 0
	v_cndmask_b32_e32 v6, -1, v6, vcc_lo
	v_cmp_le_u32_e32 vcc_lo, s35, v2
	s_cselect_b32 s4, -1, 0
	v_cndmask_b32_e64 v7, 0, -1, vcc_lo
	s_delay_alu instid0(VALU_DEP_3) | instskip(NEXT) | instid1(VALU_DEP_2)
	v_cmp_ne_u32_e32 vcc_lo, 0, v6
	v_cndmask_b32_e64 v6, -1, v7, s4
	v_cndmask_b32_e32 v7, s15, v8, vcc_lo
	v_cndmask_b32_e32 v4, v4, v5, vcc_lo
	s_delay_alu instid0(VALU_DEP_3) | instskip(NEXT) | instid1(VALU_DEP_3)
	v_cmp_ne_u32_e32 vcc_lo, 0, v6
	v_cndmask_b32_e32 v5, s14, v7, vcc_lo
	s_delay_alu instid0(VALU_DEP_3)
	v_cndmask_b32_e32 v4, v2, v4, vcc_lo
	s_cbranch_execnz .LBB118_252
.LBB118_251:                            ;   in Loop: Header=BB118_33 Depth=1
	v_cvt_f32_u32_e32 v2, s35
	s_sub_i32 s4, 0, s35
	s_delay_alu instid0(VALU_DEP_1) | instskip(SKIP_2) | instid1(VALU_DEP_1)
	v_rcp_iflag_f32_e32 v2, v2
	s_waitcnt_depctr 0xfff
	v_mul_f32_e32 v2, 0x4f7ffffe, v2
	v_cvt_u32_f32_e32 v2, v2
	s_delay_alu instid0(VALU_DEP_1) | instskip(NEXT) | instid1(VALU_DEP_1)
	v_mul_lo_u32 v4, s4, v2
	v_mul_hi_u32 v4, v2, v4
	s_delay_alu instid0(VALU_DEP_1) | instskip(NEXT) | instid1(VALU_DEP_1)
	v_add_nc_u32_e32 v2, v2, v4
	v_mul_hi_u32 v2, s13, v2
	s_delay_alu instid0(VALU_DEP_1) | instskip(NEXT) | instid1(VALU_DEP_1)
	v_mul_lo_u32 v2, v2, s35
	v_sub_nc_u32_e32 v2, s13, v2
	s_delay_alu instid0(VALU_DEP_1) | instskip(SKIP_1) | instid1(VALU_DEP_2)
	v_subrev_nc_u32_e32 v4, s35, v2
	v_cmp_le_u32_e32 vcc_lo, s35, v2
	v_cndmask_b32_e32 v2, v2, v4, vcc_lo
	s_delay_alu instid0(VALU_DEP_1) | instskip(SKIP_1) | instid1(VALU_DEP_2)
	v_subrev_nc_u32_e32 v4, s35, v2
	v_cmp_le_u32_e32 vcc_lo, s35, v2
	v_cndmask_b32_e32 v18, v2, v4, vcc_lo
	s_delay_alu instid0(VALU_DEP_1)
	v_dual_mov_b32 v4, v18 :: v_dual_mov_b32 v5, v19
.LBB118_252:                            ;   in Loop: Header=BB118_33 Depth=1
	s_delay_alu instid0(VALU_DEP_1) | instskip(NEXT) | instid1(VALU_DEP_2)
	v_sub_co_u32 v8, vcc_lo, s13, v4
	v_sub_co_ci_u32_e32 v9, vcc_lo, s5, v5, vcc_lo
	s_mov_b32 s21, 0
	s_mov_b32 s5, exec_lo
                                        ; implicit-def: $vgpr6_vgpr7
	s_delay_alu instid0(VALU_DEP_1)
	v_cmpx_gt_u64_e64 v[8:9], v[0:1]
	s_cbranch_execz .LBB118_265
; %bb.253:                              ;   in Loop: Header=BB118_33 Depth=1
	v_dual_mov_b32 v12, v27 :: v_dual_mov_b32 v11, v1
	v_mov_b32_e32 v10, v0
	s_mov_b32 s14, 0
                                        ; implicit-def: $sgpr13
	s_set_inst_prefetch_distance 0x1
	s_branch .LBB118_255
	.p2align	6
.LBB118_254:                            ;   in Loop: Header=BB118_255 Depth=2
	s_or_b32 exec_lo, exec_lo, s4
	s_waitcnt lgkmcnt(0)
	s_barrier
	buffer_gl0_inv
	ds_load_b128 v[4:7], v19 offset:3072
	v_add_co_u32 v10, s4, v10, s35
	s_delay_alu instid0(VALU_DEP_1) | instskip(SKIP_3) | instid1(VALU_DEP_2)
	v_add_co_ci_u32_e64 v11, s4, 0, v11, s4
	v_add_nc_u32_e32 v12, s95, v12
	s_waitcnt lgkmcnt(0)
	s_barrier
	v_cmp_ge_u64_e64 s4, v[10:11], v[8:9]
	buffer_gl0_inv
	v_cmp_neq_f64_e32 vcc_lo, 0, v[4:5]
	s_or_b32 s4, s4, vcc_lo
	s_delay_alu instid0(SALU_CYCLE_1) | instskip(NEXT) | instid1(SALU_CYCLE_1)
	s_and_b32 s4, exec_lo, s4
	s_or_b32 s14, s4, s14
	s_and_not1_b32 s4, s13, exec_lo
	s_and_b32 s13, vcc_lo, exec_lo
	s_delay_alu instid0(SALU_CYCLE_1)
	s_or_b32 s13, s4, s13
	s_and_not1_b32 exec_lo, exec_lo, s14
	s_cbranch_execz .LBB118_264
.LBB118_255:                            ;   Parent Loop BB118_33 Depth=1
                                        ; =>  This Inner Loop Header: Depth=2
	s_delay_alu instid0(VALU_DEP_1)
	v_cmp_gt_u64_e32 vcc_lo, s[10:11], v[10:11]
	v_mov_b32_e32 v4, 0
	v_mov_b32_e32 v5, 0
	s_and_saveexec_b32 s4, vcc_lo
	s_cbranch_execz .LBB118_257
; %bb.256:                              ;   in Loop: Header=BB118_255 Depth=2
	ds_load_b64 v[4:5], v12
.LBB118_257:                            ;   in Loop: Header=BB118_255 Depth=2
	s_or_b32 exec_lo, exec_lo, s4
	s_and_saveexec_b32 s4, vcc_lo
	s_cbranch_execz .LBB118_254
; %bb.258:                              ;   in Loop: Header=BB118_255 Depth=2
	s_waitcnt lgkmcnt(0)
	v_cmp_o_f64_e32 vcc_lo, v[4:5], v[4:5]
	v_ashrrev_i32_e32 v2, 31, v5
	s_delay_alu instid0(VALU_DEP_1) | instskip(SKIP_1) | instid1(VALU_DEP_2)
	v_or_b32_e32 v6, 0x80000000, v2
	v_xor_b32_e32 v2, v2, v4
	v_xor_b32_e32 v6, v6, v5
	s_delay_alu instid0(VALU_DEP_1) | instskip(NEXT) | instid1(VALU_DEP_3)
	v_cndmask_b32_e32 v6, -1, v6, vcc_lo
	v_cndmask_b32_e32 v2, -1, v2, vcc_lo
	s_delay_alu instid0(VALU_DEP_2) | instskip(NEXT) | instid1(VALU_DEP_2)
	v_and_b32_e32 v7, s75, v6
	v_and_b32_e32 v6, s74, v2
	s_delay_alu instid0(VALU_DEP_1)
	v_cmp_eq_u64_e32 vcc_lo, s[72:73], v[6:7]
	s_and_b32 exec_lo, exec_lo, vcc_lo
	s_cbranch_execz .LBB118_254
; %bb.259:                              ;   in Loop: Header=BB118_255 Depth=2
	v_mov_b32_e32 v2, v19
	ds_store_b128 v19, v[2:5] offset:3072
	s_branch .LBB118_254
.LBB118_260:                            ;   in Loop: Header=BB118_33 Depth=1
                                        ; implicit-def: $sgpr13
                                        ; implicit-def: $sgpr15
                                        ; implicit-def: $sgpr14
	s_branch .LBB118_279
.LBB118_261:                            ;   in Loop: Header=BB118_33 Depth=1
                                        ; implicit-def: $vgpr4_vgpr5
	s_branch .LBB118_204
.LBB118_262:                            ;   in Loop: Header=BB118_33 Depth=1
                                        ; implicit-def: $vgpr4_vgpr5
	s_branch .LBB118_221
.LBB118_263:                            ;   in Loop: Header=BB118_33 Depth=1
	s_mov_b32 s13, -1
	s_mov_b32 s21, 0
                                        ; implicit-def: $sgpr14
                                        ; implicit-def: $vgpr6_vgpr7
	s_mov_b32 s15, s13
	s_cbranch_execnz .LBB118_266
	s_branch .LBB118_279
.LBB118_264:                            ;   in Loop: Header=BB118_33 Depth=1
	s_set_inst_prefetch_distance 0x2
	s_or_b32 exec_lo, exec_lo, s14
	s_delay_alu instid0(SALU_CYCLE_1)
	s_and_b32 s21, s13, exec_lo
.LBB118_265:                            ;   in Loop: Header=BB118_33 Depth=1
	s_or_b32 exec_lo, exec_lo, s5
	s_mov_b32 s14, -1
	s_mov_b32 s13, 0
	s_delay_alu instid0(SALU_CYCLE_1)
	s_mov_b32 s15, s13
	s_branch .LBB118_279
.LBB118_266:                            ;   in Loop: Header=BB118_33 Depth=1
	s_mov_b32 s68, s67
	s_delay_alu instid0(SALU_CYCLE_1)
	s_cmp_lg_u64 s[68:69], 0
	s_cbranch_scc0 .LBB118_300
; %bb.267:                              ;   in Loop: Header=BB118_33 Depth=1
	v_cvt_f32_u32_e32 v2, s35
	s_sub_u32 s10, 0, s35
	s_subb_u32 s11, 0, 0
	s_delay_alu instid0(VALU_DEP_1) | instskip(NEXT) | instid1(VALU_DEP_1)
	v_fmac_f32_e64 v2, 0, 0x4f800000
	v_rcp_f32_e32 v2, v2
	s_waitcnt_depctr 0xfff
	v_mul_f32_e32 v2, 0x5f7ffffc, v2
	s_delay_alu instid0(VALU_DEP_1) | instskip(NEXT) | instid1(VALU_DEP_1)
	v_mul_f32_e32 v4, 0x2f800000, v2
	v_trunc_f32_e32 v4, v4
	s_delay_alu instid0(VALU_DEP_1) | instskip(SKIP_1) | instid1(VALU_DEP_2)
	v_fmac_f32_e32 v2, 0xcf800000, v4
	v_cvt_u32_f32_e32 v4, v4
	v_cvt_u32_f32_e32 v2, v2
	s_delay_alu instid0(VALU_DEP_2) | instskip(NEXT) | instid1(VALU_DEP_2)
	v_readfirstlane_b32 s4, v4
	v_readfirstlane_b32 s5, v2
	s_delay_alu instid0(VALU_DEP_2) | instskip(NEXT) | instid1(VALU_DEP_1)
	s_mul_i32 s13, s10, s4
	s_mul_hi_u32 s15, s10, s5
	s_mul_i32 s14, s11, s5
	s_add_i32 s13, s15, s13
	s_mul_i32 s21, s10, s5
	s_add_i32 s13, s13, s14
	s_mul_hi_u32 s15, s5, s21
	s_mul_hi_u32 s58, s4, s21
	s_mul_i32 s14, s4, s21
	s_mul_hi_u32 s21, s5, s13
	s_mul_i32 s5, s5, s13
	s_mul_hi_u32 s59, s4, s13
	s_add_u32 s5, s15, s5
	s_addc_u32 s15, 0, s21
	s_add_u32 s5, s5, s14
	s_mul_i32 s13, s4, s13
	s_addc_u32 s5, s15, s58
	s_addc_u32 s14, s59, 0
	s_add_u32 s5, s5, s13
	s_addc_u32 s13, 0, s14
	v_add_co_u32 v2, s5, v2, s5
	s_delay_alu instid0(VALU_DEP_1) | instskip(SKIP_1) | instid1(VALU_DEP_1)
	s_cmp_lg_u32 s5, 0
	s_addc_u32 s4, s4, s13
	v_readfirstlane_b32 s5, v2
	s_mul_i32 s13, s10, s4
	s_delay_alu instid0(VALU_DEP_1)
	s_mul_hi_u32 s14, s10, s5
	s_mul_i32 s11, s11, s5
	s_add_i32 s13, s14, s13
	s_mul_i32 s10, s10, s5
	s_add_i32 s13, s13, s11
	s_mul_hi_u32 s14, s4, s10
	s_mul_i32 s15, s4, s10
	s_mul_hi_u32 s10, s5, s10
	s_mul_hi_u32 s21, s5, s13
	s_mul_i32 s5, s5, s13
	s_mul_hi_u32 s11, s4, s13
	s_add_u32 s5, s10, s5
	s_addc_u32 s10, 0, s21
	s_add_u32 s5, s5, s15
	s_mul_i32 s13, s4, s13
	s_addc_u32 s5, s10, s14
	s_addc_u32 s10, s11, 0
	s_add_u32 s5, s5, s13
	s_addc_u32 s10, 0, s10
	v_add_co_u32 v2, s5, v2, s5
	s_delay_alu instid0(VALU_DEP_1) | instskip(SKIP_1) | instid1(VALU_DEP_1)
	s_cmp_lg_u32 s5, 0
	s_addc_u32 s4, s4, s10
	v_readfirstlane_b32 s5, v2
	s_mul_i32 s11, s89, s4
	s_mul_hi_u32 s10, s89, s4
	s_mul_hi_u32 s13, s69, s4
	s_mul_i32 s4, s69, s4
	s_mul_hi_u32 s14, s89, s5
	s_mul_hi_u32 s15, s69, s5
	s_mul_i32 s5, s69, s5
	s_add_u32 s11, s14, s11
	s_addc_u32 s10, 0, s10
	s_add_u32 s5, s11, s5
	s_addc_u32 s5, s10, s15
	s_addc_u32 s10, s13, 0
	s_add_u32 s4, s5, s4
	s_addc_u32 s5, 0, s10
	s_mul_hi_u32 s10, s35, s4
	s_mul_i32 s4, s35, s4
	s_mul_i32 s5, s35, s5
	v_sub_co_u32 v2, s4, s89, s4
	s_add_i32 s10, s10, s5
	s_cmp_lg_u32 s4, 0
	s_delay_alu instid0(VALU_DEP_1) | instskip(SKIP_2) | instid1(VALU_DEP_1)
	v_sub_co_u32 v4, s4, v2, s35
	s_subb_u32 s5, s69, s10
	s_cmp_lg_u32 s4, 0
	v_cmp_le_u32_e32 vcc_lo, s35, v4
	v_sub_co_u32 v5, s4, v4, s35
	s_subb_u32 s10, s5, 0
	s_cmp_lg_u32 s4, 0
	v_cndmask_b32_e64 v6, 0, -1, vcc_lo
	s_subb_u32 s4, s10, 0
	s_cmp_eq_u32 s10, 0
	v_mov_b32_e32 v8, s4
	s_cselect_b32 vcc_lo, -1, 0
	s_cmp_eq_u32 s5, 0
	v_cndmask_b32_e32 v6, -1, v6, vcc_lo
	v_cmp_le_u32_e32 vcc_lo, s35, v2
	s_cselect_b32 s4, -1, 0
	v_cndmask_b32_e64 v7, 0, -1, vcc_lo
	s_delay_alu instid0(VALU_DEP_3) | instskip(NEXT) | instid1(VALU_DEP_2)
	v_cmp_ne_u32_e32 vcc_lo, 0, v6
	v_cndmask_b32_e64 v6, -1, v7, s4
	v_cndmask_b32_e32 v7, s10, v8, vcc_lo
	v_cndmask_b32_e32 v4, v4, v5, vcc_lo
	s_delay_alu instid0(VALU_DEP_3) | instskip(NEXT) | instid1(VALU_DEP_3)
	v_cmp_ne_u32_e32 vcc_lo, 0, v6
	v_cndmask_b32_e32 v5, s5, v7, vcc_lo
	s_delay_alu instid0(VALU_DEP_3)
	v_cndmask_b32_e32 v4, v2, v4, vcc_lo
	s_cbranch_execnz .LBB118_269
.LBB118_268:                            ;   in Loop: Header=BB118_33 Depth=1
	v_cvt_f32_u32_e32 v2, s35
	s_sub_i32 s4, 0, s35
	s_delay_alu instid0(VALU_DEP_1) | instskip(SKIP_2) | instid1(VALU_DEP_1)
	v_rcp_iflag_f32_e32 v2, v2
	s_waitcnt_depctr 0xfff
	v_mul_f32_e32 v2, 0x4f7ffffe, v2
	v_cvt_u32_f32_e32 v2, v2
	s_delay_alu instid0(VALU_DEP_1) | instskip(NEXT) | instid1(VALU_DEP_1)
	v_mul_lo_u32 v4, s4, v2
	v_mul_hi_u32 v4, v2, v4
	s_delay_alu instid0(VALU_DEP_1) | instskip(NEXT) | instid1(VALU_DEP_1)
	v_add_nc_u32_e32 v2, v2, v4
	v_mul_hi_u32 v2, s89, v2
	s_delay_alu instid0(VALU_DEP_1) | instskip(NEXT) | instid1(VALU_DEP_1)
	v_mul_lo_u32 v2, v2, s35
	v_sub_nc_u32_e32 v2, s89, v2
	s_delay_alu instid0(VALU_DEP_1) | instskip(SKIP_1) | instid1(VALU_DEP_2)
	v_subrev_nc_u32_e32 v4, s35, v2
	v_cmp_le_u32_e32 vcc_lo, s35, v2
	v_cndmask_b32_e32 v2, v2, v4, vcc_lo
	s_delay_alu instid0(VALU_DEP_1) | instskip(SKIP_1) | instid1(VALU_DEP_2)
	v_subrev_nc_u32_e32 v4, s35, v2
	v_cmp_le_u32_e32 vcc_lo, s35, v2
	v_cndmask_b32_e32 v18, v2, v4, vcc_lo
	s_delay_alu instid0(VALU_DEP_1)
	v_dual_mov_b32 v4, v18 :: v_dual_mov_b32 v5, v19
.LBB118_269:                            ;   in Loop: Header=BB118_33 Depth=1
	s_delay_alu instid0(VALU_DEP_1) | instskip(NEXT) | instid1(VALU_DEP_2)
	v_sub_co_u32 v8, vcc_lo, s89, v4
	v_sub_co_ci_u32_e32 v9, vcc_lo, s69, v5, vcc_lo
	s_mov_b32 s21, 0
	s_mov_b32 s5, exec_lo
                                        ; implicit-def: $vgpr6_vgpr7
	s_delay_alu instid0(VALU_DEP_1)
	v_cmpx_gt_u64_e64 v[8:9], v[0:1]
	s_cbranch_execz .LBB118_278
; %bb.270:                              ;   in Loop: Header=BB118_33 Depth=1
	v_dual_mov_b32 v11, v1 :: v_dual_mov_b32 v10, v0
	s_mov_b32 s11, 0
                                        ; implicit-def: $sgpr10
	s_branch .LBB118_272
.LBB118_271:                            ;   in Loop: Header=BB118_272 Depth=2
	s_or_b32 exec_lo, exec_lo, s4
	s_waitcnt vmcnt(0) lgkmcnt(0)
	s_barrier
	buffer_gl0_inv
	ds_load_b128 v[4:7], v19 offset:3072
	v_add_co_u32 v10, s4, v10, s35
	s_delay_alu instid0(VALU_DEP_1)
	v_add_co_ci_u32_e64 v11, s4, 0, v11, s4
	s_waitcnt lgkmcnt(0)
	s_barrier
	buffer_gl0_inv
	v_cmp_ge_u64_e64 s4, v[10:11], v[8:9]
	v_cmp_neq_f64_e32 vcc_lo, 0, v[4:5]
	s_delay_alu instid0(VALU_DEP_2) | instskip(NEXT) | instid1(SALU_CYCLE_1)
	s_or_b32 s4, s4, vcc_lo
	s_and_b32 s4, exec_lo, s4
	s_delay_alu instid0(SALU_CYCLE_1) | instskip(SKIP_2) | instid1(SALU_CYCLE_1)
	s_or_b32 s11, s4, s11
	s_and_not1_b32 s4, s10, exec_lo
	s_and_b32 s10, vcc_lo, exec_lo
	s_or_b32 s10, s4, s10
	s_and_not1_b32 exec_lo, exec_lo, s11
	s_cbranch_execz .LBB118_277
.LBB118_272:                            ;   Parent Loop BB118_33 Depth=1
                                        ; =>  This Inner Loop Header: Depth=2
	s_delay_alu instid0(VALU_DEP_1)
	v_cmp_gt_u64_e32 vcc_lo, s[24:25], v[10:11]
	v_mov_b32_e32 v4, 0
	v_mov_b32_e32 v5, 0
	s_and_saveexec_b32 s13, vcc_lo
	s_cbranch_execz .LBB118_274
; %bb.273:                              ;   in Loop: Header=BB118_272 Depth=2
	v_mul_lo_u32 v2, v11, s50
	v_mul_lo_u32 v6, v10, s51
	v_mad_u64_u32 v[4:5], null, v10, s50, 0
	s_delay_alu instid0(VALU_DEP_1) | instskip(NEXT) | instid1(VALU_DEP_1)
	v_add3_u32 v5, v5, v6, v2
	v_lshlrev_b64 v[4:5], 3, v[4:5]
	s_delay_alu instid0(VALU_DEP_1) | instskip(NEXT) | instid1(VALU_DEP_1)
	v_add_co_u32 v4, s4, s27, v4
	v_add_co_ci_u32_e64 v5, s4, s33, v5, s4
	global_load_b64 v[4:5], v[4:5], off
.LBB118_274:                            ;   in Loop: Header=BB118_272 Depth=2
	s_or_b32 exec_lo, exec_lo, s13
	s_and_saveexec_b32 s4, vcc_lo
	s_cbranch_execz .LBB118_271
; %bb.275:                              ;   in Loop: Header=BB118_272 Depth=2
	s_waitcnt vmcnt(0)
	v_cmp_o_f64_e32 vcc_lo, v[4:5], v[4:5]
	v_ashrrev_i32_e32 v2, 31, v5
	s_delay_alu instid0(VALU_DEP_1) | instskip(SKIP_1) | instid1(VALU_DEP_2)
	v_or_b32_e32 v6, 0x80000000, v2
	v_xor_b32_e32 v2, v2, v4
	v_xor_b32_e32 v6, v6, v5
	s_delay_alu instid0(VALU_DEP_1) | instskip(NEXT) | instid1(VALU_DEP_3)
	v_cndmask_b32_e32 v6, -1, v6, vcc_lo
	v_cndmask_b32_e32 v2, -1, v2, vcc_lo
	s_delay_alu instid0(VALU_DEP_2) | instskip(NEXT) | instid1(VALU_DEP_2)
	v_and_b32_e32 v7, s75, v6
	v_and_b32_e32 v6, s74, v2
	s_delay_alu instid0(VALU_DEP_1)
	v_cmp_eq_u64_e32 vcc_lo, s[72:73], v[6:7]
	s_and_b32 exec_lo, exec_lo, vcc_lo
	s_cbranch_execz .LBB118_271
; %bb.276:                              ;   in Loop: Header=BB118_272 Depth=2
	v_mov_b32_e32 v2, v19
	ds_store_b128 v19, v[2:5] offset:3072
	s_branch .LBB118_271
.LBB118_277:                            ;   in Loop: Header=BB118_33 Depth=1
	s_or_b32 exec_lo, exec_lo, s11
	s_delay_alu instid0(SALU_CYCLE_1)
	s_and_b32 s21, s10, exec_lo
.LBB118_278:                            ;   in Loop: Header=BB118_33 Depth=1
	s_or_b32 exec_lo, exec_lo, s5
	s_mov_b32 s15, -1
	s_mov_b32 s13, 0
	s_mov_b32 s14, 0
.LBB118_279:                            ;   in Loop: Header=BB118_33 Depth=1
	s_mov_b32 s10, 0
                                        ; implicit-def: $sgpr68
                                        ; implicit-def: $sgpr4_sgpr5
	s_and_saveexec_b32 s58, s21
	s_cbranch_execz .LBB118_292
; %bb.280:                              ;   in Loop: Header=BB118_33 Depth=1
	s_xor_b32 s10, s12, -1
	s_mov_b64 s[4:5], 1
	s_and_not1_b32 vcc_lo, exec_lo, s10
	s_mov_b32 s68, 1
	s_cbranch_vccnz .LBB118_291
; %bb.281:                              ;   in Loop: Header=BB118_33 Depth=1
	v_cmp_gt_u64_e64 s4, s[64:65], s[6:7]
	s_delay_alu instid0(VALU_DEP_1)
	s_and_b32 vcc_lo, exec_lo, s4
	s_cbranch_vccnz .LBB118_287
; %bb.282:                              ;   in Loop: Header=BB118_33 Depth=1
	ds_load_b64 v[4:5], v19 offset:5120
	s_waitcnt lgkmcnt(0)
	v_cmp_ne_u64_e32 vcc_lo, 0, v[4:5]
	s_cbranch_vccnz .LBB118_286
; %bb.283:                              ;   in Loop: Header=BB118_33 Depth=1
	s_and_saveexec_b32 s4, s3
	s_cbranch_execz .LBB118_285
; %bb.284:                              ;   in Loop: Header=BB118_33 Depth=1
	v_dual_mov_b32 v4, s6 :: v_dual_mov_b32 v5, s7
	ds_store_b64 v19, v[4:5] offset:5128
.LBB118_285:                            ;   in Loop: Header=BB118_33 Depth=1
	s_or_b32 exec_lo, exec_lo, s4
	s_waitcnt lgkmcnt(0)
	s_barrier
	buffer_gl0_inv
.LBB118_286:                            ;   in Loop: Header=BB118_33 Depth=1
	s_or_b64 s[10:11], s[72:73], s[8:9]
	s_or_b64 s[8:9], s[74:75], s[8:9]
	s_mov_b32 s4, 0
	s_mov_b32 s68, 8
	s_branch .LBB118_288
.LBB118_287:                            ;   in Loop: Header=BB118_33 Depth=1
	s_mov_b32 s4, -1
                                        ; implicit-def: $sgpr68
                                        ; implicit-def: $sgpr10_sgpr11
                                        ; implicit-def: $sgpr8_sgpr9
.LBB118_288:                            ;   in Loop: Header=BB118_33 Depth=1
	s_delay_alu instid0(SALU_CYCLE_1)
	s_and_not1_b32 vcc_lo, exec_lo, s4
	s_cbranch_vccnz .LBB118_290
; %bb.289:                              ;   in Loop: Header=BB118_33 Depth=1
	s_sub_u32 s64, s64, s6
	s_subb_u32 s65, s65, s7
	s_mov_b32 s68, 8
	s_mov_b64 s[10:11], s[72:73]
	s_mov_b64 s[8:9], s[74:75]
.LBB118_290:                            ;   in Loop: Header=BB118_33 Depth=1
	s_mov_b64 s[4:5], s[64:65]
	s_mov_b64 s[72:73], s[10:11]
	;; [unrolled: 1-line block ×3, first 2 shown]
.LBB118_291:                            ;   in Loop: Header=BB118_33 Depth=1
	s_mov_b32 s10, exec_lo
.LBB118_292:                            ;   in Loop: Header=BB118_33 Depth=1
	s_or_b32 exec_lo, exec_lo, s58
	s_mov_b64 s[64:65], s[4:5]
.LBB118_293:                            ;   in Loop: Header=BB118_33 Depth=1
	s_and_not1_b32 s4, s16, exec_lo
	s_and_b32 s5, s13, exec_lo
	s_and_not1_b32 s6, s17, exec_lo
	s_or_b32 s16, s4, s5
	s_and_not1_b32 s4, s76, exec_lo
	s_and_b32 s5, s15, exec_lo
	s_and_b32 s7, s14, exec_lo
	s_or_b32 s76, s4, s5
	s_or_b32 s17, s6, s7
	s_and_b32 s5, s10, exec_lo
.LBB118_294:                            ;   in Loop: Header=BB118_33 Depth=1
	s_or_b32 exec_lo, exec_lo, s77
.LBB118_295:                            ;   in Loop: Header=BB118_33 Depth=1
	s_delay_alu instid0(SALU_CYCLE_1)
	s_and_not1_b32 s4, s22, exec_lo
	s_and_b32 s6, s16, exec_lo
	s_and_not1_b32 s7, s19, exec_lo
	s_or_b32 s22, s4, s6
	s_and_not1_b32 s4, s23, exec_lo
	s_and_b32 s6, s76, exec_lo
	s_and_b32 s8, s17, exec_lo
	s_or_b32 s23, s4, s6
	s_or_b32 s19, s7, s8
	s_and_b32 s5, s5, exec_lo
.LBB118_296:                            ;   in Loop: Header=BB118_33 Depth=1
	s_or_b32 exec_lo, exec_lo, s66
	s_and_saveexec_b32 s4, s5
	s_delay_alu instid0(SALU_CYCLE_1)
	s_xor_b32 s4, exec_lo, s4
	s_cbranch_execz .LBB118_31
.LBB118_297:                            ;   in Loop: Header=BB118_33 Depth=1
	s_and_b32 s5, s68, -9
	s_delay_alu instid0(SALU_CYCLE_1)
	s_cmp_eq_u32 s5, 0
	s_cbranch_scc1 .LBB118_29
; %bb.298:                              ;   in Loop: Header=BB118_33 Depth=1
	s_mov_b32 s5, -1
	s_mov_b32 s6, -1
                                        ; implicit-def: $sgpr74_sgpr75
                                        ; implicit-def: $sgpr64_sgpr65
                                        ; implicit-def: $sgpr100
                                        ; implicit-def: $sgpr103
	s_branch .LBB118_30
.LBB118_299:                            ;   in Loop: Header=BB118_33 Depth=1
                                        ; implicit-def: $vgpr4_vgpr5
	s_branch .LBB118_251
.LBB118_300:                            ;   in Loop: Header=BB118_33 Depth=1
                                        ; implicit-def: $vgpr4_vgpr5
	s_branch .LBB118_268
.LBB118_301:
	s_or_b32 exec_lo, exec_lo, s96
	s_xor_b32 s3, s99, -1
	s_xor_b32 s1, s97, -1
	;; [unrolled: 1-line block ×3, first 2 shown]
	s_mov_b32 s0, 0
	s_and_saveexec_b32 s5, s1
	s_delay_alu instid0(SALU_CYCLE_1)
	s_xor_b32 s1, exec_lo, s5
	s_cbranch_execz .LBB118_315
; %bb.302:
	s_and_saveexec_b32 s0, s3
	s_delay_alu instid0(SALU_CYCLE_1)
	s_xor_b32 s3, exec_lo, s0
	s_cbranch_execz .LBB118_313
; %bb.303:
	s_and_saveexec_b32 s0, s4
	s_delay_alu instid0(SALU_CYCLE_1)
	s_xor_b32 s0, exec_lo, s0
; %bb.304:
	v_lshrrev_b32_e32 v2, 31, v5
	s_delay_alu instid0(VALU_DEP_1) | instskip(NEXT) | instid1(VALU_DEP_1)
	v_add_co_u32 v2, s4, v2, -1
	v_add_co_ci_u32_e64 v3, null, 0, -1, s4
	s_delay_alu instid0(VALU_DEP_2) | instskip(NEXT) | instid1(VALU_DEP_2)
	v_xor_b32_e32 v6, v2, v4
	v_or_b32_e32 v3, 0x80000000, v3
	s_delay_alu instid0(VALU_DEP_1)
	v_xor_b32_e32 v7, v3, v5
; %bb.305:
	s_or_b32 exec_lo, exec_lo, s0
	s_mul_i32 s0, s52, s37
	s_mul_hi_u32 s4, s52, s36
	s_mul_i32 s5, s52, s36
	s_add_i32 s4, s4, s0
	s_sub_u32 s0, s54, s5
	s_subb_u32 s4, s55, s4
	s_mul_i32 s5, s0, s47
	s_mul_hi_u32 s6, s0, s46
	s_mul_i32 s4, s4, s46
	s_add_i32 s5, s6, s5
	s_mul_i32 s6, s52, s45
	s_mul_hi_u32 s7, s52, s44
	s_add_i32 s5, s5, s4
	s_mul_i32 s4, s0, s46
	s_add_i32 s7, s7, s6
	s_mul_i32 s0, s54, s39
	s_mul_hi_u32 s6, s54, s38
	s_mul_i32 s8, s54, s38
	s_add_i32 s0, s6, s0
	s_sub_u32 s8, s34, s8
	s_subb_u32 s0, 0, s0
	s_mul_i32 s9, s8, s61
	s_mul_hi_u32 s10, s8, s60
	s_mul_i32 s6, s52, s44
	s_add_i32 s9, s10, s9
	s_mul_i32 s0, s0, s60
	s_lshl_b64 s[6:7], s[6:7], 3
	s_add_i32 s9, s9, s0
	s_add_u32 s0, s62, s6
	s_addc_u32 s6, s63, s7
	s_lshl_b64 s[4:5], s[4:5], 3
	s_mul_i32 s8, s8, s60
	s_add_u32 s0, s0, s4
	s_addc_u32 s6, s6, s5
	s_lshl_b64 s[4:5], s[8:9], 3
	v_mov_b32_e32 v2, 0
	s_add_u32 s4, s0, s4
	s_addc_u32 s5, s6, s5
	global_store_b64 v2, v[6:7], s[4:5]
	s_and_saveexec_b32 s4, s2
	s_cbranch_execz .LBB118_312
; %bb.306:
	v_cmp_u_f64_e32 vcc_lo, v[6:7], v[6:7]
	s_mov_b32 s2, 0
                                        ; implicit-def: $sgpr5
                                        ; implicit-def: $sgpr8
                                        ; implicit-def: $sgpr7
	s_xor_b32 s6, vcc_lo, -1
	s_set_inst_prefetch_distance 0x1
	s_branch .LBB118_308
	.p2align	6
.LBB118_307:                            ;   in Loop: Header=BB118_308 Depth=1
	s_or_b32 exec_lo, exec_lo, s0
	s_delay_alu instid0(SALU_CYCLE_1) | instskip(NEXT) | instid1(SALU_CYCLE_1)
	s_and_b32 s0, exec_lo, s8
	s_or_b32 s2, s0, s2
	s_and_not1_b32 s0, s5, exec_lo
	s_and_b32 s5, s7, exec_lo
	s_delay_alu instid0(SALU_CYCLE_1)
	s_or_b32 s5, s0, s5
	s_and_not1_b32 exec_lo, exec_lo, s2
	s_cbranch_execz .LBB118_310
.LBB118_308:                            ; =>This Inner Loop Header: Depth=1
	v_dual_mov_b32 v3, v1 :: v_dual_mov_b32 v2, v0
	s_or_b32 s7, s7, exec_lo
	s_or_b32 s8, s8, exec_lo
	s_delay_alu instid0(VALU_DEP_1) | instskip(NEXT) | instid1(VALU_DEP_2)
	v_mul_lo_u32 v4, v3, s50
	v_mul_lo_u32 v5, v2, s51
	v_mad_u64_u32 v[0:1], null, v2, s50, 0
	s_delay_alu instid0(VALU_DEP_1) | instskip(NEXT) | instid1(VALU_DEP_1)
	v_add3_u32 v1, v1, v5, v4
	v_lshlrev_b64 v[0:1], 3, v[0:1]
	s_delay_alu instid0(VALU_DEP_1) | instskip(NEXT) | instid1(VALU_DEP_2)
	v_add_co_u32 v0, vcc_lo, s27, v0
	v_add_co_ci_u32_e32 v1, vcc_lo, s33, v1, vcc_lo
	global_load_b64 v[0:1], v[0:1], off
	s_waitcnt vmcnt(0)
	v_cmp_o_f64_e32 vcc_lo, v[0:1], v[0:1]
	v_cmp_neq_f64_e64 s0, v[0:1], v[6:7]
                                        ; implicit-def: $vgpr0_vgpr1
	s_or_b32 s9, vcc_lo, s6
	s_delay_alu instid0(VALU_DEP_1) | instid1(SALU_CYCLE_1)
	s_and_b32 s9, s0, s9
	s_delay_alu instid0(SALU_CYCLE_1)
	s_and_saveexec_b32 s0, s9
	s_cbranch_execz .LBB118_307
; %bb.309:                              ;   in Loop: Header=BB118_308 Depth=1
	v_add_co_u32 v0, vcc_lo, v2, s35
	v_add_co_ci_u32_e32 v1, vcc_lo, 0, v3, vcc_lo
	s_and_not1_b32 s8, s8, exec_lo
	s_and_not1_b32 s7, s7, exec_lo
	s_delay_alu instid0(VALU_DEP_1) | instskip(SKIP_1) | instid1(SALU_CYCLE_1)
	v_cmp_le_u64_e32 vcc_lo, s[24:25], v[0:1]
	s_and_b32 s9, vcc_lo, exec_lo
	s_or_b32 s8, s8, s9
	s_branch .LBB118_307
.LBB118_310:
	s_set_inst_prefetch_distance 0x2
	s_or_b32 exec_lo, exec_lo, s2
	s_and_saveexec_b32 s0, s5
	s_delay_alu instid0(SALU_CYCLE_1)
	s_xor_b32 s0, exec_lo, s0
	s_cbranch_execz .LBB118_312
; %bb.311:
	s_mul_i32 s0, s26, s29
	s_mul_hi_u32 s2, s26, s28
	s_mul_i32 s5, s26, s28
	s_add_i32 s2, s2, s0
	s_sub_u32 s0, s48, s5
	s_subb_u32 s2, s49, s2
	s_mul_i32 s5, s0, s43
	s_mul_hi_u32 s6, s0, s42
	s_mul_i32 s2, s2, s42
	s_add_i32 s5, s6, s5
	s_mul_i32 s6, s0, s42
	s_add_i32 s7, s5, s2
	s_mul_i32 s2, s26, s41
	s_mul_hi_u32 s5, s26, s40
	s_mul_i32 s0, s48, s31
	s_add_i32 s9, s5, s2
	s_mul_hi_u32 s2, s48, s30
	s_mul_i32 s5, s48, s30
	s_add_i32 s2, s2, s0
	s_sub_u32 s0, s34, s5
	s_subb_u32 s2, 0, s2
	s_mul_i32 s5, s0, s57
	s_mul_hi_u32 s10, s0, s56
	v_readlane_b32 s12, v35, 0
	s_mul_i32 s8, s26, s40
	v_readlane_b32 s13, v35, 1
	s_add_i32 s5, s10, s5
	s_mul_i32 s2, s2, s56
	s_lshl_b64 s[8:9], s[8:9], 3
	s_add_i32 s11, s5, s2
	s_add_u32 s2, s12, s8
	s_addc_u32 s5, s13, s9
	s_lshl_b64 s[6:7], s[6:7], 3
	s_mul_i32 s10, s0, s56
	s_add_u32 s0, s2, s6
	s_addc_u32 s2, s5, s7
	s_lshl_b64 s[6:7], s[10:11], 3
	v_mov_b32_e32 v0, 0
	s_add_u32 s6, s0, s6
	s_addc_u32 s7, s2, s7
	global_store_b64 v0, v[2:3], s[6:7]
.LBB118_312:
	s_or_b32 exec_lo, exec_lo, s4
.LBB118_313:
	s_or_saveexec_b32 s0, s3
	s_mov_b32 s2, 0
	s_xor_b32 exec_lo, exec_lo, s0
	s_cbranch_execnz .LBB118_321
.LBB118_314:
	s_or_b32 exec_lo, exec_lo, s0
	s_delay_alu instid0(SALU_CYCLE_1)
	s_and_b32 s0, s2, exec_lo
.LBB118_315:
	s_and_not1_saveexec_b32 s1, s1
	s_cbranch_execnz .LBB118_319
; %bb.316:
	s_or_b32 exec_lo, exec_lo, s1
	s_and_saveexec_b32 s1, s0
.LBB118_317:
	; divergent unreachable
.LBB118_318:
	s_nop 0
	s_sendmsg sendmsg(MSG_DEALLOC_VGPRS)
	s_endpgm
.LBB118_319:
	s_cbranch_execnz .LBB118_323
; %bb.320:
	s_or_b32 s0, s0, exec_lo
	s_or_b32 exec_lo, exec_lo, s1
	s_and_saveexec_b32 s1, s0
	s_cbranch_execnz .LBB118_317
	s_branch .LBB118_318
.LBB118_321:
	s_cbranch_execnz .LBB118_325
; %bb.322:
	s_mov_b32 s2, exec_lo
	s_branch .LBB118_314
.LBB118_323:
	s_trap 2
	s_sendmsg_rtn_b32 s0, sendmsg(MSG_RTN_GET_DOORBELL)
	s_mov_b32 ttmp2, m0
	s_waitcnt lgkmcnt(0)
	s_and_b32 s0, s0, 0x3ff
	s_delay_alu instid0(SALU_CYCLE_1) | instskip(NEXT) | instid1(SALU_CYCLE_1)
	s_bitset1_b32 s0, 10
	s_mov_b32 m0, s0
	s_sendmsg sendmsg(MSG_INTERRUPT)
	s_mov_b32 m0, ttmp2
.LBB118_324:                            ; =>This Inner Loop Header: Depth=1
	s_sethalt 5
	s_branch .LBB118_324
.LBB118_325:
	s_trap 2
	s_sendmsg_rtn_b32 s0, sendmsg(MSG_RTN_GET_DOORBELL)
	s_mov_b32 ttmp2, m0
	s_waitcnt lgkmcnt(0)
	s_and_b32 s0, s0, 0x3ff
	s_delay_alu instid0(SALU_CYCLE_1) | instskip(NEXT) | instid1(SALU_CYCLE_1)
	s_bitset1_b32 s0, 10
	s_mov_b32 m0, s0
	s_sendmsg sendmsg(MSG_INTERRUPT)
	s_mov_b32 m0, ttmp2
.LBB118_326:                            ; =>This Inner Loop Header: Depth=1
	s_sethalt 5
	s_branch .LBB118_326
	.section	.rodata,"a",@progbits
	.p2align	6, 0x0
	.amdhsa_kernel _ZN2at6native12_GLOBAL__N_112gatherMedianIdmLi3EEEvNS_4cuda6detail10TensorInfoIT_T0_EENS5_IlS7_EENS5_IKS6_S7_EES7_S7_S7_b
		.amdhsa_group_segment_fixed_size 5152
		.amdhsa_private_segment_fixed_size 0
		.amdhsa_kernarg_size 1536
		.amdhsa_user_sgpr_count 13
		.amdhsa_user_sgpr_dispatch_ptr 0
		.amdhsa_user_sgpr_queue_ptr 0
		.amdhsa_user_sgpr_kernarg_segment_ptr 1
		.amdhsa_user_sgpr_dispatch_id 0
		.amdhsa_user_sgpr_private_segment_size 0
		.amdhsa_wavefront_size32 1
		.amdhsa_uses_dynamic_stack 0
		.amdhsa_enable_private_segment 0
		.amdhsa_system_sgpr_workgroup_id_x 1
		.amdhsa_system_sgpr_workgroup_id_y 1
		.amdhsa_system_sgpr_workgroup_id_z 1
		.amdhsa_system_sgpr_workgroup_info 0
		.amdhsa_system_vgpr_workitem_id 0
		.amdhsa_next_free_vgpr 36
		.amdhsa_next_free_sgpr 105
		.amdhsa_reserve_vcc 1
		.amdhsa_float_round_mode_32 0
		.amdhsa_float_round_mode_16_64 0
		.amdhsa_float_denorm_mode_32 3
		.amdhsa_float_denorm_mode_16_64 3
		.amdhsa_dx10_clamp 1
		.amdhsa_ieee_mode 1
		.amdhsa_fp16_overflow 0
		.amdhsa_workgroup_processor_mode 1
		.amdhsa_memory_ordered 1
		.amdhsa_forward_progress 0
		.amdhsa_shared_vgpr_count 0
		.amdhsa_exception_fp_ieee_invalid_op 0
		.amdhsa_exception_fp_denorm_src 0
		.amdhsa_exception_fp_ieee_div_zero 0
		.amdhsa_exception_fp_ieee_overflow 0
		.amdhsa_exception_fp_ieee_underflow 0
		.amdhsa_exception_fp_ieee_inexact 0
		.amdhsa_exception_int_div_zero 0
	.end_amdhsa_kernel
	.section	.text._ZN2at6native12_GLOBAL__N_112gatherMedianIdmLi3EEEvNS_4cuda6detail10TensorInfoIT_T0_EENS5_IlS7_EENS5_IKS6_S7_EES7_S7_S7_b,"axG",@progbits,_ZN2at6native12_GLOBAL__N_112gatherMedianIdmLi3EEEvNS_4cuda6detail10TensorInfoIT_T0_EENS5_IlS7_EENS5_IKS6_S7_EES7_S7_S7_b,comdat
.Lfunc_end118:
	.size	_ZN2at6native12_GLOBAL__N_112gatherMedianIdmLi3EEEvNS_4cuda6detail10TensorInfoIT_T0_EENS5_IlS7_EENS5_IKS6_S7_EES7_S7_S7_b, .Lfunc_end118-_ZN2at6native12_GLOBAL__N_112gatherMedianIdmLi3EEEvNS_4cuda6detail10TensorInfoIT_T0_EENS5_IlS7_EENS5_IKS6_S7_EES7_S7_S7_b
                                        ; -- End function
	.section	.AMDGPU.csdata,"",@progbits
; Kernel info:
; codeLenInByte = 19064
; NumSgprs: 107
; NumVgprs: 36
; ScratchSize: 0
; MemoryBound: 0
; FloatMode: 240
; IeeeMode: 1
; LDSByteSize: 5152 bytes/workgroup (compile time only)
; SGPRBlocks: 13
; VGPRBlocks: 4
; NumSGPRsForWavesPerEU: 107
; NumVGPRsForWavesPerEU: 36
; Occupancy: 16
; WaveLimiterHint : 1
; COMPUTE_PGM_RSRC2:SCRATCH_EN: 0
; COMPUTE_PGM_RSRC2:USER_SGPR: 13
; COMPUTE_PGM_RSRC2:TRAP_HANDLER: 0
; COMPUTE_PGM_RSRC2:TGID_X_EN: 1
; COMPUTE_PGM_RSRC2:TGID_Y_EN: 1
; COMPUTE_PGM_RSRC2:TGID_Z_EN: 1
; COMPUTE_PGM_RSRC2:TIDIG_COMP_CNT: 0
	.section	.text._ZN2at6native12_GLOBAL__N_112gatherMedianIdmLin1EEEvNS_4cuda6detail10TensorInfoIT_T0_EENS5_IlS7_EENS5_IKS6_S7_EES7_S7_S7_b,"axG",@progbits,_ZN2at6native12_GLOBAL__N_112gatherMedianIdmLin1EEEvNS_4cuda6detail10TensorInfoIT_T0_EENS5_IlS7_EENS5_IKS6_S7_EES7_S7_S7_b,comdat
	.globl	_ZN2at6native12_GLOBAL__N_112gatherMedianIdmLin1EEEvNS_4cuda6detail10TensorInfoIT_T0_EENS5_IlS7_EENS5_IKS6_S7_EES7_S7_S7_b ; -- Begin function _ZN2at6native12_GLOBAL__N_112gatherMedianIdmLin1EEEvNS_4cuda6detail10TensorInfoIT_T0_EENS5_IlS7_EENS5_IKS6_S7_EES7_S7_S7_b
	.p2align	8
	.type	_ZN2at6native12_GLOBAL__N_112gatherMedianIdmLin1EEEvNS_4cuda6detail10TensorInfoIT_T0_EENS5_IlS7_EENS5_IKS6_S7_EES7_S7_S7_b,@function
_ZN2at6native12_GLOBAL__N_112gatherMedianIdmLin1EEEvNS_4cuda6detail10TensorInfoIT_T0_EENS5_IlS7_EENS5_IKS6_S7_EES7_S7_S7_b: ; @_ZN2at6native12_GLOBAL__N_112gatherMedianIdmLin1EEEvNS_4cuda6detail10TensorInfoIT_T0_EENS5_IlS7_EENS5_IKS6_S7_EES7_S7_S7_b
; %bb.0:
	s_clause 0x1
	s_load_b64 s[6:7], s[0:1], 0x500
	s_load_b128 s[24:27], s[0:1], 0x4e0
	s_add_u32 s8, s0, 0x500
	s_addc_u32 s9, s1, 0
	s_mov_b32 s3, 0
	s_waitcnt lgkmcnt(0)
	s_mul_i32 s2, s7, s15
	s_delay_alu instid0(SALU_CYCLE_1) | instskip(NEXT) | instid1(SALU_CYCLE_1)
	s_add_i32 s2, s2, s14
	s_mul_i32 s2, s2, s6
	s_delay_alu instid0(SALU_CYCLE_1) | instskip(NEXT) | instid1(SALU_CYCLE_1)
	s_add_i32 s2, s2, s13
	v_cmp_ge_u64_e64 s4, s[2:3], s[26:27]
	s_delay_alu instid0(VALU_DEP_1)
	s_and_b32 vcc_lo, exec_lo, s4
	s_cbranch_vccnz .LBB119_331
; %bb.1:
	s_clause 0x1
	s_load_b32 s5, s[0:1], 0x198
	s_load_b64 s[28:29], s[0:1], 0x4f0
	s_mov_b64 s[26:27], 0
	s_mov_b64 s[34:35], s[2:3]
	s_waitcnt lgkmcnt(0)
	s_cmp_lt_i32 s5, 2
	s_cbranch_scc1 .LBB119_9
; %bb.2:
	s_mov_b32 s4, 0
	s_add_i32 s10, s5, -1
	s_mov_b32 s11, s4
	s_add_i32 s7, s5, 1
	s_lshl_b64 s[10:11], s[10:11], 3
	s_mov_b64 s[14:15], s[2:3]
	s_add_u32 s5, s10, s0
	s_addc_u32 s11, s11, s1
	s_add_u32 s10, s5, 8
	s_addc_u32 s11, s11, 0
.LBB119_3:                              ; =>This Inner Loop Header: Depth=1
	s_load_b64 s[16:17], s[10:11], 0x0
                                        ; implicit-def: $sgpr34_sgpr35
	s_waitcnt lgkmcnt(0)
	s_or_b64 s[18:19], s[14:15], s[16:17]
	s_delay_alu instid0(SALU_CYCLE_1) | instskip(NEXT) | instid1(SALU_CYCLE_1)
	s_mov_b32 s5, s19
	s_cmp_lg_u64 s[4:5], 0
	s_mov_b32 s5, -1
	s_cbranch_scc0 .LBB119_5
; %bb.4:                                ;   in Loop: Header=BB119_3 Depth=1
	v_cvt_f32_u32_e32 v1, s16
	v_cvt_f32_u32_e32 v2, s17
	s_sub_u32 s18, 0, s16
	s_subb_u32 s19, 0, s17
	s_waitcnt_depctr 0xfff
	v_fmac_f32_e32 v1, 0x4f800000, v2
	s_delay_alu instid0(VALU_DEP_1) | instskip(SKIP_2) | instid1(VALU_DEP_1)
	v_rcp_f32_e32 v1, v1
	s_waitcnt_depctr 0xfff
	v_mul_f32_e32 v1, 0x5f7ffffc, v1
	v_mul_f32_e32 v2, 0x2f800000, v1
	s_delay_alu instid0(VALU_DEP_1) | instskip(NEXT) | instid1(VALU_DEP_1)
	v_trunc_f32_e32 v2, v2
	v_fmac_f32_e32 v1, 0xcf800000, v2
	v_cvt_u32_f32_e32 v2, v2
	s_delay_alu instid0(VALU_DEP_2) | instskip(NEXT) | instid1(VALU_DEP_2)
	v_cvt_u32_f32_e32 v1, v1
	v_readfirstlane_b32 s5, v2
	s_delay_alu instid0(VALU_DEP_2) | instskip(NEXT) | instid1(VALU_DEP_2)
	v_readfirstlane_b32 s12, v1
	s_mul_i32 s20, s18, s5
	s_delay_alu instid0(VALU_DEP_1)
	s_mul_hi_u32 s22, s18, s12
	s_mul_i32 s21, s19, s12
	s_add_i32 s20, s22, s20
	s_mul_i32 s23, s18, s12
	s_add_i32 s20, s20, s21
	s_mul_hi_u32 s22, s12, s23
	s_mul_hi_u32 s30, s5, s23
	s_mul_i32 s21, s5, s23
	s_mul_hi_u32 s23, s12, s20
	s_mul_i32 s12, s12, s20
	s_mul_hi_u32 s31, s5, s20
	s_add_u32 s12, s22, s12
	s_addc_u32 s22, 0, s23
	s_add_u32 s12, s12, s21
	s_mul_i32 s20, s5, s20
	s_addc_u32 s12, s22, s30
	s_addc_u32 s21, s31, 0
	s_add_u32 s12, s12, s20
	s_addc_u32 s20, 0, s21
	v_add_co_u32 v1, s12, v1, s12
	s_delay_alu instid0(VALU_DEP_1) | instskip(SKIP_1) | instid1(VALU_DEP_1)
	s_cmp_lg_u32 s12, 0
	s_addc_u32 s5, s5, s20
	v_readfirstlane_b32 s12, v1
	s_mul_i32 s20, s18, s5
	s_delay_alu instid0(VALU_DEP_1)
	s_mul_hi_u32 s21, s18, s12
	s_mul_i32 s19, s19, s12
	s_add_i32 s20, s21, s20
	s_mul_i32 s18, s18, s12
	s_add_i32 s20, s20, s19
	s_mul_hi_u32 s21, s5, s18
	s_mul_i32 s22, s5, s18
	s_mul_hi_u32 s18, s12, s18
	s_mul_hi_u32 s23, s12, s20
	s_mul_i32 s12, s12, s20
	s_mul_hi_u32 s19, s5, s20
	s_add_u32 s12, s18, s12
	s_addc_u32 s18, 0, s23
	s_add_u32 s12, s12, s22
	s_mul_i32 s20, s5, s20
	s_addc_u32 s12, s18, s21
	s_addc_u32 s18, s19, 0
	s_add_u32 s12, s12, s20
	s_addc_u32 s18, 0, s18
	v_add_co_u32 v1, s12, v1, s12
	s_delay_alu instid0(VALU_DEP_1) | instskip(SKIP_1) | instid1(VALU_DEP_1)
	s_cmp_lg_u32 s12, 0
	s_addc_u32 s5, s5, s18
	v_readfirstlane_b32 s12, v1
	s_mul_i32 s19, s14, s5
	s_mul_hi_u32 s18, s14, s5
	s_mul_hi_u32 s20, s15, s5
	s_mul_i32 s5, s15, s5
	s_mul_hi_u32 s21, s14, s12
	s_mul_hi_u32 s22, s15, s12
	s_mul_i32 s12, s15, s12
	s_add_u32 s19, s21, s19
	s_addc_u32 s18, 0, s18
	s_add_u32 s12, s19, s12
	s_addc_u32 s12, s18, s22
	s_addc_u32 s18, s20, 0
	s_add_u32 s12, s12, s5
	s_addc_u32 s18, 0, s18
	s_mul_hi_u32 s5, s16, s12
	s_mul_i32 s20, s16, s18
	s_mul_i32 s21, s16, s12
	s_add_i32 s5, s5, s20
	v_sub_co_u32 v1, s20, s14, s21
	s_mul_i32 s19, s17, s12
	s_delay_alu instid0(SALU_CYCLE_1) | instskip(NEXT) | instid1(VALU_DEP_1)
	s_add_i32 s5, s5, s19
	v_sub_co_u32 v2, s21, v1, s16
	s_sub_i32 s19, s15, s5
	s_cmp_lg_u32 s20, 0
	s_subb_u32 s19, s19, s17
	s_cmp_lg_u32 s21, 0
	v_readfirstlane_b32 s21, v2
	s_subb_u32 s19, s19, 0
	s_delay_alu instid0(SALU_CYCLE_1) | instskip(SKIP_1) | instid1(VALU_DEP_1)
	s_cmp_ge_u32 s19, s17
	s_cselect_b32 s22, -1, 0
	s_cmp_ge_u32 s21, s16
	s_cselect_b32 s21, -1, 0
	s_cmp_eq_u32 s19, s17
	s_cselect_b32 s19, s21, s22
	s_add_u32 s21, s12, 1
	s_addc_u32 s22, s18, 0
	s_add_u32 s23, s12, 2
	s_addc_u32 s30, s18, 0
	s_cmp_lg_u32 s19, 0
	s_cselect_b32 s19, s23, s21
	s_cselect_b32 s21, s30, s22
	s_cmp_lg_u32 s20, 0
	v_readfirstlane_b32 s20, v1
	s_subb_u32 s5, s15, s5
	s_delay_alu instid0(SALU_CYCLE_1) | instskip(SKIP_1) | instid1(VALU_DEP_1)
	s_cmp_ge_u32 s5, s17
	s_cselect_b32 s22, -1, 0
	s_cmp_ge_u32 s20, s16
	s_cselect_b32 s20, -1, 0
	s_cmp_eq_u32 s5, s17
	s_cselect_b32 s5, s20, s22
	s_delay_alu instid0(SALU_CYCLE_1)
	s_cmp_lg_u32 s5, 0
	s_mov_b32 s5, 0
	s_cselect_b32 s35, s21, s18
	s_cselect_b32 s34, s19, s12
.LBB119_5:                              ;   in Loop: Header=BB119_3 Depth=1
	s_and_not1_b32 vcc_lo, exec_lo, s5
	s_cbranch_vccnz .LBB119_7
; %bb.6:                                ;   in Loop: Header=BB119_3 Depth=1
	v_cvt_f32_u32_e32 v1, s16
	s_sub_i32 s12, 0, s16
	s_mov_b32 s35, s4
	s_waitcnt_depctr 0xfff
	v_rcp_iflag_f32_e32 v1, v1
	s_waitcnt_depctr 0xfff
	v_mul_f32_e32 v1, 0x4f7ffffe, v1
	s_delay_alu instid0(VALU_DEP_1) | instskip(NEXT) | instid1(VALU_DEP_1)
	v_cvt_u32_f32_e32 v1, v1
	v_readfirstlane_b32 s5, v1
	s_delay_alu instid0(VALU_DEP_1) | instskip(NEXT) | instid1(SALU_CYCLE_1)
	s_mul_i32 s12, s12, s5
	s_mul_hi_u32 s12, s5, s12
	s_delay_alu instid0(SALU_CYCLE_1) | instskip(NEXT) | instid1(SALU_CYCLE_1)
	s_add_i32 s5, s5, s12
	s_mul_hi_u32 s5, s14, s5
	s_delay_alu instid0(SALU_CYCLE_1) | instskip(SKIP_2) | instid1(SALU_CYCLE_1)
	s_mul_i32 s12, s5, s16
	s_add_i32 s18, s5, 1
	s_sub_i32 s12, s14, s12
	s_sub_i32 s19, s12, s16
	s_cmp_ge_u32 s12, s16
	s_cselect_b32 s5, s18, s5
	s_cselect_b32 s12, s19, s12
	s_add_i32 s18, s5, 1
	s_cmp_ge_u32 s12, s16
	s_cselect_b32 s34, s18, s5
.LBB119_7:                              ;   in Loop: Header=BB119_3 Depth=1
	s_load_b64 s[18:19], s[10:11], 0xc8
	s_mul_i32 s5, s34, s17
	s_mul_hi_u32 s12, s34, s16
	s_mul_i32 s17, s35, s16
	s_add_i32 s5, s12, s5
	s_mul_i32 s12, s34, s16
	s_add_i32 s5, s5, s17
	s_sub_u32 s12, s14, s12
	s_subb_u32 s5, s15, s5
	s_waitcnt lgkmcnt(0)
	s_mul_i32 s5, s18, s5
	s_mul_hi_u32 s14, s18, s12
	s_mul_i32 s15, s19, s12
	s_add_i32 s5, s14, s5
	s_mul_i32 s12, s18, s12
	s_add_i32 s5, s5, s15
	s_add_u32 s26, s12, s26
	s_addc_u32 s27, s5, s27
	s_add_i32 s7, s7, -1
	s_add_u32 s10, s10, -8
	s_addc_u32 s11, s11, -1
	s_cmp_gt_u32 s7, 2
	s_cbranch_scc0 .LBB119_9
; %bb.8:                                ;   in Loop: Header=BB119_3 Depth=1
	s_mov_b64 s[14:15], s[34:35]
	s_branch .LBB119_3
.LBB119_9:
	s_clause 0x1
	s_load_b32 s7, s[0:1], 0x338
	s_load_b64 s[36:37], s[0:1], 0xd0
	s_add_u32 s4, s0, 0x1a0
	s_addc_u32 s5, s1, 0
	s_mov_b64 s[30:31], 0
	s_mov_b64 s[38:39], s[2:3]
	s_waitcnt lgkmcnt(0)
	s_cmp_lt_i32 s7, 2
	s_cbranch_scc1 .LBB119_17
; %bb.10:
	s_mov_b32 s10, 0
	s_add_i32 s14, s7, -1
	s_mov_b32 s15, s10
	s_add_i32 s7, s7, 1
	s_lshl_b64 s[14:15], s[14:15], 3
	s_mov_b64 s[16:17], s[2:3]
	s_add_u32 s11, s14, s4
	s_addc_u32 s12, s15, s5
	s_add_u32 s14, s11, 8
	s_addc_u32 s15, s12, 0
.LBB119_11:                             ; =>This Inner Loop Header: Depth=1
	s_load_b64 s[18:19], s[14:15], 0x0
                                        ; implicit-def: $sgpr38_sgpr39
	s_waitcnt lgkmcnt(0)
	s_or_b64 s[20:21], s[16:17], s[18:19]
	s_delay_alu instid0(SALU_CYCLE_1) | instskip(NEXT) | instid1(SALU_CYCLE_1)
	s_mov_b32 s11, s21
	s_cmp_lg_u64 s[10:11], 0
	s_mov_b32 s11, -1
	s_cbranch_scc0 .LBB119_13
; %bb.12:                               ;   in Loop: Header=BB119_11 Depth=1
	v_cvt_f32_u32_e32 v1, s18
	v_cvt_f32_u32_e32 v2, s19
	s_sub_u32 s20, 0, s18
	s_subb_u32 s21, 0, s19
	s_waitcnt_depctr 0xfff
	v_fmac_f32_e32 v1, 0x4f800000, v2
	s_delay_alu instid0(VALU_DEP_1) | instskip(SKIP_2) | instid1(VALU_DEP_1)
	v_rcp_f32_e32 v1, v1
	s_waitcnt_depctr 0xfff
	v_mul_f32_e32 v1, 0x5f7ffffc, v1
	v_mul_f32_e32 v2, 0x2f800000, v1
	s_delay_alu instid0(VALU_DEP_1) | instskip(NEXT) | instid1(VALU_DEP_1)
	v_trunc_f32_e32 v2, v2
	v_fmac_f32_e32 v1, 0xcf800000, v2
	v_cvt_u32_f32_e32 v2, v2
	s_delay_alu instid0(VALU_DEP_2) | instskip(NEXT) | instid1(VALU_DEP_2)
	v_cvt_u32_f32_e32 v1, v1
	v_readfirstlane_b32 s11, v2
	s_delay_alu instid0(VALU_DEP_2) | instskip(NEXT) | instid1(VALU_DEP_2)
	v_readfirstlane_b32 s12, v1
	s_mul_i32 s22, s20, s11
	s_delay_alu instid0(VALU_DEP_1)
	s_mul_hi_u32 s33, s20, s12
	s_mul_i32 s23, s21, s12
	s_add_i32 s22, s33, s22
	s_mul_i32 s38, s20, s12
	s_add_i32 s22, s22, s23
	s_mul_hi_u32 s33, s12, s38
	s_mul_hi_u32 s39, s11, s38
	s_mul_i32 s23, s11, s38
	s_mul_hi_u32 s38, s12, s22
	s_mul_i32 s12, s12, s22
	s_mul_hi_u32 s40, s11, s22
	s_add_u32 s12, s33, s12
	s_addc_u32 s33, 0, s38
	s_add_u32 s12, s12, s23
	s_mul_i32 s22, s11, s22
	s_addc_u32 s12, s33, s39
	s_addc_u32 s23, s40, 0
	s_add_u32 s12, s12, s22
	s_addc_u32 s22, 0, s23
	v_add_co_u32 v1, s12, v1, s12
	s_delay_alu instid0(VALU_DEP_1) | instskip(SKIP_1) | instid1(VALU_DEP_1)
	s_cmp_lg_u32 s12, 0
	s_addc_u32 s11, s11, s22
	v_readfirstlane_b32 s12, v1
	s_mul_i32 s22, s20, s11
	s_delay_alu instid0(VALU_DEP_1)
	s_mul_hi_u32 s23, s20, s12
	s_mul_i32 s21, s21, s12
	s_add_i32 s22, s23, s22
	s_mul_i32 s20, s20, s12
	s_add_i32 s22, s22, s21
	s_mul_hi_u32 s23, s11, s20
	s_mul_i32 s33, s11, s20
	s_mul_hi_u32 s20, s12, s20
	s_mul_hi_u32 s38, s12, s22
	s_mul_i32 s12, s12, s22
	s_mul_hi_u32 s21, s11, s22
	s_add_u32 s12, s20, s12
	s_addc_u32 s20, 0, s38
	s_add_u32 s12, s12, s33
	s_mul_i32 s22, s11, s22
	s_addc_u32 s12, s20, s23
	s_addc_u32 s20, s21, 0
	s_add_u32 s12, s12, s22
	s_addc_u32 s20, 0, s20
	v_add_co_u32 v1, s12, v1, s12
	s_delay_alu instid0(VALU_DEP_1) | instskip(SKIP_1) | instid1(VALU_DEP_1)
	s_cmp_lg_u32 s12, 0
	s_addc_u32 s11, s11, s20
	v_readfirstlane_b32 s12, v1
	s_mul_i32 s21, s16, s11
	s_mul_hi_u32 s20, s16, s11
	s_mul_hi_u32 s22, s17, s11
	s_mul_i32 s11, s17, s11
	s_mul_hi_u32 s23, s16, s12
	s_mul_hi_u32 s33, s17, s12
	s_mul_i32 s12, s17, s12
	s_add_u32 s21, s23, s21
	s_addc_u32 s20, 0, s20
	s_add_u32 s12, s21, s12
	s_addc_u32 s12, s20, s33
	s_addc_u32 s20, s22, 0
	s_add_u32 s12, s12, s11
	s_addc_u32 s20, 0, s20
	s_mul_hi_u32 s11, s18, s12
	s_mul_i32 s22, s18, s20
	s_mul_i32 s23, s18, s12
	s_add_i32 s11, s11, s22
	v_sub_co_u32 v1, s22, s16, s23
	s_mul_i32 s21, s19, s12
	s_delay_alu instid0(SALU_CYCLE_1) | instskip(NEXT) | instid1(VALU_DEP_1)
	s_add_i32 s11, s11, s21
	v_sub_co_u32 v2, s23, v1, s18
	s_sub_i32 s21, s17, s11
	s_cmp_lg_u32 s22, 0
	s_subb_u32 s21, s21, s19
	s_cmp_lg_u32 s23, 0
	v_readfirstlane_b32 s23, v2
	s_subb_u32 s21, s21, 0
	s_delay_alu instid0(SALU_CYCLE_1) | instskip(SKIP_1) | instid1(VALU_DEP_1)
	s_cmp_ge_u32 s21, s19
	s_cselect_b32 s33, -1, 0
	s_cmp_ge_u32 s23, s18
	s_cselect_b32 s23, -1, 0
	s_cmp_eq_u32 s21, s19
	s_cselect_b32 s21, s23, s33
	s_add_u32 s23, s12, 1
	s_addc_u32 s33, s20, 0
	s_add_u32 s38, s12, 2
	s_addc_u32 s39, s20, 0
	s_cmp_lg_u32 s21, 0
	s_cselect_b32 s21, s38, s23
	s_cselect_b32 s23, s39, s33
	s_cmp_lg_u32 s22, 0
	v_readfirstlane_b32 s22, v1
	s_subb_u32 s11, s17, s11
	s_delay_alu instid0(SALU_CYCLE_1) | instskip(SKIP_1) | instid1(VALU_DEP_1)
	s_cmp_ge_u32 s11, s19
	s_cselect_b32 s33, -1, 0
	s_cmp_ge_u32 s22, s18
	s_cselect_b32 s22, -1, 0
	s_cmp_eq_u32 s11, s19
	s_cselect_b32 s11, s22, s33
	s_delay_alu instid0(SALU_CYCLE_1)
	s_cmp_lg_u32 s11, 0
	s_mov_b32 s11, 0
	s_cselect_b32 s39, s23, s20
	s_cselect_b32 s38, s21, s12
.LBB119_13:                             ;   in Loop: Header=BB119_11 Depth=1
	s_and_not1_b32 vcc_lo, exec_lo, s11
	s_cbranch_vccnz .LBB119_15
; %bb.14:                               ;   in Loop: Header=BB119_11 Depth=1
	v_cvt_f32_u32_e32 v1, s18
	s_sub_i32 s12, 0, s18
	s_mov_b32 s39, s10
	s_waitcnt_depctr 0xfff
	v_rcp_iflag_f32_e32 v1, v1
	s_waitcnt_depctr 0xfff
	v_mul_f32_e32 v1, 0x4f7ffffe, v1
	s_delay_alu instid0(VALU_DEP_1) | instskip(NEXT) | instid1(VALU_DEP_1)
	v_cvt_u32_f32_e32 v1, v1
	v_readfirstlane_b32 s11, v1
	s_delay_alu instid0(VALU_DEP_1) | instskip(NEXT) | instid1(SALU_CYCLE_1)
	s_mul_i32 s12, s12, s11
	s_mul_hi_u32 s12, s11, s12
	s_delay_alu instid0(SALU_CYCLE_1) | instskip(NEXT) | instid1(SALU_CYCLE_1)
	s_add_i32 s11, s11, s12
	s_mul_hi_u32 s11, s16, s11
	s_delay_alu instid0(SALU_CYCLE_1) | instskip(SKIP_2) | instid1(SALU_CYCLE_1)
	s_mul_i32 s12, s11, s18
	s_add_i32 s20, s11, 1
	s_sub_i32 s12, s16, s12
	s_sub_i32 s21, s12, s18
	s_cmp_ge_u32 s12, s18
	s_cselect_b32 s11, s20, s11
	s_cselect_b32 s12, s21, s12
	s_add_i32 s20, s11, 1
	s_cmp_ge_u32 s12, s18
	s_cselect_b32 s38, s20, s11
.LBB119_15:                             ;   in Loop: Header=BB119_11 Depth=1
	s_load_b64 s[20:21], s[14:15], 0xc8
	s_mul_i32 s11, s38, s19
	s_mul_hi_u32 s12, s38, s18
	s_mul_i32 s19, s39, s18
	s_add_i32 s11, s12, s11
	s_mul_i32 s12, s38, s18
	s_add_i32 s11, s11, s19
	s_sub_u32 s12, s16, s12
	s_subb_u32 s11, s17, s11
	s_waitcnt lgkmcnt(0)
	s_mul_i32 s11, s20, s11
	s_mul_hi_u32 s16, s20, s12
	s_mul_i32 s17, s21, s12
	s_add_i32 s11, s16, s11
	s_mul_i32 s12, s20, s12
	s_add_i32 s11, s11, s17
	s_add_u32 s30, s12, s30
	s_addc_u32 s31, s11, s31
	s_add_i32 s7, s7, -1
	s_add_u32 s14, s14, -8
	s_addc_u32 s15, s15, -1
	s_cmp_gt_u32 s7, 2
	s_cbranch_scc0 .LBB119_17
; %bb.16:                               ;   in Loop: Header=BB119_11 Depth=1
	s_mov_b64 s[16:17], s[38:39]
	s_branch .LBB119_11
.LBB119_17:
	s_clause 0x1
	s_load_b32 s7, s[0:1], 0x4d8
	s_load_b64 s[40:41], s[4:5], 0xd0
	s_add_u32 s11, s0, 0x340
	s_addc_u32 s12, s1, 0
	s_mov_b64 s[4:5], 0
	s_waitcnt lgkmcnt(0)
	s_cmp_lt_i32 s7, 2
	s_cbranch_scc1 .LBB119_25
; %bb.18:
	s_mov_b32 s10, 0
	s_add_i32 s4, s7, -1
	s_mov_b32 s5, s10
	s_add_i32 s7, s7, 1
	s_lshl_b64 s[4:5], s[4:5], 3
	s_delay_alu instid0(SALU_CYCLE_1)
	s_add_u32 s4, s4, s11
	s_addc_u32 s5, s5, s12
	s_add_u32 s14, s4, 8
	s_addc_u32 s15, s5, 0
	s_mov_b64 s[4:5], 0
.LBB119_19:                             ; =>This Inner Loop Header: Depth=1
	s_load_b64 s[16:17], s[14:15], 0x0
	s_waitcnt lgkmcnt(0)
	s_or_b64 s[18:19], s[2:3], s[16:17]
	s_delay_alu instid0(SALU_CYCLE_1) | instskip(NEXT) | instid1(SALU_CYCLE_1)
	s_mov_b32 s11, s19
                                        ; implicit-def: $sgpr18_sgpr19
	s_cmp_lg_u64 s[10:11], 0
	s_mov_b32 s11, -1
	s_cbranch_scc0 .LBB119_21
; %bb.20:                               ;   in Loop: Header=BB119_19 Depth=1
	v_cvt_f32_u32_e32 v1, s16
	v_cvt_f32_u32_e32 v2, s17
	s_sub_u32 s18, 0, s16
	s_subb_u32 s19, 0, s17
	s_waitcnt_depctr 0xfff
	v_fmac_f32_e32 v1, 0x4f800000, v2
	s_delay_alu instid0(VALU_DEP_1) | instskip(SKIP_2) | instid1(VALU_DEP_1)
	v_rcp_f32_e32 v1, v1
	s_waitcnt_depctr 0xfff
	v_mul_f32_e32 v1, 0x5f7ffffc, v1
	v_mul_f32_e32 v2, 0x2f800000, v1
	s_delay_alu instid0(VALU_DEP_1) | instskip(NEXT) | instid1(VALU_DEP_1)
	v_trunc_f32_e32 v2, v2
	v_fmac_f32_e32 v1, 0xcf800000, v2
	v_cvt_u32_f32_e32 v2, v2
	s_delay_alu instid0(VALU_DEP_2) | instskip(NEXT) | instid1(VALU_DEP_2)
	v_cvt_u32_f32_e32 v1, v1
	v_readfirstlane_b32 s11, v2
	s_delay_alu instid0(VALU_DEP_2) | instskip(NEXT) | instid1(VALU_DEP_2)
	v_readfirstlane_b32 s12, v1
	s_mul_i32 s20, s18, s11
	s_delay_alu instid0(VALU_DEP_1)
	s_mul_hi_u32 s22, s18, s12
	s_mul_i32 s21, s19, s12
	s_add_i32 s20, s22, s20
	s_mul_i32 s23, s18, s12
	s_add_i32 s20, s20, s21
	s_mul_hi_u32 s22, s12, s23
	s_mul_hi_u32 s33, s11, s23
	s_mul_i32 s21, s11, s23
	s_mul_hi_u32 s23, s12, s20
	s_mul_i32 s12, s12, s20
	s_mul_hi_u32 s42, s11, s20
	s_add_u32 s12, s22, s12
	s_addc_u32 s22, 0, s23
	s_add_u32 s12, s12, s21
	s_mul_i32 s20, s11, s20
	s_addc_u32 s12, s22, s33
	s_addc_u32 s21, s42, 0
	s_add_u32 s12, s12, s20
	s_addc_u32 s20, 0, s21
	v_add_co_u32 v1, s12, v1, s12
	s_delay_alu instid0(VALU_DEP_1) | instskip(SKIP_1) | instid1(VALU_DEP_1)
	s_cmp_lg_u32 s12, 0
	s_addc_u32 s11, s11, s20
	v_readfirstlane_b32 s12, v1
	s_mul_i32 s20, s18, s11
	s_delay_alu instid0(VALU_DEP_1)
	s_mul_hi_u32 s21, s18, s12
	s_mul_i32 s19, s19, s12
	s_add_i32 s20, s21, s20
	s_mul_i32 s18, s18, s12
	s_add_i32 s20, s20, s19
	s_mul_hi_u32 s21, s11, s18
	s_mul_i32 s22, s11, s18
	s_mul_hi_u32 s18, s12, s18
	s_mul_hi_u32 s23, s12, s20
	s_mul_i32 s12, s12, s20
	s_mul_hi_u32 s19, s11, s20
	s_add_u32 s12, s18, s12
	s_addc_u32 s18, 0, s23
	s_add_u32 s12, s12, s22
	s_mul_i32 s20, s11, s20
	s_addc_u32 s12, s18, s21
	s_addc_u32 s18, s19, 0
	s_add_u32 s12, s12, s20
	s_addc_u32 s18, 0, s18
	v_add_co_u32 v1, s12, v1, s12
	s_delay_alu instid0(VALU_DEP_1) | instskip(SKIP_1) | instid1(VALU_DEP_1)
	s_cmp_lg_u32 s12, 0
	s_addc_u32 s11, s11, s18
	v_readfirstlane_b32 s12, v1
	s_mul_i32 s19, s2, s11
	s_mul_hi_u32 s18, s2, s11
	s_mul_hi_u32 s20, s3, s11
	s_mul_i32 s11, s3, s11
	s_mul_hi_u32 s21, s2, s12
	s_mul_hi_u32 s22, s3, s12
	s_mul_i32 s12, s3, s12
	s_add_u32 s19, s21, s19
	s_addc_u32 s18, 0, s18
	s_add_u32 s12, s19, s12
	s_addc_u32 s12, s18, s22
	s_addc_u32 s18, s20, 0
	s_add_u32 s12, s12, s11
	s_addc_u32 s18, 0, s18
	s_mul_hi_u32 s11, s16, s12
	s_mul_i32 s20, s16, s18
	s_mul_i32 s21, s16, s12
	s_add_i32 s11, s11, s20
	v_sub_co_u32 v1, s20, s2, s21
	s_mul_i32 s19, s17, s12
	s_delay_alu instid0(SALU_CYCLE_1) | instskip(NEXT) | instid1(VALU_DEP_1)
	s_add_i32 s11, s11, s19
	v_sub_co_u32 v2, s21, v1, s16
	s_sub_i32 s19, s3, s11
	s_cmp_lg_u32 s20, 0
	s_subb_u32 s19, s19, s17
	s_cmp_lg_u32 s21, 0
	v_readfirstlane_b32 s21, v2
	s_subb_u32 s19, s19, 0
	s_delay_alu instid0(SALU_CYCLE_1) | instskip(SKIP_1) | instid1(VALU_DEP_1)
	s_cmp_ge_u32 s19, s17
	s_cselect_b32 s22, -1, 0
	s_cmp_ge_u32 s21, s16
	s_cselect_b32 s21, -1, 0
	s_cmp_eq_u32 s19, s17
	s_cselect_b32 s19, s21, s22
	s_add_u32 s21, s12, 1
	s_addc_u32 s22, s18, 0
	s_add_u32 s23, s12, 2
	s_addc_u32 s33, s18, 0
	s_cmp_lg_u32 s19, 0
	s_cselect_b32 s21, s23, s21
	s_cselect_b32 s19, s33, s22
	s_cmp_lg_u32 s20, 0
	v_readfirstlane_b32 s20, v1
	s_subb_u32 s11, s3, s11
	s_delay_alu instid0(SALU_CYCLE_1) | instskip(SKIP_1) | instid1(VALU_DEP_1)
	s_cmp_ge_u32 s11, s17
	s_cselect_b32 s22, -1, 0
	s_cmp_ge_u32 s20, s16
	s_cselect_b32 s20, -1, 0
	s_cmp_eq_u32 s11, s17
	s_cselect_b32 s11, s20, s22
	s_delay_alu instid0(SALU_CYCLE_1)
	s_cmp_lg_u32 s11, 0
	s_mov_b32 s11, 0
	s_cselect_b32 s19, s19, s18
	s_cselect_b32 s18, s21, s12
.LBB119_21:                             ;   in Loop: Header=BB119_19 Depth=1
	s_and_not1_b32 vcc_lo, exec_lo, s11
	s_cbranch_vccnz .LBB119_23
; %bb.22:                               ;   in Loop: Header=BB119_19 Depth=1
	v_cvt_f32_u32_e32 v1, s16
	s_sub_i32 s12, 0, s16
	s_waitcnt_depctr 0xfff
	v_rcp_iflag_f32_e32 v1, v1
	s_waitcnt_depctr 0xfff
	v_mul_f32_e32 v1, 0x4f7ffffe, v1
	s_delay_alu instid0(VALU_DEP_1) | instskip(NEXT) | instid1(VALU_DEP_1)
	v_cvt_u32_f32_e32 v1, v1
	v_readfirstlane_b32 s11, v1
	s_delay_alu instid0(VALU_DEP_1) | instskip(NEXT) | instid1(SALU_CYCLE_1)
	s_mul_i32 s12, s12, s11
	s_mul_hi_u32 s12, s11, s12
	s_delay_alu instid0(SALU_CYCLE_1) | instskip(NEXT) | instid1(SALU_CYCLE_1)
	s_add_i32 s11, s11, s12
	s_mul_hi_u32 s11, s2, s11
	s_delay_alu instid0(SALU_CYCLE_1) | instskip(SKIP_2) | instid1(SALU_CYCLE_1)
	s_mul_i32 s12, s11, s16
	s_add_i32 s18, s11, 1
	s_sub_i32 s12, s2, s12
	s_sub_i32 s19, s12, s16
	s_cmp_ge_u32 s12, s16
	s_cselect_b32 s11, s18, s11
	s_cselect_b32 s12, s19, s12
	s_add_i32 s18, s11, 1
	s_cmp_ge_u32 s12, s16
	s_mov_b32 s19, s10
	s_cselect_b32 s18, s18, s11
.LBB119_23:                             ;   in Loop: Header=BB119_19 Depth=1
	s_load_b64 s[20:21], s[14:15], 0xc8
	s_mul_i32 s11, s18, s17
	s_mul_hi_u32 s12, s18, s16
	s_mul_i32 s17, s19, s16
	s_add_i32 s11, s12, s11
	s_mul_i32 s12, s18, s16
	s_add_i32 s11, s11, s17
	s_sub_u32 s2, s2, s12
	s_subb_u32 s3, s3, s11
	s_waitcnt lgkmcnt(0)
	s_mul_i32 s3, s20, s3
	s_mul_hi_u32 s11, s20, s2
	s_mul_i32 s12, s21, s2
	s_add_i32 s3, s11, s3
	s_mul_i32 s2, s20, s2
	s_add_i32 s3, s3, s12
	s_add_u32 s4, s2, s4
	s_addc_u32 s5, s3, s5
	s_add_i32 s7, s7, -1
	s_add_u32 s14, s14, -8
	s_addc_u32 s15, s15, -1
	s_cmp_gt_u32 s7, 2
	s_cbranch_scc0 .LBB119_26
; %bb.24:                               ;   in Loop: Header=BB119_19 Depth=1
	s_mov_b64 s[2:3], s[18:19]
	s_branch .LBB119_19
.LBB119_25:
	s_mov_b64 s[18:19], s[2:3]
.LBB119_26:
	s_clause 0x3
	s_load_b64 s[14:15], s[0:1], 0x410
	s_load_b64 s[44:45], s[0:1], 0x0
	;; [unrolled: 1-line block ×4, first 2 shown]
	v_dual_mov_b32 v1, 0 :: v_dual_mov_b32 v2, 0
	v_mov_b32_e32 v3, 0
	s_delay_alu instid0(VALU_DEP_2)
	v_cmp_gt_u64_e64 s2, s[24:25], v[0:1]
	s_waitcnt lgkmcnt(0)
	s_mul_i32 s3, s14, s19
	s_mul_hi_u32 s7, s14, s18
	s_mul_i32 s12, s15, s18
	s_add_i32 s3, s7, s3
	s_mul_i32 s14, s14, s18
	s_add_i32 s15, s3, s12
	s_and_saveexec_b32 s7, s2
	s_cbranch_execz .LBB119_30
; %bb.27:
	v_mad_u64_u32 v[4:5], null, s28, v0, 0
	s_load_b32 s3, s[8:9], 0xc
	s_lshl_b64 s[18:19], s[4:5], 3
	s_lshl_b64 s[16:17], s[14:15], 3
	s_delay_alu instid0(VALU_DEP_1) | instskip(NEXT) | instid1(VALU_DEP_1)
	v_mov_b32_e32 v2, v5
	v_mad_u64_u32 v[5:6], null, s29, v0, v[2:3]
	v_dual_mov_b32 v2, 0 :: v_dual_mov_b32 v7, v1
	v_dual_mov_b32 v3, 0 :: v_dual_mov_b32 v6, v0
	s_delay_alu instid0(VALU_DEP_3)
	v_lshlrev_b64 v[4:5], 3, v[4:5]
	s_waitcnt lgkmcnt(0)
	s_and_b32 s12, s3, 0xffff
	s_add_u32 s3, s10, s18
	s_addc_u32 s18, s11, s19
	s_add_u32 s3, s3, s16
	s_addc_u32 s16, s18, s17
	v_add_co_u32 v4, vcc_lo, s3, v4
	s_mul_i32 s19, s29, s12
	s_mul_hi_u32 s20, s28, s12
	v_add_co_ci_u32_e32 v5, vcc_lo, s16, v5, vcc_lo
	s_add_i32 s17, s20, s19
	s_mul_i32 s16, s28, s12
	s_mov_b32 s18, 0
	s_lshl_b64 s[16:17], s[16:17], 3
	.p2align	6
.LBB119_28:                             ; =>This Inner Loop Header: Depth=1
	global_load_b64 v[8:9], v[4:5], off
	v_add_co_u32 v6, vcc_lo, v6, s12
	v_add_co_ci_u32_e32 v7, vcc_lo, 0, v7, vcc_lo
	v_add_co_u32 v4, vcc_lo, v4, s16
	v_add_co_ci_u32_e32 v5, vcc_lo, s17, v5, vcc_lo
	s_waitcnt vmcnt(0)
	v_cmp_u_f64_e32 vcc_lo, v[8:9], v[8:9]
	v_cndmask_b32_e64 v8, 0, 1, vcc_lo
	v_cmp_le_u64_e32 vcc_lo, s[24:25], v[6:7]
	s_delay_alu instid0(VALU_DEP_2) | instskip(NEXT) | instid1(VALU_DEP_1)
	v_add_co_u32 v2, s3, v2, v8
	v_add_co_ci_u32_e64 v3, s3, 0, v3, s3
	s_or_b32 s18, vcc_lo, s18
	s_delay_alu instid0(SALU_CYCLE_1)
	s_and_not1_b32 exec_lo, exec_lo, s18
	s_cbranch_execnz .LBB119_28
; %bb.29:
	s_or_b32 exec_lo, exec_lo, s18
.LBB119_30:
	s_delay_alu instid0(SALU_CYCLE_1) | instskip(SKIP_1) | instid1(VALU_DEP_1)
	s_or_b32 exec_lo, exec_lo, s7
	v_cmp_eq_u32_e64 s3, 0, v0
	s_and_saveexec_b32 s7, s3
	s_cbranch_execz .LBB119_32
; %bb.31:
	v_mov_b32_e32 v4, 0
	s_delay_alu instid0(VALU_DEP_1)
	v_mov_b32_e32 v5, v4
	ds_store_b64 v4, v[4:5] offset:5136
.LBB119_32:
	s_or_b32 exec_lo, exec_lo, s7
	s_mov_b64 s[16:17], 0
	s_mov_b32 s7, exec_lo
	s_waitcnt lgkmcnt(0)
	s_barrier
	buffer_gl0_inv
	v_cmpx_ne_u64_e32 0, v[2:3]
	s_cbranch_execz .LBB119_37
; %bb.33:
	s_mov_b32 s12, exec_lo
.LBB119_34:                             ; =>This Inner Loop Header: Depth=1
	s_delay_alu instid0(SALU_CYCLE_1) | instskip(NEXT) | instid1(SALU_CYCLE_1)
	s_ctz_i32_b32 s18, s12
	v_readlane_b32 s19, v2, s18
	v_readlane_b32 s20, v3, s18
	s_delay_alu instid0(VALU_DEP_2) | instskip(NEXT) | instid1(VALU_DEP_1)
	s_add_u32 s16, s16, s19
	s_addc_u32 s17, s17, s20
	s_lshl_b32 s18, 1, s18
	s_delay_alu instid0(SALU_CYCLE_1) | instskip(NEXT) | instid1(SALU_CYCLE_1)
	s_and_not1_b32 s12, s12, s18
	s_cmp_lg_u32 s12, 0
	s_cbranch_scc1 .LBB119_34
; %bb.35:
	v_mbcnt_lo_u32_b32 v2, exec_lo, 0
	s_mov_b32 s12, exec_lo
	s_delay_alu instid0(VALU_DEP_1)
	v_cmpx_eq_u32_e32 0, v2
	s_xor_b32 s12, exec_lo, s12
	s_cbranch_execz .LBB119_37
; %bb.36:
	v_mov_b32_e32 v2, s16
	v_dual_mov_b32 v4, 0 :: v_dual_mov_b32 v3, s17
	ds_add_u64 v4, v[2:3] offset:5136
.LBB119_37:
	s_or_b32 exec_lo, exec_lo, s7
	v_mov_b32_e32 v2, 0
	s_waitcnt lgkmcnt(0)
	s_barrier
	buffer_gl0_inv
	s_load_b32 s7, s[0:1], 0x4f8
	ds_load_b64 v[2:3], v2 offset:5136
	s_mov_b64 s[50:51], s[24:25]
	s_waitcnt lgkmcnt(0)
	s_bitcmp1_b32 s7, 0
	v_readfirstlane_b32 s0, v2
	v_readfirstlane_b32 s1, v3
	s_cselect_b32 s7, -1, 0
	s_delay_alu instid0(VALU_DEP_1) | instskip(NEXT) | instid1(VALU_DEP_1)
	v_cmp_lt_i64_e64 s12, s[0:1], 1
	s_or_b32 s7, s7, s12
	s_delay_alu instid0(SALU_CYCLE_1)
	s_and_not1_b32 vcc_lo, exec_lo, s7
	s_cbranch_vccnz .LBB119_39
; %bb.38:
	s_not_b64 s[0:1], s[0:1]
	s_delay_alu instid0(SALU_CYCLE_1) | instskip(SKIP_1) | instid1(SALU_CYCLE_1)
	s_add_u32 s0, s0, s24
	s_addc_u32 s1, s1, s25
	s_lshr_b64 s[0:1], s[0:1], 1
	s_delay_alu instid0(SALU_CYCLE_1)
	s_add_u32 s50, s0, 1
	s_addc_u32 s51, s1, 0
.LBB119_39:
	s_and_saveexec_b32 s0, s3
	s_cbranch_execz .LBB119_41
; %bb.40:
	v_dual_mov_b32 v2, 0 :: v_dual_mov_b32 v5, s25
	s_delay_alu instid0(VALU_DEP_1)
	v_dual_mov_b32 v4, s24 :: v_dual_mov_b32 v3, v2
	ds_store_b32 v2, v2 offset:5144
	ds_store_b128 v2, v[2:5] offset:5120
.LBB119_41:
	s_or_b32 exec_lo, exec_lo, s0
	s_lshl_b64 s[48:49], s[4:5], 3
	s_waitcnt lgkmcnt(0)
	s_barrier
	buffer_gl0_inv
	s_load_b32 s5, s[8:9], 0xc
	v_dual_mov_b32 v21, 0 :: v_dual_lshlrev_b32 v18, 2, v0
	v_lshlrev_b32_e32 v46, 5, v0
	v_mbcnt_lo_u32_b32 v42, -1, 0
	v_mad_u64_u32 v[2:3], null, v0, s28, 0
	s_delay_alu instid0(VALU_DEP_4)
	v_mov_b32_e32 v19, v21
	s_lshl_b64 s[14:15], s[14:15], 3
	v_or_b32_e32 v11, 24, v46
	v_or_b32_e32 v12, 16, v46
	s_add_u32 s16, s10, s14
	v_lshrrev_b32_e32 v6, 3, v0
	v_or_b32_e32 v13, 8, v46
	v_cmp_gt_u32_e32 vcc_lo, 32, v0
	s_addc_u32 s17, s11, s15
	v_cmp_gt_i32_e64 s4, 4, v42
	v_mad_u64_u32 v[24:25], null, s28, v11, s[16:17]
	v_mad_u64_u32 v[26:27], null, s28, v12, s[16:17]
	s_add_u32 s79, s16, s48
	s_addc_u32 s80, s17, s49
	s_waitcnt lgkmcnt(0)
	s_and_b32 s33, s5, 0xffff
	v_mad_u64_u32 v[28:29], null, s28, v13, s[16:17]
	v_and_b32_e32 v45, 0x7c, v6
	v_lshlrev_b64 v[6:7], v42, -1
	v_mad_u64_u32 v[4:5], null, v0, s29, v[3:4]
	s_and_b32 s81, vcc_lo, s4
	s_bfe_u32 s4, s5, 0xb0005
	s_delay_alu instid0(VALU_DEP_4)
	v_mov_b32_e32 v8, v29
	s_add_u32 s82, s33, -1
	s_addc_u32 s83, 0, -1
	s_add_u32 s84, s82, s24
	s_addc_u32 s55, s83, s25
	v_lshlrev_b32_e32 v43, 3, v0
	s_cmp_lt_u32 s13, s6
	v_not_b32_e32 v47, v6
	v_dual_mov_b32 v6, v25 :: v_dual_mov_b32 v7, v27
	s_cselect_b32 s6, 12, 18
	v_dual_mov_b32 v3, v4 :: v_dual_add_nc_u32 v44, 0xc00, v43
	s_add_u32 s56, s8, s6
	s_addc_u32 s57, s9, 0
	s_add_i32 s6, s4, -1
	v_mad_u64_u32 v[9:10], null, s29, v11, v[6:7]
	s_bfe_u32 s85, s33, 0x30005
	s_cmp_gt_u32 s6, 6
	v_lshlrev_b64 v[4:5], 3, v[2:3]
	s_cselect_b32 s86, -1, 0
	s_and_b32 s87, s4, 0x7f8
	s_cmp_lg_u32 s85, 0
	v_lshlrev_b64 v[2:3], 5, v[2:3]
	s_cselect_b32 s89, -1, 0
	s_add_u32 s4, s14, s48
	v_cmp_gt_u16_e64 s88, s5, 31
	s_addc_u32 s5, s15, s49
	v_mad_u64_u32 v[10:11], null, s29, v12, v[7:8]
	v_mad_u64_u32 v[6:7], null, s29, v13, v[8:9]
	v_add_co_u32 v22, vcc_lo, s79, v4
	s_add_u32 s58, s10, s4
	s_addc_u32 s59, s11, s5
	s_lshl_b64 s[60:61], s[28:29], 3
	s_lshl_b64 s[62:63], s[28:29], 5
	s_lshl_b32 s90, s33, 3
	v_add_co_ci_u32_e32 v23, vcc_lo, s80, v5, vcc_lo
	s_add_u32 s4, s10, s48
	v_add_co_u32 v30, vcc_lo, s16, v2
	s_addc_u32 s5, s11, s49
	s_add_u32 s6, s4, s14
	v_add_co_ci_u32_e32 v31, vcc_lo, s17, v3, vcc_lo
	s_addc_u32 s8, s5, s15
	v_add_co_u32 v16, vcc_lo, s6, v4
	v_cmp_lt_u64_e64 s78, 0x180, s[24:25]
	v_mov_b32_e32 v25, v9
	v_dual_mov_b32 v29, v6 :: v_dual_mov_b32 v6, 0
	s_mul_i32 s4, s29, s33
	s_mul_hi_u32 s7, s28, s33
	v_cmp_gt_u32_e64 s0, 2, v0
	v_cmp_eq_u32_e64 s1, 0, v42
	v_mov_b32_e32 v27, v10
	v_lshl_or_b32 v48, v42, 3, 0xc00
	v_add_co_ci_u32_e32 v17, vcc_lo, s8, v5, vcc_lo
	v_mov_b32_e32 v7, 0
	v_mov_b32_e32 v3, 0x3ff00000
	s_add_i32 s5, s7, s4
	s_mul_i32 s4, s28, s33
	s_mov_b32 s53, 0
	s_lshl_b64 s[46:47], s[4:5], 3
	s_mov_b64 s[64:65], 0
	s_mov_b32 s95, 62
	s_mov_b32 s91, 0
	;; [unrolled: 1-line block ×3, first 2 shown]
	s_mov_b64 s[66:67], 0
                                        ; implicit-def: $sgpr92
                                        ; implicit-def: $sgpr94
                                        ; implicit-def: $sgpr93
                                        ; implicit-def: $sgpr97
                                        ; implicit-def: $sgpr99
                                        ; implicit-def: $sgpr96
	s_branch .LBB119_46
.LBB119_42:                             ;   in Loop: Header=BB119_46 Depth=1
	s_xor_b32 s98, s98, 1
	s_add_i32 s7, s95, -2
	s_cmp_eq_u32 s95, 0
	s_mov_b32 s5, 0
	s_cselect_b32 s6, -1, 0
	s_mov_b32 s95, s7
.LBB119_43:                             ;   in Loop: Header=BB119_46 Depth=1
	s_and_not1_b32 s7, s22, exec_lo
	s_and_b32 s5, s5, exec_lo
	s_and_not1_b32 s23, s23, exec_lo
	s_or_b32 s22, s7, s5
	s_and_not1_b32 s19, s19, exec_lo
	s_or_not1_b32 s18, s6, exec_lo
.LBB119_44:                             ;   in Loop: Header=BB119_46 Depth=1
	s_or_b32 exec_lo, exec_lo, s4
	s_delay_alu instid0(SALU_CYCLE_1)
	s_and_not1_b32 s4, s96, exec_lo
	s_and_b32 s5, s22, exec_lo
	s_and_not1_b32 s6, s97, exec_lo
	s_or_b32 s96, s4, s5
	s_and_not1_b32 s4, s99, exec_lo
	s_and_b32 s5, s23, exec_lo
	s_and_b32 s7, s19, exec_lo
	s_or_b32 s99, s4, s5
	s_or_b32 s97, s6, s7
	s_or_not1_b32 s22, s18, exec_lo
.LBB119_45:                             ;   in Loop: Header=BB119_46 Depth=1
	s_or_b32 exec_lo, exec_lo, s20
	s_delay_alu instid0(SALU_CYCLE_1)
	s_and_b32 s4, exec_lo, s22
	v_dual_mov_b32 v4, s64 :: v_dual_mov_b32 v5, s65
	s_or_b32 s91, s4, s91
	s_and_not1_b32 s4, s93, exec_lo
	s_and_b32 s5, s96, exec_lo
	s_and_not1_b32 s6, s92, exec_lo
	s_or_b32 s93, s4, s5
	s_and_not1_b32 s4, s94, exec_lo
	s_and_b32 s5, s99, exec_lo
	s_and_b32 s7, s97, exec_lo
	s_or_b32 s94, s4, s5
	s_or_b32 s92, s6, s7
	s_and_not1_b32 exec_lo, exec_lo, s91
	s_cbranch_execz .LBB119_314
.LBB119_46:                             ; =>This Loop Header: Depth=1
                                        ;     Child Loop BB119_54 Depth 2
                                        ;     Child Loop BB119_72 Depth 2
	;; [unrolled: 1-line block ×16, first 2 shown]
	ds_load_b128 v[8:11], v21 offset:5120
	s_waitcnt lgkmcnt(0)
	v_readfirstlane_b32 s69, v9
	v_readfirstlane_b32 s68, v8
	s_delay_alu instid0(VALU_DEP_1)
	s_cmp_lg_u64 s[68:69], 0
	s_cbranch_scc1 .LBB119_79
; %bb.47:                               ;   in Loop: Header=BB119_46 Depth=1
	s_and_b32 vcc_lo, exec_lo, s78
	s_cbranch_vccz .LBB119_62
; %bb.48:                               ;   in Loop: Header=BB119_46 Depth=1
	v_cmp_gt_u64_e32 vcc_lo, 0x181, v[10:11]
	s_mov_b32 s6, 0
	s_mov_b32 s4, 0
	s_cbranch_vccz .LBB119_63
; %bb.49:                               ;   in Loop: Header=BB119_46 Depth=1
	v_mov_b32_e32 v4, 0
	v_mov_b32_e32 v5, 0
	s_and_saveexec_b32 s4, s2
	s_cbranch_execz .LBB119_51
; %bb.50:                               ;   in Loop: Header=BB119_46 Depth=1
	global_load_b64 v[4:5], v[22:23], off
.LBB119_51:                             ;   in Loop: Header=BB119_46 Depth=1
	s_or_b32 exec_lo, exec_lo, s4
	s_and_saveexec_b32 s7, s2
	s_cbranch_execz .LBB119_64
; %bb.52:                               ;   in Loop: Header=BB119_46 Depth=1
	global_load_u16 v11, v21, s[56:57]
	s_mov_b32 s10, 0
	s_waitcnt vmcnt(0)
	v_readfirstlane_b32 s4, v11
	s_delay_alu instid0(VALU_DEP_1) | instskip(NEXT) | instid1(SALU_CYCLE_1)
	s_and_b32 s4, 0xffff, s4
	v_add_nc_u32_e32 v12, s4, v0
	s_mul_i32 s5, s61, s4
	s_mul_hi_u32 s8, s60, s4
	s_mul_i32 s9, s60, s4
	s_add_i32 s8, s8, s5
	v_mad_u64_u32 v[8:9], null, s60, v12, s[58:59]
	s_delay_alu instid0(VALU_DEP_1) | instskip(NEXT) | instid1(VALU_DEP_1)
	v_mov_b32_e32 v2, v9
	v_mad_u64_u32 v[9:10], null, s61, v12, v[2:3]
	v_dual_mov_b32 v11, v1 :: v_dual_and_b32 v2, 0xffff, v11
	v_mov_b32_e32 v10, v0
	s_branch .LBB119_54
.LBB119_53:                             ;   in Loop: Header=BB119_54 Depth=2
	s_or_b32 exec_lo, exec_lo, s5
	v_add_co_u32 v8, vcc_lo, v8, s9
	v_add_co_ci_u32_e32 v9, vcc_lo, s8, v9, vcc_lo
	s_waitcnt vmcnt(0)
	v_dual_mov_b32 v4, v12 :: v_dual_mov_b32 v5, v13
	s_and_not1_b32 exec_lo, exec_lo, s10
	s_cbranch_execz .LBB119_64
.LBB119_54:                             ;   Parent Loop BB119_46 Depth=1
                                        ; =>  This Inner Loop Header: Depth=2
	s_delay_alu instid0(VALU_DEP_1) | instskip(NEXT) | instid1(VALU_DEP_3)
	v_add_co_u32 v10, vcc_lo, v10, v2
	v_add_co_ci_u32_e32 v11, vcc_lo, 0, v11, vcc_lo
	v_mov_b32_e32 v12, 0
	v_mov_b32_e32 v13, 0
	s_mov_b32 s5, exec_lo
	s_delay_alu instid0(VALU_DEP_3)
	v_cmp_le_u64_e32 vcc_lo, s[24:25], v[10:11]
	v_cmpx_gt_u64_e64 s[24:25], v[10:11]
	s_cbranch_execz .LBB119_56
; %bb.55:                               ;   in Loop: Header=BB119_54 Depth=2
	global_load_b64 v[12:13], v[8:9], off
.LBB119_56:                             ;   in Loop: Header=BB119_54 Depth=2
	s_or_b32 exec_lo, exec_lo, s5
	v_cmp_o_f64_e64 s4, v[4:5], v[4:5]
	s_waitcnt lgkmcnt(0)
	v_ashrrev_i32_e32 v14, 31, v5
	s_delay_alu instid0(VALU_DEP_1) | instskip(SKIP_1) | instid1(VALU_DEP_2)
	v_or_b32_e32 v15, 0x80000000, v14
	v_xor_b32_e32 v14, v14, v4
	v_xor_b32_e32 v15, v15, v5
	s_delay_alu instid0(VALU_DEP_1) | instskip(NEXT) | instid1(VALU_DEP_3)
	v_cndmask_b32_e64 v15, -1, v15, s4
	v_cndmask_b32_e64 v14, -1, v14, s4
	s_delay_alu instid0(VALU_DEP_2) | instskip(NEXT) | instid1(VALU_DEP_2)
	v_and_b32_e32 v15, s67, v15
	v_and_b32_e32 v14, s66, v14
	s_delay_alu instid0(VALU_DEP_1) | instskip(SKIP_1) | instid1(VALU_DEP_2)
	v_cmp_eq_u64_e64 s4, s[64:65], v[14:15]
	v_mov_b32_e32 v14, 0
	s_cmp_lg_u32 s4, 0
	s_cselect_b32 s5, -1, 0
	s_delay_alu instid0(SALU_CYCLE_1) | instskip(NEXT) | instid1(SALU_CYCLE_1)
	s_and_b32 s5, s1, s5
	s_and_saveexec_b32 s11, s5
	s_cbranch_execz .LBB119_60
; %bb.57:                               ;   in Loop: Header=BB119_54 Depth=2
	s_mov_b32 s14, exec_lo
	s_bcnt1_i32_b32 s12, s4
	v_mbcnt_lo_u32_b32 v14, s14, 0
	s_mov_b32 s13, exec_lo
                                        ; implicit-def: $vgpr15
	s_delay_alu instid0(VALU_DEP_1)
	v_cmpx_eq_u32_e32 0, v14
	s_cbranch_execz .LBB119_59
; %bb.58:                               ;   in Loop: Header=BB119_54 Depth=2
	s_bcnt1_i32_b32 s5, s14
	s_delay_alu instid0(SALU_CYCLE_1) | instskip(NEXT) | instid1(SALU_CYCLE_1)
	s_mul_i32 s5, s12, s5
	v_mov_b32_e32 v15, s5
	ds_add_rtn_u32 v15, v21, v15 offset:5144
.LBB119_59:                             ;   in Loop: Header=BB119_54 Depth=2
	s_or_b32 exec_lo, exec_lo, s13
	s_waitcnt lgkmcnt(0)
	v_readfirstlane_b32 s5, v15
	s_delay_alu instid0(VALU_DEP_1)
	v_mad_u32_u24 v14, s12, v14, s5
.LBB119_60:                             ;   in Loop: Header=BB119_54 Depth=2
	s_or_b32 exec_lo, exec_lo, s11
	ds_bpermute_b32 v14, v21, v14
	s_and_b32 s5, exec_lo, vcc_lo
	s_delay_alu instid0(SALU_CYCLE_1)
	s_or_b32 s10, s5, s10
	s_and_saveexec_b32 s5, s4
	s_cbranch_execz .LBB119_53
; %bb.61:                               ;   in Loop: Header=BB119_54 Depth=2
	v_and_b32_e32 v15, s4, v47
	s_delay_alu instid0(VALU_DEP_1) | instskip(NEXT) | instid1(VALU_DEP_1)
	v_bcnt_u32_b32 v15, v15, 0
	v_lshlrev_b32_e32 v15, 3, v15
	s_waitcnt lgkmcnt(0)
	s_delay_alu instid0(VALU_DEP_1)
	v_lshl_add_u32 v14, v14, 3, v15
	ds_store_b64 v14, v[4:5]
	s_branch .LBB119_53
.LBB119_62:                             ;   in Loop: Header=BB119_46 Depth=1
	s_mov_b32 s4, 0
                                        ; implicit-def: $sgpr68_sgpr69
	s_cbranch_execnz .LBB119_67
	s_branch .LBB119_77
.LBB119_63:                             ;   in Loop: Header=BB119_46 Depth=1
	s_mov_b64 s[68:69], 0
	s_and_b32 vcc_lo, exec_lo, s6
	s_cbranch_vccnz .LBB119_67
	s_branch .LBB119_77
.LBB119_64:                             ;   in Loop: Header=BB119_46 Depth=1
	s_or_b32 exec_lo, exec_lo, s7
	s_waitcnt vmcnt(0) lgkmcnt(0)
	s_barrier
	buffer_gl0_inv
	s_and_saveexec_b32 s4, s3
	s_cbranch_execz .LBB119_66
; %bb.65:                               ;   in Loop: Header=BB119_46 Depth=1
	ds_load_b32 v4, v21 offset:5144
	s_waitcnt lgkmcnt(0)
	v_ashrrev_i32_e32 v5, 31, v4
	ds_store_b64 v21, v[4:5] offset:5120
.LBB119_66:                             ;   in Loop: Header=BB119_46 Depth=1
	s_or_b32 exec_lo, exec_lo, s4
	s_waitcnt lgkmcnt(0)
	s_mov_b32 s4, -1
	s_barrier
	s_mov_b64 s[68:69], 0
	s_and_b32 vcc_lo, exec_lo, s6
	s_cbranch_vccz .LBB119_77
.LBB119_67:                             ;   in Loop: Header=BB119_46 Depth=1
	v_mov_b32_e32 v4, 0
	v_mov_b32_e32 v5, 0
	s_and_saveexec_b32 s4, s2
	s_cbranch_execz .LBB119_69
; %bb.68:                               ;   in Loop: Header=BB119_46 Depth=1
	global_load_b64 v[4:5], v[22:23], off
.LBB119_69:                             ;   in Loop: Header=BB119_46 Depth=1
	s_or_b32 exec_lo, exec_lo, s4
	s_and_saveexec_b32 s5, s2
	s_cbranch_execz .LBB119_74
; %bb.70:                               ;   in Loop: Header=BB119_46 Depth=1
	global_load_u16 v11, v21, s[56:57]
	s_mov_b32 s9, 0
	s_waitcnt vmcnt(0)
	v_readfirstlane_b32 s4, v11
	v_and_b32_e32 v14, 0xffff, v11
	s_delay_alu instid0(VALU_DEP_2) | instskip(NEXT) | instid1(SALU_CYCLE_1)
	s_and_b32 s4, 0xffff, s4
	v_add_nc_u32_e32 v12, s4, v0
	s_mul_i32 s7, s61, s4
	s_mul_hi_u32 s8, s60, s4
	s_lshl_b32 s6, s4, 3
	s_add_i32 s7, s8, s7
	v_mad_u64_u32 v[8:9], null, s60, v12, s[58:59]
	s_mul_i32 s8, s60, s4
	s_delay_alu instid0(VALU_DEP_1) | instskip(NEXT) | instid1(VALU_DEP_1)
	v_mov_b32_e32 v2, v9
	v_mad_u64_u32 v[9:10], null, s61, v12, v[2:3]
	v_dual_mov_b32 v11, v1 :: v_dual_mov_b32 v2, v43
	v_mov_b32_e32 v10, v0
	s_set_inst_prefetch_distance 0x1
	s_branch .LBB119_72
	.p2align	6
.LBB119_71:                             ;   in Loop: Header=BB119_72 Depth=2
	s_or_b32 exec_lo, exec_lo, s10
	s_delay_alu instid0(SALU_CYCLE_1)
	s_and_b32 s4, exec_lo, vcc_lo
	v_add_co_u32 v8, vcc_lo, v8, s8
	ds_store_b64 v2, v[4:5]
	s_waitcnt vmcnt(0)
	v_mov_b32_e32 v4, v12
	v_dual_mov_b32 v5, v13 :: v_dual_add_nc_u32 v2, s6, v2
	v_add_co_ci_u32_e32 v9, vcc_lo, s7, v9, vcc_lo
	s_or_b32 s9, s4, s9
	s_delay_alu instid0(SALU_CYCLE_1)
	s_and_not1_b32 exec_lo, exec_lo, s9
	s_cbranch_execz .LBB119_74
.LBB119_72:                             ;   Parent Loop BB119_46 Depth=1
                                        ; =>  This Inner Loop Header: Depth=2
	s_delay_alu instid0(VALU_DEP_1) | instskip(SKIP_4) | instid1(VALU_DEP_3)
	v_add_co_u32 v10, vcc_lo, v10, v14
	v_add_co_ci_u32_e32 v11, vcc_lo, 0, v11, vcc_lo
	v_mov_b32_e32 v12, 0
	v_mov_b32_e32 v13, 0
	s_mov_b32 s10, exec_lo
	v_cmp_le_u64_e32 vcc_lo, s[24:25], v[10:11]
	v_cmpx_gt_u64_e64 s[24:25], v[10:11]
	s_cbranch_execz .LBB119_71
; %bb.73:                               ;   in Loop: Header=BB119_72 Depth=2
	global_load_b64 v[12:13], v[8:9], off
	s_branch .LBB119_71
.LBB119_74:                             ;   in Loop: Header=BB119_46 Depth=1
	s_set_inst_prefetch_distance 0x2
	s_or_b32 exec_lo, exec_lo, s5
	s_waitcnt vmcnt(0) lgkmcnt(0)
	s_barrier
	buffer_gl0_inv
	s_and_saveexec_b32 s4, s3
	s_cbranch_execz .LBB119_76
; %bb.75:                               ;   in Loop: Header=BB119_46 Depth=1
	v_dual_mov_b32 v4, s24 :: v_dual_mov_b32 v5, s25
	ds_store_b64 v21, v[4:5] offset:5120
.LBB119_76:                             ;   in Loop: Header=BB119_46 Depth=1
	s_or_b32 exec_lo, exec_lo, s4
	s_mov_b32 s4, -1
	s_waitcnt lgkmcnt(0)
	s_barrier
                                        ; implicit-def: $sgpr68_sgpr69
.LBB119_77:                             ;   in Loop: Header=BB119_46 Depth=1
	s_and_b32 vcc_lo, exec_lo, s4
	s_cbranch_vccz .LBB119_79
; %bb.78:                               ;   in Loop: Header=BB119_46 Depth=1
	buffer_gl0_inv
	ds_load_b64 v[4:5], v21 offset:5120
	s_waitcnt lgkmcnt(0)
	v_readfirstlane_b32 s68, v4
.LBB119_79:                             ;   in Loop: Header=BB119_46 Depth=1
	s_delay_alu instid0(VALU_DEP_1)
	s_cmp_lt_i32 s68, 1
	s_cbranch_scc0 .LBB119_94
; %bb.80:                               ;   in Loop: Header=BB119_46 Depth=1
	global_load_u16 v2, v21, s[56:57]
	s_mov_b32 s5, s25
	s_waitcnt vmcnt(0)
	v_readfirstlane_b32 s4, v2
	s_delay_alu instid0(VALU_DEP_1)
	s_and_b32 s52, s4, 0xffff
	s_mov_b32 s4, s53
	s_lshl_b32 s54, s52, 2
	s_cmp_lg_u64 s[4:5], 0
	s_cbranch_scc0 .LBB119_114
; %bb.81:                               ;   in Loop: Header=BB119_46 Depth=1
	v_cvt_f32_u32_e32 v2, s54
	s_sub_u32 s6, 0, s54
	s_subb_u32 s7, 0, 0
	s_delay_alu instid0(VALU_DEP_1) | instskip(NEXT) | instid1(VALU_DEP_1)
	v_fmac_f32_e64 v2, 0, 0x4f800000
	v_rcp_f32_e32 v2, v2
	s_waitcnt_depctr 0xfff
	v_mul_f32_e32 v2, 0x5f7ffffc, v2
	s_delay_alu instid0(VALU_DEP_1) | instskip(NEXT) | instid1(VALU_DEP_1)
	v_mul_f32_e32 v4, 0x2f800000, v2
	v_trunc_f32_e32 v4, v4
	s_delay_alu instid0(VALU_DEP_1) | instskip(SKIP_1) | instid1(VALU_DEP_2)
	v_fmac_f32_e32 v2, 0xcf800000, v4
	v_cvt_u32_f32_e32 v4, v4
	v_cvt_u32_f32_e32 v2, v2
	s_delay_alu instid0(VALU_DEP_2) | instskip(NEXT) | instid1(VALU_DEP_2)
	v_readfirstlane_b32 s4, v4
	v_readfirstlane_b32 s5, v2
	s_delay_alu instid0(VALU_DEP_2) | instskip(NEXT) | instid1(VALU_DEP_1)
	s_mul_i32 s8, s6, s4
	s_mul_hi_u32 s10, s6, s5
	s_mul_i32 s9, s7, s5
	s_add_i32 s8, s10, s8
	s_mul_i32 s11, s6, s5
	s_add_i32 s8, s8, s9
	s_mul_hi_u32 s10, s5, s11
	s_mul_hi_u32 s12, s4, s11
	s_mul_i32 s9, s4, s11
	s_mul_hi_u32 s11, s5, s8
	s_mul_i32 s5, s5, s8
	s_mul_hi_u32 s13, s4, s8
	s_add_u32 s5, s10, s5
	s_addc_u32 s10, 0, s11
	s_add_u32 s5, s5, s9
	s_mul_i32 s8, s4, s8
	s_addc_u32 s5, s10, s12
	s_addc_u32 s9, s13, 0
	s_add_u32 s5, s5, s8
	s_addc_u32 s8, 0, s9
	v_add_co_u32 v2, s5, v2, s5
	s_delay_alu instid0(VALU_DEP_1) | instskip(SKIP_1) | instid1(VALU_DEP_1)
	s_cmp_lg_u32 s5, 0
	s_addc_u32 s4, s4, s8
	v_readfirstlane_b32 s5, v2
	s_mul_i32 s8, s6, s4
	s_delay_alu instid0(VALU_DEP_1)
	s_mul_hi_u32 s9, s6, s5
	s_mul_i32 s7, s7, s5
	s_add_i32 s8, s9, s8
	s_mul_i32 s6, s6, s5
	s_add_i32 s8, s8, s7
	s_mul_hi_u32 s9, s4, s6
	s_mul_i32 s10, s4, s6
	s_mul_hi_u32 s6, s5, s6
	s_mul_hi_u32 s11, s5, s8
	s_mul_i32 s5, s5, s8
	s_mul_hi_u32 s7, s4, s8
	s_add_u32 s5, s6, s5
	s_addc_u32 s6, 0, s11
	s_add_u32 s5, s5, s10
	s_mul_i32 s8, s4, s8
	s_addc_u32 s5, s6, s9
	s_addc_u32 s6, s7, 0
	s_add_u32 s5, s5, s8
	s_addc_u32 s6, 0, s6
	v_add_co_u32 v2, s5, v2, s5
	s_delay_alu instid0(VALU_DEP_1) | instskip(SKIP_1) | instid1(VALU_DEP_1)
	s_cmp_lg_u32 s5, 0
	s_addc_u32 s4, s4, s6
	v_readfirstlane_b32 s5, v2
	s_mul_i32 s7, s24, s4
	s_mul_hi_u32 s6, s24, s4
	s_mul_hi_u32 s8, s25, s4
	s_mul_i32 s4, s25, s4
	s_mul_hi_u32 s9, s24, s5
	s_mul_hi_u32 s10, s25, s5
	s_mul_i32 s5, s25, s5
	s_add_u32 s7, s9, s7
	s_addc_u32 s6, 0, s6
	s_add_u32 s5, s7, s5
	s_addc_u32 s5, s6, s10
	s_addc_u32 s6, s8, 0
	s_add_u32 s4, s5, s4
	s_addc_u32 s5, 0, s6
	s_mul_hi_u32 s6, s54, s4
	s_mul_i32 s4, s54, s4
	s_mul_i32 s5, s54, s5
	v_sub_co_u32 v2, s4, s24, s4
	s_add_i32 s6, s6, s5
	s_cmp_lg_u32 s4, 0
	s_delay_alu instid0(VALU_DEP_1) | instskip(SKIP_2) | instid1(VALU_DEP_1)
	v_sub_co_u32 v4, s4, v2, s54
	s_subb_u32 s5, s25, s6
	s_cmp_lg_u32 s4, 0
	v_cmp_le_u32_e32 vcc_lo, s54, v4
	v_sub_co_u32 v5, s4, v4, s54
	s_subb_u32 s6, s5, 0
	s_cmp_lg_u32 s4, 0
	v_cndmask_b32_e64 v8, 0, -1, vcc_lo
	s_subb_u32 s4, s6, 0
	s_cmp_eq_u32 s6, 0
	v_mov_b32_e32 v10, s4
	s_cselect_b32 vcc_lo, -1, 0
	s_cmp_eq_u32 s5, 0
	v_cndmask_b32_e32 v8, -1, v8, vcc_lo
	v_cmp_le_u32_e32 vcc_lo, s54, v2
	s_cselect_b32 s4, -1, 0
	v_cndmask_b32_e64 v9, 0, -1, vcc_lo
	s_delay_alu instid0(VALU_DEP_3) | instskip(NEXT) | instid1(VALU_DEP_2)
	v_cmp_ne_u32_e32 vcc_lo, 0, v8
	v_cndmask_b32_e64 v8, -1, v9, s4
	v_cndmask_b32_e32 v9, s6, v10, vcc_lo
	v_cndmask_b32_e32 v4, v4, v5, vcc_lo
	s_delay_alu instid0(VALU_DEP_3) | instskip(NEXT) | instid1(VALU_DEP_3)
	v_cmp_ne_u32_e32 vcc_lo, 0, v8
	v_cndmask_b32_e32 v5, s5, v9, vcc_lo
	s_delay_alu instid0(VALU_DEP_3)
	v_cndmask_b32_e32 v4, v2, v4, vcc_lo
	s_cbranch_execnz .LBB119_83
.LBB119_82:                             ;   in Loop: Header=BB119_46 Depth=1
	v_cvt_f32_u32_e32 v2, s54
	s_sub_i32 s4, 0, s54
	s_delay_alu instid0(VALU_DEP_1) | instskip(SKIP_2) | instid1(VALU_DEP_1)
	v_rcp_iflag_f32_e32 v2, v2
	s_waitcnt_depctr 0xfff
	v_mul_f32_e32 v2, 0x4f7ffffe, v2
	v_cvt_u32_f32_e32 v2, v2
	s_delay_alu instid0(VALU_DEP_1) | instskip(NEXT) | instid1(VALU_DEP_1)
	v_mul_lo_u32 v4, s4, v2
	v_mul_hi_u32 v4, v2, v4
	s_delay_alu instid0(VALU_DEP_1) | instskip(NEXT) | instid1(VALU_DEP_1)
	v_add_nc_u32_e32 v2, v2, v4
	v_mul_hi_u32 v2, s24, v2
	s_delay_alu instid0(VALU_DEP_1) | instskip(NEXT) | instid1(VALU_DEP_1)
	v_mul_lo_u32 v2, v2, s54
	v_sub_nc_u32_e32 v2, s24, v2
	s_delay_alu instid0(VALU_DEP_1) | instskip(SKIP_1) | instid1(VALU_DEP_2)
	v_subrev_nc_u32_e32 v4, s54, v2
	v_cmp_le_u32_e32 vcc_lo, s54, v2
	v_cndmask_b32_e32 v2, v2, v4, vcc_lo
	s_delay_alu instid0(VALU_DEP_1) | instskip(SKIP_1) | instid1(VALU_DEP_2)
	v_subrev_nc_u32_e32 v4, s54, v2
	v_cmp_le_u32_e32 vcc_lo, s54, v2
	v_cndmask_b32_e32 v20, v2, v4, vcc_lo
	s_delay_alu instid0(VALU_DEP_1)
	v_dual_mov_b32 v4, v20 :: v_dual_mov_b32 v5, v21
.LBB119_83:                             ;   in Loop: Header=BB119_46 Depth=1
	v_mov_b32_e32 v8, 0
	v_mov_b32_e32 v9, 0
	s_delay_alu instid0(VALU_DEP_3) | instskip(NEXT) | instid1(VALU_DEP_4)
	v_sub_co_u32 v4, vcc_lo, s24, v4
	v_sub_co_ci_u32_e32 v5, vcc_lo, s25, v5, vcc_lo
	s_delay_alu instid0(VALU_DEP_3)
	v_dual_mov_b32 v11, v9 :: v_dual_mov_b32 v10, v8
	v_dual_mov_b32 v13, v9 :: v_dual_mov_b32 v12, v8
	;; [unrolled: 1-line block ×3, first 2 shown]
	s_mov_b64 s[70:71], 0
	s_mov_b32 s69, exec_lo
	v_cmpx_gt_u64_e64 v[4:5], v[18:19]
	s_cbranch_execz .LBB119_87
; %bb.84:                               ;   in Loop: Header=BB119_46 Depth=1
	v_dual_mov_b32 v33, v31 :: v_dual_mov_b32 v32, v30
	v_dual_mov_b32 v35, v29 :: v_dual_mov_b32 v34, v28
	;; [unrolled: 1-line block ×5, first 2 shown]
	s_mul_i32 s4, s63, s52
	s_mul_hi_u32 s5, s62, s52
	s_and_b32 s100, s95, 0xfe
	s_add_i32 s101, s5, s4
	s_mul_i32 s102, s62, s52
	s_mov_b32 s103, 0
	s_mov_b64 s[72:73], 0
	s_mov_b64 s[74:75], 0
	;; [unrolled: 1-line block ×3, first 2 shown]
.LBB119_85:                             ;   Parent Loop BB119_46 Depth=1
                                        ; =>  This Inner Loop Header: Depth=2
	v_add_co_u32 v8, vcc_lo, v32, s48
	v_add_co_ci_u32_e32 v9, vcc_lo, s49, v33, vcc_lo
	v_add_co_u32 v10, vcc_lo, v34, s48
	v_add_co_ci_u32_e32 v11, vcc_lo, s49, v35, vcc_lo
	;; [unrolled: 2-line block ×4, first 2 shown]
	global_load_b64 v[8:9], v[8:9], off
	global_load_b64 v[10:11], v[10:11], off
	;; [unrolled: 1-line block ×4, first 2 shown]
	v_add_co_u32 v40, vcc_lo, v40, s54
	v_add_co_ci_u32_e32 v41, vcc_lo, 0, v41, vcc_lo
	v_add_co_u32 v38, vcc_lo, v38, s102
	v_add_co_ci_u32_e32 v39, vcc_lo, s101, v39, vcc_lo
	v_add_co_u32 v36, vcc_lo, v36, s102
	v_add_co_ci_u32_e32 v37, vcc_lo, s101, v37, vcc_lo
	v_add_co_u32 v34, vcc_lo, v34, s102
	v_add_co_ci_u32_e32 v35, vcc_lo, s101, v35, vcc_lo
	v_add_co_u32 v32, vcc_lo, v32, s102
	v_add_co_ci_u32_e32 v33, vcc_lo, s101, v33, vcc_lo
	v_cmp_ge_u64_e32 vcc_lo, v[40:41], v[4:5]
	s_waitcnt vmcnt(3)
	v_cmp_o_f64_e64 s5, v[8:9], v[8:9]
	s_waitcnt vmcnt(2)
	v_cmp_o_f64_e64 s4, v[10:11], v[10:11]
	;; [unrolled: 2-line block ×4, first 2 shown]
	v_ashrrev_i32_e32 v2, 31, v9
	v_ashrrev_i32_e32 v51, 31, v15
	;; [unrolled: 1-line block ×4, first 2 shown]
	s_delay_alu instid0(VALU_DEP_4) | instskip(NEXT) | instid1(VALU_DEP_4)
	v_or_b32_e32 v53, 0x80000000, v2
	v_or_b32_e32 v57, 0x80000000, v51
	s_delay_alu instid0(VALU_DEP_4) | instskip(NEXT) | instid1(VALU_DEP_4)
	v_or_b32_e32 v55, 0x80000000, v20
	v_or_b32_e32 v56, 0x80000000, v49
	v_xor_b32_e32 v2, v2, v8
	v_xor_b32_e32 v53, v53, v9
	;; [unrolled: 1-line block ×8, first 2 shown]
	v_cndmask_b32_e64 v9, -1, v53, s5
	v_cndmask_b32_e64 v11, -1, v55, s4
	;; [unrolled: 1-line block ×7, first 2 shown]
	v_mov_b32_e32 v50, v21
	v_and_b32_e32 v56, s67, v9
	v_and_b32_e32 v55, s66, v8
	v_lshrrev_b64 v[8:9], s100, v[8:9]
	v_cndmask_b32_e64 v14, -1, v51, s7
	v_dual_mov_b32 v52, v21 :: v_dual_and_b32 v57, s66, v10
	v_lshrrev_b64 v[9:10], s100, v[10:11]
	v_and_b32_e32 v58, s67, v11
	v_lshrrev_b64 v[10:11], s100, v[12:13]
	v_dual_mov_b32 v54, v21 :: v_dual_and_b32 v59, s66, v12
	v_lshrrev_b64 v[11:12], s100, v[14:15]
	v_and_b32_e32 v20, 3, v8
	v_and_b32_e32 v49, 3, v9
	v_and_b32_e32 v60, s67, v13
	v_and_b32_e32 v51, 3, v10
	v_cmp_eq_u64_e64 s4, s[64:65], v[55:56]
	v_cmp_eq_u64_e64 s8, 0, v[20:21]
	v_and_b32_e32 v62, s67, v15
	v_and_b32_e32 v61, s66, v14
	;; [unrolled: 1-line block ×3, first 2 shown]
	v_cmp_eq_u64_e64 s5, s[64:65], v[57:58]
	v_cmp_eq_u64_e64 s9, 0, v[49:50]
	;; [unrolled: 1-line block ×6, first 2 shown]
	s_and_b32 s8, s4, s8
	v_cmp_eq_u64_e64 s12, 1, v[20:21]
	v_cndmask_b32_e64 v2, 0, 1, s8
	s_and_b32 s8, s5, s9
	v_cmp_eq_u64_e64 s13, 1, v[49:50]
	v_cndmask_b32_e64 v8, 0, 1, s8
	;; [unrolled: 3-line block ×3, first 2 shown]
	s_and_b32 s8, s7, s11
	v_cmp_ne_u32_e64 s9, 0, v8
	v_cndmask_b32_e64 v10, 0, 1, s8
	v_cmp_ne_u32_e64 s8, 0, v2
	v_cmp_ne_u32_e64 s10, 0, v9
	v_cmp_eq_u64_e64 s15, 1, v[53:54]
	s_bcnt1_i32_b32 s9, s9
	v_cmp_ne_u32_e64 s11, 0, v10
	s_bcnt1_i32_b32 s8, s8
	s_bcnt1_i32_b32 s10, s10
	s_add_i32 s8, s9, s8
	v_cmp_eq_u64_e64 s16, 2, v[20:21]
	s_bcnt1_i32_b32 s11, s11
	s_add_i32 s8, s8, s10
	v_cmp_eq_u64_e64 s17, 2, v[49:50]
	s_add_i32 s8, s8, s11
	v_cmp_eq_u64_e64 s18, 2, v[51:52]
	s_add_u32 s76, s76, s8
	s_addc_u32 s77, s77, 0
	s_and_b32 s8, s4, s12
	v_cmp_eq_u64_e64 s19, 2, v[53:54]
	v_cndmask_b32_e64 v2, 0, 1, s8
	s_and_b32 s8, s5, s13
	v_cmp_eq_u64_e64 s20, 3, v[20:21]
	v_cndmask_b32_e64 v8, 0, 1, s8
	;; [unrolled: 3-line block ×3, first 2 shown]
	s_and_b32 s8, s7, s15
	v_cmp_ne_u32_e64 s9, 0, v8
	v_cndmask_b32_e64 v10, 0, 1, s8
	v_cmp_ne_u32_e64 s8, 0, v2
	v_cmp_ne_u32_e64 s10, 0, v9
	v_cmp_eq_u64_e64 s23, 3, v[53:54]
	s_bcnt1_i32_b32 s9, s9
	v_cmp_ne_u32_e64 s11, 0, v10
	s_bcnt1_i32_b32 s8, s8
	s_bcnt1_i32_b32 s10, s10
	s_add_i32 s8, s9, s8
	s_delay_alu instid0(VALU_DEP_1) | instskip(SKIP_1) | instid1(SALU_CYCLE_1)
	s_bcnt1_i32_b32 s11, s11
	s_add_i32 s8, s8, s10
	s_add_i32 s8, s8, s11
	s_delay_alu instid0(SALU_CYCLE_1) | instskip(SKIP_2) | instid1(SALU_CYCLE_1)
	s_add_u32 s74, s74, s8
	s_addc_u32 s75, s75, 0
	s_and_b32 s8, s4, s16
	v_cndmask_b32_e64 v2, 0, 1, s8
	s_and_b32 s8, s5, s17
	s_delay_alu instid0(SALU_CYCLE_1) | instskip(SKIP_1) | instid1(SALU_CYCLE_1)
	v_cndmask_b32_e64 v8, 0, 1, s8
	s_and_b32 s8, s6, s18
	v_cndmask_b32_e64 v9, 0, 1, s8
	s_and_b32 s8, s7, s19
	s_delay_alu instid0(VALU_DEP_2) | instskip(SKIP_3) | instid1(VALU_DEP_4)
	v_cmp_ne_u32_e64 s9, 0, v8
	v_cndmask_b32_e64 v10, 0, 1, s8
	v_cmp_ne_u32_e64 s8, 0, v2
	v_cmp_ne_u32_e64 s10, 0, v9
	s_bcnt1_i32_b32 s9, s9
	s_delay_alu instid0(VALU_DEP_3) | instskip(NEXT) | instid1(VALU_DEP_3)
	v_cmp_ne_u32_e64 s11, 0, v10
	s_bcnt1_i32_b32 s8, s8
	s_delay_alu instid0(VALU_DEP_2) | instskip(SKIP_1) | instid1(VALU_DEP_1)
	s_bcnt1_i32_b32 s10, s10
	s_add_i32 s8, s9, s8
	s_bcnt1_i32_b32 s11, s11
	s_add_i32 s8, s8, s10
	s_delay_alu instid0(SALU_CYCLE_1) | instskip(NEXT) | instid1(SALU_CYCLE_1)
	s_add_i32 s8, s8, s11
	s_add_u32 s72, s72, s8
	s_addc_u32 s73, s73, 0
	v_mov_b32_e32 v12, s72
	v_cmp_eq_u64_e64 s22, 3, v[51:52]
	s_and_b32 s4, s4, s20
	v_mov_b32_e32 v13, s73
	v_cndmask_b32_e64 v2, 0, 1, s4
	s_and_b32 s4, s5, s21
	s_delay_alu instid0(SALU_CYCLE_1) | instskip(SKIP_1) | instid1(SALU_CYCLE_1)
	v_cndmask_b32_e64 v8, 0, 1, s4
	s_and_b32 s4, s6, s22
	v_cndmask_b32_e64 v9, 0, 1, s4
	s_and_b32 s4, s7, s23
	s_delay_alu instid0(VALU_DEP_2)
	v_cmp_ne_u32_e64 s5, 0, v8
	v_cndmask_b32_e64 v10, 0, 1, s4
	v_cmp_ne_u32_e64 s4, 0, v2
	v_cmp_ne_u32_e64 s6, 0, v9
	v_mov_b32_e32 v8, s76
	s_bcnt1_i32_b32 s5, s5
	v_cmp_ne_u32_e64 s7, 0, v10
	s_bcnt1_i32_b32 s4, s4
	s_bcnt1_i32_b32 s6, s6
	s_add_i32 s4, s5, s4
	v_mov_b32_e32 v10, s74
	s_bcnt1_i32_b32 s5, s7
	s_add_i32 s4, s4, s6
	v_mov_b32_e32 v9, s77
	s_add_i32 s4, s4, s5
	v_mov_b32_e32 v11, s75
	s_add_u32 s70, s70, s4
	s_addc_u32 s71, s71, 0
	s_delay_alu instid0(SALU_CYCLE_1) | instskip(SKIP_1) | instid1(SALU_CYCLE_1)
	v_dual_mov_b32 v14, s70 :: v_dual_mov_b32 v15, s71
	s_or_b32 s103, vcc_lo, s103
	s_and_not1_b32 exec_lo, exec_lo, s103
	s_cbranch_execnz .LBB119_85
; %bb.86:                               ;   in Loop: Header=BB119_46 Depth=1
	s_or_b32 exec_lo, exec_lo, s103
.LBB119_87:                             ;   in Loop: Header=BB119_46 Depth=1
	s_delay_alu instid0(SALU_CYCLE_1) | instskip(SKIP_4) | instid1(VALU_DEP_3)
	s_or_b32 exec_lo, exec_lo, s69
	v_add_co_u32 v4, vcc_lo, v4, v0
	v_add_co_ci_u32_e32 v5, vcc_lo, 0, v5, vcc_lo
	v_mov_b32_e32 v34, 0
	v_mov_b32_e32 v35, 0
	v_cmp_gt_u64_e32 vcc_lo, s[24:25], v[4:5]
	s_and_saveexec_b32 s5, vcc_lo
	s_cbranch_execz .LBB119_89
; %bb.88:                               ;   in Loop: Header=BB119_46 Depth=1
	v_mul_lo_u32 v2, v5, s28
	v_mul_lo_u32 v20, v4, s29
	v_mad_u64_u32 v[32:33], null, v4, s28, 0
	s_delay_alu instid0(VALU_DEP_1) | instskip(NEXT) | instid1(VALU_DEP_1)
	v_add3_u32 v33, v33, v20, v2
	v_lshlrev_b64 v[32:33], 3, v[32:33]
	s_delay_alu instid0(VALU_DEP_1) | instskip(NEXT) | instid1(VALU_DEP_1)
	v_add_co_u32 v32, s4, s79, v32
	v_add_co_ci_u32_e64 v33, s4, s80, v33, s4
	global_load_b64 v[34:35], v[32:33], off
.LBB119_89:                             ;   in Loop: Header=BB119_46 Depth=1
	s_or_b32 exec_lo, exec_lo, s5
	s_and_saveexec_b32 s8, vcc_lo
	s_cbranch_execz .LBB119_96
; %bb.90:                               ;   in Loop: Header=BB119_46 Depth=1
	s_and_b32 s9, s95, 0xfe
	s_mov_b32 s10, 0
	s_branch .LBB119_92
.LBB119_91:                             ;   in Loop: Header=BB119_92 Depth=2
	s_or_b32 exec_lo, exec_lo, s5
	s_waitcnt vmcnt(0)
	v_cmp_o_f64_e64 s4, v[34:35], v[34:35]
	v_ashrrev_i32_e32 v2, 31, v35
	s_and_b32 s6, exec_lo, vcc_lo
	s_delay_alu instid0(SALU_CYCLE_1) | instskip(NEXT) | instid1(VALU_DEP_1)
	s_or_b32 s10, s6, s10
	v_or_b32_e32 v20, 0x80000000, v2
	v_xor_b32_e32 v2, v2, v34
	s_delay_alu instid0(VALU_DEP_2) | instskip(NEXT) | instid1(VALU_DEP_1)
	v_xor_b32_e32 v20, v20, v35
	v_cndmask_b32_e64 v35, -1, v20, s4
	s_delay_alu instid0(VALU_DEP_3) | instskip(NEXT) | instid1(VALU_DEP_1)
	v_cndmask_b32_e64 v34, -1, v2, s4
	v_lshrrev_b64 v[36:37], s9, v[34:35]
	v_and_b32_e32 v35, s67, v35
	v_and_b32_e32 v34, s66, v34
	s_delay_alu instid0(VALU_DEP_3) | instskip(NEXT) | instid1(VALU_DEP_2)
	v_and_b32_e32 v20, 3, v36
	v_cmp_eq_u64_e64 s4, s[64:65], v[34:35]
	s_delay_alu instid0(VALU_DEP_2) | instskip(SKIP_3) | instid1(VALU_DEP_4)
	v_cmp_eq_u64_e64 s5, 0, v[20:21]
	v_cmp_eq_u64_e32 vcc_lo, 1, v[20:21]
	v_cmp_eq_u64_e64 s6, 2, v[20:21]
	v_cmp_eq_u64_e64 s7, 3, v[20:21]
	s_and_b32 s5, s4, s5
	s_delay_alu instid0(SALU_CYCLE_1) | instskip(SKIP_1) | instid1(SALU_CYCLE_1)
	v_cndmask_b32_e64 v2, 0, 1, s5
	s_and_b32 s5, s4, vcc_lo
	v_cndmask_b32_e64 v20, 0, 1, s5
	s_and_b32 s5, s4, s6
	s_delay_alu instid0(VALU_DEP_2) | instskip(SKIP_2) | instid1(SALU_CYCLE_1)
	v_cmp_ne_u32_e32 vcc_lo, 0, v2
	v_cndmask_b32_e64 v34, 0, 1, s5
	s_and_b32 s4, s4, s7
	v_cndmask_b32_e64 v35, 0, 1, s4
	v_cmp_ne_u32_e64 s4, 0, v20
	s_bcnt1_i32_b32 s7, vcc_lo
	v_cmp_ne_u32_e64 s5, 0, v34
	v_add_co_u32 v8, vcc_lo, v8, s7
	s_delay_alu instid0(VALU_DEP_3)
	s_bcnt1_i32_b32 s4, s4
	v_cmp_ne_u32_e64 s6, 0, v35
	v_mov_b32_e32 v35, v33
	v_add_co_ci_u32_e32 v9, vcc_lo, 0, v9, vcc_lo
	v_add_co_u32 v10, vcc_lo, v10, s4
	s_bcnt1_i32_b32 s5, s5
	v_add_co_ci_u32_e32 v11, vcc_lo, 0, v11, vcc_lo
	v_add_co_u32 v12, vcc_lo, v12, s5
	s_bcnt1_i32_b32 s6, s6
	v_add_co_ci_u32_e32 v13, vcc_lo, 0, v13, vcc_lo
	v_add_co_u32 v14, vcc_lo, v14, s6
	v_add_co_ci_u32_e32 v15, vcc_lo, 0, v15, vcc_lo
	v_mov_b32_e32 v34, v32
	s_and_not1_b32 exec_lo, exec_lo, s10
	s_cbranch_execz .LBB119_95
.LBB119_92:                             ;   Parent Loop BB119_46 Depth=1
                                        ; =>  This Inner Loop Header: Depth=2
	v_add_co_u32 v4, vcc_lo, v4, s52
	v_add_co_ci_u32_e32 v5, vcc_lo, 0, v5, vcc_lo
	v_mov_b32_e32 v32, 0
	v_mov_b32_e32 v33, 0
	s_mov_b32 s5, exec_lo
	s_delay_alu instid0(VALU_DEP_3)
	v_cmp_le_u64_e32 vcc_lo, s[24:25], v[4:5]
	v_cmpx_gt_u64_e64 s[24:25], v[4:5]
	s_cbranch_execz .LBB119_91
; %bb.93:                               ;   in Loop: Header=BB119_92 Depth=2
	v_mul_lo_u32 v2, v5, s28
	v_mul_lo_u32 v20, v4, s29
	v_mad_u64_u32 v[32:33], null, v4, s28, 0
	s_delay_alu instid0(VALU_DEP_1) | instskip(NEXT) | instid1(VALU_DEP_1)
	v_add3_u32 v33, v33, v20, v2
	v_lshlrev_b64 v[32:33], 3, v[32:33]
	s_delay_alu instid0(VALU_DEP_1) | instskip(NEXT) | instid1(VALU_DEP_1)
	v_add_co_u32 v32, s4, s79, v32
	v_add_co_ci_u32_e64 v33, s4, s80, v33, s4
	global_load_b64 v[32:33], v[32:33], off
	s_branch .LBB119_91
.LBB119_94:                             ;   in Loop: Header=BB119_46 Depth=1
                                        ; implicit-def: $vgpr14_vgpr15
                                        ; implicit-def: $vgpr10_vgpr11
	s_cbranch_execnz .LBB119_97
	s_branch .LBB119_106
.LBB119_95:                             ;   in Loop: Header=BB119_46 Depth=1
	s_or_b32 exec_lo, exec_lo, s10
.LBB119_96:                             ;   in Loop: Header=BB119_46 Depth=1
	s_delay_alu instid0(SALU_CYCLE_1)
	s_or_b32 exec_lo, exec_lo, s8
	s_branch .LBB119_106
.LBB119_97:                             ;   in Loop: Header=BB119_46 Depth=1
	global_load_u16 v2, v21, s[56:57]
	v_mov_b32_e32 v8, 0
	s_mov_b64 s[70:71], 0
	s_mov_b32 s69, exec_lo
	v_mov_b32_e32 v9, 0
	s_delay_alu instid0(VALU_DEP_1)
	v_mov_b32_e32 v15, v9
	v_dual_mov_b32 v11, v9 :: v_dual_mov_b32 v10, v8
	v_dual_mov_b32 v13, v9 :: v_dual_mov_b32 v12, v8
	v_mov_b32_e32 v14, v8
	s_waitcnt vmcnt(0)
	v_readfirstlane_b32 s4, v2
	v_and_b32_e32 v2, 0xffff, v2
	s_delay_alu instid0(VALU_DEP_2) | instskip(NEXT) | instid1(SALU_CYCLE_1)
	s_and_b32 s4, 0xffff, s4
	s_lshl_b32 s54, s4, 2
	s_delay_alu instid0(SALU_CYCLE_1) | instskip(SKIP_1) | instid1(VALU_DEP_1)
	v_cvt_f32_u32_e32 v4, s54
	s_sub_i32 s5, 0, s54
	v_rcp_iflag_f32_e32 v4, v4
	s_waitcnt_depctr 0xfff
	v_mul_f32_e32 v4, 0x4f7ffffe, v4
	s_delay_alu instid0(VALU_DEP_1) | instskip(NEXT) | instid1(VALU_DEP_1)
	v_cvt_u32_f32_e32 v4, v4
	v_readfirstlane_b32 s4, v4
	s_delay_alu instid0(VALU_DEP_1) | instskip(NEXT) | instid1(SALU_CYCLE_1)
	s_mul_i32 s5, s5, s4
	s_mul_hi_u32 s5, s4, s5
	s_delay_alu instid0(SALU_CYCLE_1) | instskip(NEXT) | instid1(SALU_CYCLE_1)
	s_add_i32 s4, s4, s5
	s_mul_hi_u32 s4, s68, s4
	s_delay_alu instid0(SALU_CYCLE_1) | instskip(NEXT) | instid1(SALU_CYCLE_1)
	s_mul_i32 s4, s4, s54
	s_sub_i32 s4, s68, s4
	s_delay_alu instid0(SALU_CYCLE_1) | instskip(SKIP_2) | instid1(SALU_CYCLE_1)
	s_sub_i32 s5, s4, s54
	s_cmp_ge_u32 s4, s54
	s_cselect_b32 s4, s5, s4
	s_sub_i32 s5, s4, s54
	s_cmp_ge_u32 s4, s54
	s_cselect_b32 s4, s5, s4
	s_delay_alu instid0(SALU_CYCLE_1) | instskip(NEXT) | instid1(SALU_CYCLE_1)
	s_sub_i32 s52, s68, s4
	v_cmpx_gt_u32_e64 s52, v18
	s_cbranch_execz .LBB119_101
; %bb.98:                               ;   in Loop: Header=BB119_46 Depth=1
	v_dual_mov_b32 v33, v46 :: v_dual_lshlrev_b32 v32, 5, v2
	v_dual_mov_b32 v4, v18 :: v_dual_mov_b32 v5, v19
	s_and_b32 s100, s95, 0xfe
	s_mov_b32 s101, 0
	s_mov_b64 s[72:73], 0
	s_mov_b64 s[74:75], 0
	;; [unrolled: 1-line block ×3, first 2 shown]
.LBB119_99:                             ;   Parent Loop BB119_46 Depth=1
                                        ; =>  This Inner Loop Header: Depth=2
	ds_load_b128 v[8:11], v33
	ds_load_b128 v[12:15], v33 offset:16
	v_add_co_u32 v4, vcc_lo, v4, s54
	v_add_co_ci_u32_e32 v5, vcc_lo, 0, v5, vcc_lo
	s_delay_alu instid0(VALU_DEP_1)
	v_cmp_le_u64_e32 vcc_lo, s[52:53], v[4:5]
	s_waitcnt lgkmcnt(1)
	v_cmp_o_f64_e64 s5, v[8:9], v[8:9]
	s_waitcnt lgkmcnt(0)
	v_cmp_o_f64_e64 s7, v[14:15], v[14:15]
	v_cmp_o_f64_e64 s4, v[10:11], v[10:11]
	;; [unrolled: 1-line block ×3, first 2 shown]
	v_ashrrev_i32_e32 v20, 31, v9
	v_ashrrev_i32_e32 v38, 31, v15
	;; [unrolled: 1-line block ×4, first 2 shown]
	s_delay_alu instid0(VALU_DEP_4) | instskip(NEXT) | instid1(VALU_DEP_4)
	v_or_b32_e32 v40, 0x80000000, v20
	v_or_b32_e32 v50, 0x80000000, v38
	s_delay_alu instid0(VALU_DEP_4) | instskip(NEXT) | instid1(VALU_DEP_4)
	v_or_b32_e32 v41, 0x80000000, v34
	v_or_b32_e32 v49, 0x80000000, v36
	v_xor_b32_e32 v20, v20, v8
	v_xor_b32_e32 v40, v40, v9
	;; [unrolled: 1-line block ×8, first 2 shown]
	v_cndmask_b32_e64 v9, -1, v40, s5
	v_cndmask_b32_e64 v15, -1, v8, s7
	;; [unrolled: 1-line block ×7, first 2 shown]
	v_and_b32_e32 v41, s67, v9
	v_and_b32_e32 v40, s66, v8
	v_lshrrev_b64 v[8:9], s100, v[8:9]
	v_cndmask_b32_e64 v14, -1, v38, s7
	v_and_b32_e32 v49, s66, v10
	v_lshrrev_b64 v[9:10], s100, v[10:11]
	v_dual_mov_b32 v35, v21 :: v_dual_and_b32 v50, s67, v11
	v_lshrrev_b64 v[10:11], s100, v[12:13]
	v_and_b32_e32 v51, s66, v12
	v_lshrrev_b64 v[11:12], s100, v[14:15]
	v_and_b32_e32 v20, 3, v8
	v_dual_mov_b32 v37, v21 :: v_dual_and_b32 v34, 3, v9
	v_and_b32_e32 v52, s67, v13
	v_and_b32_e32 v36, 3, v10
	v_cmp_eq_u64_e64 s4, s[64:65], v[40:41]
	v_cmp_eq_u64_e64 s8, 0, v[20:21]
	v_dual_mov_b32 v39, v21 :: v_dual_and_b32 v54, s67, v15
	v_and_b32_e32 v53, s66, v14
	v_and_b32_e32 v38, 3, v11
	v_cmp_eq_u64_e64 s5, s[64:65], v[49:50]
	v_cmp_eq_u64_e64 s9, 0, v[34:35]
	;; [unrolled: 1-line block ×6, first 2 shown]
	s_and_b32 s8, s4, s8
	v_cmp_eq_u64_e64 s12, 1, v[20:21]
	v_cndmask_b32_e64 v8, 0, 1, s8
	s_and_b32 s8, s5, s9
	v_cmp_eq_u64_e64 s13, 1, v[34:35]
	v_cndmask_b32_e64 v9, 0, 1, s8
	;; [unrolled: 3-line block ×3, first 2 shown]
	s_and_b32 s8, s7, s11
	v_cmp_ne_u32_e64 s9, 0, v9
	v_cndmask_b32_e64 v11, 0, 1, s8
	v_cmp_ne_u32_e64 s8, 0, v8
	v_cmp_ne_u32_e64 s10, 0, v10
	v_cmp_eq_u64_e64 s15, 1, v[38:39]
	s_bcnt1_i32_b32 s9, s9
	v_cmp_ne_u32_e64 s11, 0, v11
	s_bcnt1_i32_b32 s8, s8
	s_bcnt1_i32_b32 s10, s10
	s_add_i32 s8, s9, s8
	v_cmp_eq_u64_e64 s16, 2, v[20:21]
	s_bcnt1_i32_b32 s11, s11
	s_add_i32 s8, s8, s10
	v_cmp_eq_u64_e64 s17, 2, v[34:35]
	s_add_i32 s8, s8, s11
	v_cmp_eq_u64_e64 s18, 2, v[36:37]
	s_add_u32 s76, s76, s8
	s_addc_u32 s77, s77, 0
	s_and_b32 s8, s4, s12
	v_cmp_eq_u64_e64 s19, 2, v[38:39]
	v_cndmask_b32_e64 v8, 0, 1, s8
	s_and_b32 s8, s5, s13
	v_cmp_eq_u64_e64 s20, 3, v[20:21]
	v_cndmask_b32_e64 v9, 0, 1, s8
	;; [unrolled: 3-line block ×3, first 2 shown]
	s_and_b32 s8, s7, s15
	v_cmp_ne_u32_e64 s9, 0, v9
	v_cndmask_b32_e64 v11, 0, 1, s8
	v_cmp_ne_u32_e64 s8, 0, v8
	v_cmp_ne_u32_e64 s10, 0, v10
	v_cmp_eq_u64_e64 s23, 3, v[38:39]
	s_bcnt1_i32_b32 s9, s9
	v_cmp_ne_u32_e64 s11, 0, v11
	s_bcnt1_i32_b32 s8, s8
	s_bcnt1_i32_b32 s10, s10
	s_add_i32 s8, s9, s8
	v_add_nc_u32_e32 v33, v33, v32
	s_bcnt1_i32_b32 s11, s11
	s_add_i32 s8, s8, s10
	s_delay_alu instid0(SALU_CYCLE_1) | instskip(NEXT) | instid1(SALU_CYCLE_1)
	s_add_i32 s8, s8, s11
	s_add_u32 s74, s74, s8
	s_addc_u32 s75, s75, 0
	s_and_b32 s8, s4, s16
	s_delay_alu instid0(SALU_CYCLE_1) | instskip(SKIP_1) | instid1(SALU_CYCLE_1)
	v_cndmask_b32_e64 v8, 0, 1, s8
	s_and_b32 s8, s5, s17
	v_cndmask_b32_e64 v9, 0, 1, s8
	s_and_b32 s8, s6, s18
	s_delay_alu instid0(SALU_CYCLE_1) | instskip(SKIP_1) | instid1(VALU_DEP_2)
	v_cndmask_b32_e64 v10, 0, 1, s8
	s_and_b32 s8, s7, s19
	v_cmp_ne_u32_e64 s9, 0, v9
	v_cndmask_b32_e64 v11, 0, 1, s8
	v_cmp_ne_u32_e64 s8, 0, v8
	v_cmp_ne_u32_e64 s10, 0, v10
	s_delay_alu instid0(VALU_DEP_4) | instskip(NEXT) | instid1(VALU_DEP_3)
	s_bcnt1_i32_b32 s9, s9
	v_cmp_ne_u32_e64 s11, 0, v11
	s_delay_alu instid0(VALU_DEP_3) | instskip(NEXT) | instid1(VALU_DEP_2)
	s_bcnt1_i32_b32 s8, s8
	s_bcnt1_i32_b32 s10, s10
	s_add_i32 s8, s9, s8
	s_delay_alu instid0(VALU_DEP_1) | instskip(SKIP_1) | instid1(SALU_CYCLE_1)
	s_bcnt1_i32_b32 s11, s11
	s_add_i32 s8, s8, s10
	s_add_i32 s8, s8, s11
	s_delay_alu instid0(SALU_CYCLE_1) | instskip(SKIP_1) | instid1(SALU_CYCLE_1)
	s_add_u32 s72, s72, s8
	s_addc_u32 s73, s73, 0
	v_dual_mov_b32 v12, s72 :: v_dual_mov_b32 v13, s73
	v_cmp_eq_u64_e64 s21, 3, v[34:35]
	s_and_b32 s4, s4, s20
	s_delay_alu instid0(SALU_CYCLE_1) | instskip(NEXT) | instid1(VALU_DEP_2)
	v_cndmask_b32_e64 v8, 0, 1, s4
	s_and_b32 s4, s5, s21
	s_delay_alu instid0(SALU_CYCLE_1) | instskip(SKIP_1) | instid1(SALU_CYCLE_1)
	v_cndmask_b32_e64 v9, 0, 1, s4
	s_and_b32 s4, s6, s22
	v_cndmask_b32_e64 v10, 0, 1, s4
	s_and_b32 s4, s7, s23
	s_delay_alu instid0(VALU_DEP_2)
	v_cmp_ne_u32_e64 s5, 0, v9
	v_cndmask_b32_e64 v11, 0, 1, s4
	v_cmp_ne_u32_e64 s4, 0, v8
	v_mov_b32_e32 v8, s76
	v_cmp_ne_u32_e64 s6, 0, v10
	s_bcnt1_i32_b32 s5, s5
	v_cmp_ne_u32_e64 s7, 0, v11
	s_bcnt1_i32_b32 s4, s4
	v_mov_b32_e32 v10, s74
	s_bcnt1_i32_b32 s6, s6
	s_add_i32 s4, s5, s4
	s_bcnt1_i32_b32 s5, s7
	s_add_i32 s4, s4, s6
	v_mov_b32_e32 v9, s77
	s_add_i32 s4, s4, s5
	v_mov_b32_e32 v11, s75
	s_add_u32 s70, s70, s4
	s_addc_u32 s71, s71, 0
	s_delay_alu instid0(SALU_CYCLE_1) | instskip(SKIP_1) | instid1(SALU_CYCLE_1)
	v_dual_mov_b32 v14, s70 :: v_dual_mov_b32 v15, s71
	s_or_b32 s101, vcc_lo, s101
	s_and_not1_b32 exec_lo, exec_lo, s101
	s_cbranch_execnz .LBB119_99
; %bb.100:                              ;   in Loop: Header=BB119_46 Depth=1
	s_or_b32 exec_lo, exec_lo, s101
.LBB119_101:                            ;   in Loop: Header=BB119_46 Depth=1
	s_delay_alu instid0(SALU_CYCLE_1) | instskip(SKIP_2) | instid1(VALU_DEP_1)
	s_or_b32 exec_lo, exec_lo, s69
	v_add_nc_u32_e32 v20, s52, v0
	s_mov_b32 s9, exec_lo
	v_cmpx_gt_u32_e64 s68, v20
	s_cbranch_execz .LBB119_105
; %bb.102:                              ;   in Loop: Header=BB119_46 Depth=1
	v_dual_mov_b32 v4, v20 :: v_dual_lshlrev_b32 v33, 3, v2
	v_dual_mov_b32 v5, v21 :: v_dual_lshlrev_b32 v32, 3, v20
	s_mov_b32 s11, 0
	s_and_b32 s10, s68, 0x7fffffff
	s_and_b32 s13, s95, 0xfe
	s_mov_b32 s12, s11
.LBB119_103:                            ;   Parent Loop BB119_46 Depth=1
                                        ; =>  This Inner Loop Header: Depth=2
	ds_load_b64 v[34:35], v32
	v_add_co_u32 v4, s4, v4, v2
	s_delay_alu instid0(VALU_DEP_1) | instskip(NEXT) | instid1(VALU_DEP_1)
	v_add_co_ci_u32_e64 v5, s4, 0, v5, s4
	v_cmp_le_u64_e64 s4, s[10:11], v[4:5]
	s_waitcnt lgkmcnt(0)
	v_cmp_o_f64_e32 vcc_lo, v[34:35], v[34:35]
	v_ashrrev_i32_e32 v20, 31, v35
	s_delay_alu instid0(VALU_DEP_1) | instskip(SKIP_1) | instid1(VALU_DEP_2)
	v_or_b32_e32 v36, 0x80000000, v20
	v_xor_b32_e32 v20, v20, v34
	v_xor_b32_e32 v36, v36, v35
	s_delay_alu instid0(VALU_DEP_1) | instskip(NEXT) | instid1(VALU_DEP_1)
	v_dual_cndmask_b32 v35, -1, v36 :: v_dual_add_nc_u32 v32, v32, v33
	v_dual_cndmask_b32 v34, -1, v20 :: v_dual_and_b32 v37, s67, v35
	s_delay_alu instid0(VALU_DEP_1) | instskip(SKIP_1) | instid1(VALU_DEP_2)
	v_and_b32_e32 v36, s66, v34
	v_lshrrev_b64 v[34:35], s13, v[34:35]
	v_cmp_eq_u64_e32 vcc_lo, s[64:65], v[36:37]
	s_delay_alu instid0(VALU_DEP_2) | instskip(NEXT) | instid1(VALU_DEP_1)
	v_and_b32_e32 v20, 3, v34
	v_cmp_eq_u64_e64 s5, 0, v[20:21]
	v_cmp_eq_u64_e64 s6, 1, v[20:21]
	v_cmp_eq_u64_e64 s7, 2, v[20:21]
	v_cmp_eq_u64_e64 s8, 3, v[20:21]
	s_delay_alu instid0(VALU_DEP_4) | instskip(NEXT) | instid1(SALU_CYCLE_1)
	s_and_b32 s5, vcc_lo, s5
	v_cndmask_b32_e64 v20, 0, 1, s5
	s_delay_alu instid0(VALU_DEP_4) | instskip(NEXT) | instid1(SALU_CYCLE_1)
	s_and_b32 s5, vcc_lo, s6
	v_cndmask_b32_e64 v34, 0, 1, s5
	s_and_b32 s5, vcc_lo, s7
	s_delay_alu instid0(SALU_CYCLE_1)
	v_cndmask_b32_e64 v35, 0, 1, s5
	s_and_b32 s5, vcc_lo, s8
	v_cmp_ne_u32_e32 vcc_lo, 0, v20
	v_cndmask_b32_e64 v36, 0, 1, s5
	v_cmp_ne_u32_e64 s5, 0, v34
	v_cmp_ne_u32_e64 s6, 0, v35
	s_bcnt1_i32_b32 s8, vcc_lo
	s_delay_alu instid0(VALU_DEP_3)
	v_cmp_ne_u32_e64 s7, 0, v36
	v_add_co_u32 v8, vcc_lo, v8, s8
	s_bcnt1_i32_b32 s5, s5
	v_add_co_ci_u32_e32 v9, vcc_lo, 0, v9, vcc_lo
	v_add_co_u32 v10, vcc_lo, v10, s5
	s_bcnt1_i32_b32 s6, s6
	v_add_co_ci_u32_e32 v11, vcc_lo, 0, v11, vcc_lo
	;; [unrolled: 3-line block ×3, first 2 shown]
	v_add_co_u32 v14, vcc_lo, v14, s7
	v_add_co_ci_u32_e32 v15, vcc_lo, 0, v15, vcc_lo
	s_or_b32 s12, s4, s12
	s_delay_alu instid0(SALU_CYCLE_1)
	s_and_not1_b32 exec_lo, exec_lo, s12
	s_cbranch_execnz .LBB119_103
; %bb.104:                              ;   in Loop: Header=BB119_46 Depth=1
	s_or_b32 exec_lo, exec_lo, s12
.LBB119_105:                            ;   in Loop: Header=BB119_46 Depth=1
	s_delay_alu instid0(SALU_CYCLE_1)
	s_or_b32 exec_lo, exec_lo, s9
.LBB119_106:                            ;   in Loop: Header=BB119_46 Depth=1
	s_lshl_b32 s4, s98, 7
	s_and_saveexec_b32 s5, s1
	s_cbranch_execz .LBB119_108
; %bb.107:                              ;   in Loop: Header=BB119_46 Depth=1
	v_or_b32_e32 v2, s4, v45
	s_delay_alu instid0(VALU_DEP_1)
	v_lshlrev_b32_e32 v2, 3, v2
	ds_store_b128 v2, v[8:11] offset:3072
	ds_store_b128 v2, v[12:15] offset:3088
.LBB119_108:                            ;   in Loop: Header=BB119_46 Depth=1
	s_or_b32 exec_lo, exec_lo, s5
	s_waitcnt vmcnt(0) lgkmcnt(0)
	s_barrier
	buffer_gl0_inv
	s_and_saveexec_b32 s5, s81
	s_cbranch_execz .LBB119_119
; %bb.109:                              ;   in Loop: Header=BB119_46 Depth=1
	v_mov_b32_e32 v4, 0
	v_mov_b32_e32 v5, 0
	s_and_not1_b32 vcc_lo, exec_lo, s88
	s_cbranch_vccnz .LBB119_118
; %bb.110:                              ;   in Loop: Header=BB119_46 Depth=1
	v_mov_b32_e32 v4, 0
	v_mov_b32_e32 v5, 0
	s_and_not1_b32 vcc_lo, exec_lo, s86
	s_cbranch_vccnz .LBB119_115
; %bb.111:                              ;   in Loop: Header=BB119_46 Depth=1
	v_lshl_add_u32 v2, s98, 10, v48
	s_mov_b32 s6, 0
	s_set_inst_prefetch_distance 0x1
	.p2align	6
.LBB119_112:                            ;   Parent Loop BB119_46 Depth=1
                                        ; =>  This Inner Loop Header: Depth=2
	ds_load_2addr_b64 v[8:11], v2 offset1:4
	ds_load_2addr_b64 v[12:15], v2 offset0:8 offset1:12
	ds_load_2addr_b64 v[32:35], v2 offset0:16 offset1:20
	s_add_i32 s6, s6, 8
	s_delay_alu instid0(SALU_CYCLE_1) | instskip(SKIP_3) | instid1(VALU_DEP_2)
	s_cmp_eq_u32 s87, s6
	s_waitcnt lgkmcnt(2)
	v_add_co_u32 v4, vcc_lo, v8, v4
	v_add_co_ci_u32_e32 v5, vcc_lo, v9, v5, vcc_lo
	v_add_co_u32 v4, vcc_lo, v10, v4
	s_delay_alu instid0(VALU_DEP_2)
	v_add_co_ci_u32_e32 v5, vcc_lo, v11, v5, vcc_lo
	ds_load_2addr_b64 v[8:11], v2 offset0:24 offset1:28
	s_waitcnt lgkmcnt(2)
	v_add_co_u32 v4, vcc_lo, v12, v4
	v_add_co_ci_u32_e32 v5, vcc_lo, v13, v5, vcc_lo
	v_add_nc_u32_e32 v2, 0x100, v2
	s_delay_alu instid0(VALU_DEP_3) | instskip(NEXT) | instid1(VALU_DEP_3)
	v_add_co_u32 v4, vcc_lo, v14, v4
	v_add_co_ci_u32_e32 v5, vcc_lo, v15, v5, vcc_lo
	s_waitcnt lgkmcnt(1)
	s_delay_alu instid0(VALU_DEP_2) | instskip(NEXT) | instid1(VALU_DEP_2)
	v_add_co_u32 v4, vcc_lo, v32, v4
	v_add_co_ci_u32_e32 v5, vcc_lo, v33, v5, vcc_lo
	s_delay_alu instid0(VALU_DEP_2) | instskip(NEXT) | instid1(VALU_DEP_2)
	v_add_co_u32 v4, vcc_lo, v34, v4
	v_add_co_ci_u32_e32 v5, vcc_lo, v35, v5, vcc_lo
	s_waitcnt lgkmcnt(0)
	s_delay_alu instid0(VALU_DEP_2) | instskip(NEXT) | instid1(VALU_DEP_2)
	v_add_co_u32 v4, vcc_lo, v8, v4
	v_add_co_ci_u32_e32 v5, vcc_lo, v9, v5, vcc_lo
	s_delay_alu instid0(VALU_DEP_2) | instskip(NEXT) | instid1(VALU_DEP_2)
	v_add_co_u32 v4, vcc_lo, v10, v4
	v_add_co_ci_u32_e32 v5, vcc_lo, v11, v5, vcc_lo
	s_cbranch_scc0 .LBB119_112
; %bb.113:                              ;   in Loop: Header=BB119_46 Depth=1
	s_set_inst_prefetch_distance 0x2
	s_mov_b32 s6, s87
	s_and_not1_b32 vcc_lo, exec_lo, s89
	s_cbranch_vccz .LBB119_116
	s_branch .LBB119_118
.LBB119_114:                            ;   in Loop: Header=BB119_46 Depth=1
                                        ; implicit-def: $vgpr4_vgpr5
	s_branch .LBB119_82
.LBB119_115:                            ;   in Loop: Header=BB119_46 Depth=1
	s_mov_b32 s6, 0
	s_and_not1_b32 vcc_lo, exec_lo, s89
	s_cbranch_vccnz .LBB119_118
.LBB119_116:                            ;   in Loop: Header=BB119_46 Depth=1
	s_lshl_b32 s7, s98, 10
	s_lshl_b32 s6, s6, 5
	s_delay_alu instid0(SALU_CYCLE_1)
	v_add3_u32 v2, s7, s6, v48
	s_mov_b32 s6, s85
.LBB119_117:                            ;   Parent Loop BB119_46 Depth=1
                                        ; =>  This Inner Loop Header: Depth=2
	ds_load_b64 v[8:9], v2
	v_add_nc_u32_e32 v2, 32, v2
	s_add_i32 s6, s6, -1
	s_delay_alu instid0(SALU_CYCLE_1)
	s_cmp_lg_u32 s6, 0
	s_waitcnt lgkmcnt(0)
	v_add_co_u32 v4, vcc_lo, v8, v4
	v_add_co_ci_u32_e32 v5, vcc_lo, v9, v5, vcc_lo
	s_cbranch_scc1 .LBB119_117
.LBB119_118:                            ;   in Loop: Header=BB119_46 Depth=1
	v_add_lshl_u32 v2, s4, v42, 3
	ds_store_b64 v2, v[4:5] offset:3072
.LBB119_119:                            ;   in Loop: Header=BB119_46 Depth=1
	s_or_b32 exec_lo, exec_lo, s5
	s_lshl_b32 s4, s4, 3
	s_waitcnt lgkmcnt(0)
	v_mov_b32_e32 v2, s4
	s_barrier
	buffer_gl0_inv
	s_and_b32 s21, s95, 0xfe
	s_mov_b32 s22, -1
	ds_load_b128 v[8:11], v2 offset:3072
	ds_load_b128 v[12:15], v2 offset:3088
	s_lshl_b64 s[8:9], 3, s21
	s_delay_alu instid0(SALU_CYCLE_1)
	s_not_b64 s[12:13], s[8:9]
	s_waitcnt lgkmcnt(1)
	v_readfirstlane_b32 s17, v9
	v_readfirstlane_b32 s16, v8
	;; [unrolled: 1-line block ×4, first 2 shown]
	s_waitcnt lgkmcnt(0)
	v_readfirstlane_b32 s10, v12
	v_readfirstlane_b32 s11, v13
	s_cmp_eq_u64 s[16:17], 1
	v_readfirstlane_b32 s6, v14
	s_cselect_b32 s4, -1, 0
	s_cmp_eq_u64 s[50:51], 1
	v_readfirstlane_b32 s7, v15
	s_cselect_b32 s5, -1, 0
	s_delay_alu instid0(SALU_CYCLE_1) | instskip(NEXT) | instid1(SALU_CYCLE_1)
	s_and_b32 s23, s4, s5
	s_and_b32 vcc_lo, exec_lo, s23
	s_cbranch_vccz .LBB119_134
; %bb.120:                              ;   in Loop: Header=BB119_46 Depth=1
	ds_load_b64 v[4:5], v21 offset:5120
	s_waitcnt lgkmcnt(0)
	s_barrier
	buffer_gl0_inv
	v_readfirstlane_b32 s18, v4
	v_readfirstlane_b32 s19, v5
	s_and_saveexec_b32 s4, s0
	s_cbranch_execz .LBB119_122
; %bb.121:                              ;   in Loop: Header=BB119_46 Depth=1
	v_mov_b32_e32 v20, v21
	ds_store_b64 v44, v[20:21]
.LBB119_122:                            ;   in Loop: Header=BB119_46 Depth=1
	s_or_b32 exec_lo, exec_lo, s4
	s_and_b64 s[64:65], s[64:65], s[12:13]
	s_or_b64 s[66:67], s[66:67], s[8:9]
	s_cmp_eq_u64 s[18:19], 0
	s_waitcnt lgkmcnt(0)
	s_barrier
	buffer_gl0_inv
	s_cbranch_scc1 .LBB119_135
; %bb.123:                              ;   in Loop: Header=BB119_46 Depth=1
	s_add_u32 s20, s82, s18
	s_addc_u32 s5, s83, s19
	s_mov_b32 s4, s53
	s_delay_alu instid0(SALU_CYCLE_1)
	s_cmp_lg_u64 s[4:5], 0
	s_cbranch_scc0 .LBB119_180
; %bb.124:                              ;   in Loop: Header=BB119_46 Depth=1
	v_cvt_f32_u32_e32 v2, s33
	s_sub_u32 s54, 0, s33
	s_subb_u32 s68, 0, 0
	s_delay_alu instid0(VALU_DEP_1) | instskip(NEXT) | instid1(VALU_DEP_1)
	v_fmac_f32_e64 v2, 0, 0x4f800000
	v_rcp_f32_e32 v2, v2
	s_waitcnt_depctr 0xfff
	v_mul_f32_e32 v2, 0x5f7ffffc, v2
	s_delay_alu instid0(VALU_DEP_1) | instskip(NEXT) | instid1(VALU_DEP_1)
	v_mul_f32_e32 v4, 0x2f800000, v2
	v_trunc_f32_e32 v4, v4
	s_delay_alu instid0(VALU_DEP_1) | instskip(SKIP_1) | instid1(VALU_DEP_2)
	v_fmac_f32_e32 v2, 0xcf800000, v4
	v_cvt_u32_f32_e32 v4, v4
	v_cvt_u32_f32_e32 v2, v2
	s_delay_alu instid0(VALU_DEP_2) | instskip(NEXT) | instid1(VALU_DEP_2)
	v_readfirstlane_b32 s4, v4
	v_readfirstlane_b32 s52, v2
	s_delay_alu instid0(VALU_DEP_2) | instskip(NEXT) | instid1(VALU_DEP_1)
	s_mul_i32 s69, s54, s4
	s_mul_hi_u32 s71, s54, s52
	s_mul_i32 s70, s68, s52
	s_add_i32 s69, s71, s69
	s_mul_i32 s72, s54, s52
	s_add_i32 s69, s69, s70
	s_mul_hi_u32 s71, s52, s72
	s_mul_hi_u32 s73, s4, s72
	s_mul_i32 s70, s4, s72
	s_mul_hi_u32 s72, s52, s69
	s_mul_i32 s52, s52, s69
	s_mul_hi_u32 s74, s4, s69
	s_add_u32 s52, s71, s52
	s_addc_u32 s71, 0, s72
	s_add_u32 s52, s52, s70
	s_mul_i32 s69, s4, s69
	s_addc_u32 s52, s71, s73
	s_addc_u32 s70, s74, 0
	s_add_u32 s52, s52, s69
	s_addc_u32 s69, 0, s70
	v_add_co_u32 v2, s52, v2, s52
	s_delay_alu instid0(VALU_DEP_1) | instskip(SKIP_1) | instid1(VALU_DEP_1)
	s_cmp_lg_u32 s52, 0
	s_addc_u32 s4, s4, s69
	v_readfirstlane_b32 s52, v2
	s_mul_i32 s69, s54, s4
	s_delay_alu instid0(VALU_DEP_1)
	s_mul_hi_u32 s70, s54, s52
	s_mul_i32 s68, s68, s52
	s_add_i32 s69, s70, s69
	s_mul_i32 s54, s54, s52
	s_add_i32 s69, s69, s68
	s_mul_hi_u32 s70, s4, s54
	s_mul_i32 s71, s4, s54
	s_mul_hi_u32 s54, s52, s54
	s_mul_hi_u32 s72, s52, s69
	s_mul_i32 s52, s52, s69
	s_mul_hi_u32 s68, s4, s69
	s_add_u32 s52, s54, s52
	s_addc_u32 s54, 0, s72
	s_add_u32 s52, s52, s71
	s_mul_i32 s69, s4, s69
	s_addc_u32 s52, s54, s70
	s_addc_u32 s54, s68, 0
	s_add_u32 s52, s52, s69
	s_addc_u32 s54, 0, s54
	v_add_co_u32 v2, s52, v2, s52
	s_delay_alu instid0(VALU_DEP_1) | instskip(SKIP_1) | instid1(VALU_DEP_1)
	s_cmp_lg_u32 s52, 0
	s_addc_u32 s4, s4, s54
	v_readfirstlane_b32 s52, v2
	s_mul_i32 s68, s20, s4
	s_mul_hi_u32 s54, s20, s4
	s_mul_hi_u32 s69, s5, s4
	s_mul_i32 s4, s5, s4
	s_mul_hi_u32 s70, s20, s52
	s_mul_hi_u32 s71, s5, s52
	s_mul_i32 s52, s5, s52
	s_add_u32 s68, s70, s68
	s_addc_u32 s54, 0, s54
	s_add_u32 s52, s68, s52
	s_addc_u32 s52, s54, s71
	s_addc_u32 s54, s69, 0
	s_add_u32 s4, s52, s4
	s_addc_u32 s52, 0, s54
	s_mul_hi_u32 s54, s33, s4
	s_mul_i32 s4, s33, s4
	s_mul_i32 s52, s33, s52
	v_sub_co_u32 v2, s4, s20, s4
	s_add_i32 s54, s54, s52
	s_cmp_lg_u32 s4, 0
	s_delay_alu instid0(VALU_DEP_1) | instskip(SKIP_2) | instid1(VALU_DEP_1)
	v_sub_co_u32 v4, s4, v2, s33
	s_subb_u32 s52, s5, s54
	s_cmp_lg_u32 s4, 0
	v_cmp_le_u32_e32 vcc_lo, s33, v4
	v_sub_co_u32 v5, s4, v4, s33
	s_subb_u32 s54, s52, 0
	s_cmp_lg_u32 s4, 0
	v_cndmask_b32_e64 v6, 0, -1, vcc_lo
	s_subb_u32 s4, s54, 0
	s_cmp_eq_u32 s54, 0
	v_mov_b32_e32 v8, s4
	s_cselect_b32 vcc_lo, -1, 0
	s_cmp_eq_u32 s52, 0
	v_cndmask_b32_e32 v6, -1, v6, vcc_lo
	v_cmp_le_u32_e32 vcc_lo, s33, v2
	s_cselect_b32 s4, -1, 0
	v_cndmask_b32_e64 v7, 0, -1, vcc_lo
	s_delay_alu instid0(VALU_DEP_3) | instskip(NEXT) | instid1(VALU_DEP_2)
	v_cmp_ne_u32_e32 vcc_lo, 0, v6
	v_cndmask_b32_e64 v6, -1, v7, s4
	v_cndmask_b32_e32 v7, s54, v8, vcc_lo
	v_cndmask_b32_e32 v4, v4, v5, vcc_lo
	s_delay_alu instid0(VALU_DEP_3) | instskip(NEXT) | instid1(VALU_DEP_3)
	v_cmp_ne_u32_e32 vcc_lo, 0, v6
	v_cndmask_b32_e32 v5, s52, v7, vcc_lo
	s_delay_alu instid0(VALU_DEP_3)
	v_cndmask_b32_e32 v4, v2, v4, vcc_lo
	s_cbranch_execnz .LBB119_126
.LBB119_125:                            ;   in Loop: Header=BB119_46 Depth=1
	v_cvt_f32_u32_e32 v2, s33
	s_sub_i32 s4, 0, s33
	s_delay_alu instid0(VALU_DEP_1) | instskip(SKIP_2) | instid1(VALU_DEP_1)
	v_rcp_iflag_f32_e32 v2, v2
	s_waitcnt_depctr 0xfff
	v_mul_f32_e32 v2, 0x4f7ffffe, v2
	v_cvt_u32_f32_e32 v2, v2
	s_delay_alu instid0(VALU_DEP_1) | instskip(NEXT) | instid1(VALU_DEP_1)
	v_mul_lo_u32 v4, s4, v2
	v_mul_hi_u32 v4, v2, v4
	s_delay_alu instid0(VALU_DEP_1) | instskip(NEXT) | instid1(VALU_DEP_1)
	v_add_nc_u32_e32 v2, v2, v4
	v_mul_hi_u32 v2, s20, v2
	s_delay_alu instid0(VALU_DEP_1) | instskip(NEXT) | instid1(VALU_DEP_1)
	v_mul_lo_u32 v2, v2, s33
	v_sub_nc_u32_e32 v2, s20, v2
	s_delay_alu instid0(VALU_DEP_1) | instskip(SKIP_1) | instid1(VALU_DEP_2)
	v_subrev_nc_u32_e32 v4, s33, v2
	v_cmp_le_u32_e32 vcc_lo, s33, v2
	v_cndmask_b32_e32 v2, v2, v4, vcc_lo
	s_delay_alu instid0(VALU_DEP_1) | instskip(SKIP_1) | instid1(VALU_DEP_2)
	v_subrev_nc_u32_e32 v4, s33, v2
	v_cmp_le_u32_e32 vcc_lo, s33, v2
	v_cndmask_b32_e32 v20, v2, v4, vcc_lo
	s_delay_alu instid0(VALU_DEP_1)
	v_dual_mov_b32 v4, v20 :: v_dual_mov_b32 v5, v21
.LBB119_126:                            ;   in Loop: Header=BB119_46 Depth=1
	s_delay_alu instid0(VALU_DEP_1) | instskip(NEXT) | instid1(VALU_DEP_2)
	v_sub_co_u32 v8, vcc_lo, s20, v4
	v_sub_co_ci_u32_e32 v9, vcc_lo, s5, v5, vcc_lo
	s_mov_b32 s4, 0
	s_mov_b32 s5, exec_lo
                                        ; implicit-def: $vgpr6_vgpr7
	s_delay_alu instid0(VALU_DEP_1)
	v_cmpx_gt_u64_e64 v[8:9], v[0:1]
	s_cbranch_execz .LBB119_137
; %bb.127:                              ;   in Loop: Header=BB119_46 Depth=1
	v_dual_mov_b32 v12, v43 :: v_dual_mov_b32 v11, v1
	v_mov_b32_e32 v10, v0
	s_mov_b32 s52, 0
                                        ; implicit-def: $sgpr20
	s_set_inst_prefetch_distance 0x1
	s_branch .LBB119_129
	.p2align	6
.LBB119_128:                            ;   in Loop: Header=BB119_129 Depth=2
	s_or_b32 exec_lo, exec_lo, s4
	s_waitcnt lgkmcnt(0)
	s_barrier
	buffer_gl0_inv
	ds_load_b128 v[4:7], v21 offset:3072
	v_add_co_u32 v10, s4, v10, s33
	s_delay_alu instid0(VALU_DEP_1) | instskip(SKIP_3) | instid1(VALU_DEP_2)
	v_add_co_ci_u32_e64 v11, s4, 0, v11, s4
	v_add_nc_u32_e32 v12, s90, v12
	s_waitcnt lgkmcnt(0)
	s_barrier
	v_cmp_ge_u64_e64 s4, v[10:11], v[8:9]
	buffer_gl0_inv
	v_cmp_neq_f64_e32 vcc_lo, 0, v[4:5]
	s_or_b32 s4, s4, vcc_lo
	s_delay_alu instid0(SALU_CYCLE_1) | instskip(NEXT) | instid1(SALU_CYCLE_1)
	s_and_b32 s4, exec_lo, s4
	s_or_b32 s52, s4, s52
	s_and_not1_b32 s4, s20, exec_lo
	s_and_b32 s20, vcc_lo, exec_lo
	s_delay_alu instid0(SALU_CYCLE_1)
	s_or_b32 s20, s4, s20
	s_and_not1_b32 exec_lo, exec_lo, s52
	s_cbranch_execz .LBB119_136
.LBB119_129:                            ;   Parent Loop BB119_46 Depth=1
                                        ; =>  This Inner Loop Header: Depth=2
	s_delay_alu instid0(VALU_DEP_1)
	v_cmp_gt_u64_e32 vcc_lo, s[18:19], v[10:11]
	v_mov_b32_e32 v4, 0
	v_mov_b32_e32 v5, 0
	s_and_saveexec_b32 s4, vcc_lo
	s_cbranch_execz .LBB119_131
; %bb.130:                              ;   in Loop: Header=BB119_129 Depth=2
	ds_load_b64 v[4:5], v12
.LBB119_131:                            ;   in Loop: Header=BB119_129 Depth=2
	s_or_b32 exec_lo, exec_lo, s4
	s_and_saveexec_b32 s4, vcc_lo
	s_cbranch_execz .LBB119_128
; %bb.132:                              ;   in Loop: Header=BB119_129 Depth=2
	s_waitcnt lgkmcnt(0)
	v_cmp_o_f64_e32 vcc_lo, v[4:5], v[4:5]
	v_ashrrev_i32_e32 v2, 31, v5
	s_delay_alu instid0(VALU_DEP_1) | instskip(SKIP_1) | instid1(VALU_DEP_2)
	v_or_b32_e32 v6, 0x80000000, v2
	v_xor_b32_e32 v2, v2, v4
	v_xor_b32_e32 v6, v6, v5
	s_delay_alu instid0(VALU_DEP_1) | instskip(NEXT) | instid1(VALU_DEP_3)
	v_cndmask_b32_e32 v6, -1, v6, vcc_lo
	v_cndmask_b32_e32 v2, -1, v2, vcc_lo
	s_delay_alu instid0(VALU_DEP_2) | instskip(NEXT) | instid1(VALU_DEP_2)
	v_and_b32_e32 v7, s67, v6
	v_and_b32_e32 v6, s66, v2
	s_delay_alu instid0(VALU_DEP_1)
	v_cmp_eq_u64_e32 vcc_lo, s[64:65], v[6:7]
	s_and_b32 exec_lo, exec_lo, vcc_lo
	s_cbranch_execz .LBB119_128
; %bb.133:                              ;   in Loop: Header=BB119_129 Depth=2
	v_mov_b32_e32 v2, v21
	ds_store_b128 v21, v[2:5] offset:3072
	s_branch .LBB119_128
.LBB119_134:                            ;   in Loop: Header=BB119_46 Depth=1
	s_mov_b32 s4, -1
                                        ; implicit-def: $sgpr5
                                        ; implicit-def: $sgpr19
                                        ; implicit-def: $sgpr18
	s_branch .LBB119_151
.LBB119_135:                            ;   in Loop: Header=BB119_46 Depth=1
	s_mov_b32 s5, -1
	s_mov_b32 s4, 0
                                        ; implicit-def: $sgpr18
                                        ; implicit-def: $vgpr6_vgpr7
	s_mov_b32 s19, s5
	s_cbranch_execnz .LBB119_138
	s_branch .LBB119_151
.LBB119_136:                            ;   in Loop: Header=BB119_46 Depth=1
	s_set_inst_prefetch_distance 0x2
	s_or_b32 exec_lo, exec_lo, s52
	s_delay_alu instid0(SALU_CYCLE_1)
	s_and_b32 s4, s20, exec_lo
.LBB119_137:                            ;   in Loop: Header=BB119_46 Depth=1
	s_or_b32 exec_lo, exec_lo, s5
	s_mov_b32 s18, -1
	s_mov_b32 s5, 0
	s_delay_alu instid0(SALU_CYCLE_1)
	s_mov_b32 s19, s5
	s_branch .LBB119_151
.LBB119_138:                            ;   in Loop: Header=BB119_46 Depth=1
	s_mov_b32 s54, s53
	s_delay_alu instid0(SALU_CYCLE_1)
	s_cmp_lg_u64 s[54:55], 0
	s_cbranch_scc0 .LBB119_181
; %bb.139:                              ;   in Loop: Header=BB119_46 Depth=1
	v_cvt_f32_u32_e32 v2, s33
	s_sub_u32 s18, 0, s33
	s_subb_u32 s19, 0, 0
	s_delay_alu instid0(VALU_DEP_1) | instskip(NEXT) | instid1(VALU_DEP_1)
	v_fmac_f32_e64 v2, 0, 0x4f800000
	v_rcp_f32_e32 v2, v2
	s_waitcnt_depctr 0xfff
	v_mul_f32_e32 v2, 0x5f7ffffc, v2
	s_delay_alu instid0(VALU_DEP_1) | instskip(NEXT) | instid1(VALU_DEP_1)
	v_mul_f32_e32 v4, 0x2f800000, v2
	v_trunc_f32_e32 v4, v4
	s_delay_alu instid0(VALU_DEP_1) | instskip(SKIP_1) | instid1(VALU_DEP_2)
	v_fmac_f32_e32 v2, 0xcf800000, v4
	v_cvt_u32_f32_e32 v4, v4
	v_cvt_u32_f32_e32 v2, v2
	s_delay_alu instid0(VALU_DEP_2) | instskip(NEXT) | instid1(VALU_DEP_2)
	v_readfirstlane_b32 s4, v4
	v_readfirstlane_b32 s5, v2
	s_delay_alu instid0(VALU_DEP_2) | instskip(NEXT) | instid1(VALU_DEP_1)
	s_mul_i32 s20, s18, s4
	s_mul_hi_u32 s54, s18, s5
	s_mul_i32 s52, s19, s5
	s_add_i32 s20, s54, s20
	s_mul_i32 s68, s18, s5
	s_add_i32 s20, s20, s52
	s_mul_hi_u32 s54, s5, s68
	s_mul_hi_u32 s69, s4, s68
	s_mul_i32 s52, s4, s68
	s_mul_hi_u32 s68, s5, s20
	s_mul_i32 s5, s5, s20
	s_mul_hi_u32 s70, s4, s20
	s_add_u32 s5, s54, s5
	s_addc_u32 s54, 0, s68
	s_add_u32 s5, s5, s52
	s_mul_i32 s20, s4, s20
	s_addc_u32 s5, s54, s69
	s_addc_u32 s52, s70, 0
	s_add_u32 s5, s5, s20
	s_addc_u32 s20, 0, s52
	v_add_co_u32 v2, s5, v2, s5
	s_delay_alu instid0(VALU_DEP_1) | instskip(SKIP_1) | instid1(VALU_DEP_1)
	s_cmp_lg_u32 s5, 0
	s_addc_u32 s4, s4, s20
	v_readfirstlane_b32 s5, v2
	s_mul_i32 s20, s18, s4
	s_delay_alu instid0(VALU_DEP_1)
	s_mul_hi_u32 s52, s18, s5
	s_mul_i32 s19, s19, s5
	s_add_i32 s20, s52, s20
	s_mul_i32 s18, s18, s5
	s_add_i32 s20, s20, s19
	s_mul_hi_u32 s52, s4, s18
	s_mul_i32 s54, s4, s18
	s_mul_hi_u32 s18, s5, s18
	s_mul_hi_u32 s68, s5, s20
	s_mul_i32 s5, s5, s20
	s_mul_hi_u32 s19, s4, s20
	s_add_u32 s5, s18, s5
	s_addc_u32 s18, 0, s68
	s_add_u32 s5, s5, s54
	s_mul_i32 s20, s4, s20
	s_addc_u32 s5, s18, s52
	s_addc_u32 s18, s19, 0
	s_add_u32 s5, s5, s20
	s_addc_u32 s18, 0, s18
	v_add_co_u32 v2, s5, v2, s5
	s_delay_alu instid0(VALU_DEP_1) | instskip(SKIP_1) | instid1(VALU_DEP_1)
	s_cmp_lg_u32 s5, 0
	s_addc_u32 s4, s4, s18
	v_readfirstlane_b32 s5, v2
	s_mul_i32 s19, s84, s4
	s_mul_hi_u32 s18, s84, s4
	s_mul_hi_u32 s20, s55, s4
	s_mul_i32 s4, s55, s4
	s_mul_hi_u32 s52, s84, s5
	s_mul_hi_u32 s54, s55, s5
	s_mul_i32 s5, s55, s5
	s_add_u32 s19, s52, s19
	s_addc_u32 s18, 0, s18
	s_add_u32 s5, s19, s5
	s_addc_u32 s5, s18, s54
	s_addc_u32 s18, s20, 0
	s_add_u32 s4, s5, s4
	s_addc_u32 s5, 0, s18
	s_mul_hi_u32 s18, s33, s4
	s_mul_i32 s4, s33, s4
	s_mul_i32 s5, s33, s5
	v_sub_co_u32 v2, s4, s84, s4
	s_add_i32 s18, s18, s5
	s_cmp_lg_u32 s4, 0
	s_delay_alu instid0(VALU_DEP_1) | instskip(SKIP_2) | instid1(VALU_DEP_1)
	v_sub_co_u32 v4, s4, v2, s33
	s_subb_u32 s5, s55, s18
	s_cmp_lg_u32 s4, 0
	v_cmp_le_u32_e32 vcc_lo, s33, v4
	v_sub_co_u32 v5, s4, v4, s33
	s_subb_u32 s18, s5, 0
	s_cmp_lg_u32 s4, 0
	v_cndmask_b32_e64 v6, 0, -1, vcc_lo
	s_subb_u32 s4, s18, 0
	s_cmp_eq_u32 s18, 0
	v_mov_b32_e32 v8, s4
	s_cselect_b32 vcc_lo, -1, 0
	s_cmp_eq_u32 s5, 0
	v_cndmask_b32_e32 v6, -1, v6, vcc_lo
	v_cmp_le_u32_e32 vcc_lo, s33, v2
	s_cselect_b32 s4, -1, 0
	v_cndmask_b32_e64 v7, 0, -1, vcc_lo
	s_delay_alu instid0(VALU_DEP_3) | instskip(NEXT) | instid1(VALU_DEP_2)
	v_cmp_ne_u32_e32 vcc_lo, 0, v6
	v_cndmask_b32_e64 v6, -1, v7, s4
	v_cndmask_b32_e32 v7, s18, v8, vcc_lo
	v_cndmask_b32_e32 v4, v4, v5, vcc_lo
	s_delay_alu instid0(VALU_DEP_3) | instskip(NEXT) | instid1(VALU_DEP_3)
	v_cmp_ne_u32_e32 vcc_lo, 0, v6
	v_cndmask_b32_e32 v5, s5, v7, vcc_lo
	s_delay_alu instid0(VALU_DEP_3)
	v_cndmask_b32_e32 v4, v2, v4, vcc_lo
	s_cbranch_execnz .LBB119_141
.LBB119_140:                            ;   in Loop: Header=BB119_46 Depth=1
	v_cvt_f32_u32_e32 v2, s33
	s_sub_i32 s4, 0, s33
	s_delay_alu instid0(VALU_DEP_1) | instskip(SKIP_2) | instid1(VALU_DEP_1)
	v_rcp_iflag_f32_e32 v2, v2
	s_waitcnt_depctr 0xfff
	v_mul_f32_e32 v2, 0x4f7ffffe, v2
	v_cvt_u32_f32_e32 v2, v2
	s_delay_alu instid0(VALU_DEP_1) | instskip(NEXT) | instid1(VALU_DEP_1)
	v_mul_lo_u32 v4, s4, v2
	v_mul_hi_u32 v4, v2, v4
	s_delay_alu instid0(VALU_DEP_1) | instskip(NEXT) | instid1(VALU_DEP_1)
	v_add_nc_u32_e32 v2, v2, v4
	v_mul_hi_u32 v2, s84, v2
	s_delay_alu instid0(VALU_DEP_1) | instskip(NEXT) | instid1(VALU_DEP_1)
	v_mul_lo_u32 v2, v2, s33
	v_sub_nc_u32_e32 v2, s84, v2
	s_delay_alu instid0(VALU_DEP_1) | instskip(SKIP_1) | instid1(VALU_DEP_2)
	v_subrev_nc_u32_e32 v4, s33, v2
	v_cmp_le_u32_e32 vcc_lo, s33, v2
	v_cndmask_b32_e32 v2, v2, v4, vcc_lo
	s_delay_alu instid0(VALU_DEP_1) | instskip(SKIP_1) | instid1(VALU_DEP_2)
	v_subrev_nc_u32_e32 v4, s33, v2
	v_cmp_le_u32_e32 vcc_lo, s33, v2
	v_cndmask_b32_e32 v20, v2, v4, vcc_lo
	s_delay_alu instid0(VALU_DEP_1)
	v_dual_mov_b32 v4, v20 :: v_dual_mov_b32 v5, v21
.LBB119_141:                            ;   in Loop: Header=BB119_46 Depth=1
	s_delay_alu instid0(VALU_DEP_1) | instskip(NEXT) | instid1(VALU_DEP_2)
	v_sub_co_u32 v8, vcc_lo, s84, v4
	v_sub_co_ci_u32_e32 v9, vcc_lo, s55, v5, vcc_lo
	s_mov_b32 s4, 0
	s_mov_b32 s5, exec_lo
                                        ; implicit-def: $vgpr6_vgpr7
	s_delay_alu instid0(VALU_DEP_1)
	v_cmpx_gt_u64_e64 v[8:9], v[0:1]
	s_cbranch_execz .LBB119_150
; %bb.142:                              ;   in Loop: Header=BB119_46 Depth=1
	v_dual_mov_b32 v10, v16 :: v_dual_mov_b32 v11, v17
	v_dual_mov_b32 v13, v1 :: v_dual_mov_b32 v12, v0
	s_mov_b32 s19, 0
                                        ; implicit-def: $sgpr18
	s_branch .LBB119_144
.LBB119_143:                            ;   in Loop: Header=BB119_144 Depth=2
	s_or_b32 exec_lo, exec_lo, s4
	s_waitcnt vmcnt(0) lgkmcnt(0)
	s_barrier
	buffer_gl0_inv
	ds_load_b128 v[4:7], v21 offset:3072
	v_add_co_u32 v12, s4, v12, s33
	s_delay_alu instid0(VALU_DEP_1)
	v_add_co_ci_u32_e64 v13, s4, 0, v13, s4
	s_waitcnt lgkmcnt(0)
	s_barrier
	buffer_gl0_inv
	v_cmp_ge_u64_e64 s4, v[12:13], v[8:9]
	v_cmp_neq_f64_e32 vcc_lo, 0, v[4:5]
	s_delay_alu instid0(VALU_DEP_2) | instskip(NEXT) | instid1(SALU_CYCLE_1)
	s_or_b32 s4, s4, vcc_lo
	s_and_b32 s20, exec_lo, s4
	v_add_co_u32 v10, s4, v10, s46
	s_delay_alu instid0(VALU_DEP_1) | instskip(SKIP_3) | instid1(SALU_CYCLE_1)
	v_add_co_ci_u32_e64 v11, s4, s47, v11, s4
	s_or_b32 s19, s20, s19
	s_and_not1_b32 s4, s18, exec_lo
	s_and_b32 s18, vcc_lo, exec_lo
	s_or_b32 s18, s4, s18
	s_and_not1_b32 exec_lo, exec_lo, s19
	s_cbranch_execz .LBB119_149
.LBB119_144:                            ;   Parent Loop BB119_46 Depth=1
                                        ; =>  This Inner Loop Header: Depth=2
	s_delay_alu instid0(VALU_DEP_1)
	v_cmp_gt_u64_e32 vcc_lo, s[24:25], v[12:13]
	v_mov_b32_e32 v4, 0
	v_mov_b32_e32 v5, 0
	s_and_saveexec_b32 s4, vcc_lo
	s_cbranch_execz .LBB119_146
; %bb.145:                              ;   in Loop: Header=BB119_144 Depth=2
	global_load_b64 v[4:5], v[10:11], off
.LBB119_146:                            ;   in Loop: Header=BB119_144 Depth=2
	s_or_b32 exec_lo, exec_lo, s4
	s_and_saveexec_b32 s4, vcc_lo
	s_cbranch_execz .LBB119_143
; %bb.147:                              ;   in Loop: Header=BB119_144 Depth=2
	s_waitcnt vmcnt(0)
	v_cmp_o_f64_e32 vcc_lo, v[4:5], v[4:5]
	v_ashrrev_i32_e32 v2, 31, v5
	s_delay_alu instid0(VALU_DEP_1) | instskip(SKIP_1) | instid1(VALU_DEP_2)
	v_or_b32_e32 v6, 0x80000000, v2
	v_xor_b32_e32 v2, v2, v4
	v_xor_b32_e32 v6, v6, v5
	s_delay_alu instid0(VALU_DEP_1) | instskip(NEXT) | instid1(VALU_DEP_3)
	v_cndmask_b32_e32 v6, -1, v6, vcc_lo
	v_cndmask_b32_e32 v2, -1, v2, vcc_lo
	s_delay_alu instid0(VALU_DEP_2) | instskip(NEXT) | instid1(VALU_DEP_2)
	v_and_b32_e32 v7, s67, v6
	v_and_b32_e32 v6, s66, v2
	s_delay_alu instid0(VALU_DEP_1)
	v_cmp_eq_u64_e32 vcc_lo, s[64:65], v[6:7]
	s_and_b32 exec_lo, exec_lo, vcc_lo
	s_cbranch_execz .LBB119_143
; %bb.148:                              ;   in Loop: Header=BB119_144 Depth=2
	v_mov_b32_e32 v2, v21
	ds_store_b128 v21, v[2:5] offset:3072
	s_branch .LBB119_143
.LBB119_149:                            ;   in Loop: Header=BB119_46 Depth=1
	s_or_b32 exec_lo, exec_lo, s19
	s_delay_alu instid0(SALU_CYCLE_1)
	s_and_b32 s4, s18, exec_lo
.LBB119_150:                            ;   in Loop: Header=BB119_46 Depth=1
	s_or_b32 exec_lo, exec_lo, s5
	s_mov_b32 s19, -1
	s_mov_b32 s5, 0
	s_mov_b32 s18, 0
.LBB119_151:                            ;   in Loop: Header=BB119_46 Depth=1
	s_and_not1_b32 s20, s96, exec_lo
	s_and_b32 s5, s5, exec_lo
	s_and_b32 s19, s19, exec_lo
	s_or_b32 s96, s20, s5
	s_and_not1_b32 s5, s99, exec_lo
	s_and_not1_b32 s20, s97, exec_lo
	s_and_b32 s18, s18, exec_lo
	s_or_b32 s99, s5, s19
	s_or_b32 s97, s20, s18
	s_and_saveexec_b32 s20, s4
	s_cbranch_execz .LBB119_45
; %bb.152:                              ;   in Loop: Header=BB119_46 Depth=1
	s_xor_b32 s4, s23, -1
	s_mov_b32 s54, 1
	s_and_not1_b32 vcc_lo, exec_lo, s4
	s_cbranch_vccnz .LBB119_163
; %bb.153:                              ;   in Loop: Header=BB119_46 Depth=1
	v_cmp_gt_u64_e64 s4, s[50:51], s[16:17]
	s_mov_b32 s22, -1
                                        ; implicit-def: $sgpr54
                                        ; implicit-def: $sgpr18_sgpr19
	s_delay_alu instid0(VALU_DEP_1)
	s_and_b32 vcc_lo, exec_lo, s4
                                        ; implicit-def: $sgpr4_sgpr5
	s_cbranch_vccnz .LBB119_159
; %bb.154:                              ;   in Loop: Header=BB119_46 Depth=1
	ds_load_b64 v[4:5], v21 offset:5120
	s_waitcnt lgkmcnt(0)
	v_cmp_ne_u64_e32 vcc_lo, 0, v[4:5]
	s_cbranch_vccnz .LBB119_158
; %bb.155:                              ;   in Loop: Header=BB119_46 Depth=1
	s_and_saveexec_b32 s4, s3
	s_cbranch_execz .LBB119_157
; %bb.156:                              ;   in Loop: Header=BB119_46 Depth=1
	v_dual_mov_b32 v4, s16 :: v_dual_mov_b32 v5, s17
	ds_store_b64 v21, v[4:5] offset:5128
.LBB119_157:                            ;   in Loop: Header=BB119_46 Depth=1
	s_or_b32 exec_lo, exec_lo, s4
	s_waitcnt lgkmcnt(0)
	s_barrier
	buffer_gl0_inv
.LBB119_158:                            ;   in Loop: Header=BB119_46 Depth=1
	s_and_b64 s[4:5], s[64:65], s[12:13]
	s_or_b64 s[18:19], s[66:67], s[8:9]
	s_mov_b32 s22, 0
	s_mov_b32 s54, 8
.LBB119_159:                            ;   in Loop: Header=BB119_46 Depth=1
	s_and_not1_b32 vcc_lo, exec_lo, s22
	s_cbranch_vccnz .LBB119_161
; %bb.160:                              ;   in Loop: Header=BB119_46 Depth=1
	s_sub_u32 s50, s50, s16
	s_subb_u32 s51, s51, s17
	s_mov_b32 s22, -1
	s_mov_b32 s54, 0
	s_mov_b64 s[4:5], s[64:65]
	s_mov_b64 s[18:19], s[66:67]
.LBB119_161:                            ;   in Loop: Header=BB119_46 Depth=1
	s_delay_alu instid0(SALU_CYCLE_1)
	s_mov_b64 s[66:67], s[18:19]
	s_mov_b64 s[64:65], s[4:5]
	s_and_b32 vcc_lo, exec_lo, s22
	s_mov_b32 s18, -1
	s_cbranch_vccnz .LBB119_164
.LBB119_162:                            ;   in Loop: Header=BB119_46 Depth=1
	s_mov_b32 s5, -1
                                        ; implicit-def: $sgpr19
                                        ; implicit-def: $sgpr23
                                        ; implicit-def: $sgpr22
	s_delay_alu instid0(SALU_CYCLE_1) | instskip(NEXT) | instid1(SALU_CYCLE_1)
	s_and_saveexec_b32 s4, s5
	s_xor_b32 s4, exec_lo, s4
	s_cbranch_execz .LBB119_44
	s_branch .LBB119_310
.LBB119_163:                            ;   in Loop: Header=BB119_46 Depth=1
	s_mov_b64 s[50:51], 1
	s_mov_b32 s18, -1
	s_branch .LBB119_162
.LBB119_164:                            ;   in Loop: Header=BB119_46 Depth=1
	s_cmp_eq_u64 s[14:15], 1
	s_cselect_b32 s4, -1, 0
	s_cmp_eq_u64 s[50:51], 1
	s_cselect_b32 s5, -1, 0
	s_delay_alu instid0(SALU_CYCLE_1)
	s_and_b32 s68, s4, s5
	s_mov_b32 s4, -1
	s_and_b32 vcc_lo, exec_lo, s68
	s_cbranch_vccz .LBB119_179
; %bb.165:                              ;   in Loop: Header=BB119_46 Depth=1
	ds_load_b64 v[4:5], v21 offset:5120
	s_waitcnt lgkmcnt(0)
	s_barrier
	buffer_gl0_inv
	v_readfirstlane_b32 s16, v4
	v_readfirstlane_b32 s17, v5
	s_and_saveexec_b32 s4, s0
	s_cbranch_execz .LBB119_167
; %bb.166:                              ;   in Loop: Header=BB119_46 Depth=1
	v_mov_b32_e32 v20, v21
	ds_store_b64 v44, v[20:21]
.LBB119_167:                            ;   in Loop: Header=BB119_46 Depth=1
	s_or_b32 exec_lo, exec_lo, s4
	s_lshl_b64 s[4:5], 1, s21
	s_and_b64 s[22:23], s[64:65], s[12:13]
	s_or_b64 s[66:67], s[66:67], s[8:9]
	s_or_b64 s[64:65], s[22:23], s[4:5]
	s_cmp_eq_u64 s[16:17], 0
	s_waitcnt lgkmcnt(0)
	s_barrier
	buffer_gl0_inv
	s_cbranch_scc1 .LBB119_182
; %bb.168:                              ;   in Loop: Header=BB119_46 Depth=1
	s_add_u32 s19, s82, s16
	s_addc_u32 s5, s83, s17
	s_mov_b32 s4, s53
	s_delay_alu instid0(SALU_CYCLE_1)
	s_cmp_lg_u64 s[4:5], 0
	s_cbranch_scc0 .LBB119_227
; %bb.169:                              ;   in Loop: Header=BB119_46 Depth=1
	v_cvt_f32_u32_e32 v2, s33
	s_sub_u32 s23, 0, s33
	s_subb_u32 s52, 0, 0
	s_delay_alu instid0(VALU_DEP_1) | instskip(NEXT) | instid1(VALU_DEP_1)
	v_fmac_f32_e64 v2, 0, 0x4f800000
	v_rcp_f32_e32 v2, v2
	s_waitcnt_depctr 0xfff
	v_mul_f32_e32 v2, 0x5f7ffffc, v2
	s_delay_alu instid0(VALU_DEP_1) | instskip(NEXT) | instid1(VALU_DEP_1)
	v_mul_f32_e32 v4, 0x2f800000, v2
	v_trunc_f32_e32 v4, v4
	s_delay_alu instid0(VALU_DEP_1) | instskip(SKIP_1) | instid1(VALU_DEP_2)
	v_fmac_f32_e32 v2, 0xcf800000, v4
	v_cvt_u32_f32_e32 v4, v4
	v_cvt_u32_f32_e32 v2, v2
	s_delay_alu instid0(VALU_DEP_2) | instskip(NEXT) | instid1(VALU_DEP_2)
	v_readfirstlane_b32 s4, v4
	v_readfirstlane_b32 s22, v2
	s_delay_alu instid0(VALU_DEP_2) | instskip(NEXT) | instid1(VALU_DEP_1)
	s_mul_i32 s54, s23, s4
	s_mul_hi_u32 s70, s23, s22
	s_mul_i32 s69, s52, s22
	s_add_i32 s54, s70, s54
	s_mul_i32 s71, s23, s22
	s_add_i32 s54, s54, s69
	s_mul_hi_u32 s70, s22, s71
	s_mul_hi_u32 s72, s4, s71
	s_mul_i32 s69, s4, s71
	s_mul_hi_u32 s71, s22, s54
	s_mul_i32 s22, s22, s54
	s_mul_hi_u32 s73, s4, s54
	s_add_u32 s22, s70, s22
	s_addc_u32 s70, 0, s71
	s_add_u32 s22, s22, s69
	s_mul_i32 s54, s4, s54
	s_addc_u32 s22, s70, s72
	s_addc_u32 s69, s73, 0
	s_add_u32 s22, s22, s54
	s_addc_u32 s54, 0, s69
	v_add_co_u32 v2, s22, v2, s22
	s_delay_alu instid0(VALU_DEP_1) | instskip(SKIP_1) | instid1(VALU_DEP_1)
	s_cmp_lg_u32 s22, 0
	s_addc_u32 s4, s4, s54
	v_readfirstlane_b32 s22, v2
	s_mul_i32 s54, s23, s4
	s_delay_alu instid0(VALU_DEP_1)
	s_mul_hi_u32 s69, s23, s22
	s_mul_i32 s52, s52, s22
	s_add_i32 s54, s69, s54
	s_mul_i32 s23, s23, s22
	s_add_i32 s54, s54, s52
	s_mul_hi_u32 s69, s4, s23
	s_mul_i32 s70, s4, s23
	s_mul_hi_u32 s23, s22, s23
	s_mul_hi_u32 s71, s22, s54
	s_mul_i32 s22, s22, s54
	s_mul_hi_u32 s52, s4, s54
	s_add_u32 s22, s23, s22
	s_addc_u32 s23, 0, s71
	s_add_u32 s22, s22, s70
	s_mul_i32 s54, s4, s54
	s_addc_u32 s22, s23, s69
	s_addc_u32 s23, s52, 0
	s_add_u32 s22, s22, s54
	s_addc_u32 s23, 0, s23
	v_add_co_u32 v2, s22, v2, s22
	s_delay_alu instid0(VALU_DEP_1) | instskip(SKIP_1) | instid1(VALU_DEP_1)
	s_cmp_lg_u32 s22, 0
	s_addc_u32 s4, s4, s23
	v_readfirstlane_b32 s22, v2
	s_mul_i32 s52, s19, s4
	s_mul_hi_u32 s23, s19, s4
	s_mul_hi_u32 s54, s5, s4
	s_mul_i32 s4, s5, s4
	s_mul_hi_u32 s69, s19, s22
	s_mul_hi_u32 s70, s5, s22
	s_mul_i32 s22, s5, s22
	s_add_u32 s52, s69, s52
	s_addc_u32 s23, 0, s23
	s_add_u32 s22, s52, s22
	s_addc_u32 s22, s23, s70
	s_addc_u32 s23, s54, 0
	s_add_u32 s4, s22, s4
	s_addc_u32 s22, 0, s23
	s_mul_hi_u32 s23, s33, s4
	s_mul_i32 s4, s33, s4
	s_mul_i32 s22, s33, s22
	v_sub_co_u32 v2, s4, s19, s4
	s_add_i32 s23, s23, s22
	s_cmp_lg_u32 s4, 0
	s_delay_alu instid0(VALU_DEP_1) | instskip(SKIP_2) | instid1(VALU_DEP_1)
	v_sub_co_u32 v4, s4, v2, s33
	s_subb_u32 s22, s5, s23
	s_cmp_lg_u32 s4, 0
	v_cmp_le_u32_e32 vcc_lo, s33, v4
	v_sub_co_u32 v5, s4, v4, s33
	s_subb_u32 s23, s22, 0
	s_cmp_lg_u32 s4, 0
	v_cndmask_b32_e64 v6, 0, -1, vcc_lo
	s_subb_u32 s4, s23, 0
	s_cmp_eq_u32 s23, 0
	v_mov_b32_e32 v8, s4
	s_cselect_b32 vcc_lo, -1, 0
	s_cmp_eq_u32 s22, 0
	v_cndmask_b32_e32 v6, -1, v6, vcc_lo
	v_cmp_le_u32_e32 vcc_lo, s33, v2
	s_cselect_b32 s4, -1, 0
	v_cndmask_b32_e64 v7, 0, -1, vcc_lo
	s_delay_alu instid0(VALU_DEP_3) | instskip(NEXT) | instid1(VALU_DEP_2)
	v_cmp_ne_u32_e32 vcc_lo, 0, v6
	v_cndmask_b32_e64 v6, -1, v7, s4
	v_cndmask_b32_e32 v7, s23, v8, vcc_lo
	v_cndmask_b32_e32 v4, v4, v5, vcc_lo
	s_delay_alu instid0(VALU_DEP_3) | instskip(NEXT) | instid1(VALU_DEP_3)
	v_cmp_ne_u32_e32 vcc_lo, 0, v6
	v_cndmask_b32_e32 v5, s22, v7, vcc_lo
	s_delay_alu instid0(VALU_DEP_3)
	v_cndmask_b32_e32 v4, v2, v4, vcc_lo
	s_cbranch_execnz .LBB119_171
.LBB119_170:                            ;   in Loop: Header=BB119_46 Depth=1
	v_cvt_f32_u32_e32 v2, s33
	s_sub_i32 s4, 0, s33
	s_delay_alu instid0(VALU_DEP_1) | instskip(SKIP_2) | instid1(VALU_DEP_1)
	v_rcp_iflag_f32_e32 v2, v2
	s_waitcnt_depctr 0xfff
	v_mul_f32_e32 v2, 0x4f7ffffe, v2
	v_cvt_u32_f32_e32 v2, v2
	s_delay_alu instid0(VALU_DEP_1) | instskip(NEXT) | instid1(VALU_DEP_1)
	v_mul_lo_u32 v4, s4, v2
	v_mul_hi_u32 v4, v2, v4
	s_delay_alu instid0(VALU_DEP_1) | instskip(NEXT) | instid1(VALU_DEP_1)
	v_add_nc_u32_e32 v2, v2, v4
	v_mul_hi_u32 v2, s19, v2
	s_delay_alu instid0(VALU_DEP_1) | instskip(NEXT) | instid1(VALU_DEP_1)
	v_mul_lo_u32 v2, v2, s33
	v_sub_nc_u32_e32 v2, s19, v2
	s_delay_alu instid0(VALU_DEP_1) | instskip(SKIP_1) | instid1(VALU_DEP_2)
	v_subrev_nc_u32_e32 v4, s33, v2
	v_cmp_le_u32_e32 vcc_lo, s33, v2
	v_cndmask_b32_e32 v2, v2, v4, vcc_lo
	s_delay_alu instid0(VALU_DEP_1) | instskip(SKIP_1) | instid1(VALU_DEP_2)
	v_subrev_nc_u32_e32 v4, s33, v2
	v_cmp_le_u32_e32 vcc_lo, s33, v2
	v_cndmask_b32_e32 v20, v2, v4, vcc_lo
	s_delay_alu instid0(VALU_DEP_1)
	v_dual_mov_b32 v4, v20 :: v_dual_mov_b32 v5, v21
.LBB119_171:                            ;   in Loop: Header=BB119_46 Depth=1
	s_delay_alu instid0(VALU_DEP_1) | instskip(NEXT) | instid1(VALU_DEP_2)
	v_sub_co_u32 v8, vcc_lo, s19, v4
	v_sub_co_ci_u32_e32 v9, vcc_lo, s5, v5, vcc_lo
	s_mov_b32 s4, 0
	s_mov_b32 s5, exec_lo
                                        ; implicit-def: $vgpr6_vgpr7
	s_delay_alu instid0(VALU_DEP_1)
	v_cmpx_gt_u64_e64 v[8:9], v[0:1]
	s_cbranch_execz .LBB119_184
; %bb.172:                              ;   in Loop: Header=BB119_46 Depth=1
	v_dual_mov_b32 v12, v43 :: v_dual_mov_b32 v11, v1
	v_mov_b32_e32 v10, v0
	s_mov_b32 s22, 0
                                        ; implicit-def: $sgpr19
	s_set_inst_prefetch_distance 0x1
	s_branch .LBB119_174
	.p2align	6
.LBB119_173:                            ;   in Loop: Header=BB119_174 Depth=2
	s_or_b32 exec_lo, exec_lo, s4
	s_waitcnt lgkmcnt(0)
	s_barrier
	buffer_gl0_inv
	ds_load_b128 v[4:7], v21 offset:3072
	v_add_co_u32 v10, s4, v10, s33
	s_delay_alu instid0(VALU_DEP_1) | instskip(SKIP_3) | instid1(VALU_DEP_2)
	v_add_co_ci_u32_e64 v11, s4, 0, v11, s4
	v_add_nc_u32_e32 v12, s90, v12
	s_waitcnt lgkmcnt(0)
	s_barrier
	v_cmp_ge_u64_e64 s4, v[10:11], v[8:9]
	buffer_gl0_inv
	v_cmp_neq_f64_e32 vcc_lo, 0, v[4:5]
	s_or_b32 s4, s4, vcc_lo
	s_delay_alu instid0(SALU_CYCLE_1) | instskip(NEXT) | instid1(SALU_CYCLE_1)
	s_and_b32 s4, exec_lo, s4
	s_or_b32 s22, s4, s22
	s_and_not1_b32 s4, s19, exec_lo
	s_and_b32 s19, vcc_lo, exec_lo
	s_delay_alu instid0(SALU_CYCLE_1)
	s_or_b32 s19, s4, s19
	s_and_not1_b32 exec_lo, exec_lo, s22
	s_cbranch_execz .LBB119_183
.LBB119_174:                            ;   Parent Loop BB119_46 Depth=1
                                        ; =>  This Inner Loop Header: Depth=2
	s_delay_alu instid0(VALU_DEP_1)
	v_cmp_gt_u64_e32 vcc_lo, s[16:17], v[10:11]
	v_mov_b32_e32 v4, 0
	v_mov_b32_e32 v5, 0
	s_and_saveexec_b32 s4, vcc_lo
	s_cbranch_execz .LBB119_176
; %bb.175:                              ;   in Loop: Header=BB119_174 Depth=2
	ds_load_b64 v[4:5], v12
.LBB119_176:                            ;   in Loop: Header=BB119_174 Depth=2
	s_or_b32 exec_lo, exec_lo, s4
	s_and_saveexec_b32 s4, vcc_lo
	s_cbranch_execz .LBB119_173
; %bb.177:                              ;   in Loop: Header=BB119_174 Depth=2
	s_waitcnt lgkmcnt(0)
	v_cmp_o_f64_e32 vcc_lo, v[4:5], v[4:5]
	v_ashrrev_i32_e32 v2, 31, v5
	s_delay_alu instid0(VALU_DEP_1) | instskip(SKIP_1) | instid1(VALU_DEP_2)
	v_or_b32_e32 v6, 0x80000000, v2
	v_xor_b32_e32 v2, v2, v4
	v_xor_b32_e32 v6, v6, v5
	s_delay_alu instid0(VALU_DEP_1) | instskip(NEXT) | instid1(VALU_DEP_3)
	v_cndmask_b32_e32 v6, -1, v6, vcc_lo
	v_cndmask_b32_e32 v2, -1, v2, vcc_lo
	s_delay_alu instid0(VALU_DEP_2) | instskip(NEXT) | instid1(VALU_DEP_2)
	v_and_b32_e32 v7, s67, v6
	v_and_b32_e32 v6, s66, v2
	s_delay_alu instid0(VALU_DEP_1)
	v_cmp_eq_u64_e32 vcc_lo, s[64:65], v[6:7]
	s_and_b32 exec_lo, exec_lo, vcc_lo
	s_cbranch_execz .LBB119_173
; %bb.178:                              ;   in Loop: Header=BB119_174 Depth=2
	v_mov_b32_e32 v2, v21
	ds_store_b128 v21, v[2:5] offset:3072
	s_branch .LBB119_173
.LBB119_179:                            ;   in Loop: Header=BB119_46 Depth=1
                                        ; implicit-def: $sgpr22
                                        ; implicit-def: $sgpr23
                                        ; implicit-def: $sgpr19
	s_branch .LBB119_198
.LBB119_180:                            ;   in Loop: Header=BB119_46 Depth=1
                                        ; implicit-def: $vgpr4_vgpr5
	s_branch .LBB119_125
.LBB119_181:                            ;   in Loop: Header=BB119_46 Depth=1
                                        ; implicit-def: $vgpr4_vgpr5
	s_branch .LBB119_140
.LBB119_182:                            ;   in Loop: Header=BB119_46 Depth=1
	s_mov_b32 s22, -1
	s_mov_b32 s4, 0
                                        ; implicit-def: $sgpr19
                                        ; implicit-def: $vgpr6_vgpr7
	s_mov_b32 s23, s22
	s_cbranch_execnz .LBB119_185
	s_branch .LBB119_198
.LBB119_183:                            ;   in Loop: Header=BB119_46 Depth=1
	s_set_inst_prefetch_distance 0x2
	s_or_b32 exec_lo, exec_lo, s22
	s_delay_alu instid0(SALU_CYCLE_1)
	s_and_b32 s4, s19, exec_lo
.LBB119_184:                            ;   in Loop: Header=BB119_46 Depth=1
	s_or_b32 exec_lo, exec_lo, s5
	s_mov_b32 s19, -1
	s_mov_b32 s22, 0
	s_delay_alu instid0(SALU_CYCLE_1)
	s_mov_b32 s23, s22
	s_branch .LBB119_198
.LBB119_185:                            ;   in Loop: Header=BB119_46 Depth=1
	s_mov_b32 s54, s53
	s_delay_alu instid0(SALU_CYCLE_1)
	s_cmp_lg_u64 s[54:55], 0
	s_cbranch_scc0 .LBB119_228
; %bb.186:                              ;   in Loop: Header=BB119_46 Depth=1
	v_cvt_f32_u32_e32 v2, s33
	s_sub_u32 s16, 0, s33
	s_subb_u32 s17, 0, 0
	s_delay_alu instid0(VALU_DEP_1) | instskip(NEXT) | instid1(VALU_DEP_1)
	v_fmac_f32_e64 v2, 0, 0x4f800000
	v_rcp_f32_e32 v2, v2
	s_waitcnt_depctr 0xfff
	v_mul_f32_e32 v2, 0x5f7ffffc, v2
	s_delay_alu instid0(VALU_DEP_1) | instskip(NEXT) | instid1(VALU_DEP_1)
	v_mul_f32_e32 v4, 0x2f800000, v2
	v_trunc_f32_e32 v4, v4
	s_delay_alu instid0(VALU_DEP_1) | instskip(SKIP_1) | instid1(VALU_DEP_2)
	v_fmac_f32_e32 v2, 0xcf800000, v4
	v_cvt_u32_f32_e32 v4, v4
	v_cvt_u32_f32_e32 v2, v2
	s_delay_alu instid0(VALU_DEP_2) | instskip(NEXT) | instid1(VALU_DEP_2)
	v_readfirstlane_b32 s4, v4
	v_readfirstlane_b32 s5, v2
	s_delay_alu instid0(VALU_DEP_2) | instskip(NEXT) | instid1(VALU_DEP_1)
	s_mul_i32 s19, s16, s4
	s_mul_hi_u32 s23, s16, s5
	s_mul_i32 s22, s17, s5
	s_add_i32 s19, s23, s19
	s_mul_i32 s52, s16, s5
	s_add_i32 s19, s19, s22
	s_mul_hi_u32 s23, s5, s52
	s_mul_hi_u32 s54, s4, s52
	s_mul_i32 s22, s4, s52
	s_mul_hi_u32 s52, s5, s19
	s_mul_i32 s5, s5, s19
	s_mul_hi_u32 s69, s4, s19
	s_add_u32 s5, s23, s5
	s_addc_u32 s23, 0, s52
	s_add_u32 s5, s5, s22
	s_mul_i32 s19, s4, s19
	s_addc_u32 s5, s23, s54
	s_addc_u32 s22, s69, 0
	s_add_u32 s5, s5, s19
	s_addc_u32 s19, 0, s22
	v_add_co_u32 v2, s5, v2, s5
	s_delay_alu instid0(VALU_DEP_1) | instskip(SKIP_1) | instid1(VALU_DEP_1)
	s_cmp_lg_u32 s5, 0
	s_addc_u32 s4, s4, s19
	v_readfirstlane_b32 s5, v2
	s_mul_i32 s19, s16, s4
	s_delay_alu instid0(VALU_DEP_1)
	s_mul_hi_u32 s22, s16, s5
	s_mul_i32 s17, s17, s5
	s_add_i32 s19, s22, s19
	s_mul_i32 s16, s16, s5
	s_add_i32 s19, s19, s17
	s_mul_hi_u32 s22, s4, s16
	s_mul_i32 s23, s4, s16
	s_mul_hi_u32 s16, s5, s16
	s_mul_hi_u32 s52, s5, s19
	s_mul_i32 s5, s5, s19
	s_mul_hi_u32 s17, s4, s19
	s_add_u32 s5, s16, s5
	s_addc_u32 s16, 0, s52
	s_add_u32 s5, s5, s23
	s_mul_i32 s19, s4, s19
	s_addc_u32 s5, s16, s22
	s_addc_u32 s16, s17, 0
	s_add_u32 s5, s5, s19
	s_addc_u32 s16, 0, s16
	v_add_co_u32 v2, s5, v2, s5
	s_delay_alu instid0(VALU_DEP_1) | instskip(SKIP_1) | instid1(VALU_DEP_1)
	s_cmp_lg_u32 s5, 0
	s_addc_u32 s4, s4, s16
	v_readfirstlane_b32 s5, v2
	s_mul_i32 s17, s84, s4
	s_mul_hi_u32 s16, s84, s4
	s_mul_hi_u32 s19, s55, s4
	s_mul_i32 s4, s55, s4
	s_mul_hi_u32 s22, s84, s5
	s_mul_hi_u32 s23, s55, s5
	s_mul_i32 s5, s55, s5
	s_add_u32 s17, s22, s17
	s_addc_u32 s16, 0, s16
	s_add_u32 s5, s17, s5
	s_addc_u32 s5, s16, s23
	s_addc_u32 s16, s19, 0
	s_add_u32 s4, s5, s4
	s_addc_u32 s5, 0, s16
	s_mul_hi_u32 s16, s33, s4
	s_mul_i32 s4, s33, s4
	s_mul_i32 s5, s33, s5
	v_sub_co_u32 v2, s4, s84, s4
	s_add_i32 s16, s16, s5
	s_cmp_lg_u32 s4, 0
	s_delay_alu instid0(VALU_DEP_1) | instskip(SKIP_2) | instid1(VALU_DEP_1)
	v_sub_co_u32 v4, s4, v2, s33
	s_subb_u32 s5, s55, s16
	s_cmp_lg_u32 s4, 0
	v_cmp_le_u32_e32 vcc_lo, s33, v4
	v_sub_co_u32 v5, s4, v4, s33
	s_subb_u32 s16, s5, 0
	s_cmp_lg_u32 s4, 0
	v_cndmask_b32_e64 v6, 0, -1, vcc_lo
	s_subb_u32 s4, s16, 0
	s_cmp_eq_u32 s16, 0
	v_mov_b32_e32 v8, s4
	s_cselect_b32 vcc_lo, -1, 0
	s_cmp_eq_u32 s5, 0
	v_cndmask_b32_e32 v6, -1, v6, vcc_lo
	v_cmp_le_u32_e32 vcc_lo, s33, v2
	s_cselect_b32 s4, -1, 0
	v_cndmask_b32_e64 v7, 0, -1, vcc_lo
	s_delay_alu instid0(VALU_DEP_3) | instskip(NEXT) | instid1(VALU_DEP_2)
	v_cmp_ne_u32_e32 vcc_lo, 0, v6
	v_cndmask_b32_e64 v6, -1, v7, s4
	v_cndmask_b32_e32 v7, s16, v8, vcc_lo
	v_cndmask_b32_e32 v4, v4, v5, vcc_lo
	s_delay_alu instid0(VALU_DEP_3) | instskip(NEXT) | instid1(VALU_DEP_3)
	v_cmp_ne_u32_e32 vcc_lo, 0, v6
	v_cndmask_b32_e32 v5, s5, v7, vcc_lo
	s_delay_alu instid0(VALU_DEP_3)
	v_cndmask_b32_e32 v4, v2, v4, vcc_lo
	s_cbranch_execnz .LBB119_188
.LBB119_187:                            ;   in Loop: Header=BB119_46 Depth=1
	v_cvt_f32_u32_e32 v2, s33
	s_sub_i32 s4, 0, s33
	s_delay_alu instid0(VALU_DEP_1) | instskip(SKIP_2) | instid1(VALU_DEP_1)
	v_rcp_iflag_f32_e32 v2, v2
	s_waitcnt_depctr 0xfff
	v_mul_f32_e32 v2, 0x4f7ffffe, v2
	v_cvt_u32_f32_e32 v2, v2
	s_delay_alu instid0(VALU_DEP_1) | instskip(NEXT) | instid1(VALU_DEP_1)
	v_mul_lo_u32 v4, s4, v2
	v_mul_hi_u32 v4, v2, v4
	s_delay_alu instid0(VALU_DEP_1) | instskip(NEXT) | instid1(VALU_DEP_1)
	v_add_nc_u32_e32 v2, v2, v4
	v_mul_hi_u32 v2, s84, v2
	s_delay_alu instid0(VALU_DEP_1) | instskip(NEXT) | instid1(VALU_DEP_1)
	v_mul_lo_u32 v2, v2, s33
	v_sub_nc_u32_e32 v2, s84, v2
	s_delay_alu instid0(VALU_DEP_1) | instskip(SKIP_1) | instid1(VALU_DEP_2)
	v_subrev_nc_u32_e32 v4, s33, v2
	v_cmp_le_u32_e32 vcc_lo, s33, v2
	v_cndmask_b32_e32 v2, v2, v4, vcc_lo
	s_delay_alu instid0(VALU_DEP_1) | instskip(SKIP_1) | instid1(VALU_DEP_2)
	v_subrev_nc_u32_e32 v4, s33, v2
	v_cmp_le_u32_e32 vcc_lo, s33, v2
	v_cndmask_b32_e32 v20, v2, v4, vcc_lo
	s_delay_alu instid0(VALU_DEP_1)
	v_dual_mov_b32 v4, v20 :: v_dual_mov_b32 v5, v21
.LBB119_188:                            ;   in Loop: Header=BB119_46 Depth=1
	s_delay_alu instid0(VALU_DEP_1) | instskip(NEXT) | instid1(VALU_DEP_2)
	v_sub_co_u32 v8, vcc_lo, s84, v4
	v_sub_co_ci_u32_e32 v9, vcc_lo, s55, v5, vcc_lo
	s_mov_b32 s4, 0
	s_mov_b32 s5, exec_lo
                                        ; implicit-def: $vgpr6_vgpr7
	s_delay_alu instid0(VALU_DEP_1)
	v_cmpx_gt_u64_e64 v[8:9], v[0:1]
	s_cbranch_execz .LBB119_197
; %bb.189:                              ;   in Loop: Header=BB119_46 Depth=1
	v_dual_mov_b32 v10, v16 :: v_dual_mov_b32 v11, v17
	v_dual_mov_b32 v13, v1 :: v_dual_mov_b32 v12, v0
	s_mov_b32 s17, 0
                                        ; implicit-def: $sgpr16
	s_branch .LBB119_191
.LBB119_190:                            ;   in Loop: Header=BB119_191 Depth=2
	s_or_b32 exec_lo, exec_lo, s4
	s_waitcnt vmcnt(0) lgkmcnt(0)
	s_barrier
	buffer_gl0_inv
	ds_load_b128 v[4:7], v21 offset:3072
	v_add_co_u32 v12, s4, v12, s33
	s_delay_alu instid0(VALU_DEP_1)
	v_add_co_ci_u32_e64 v13, s4, 0, v13, s4
	s_waitcnt lgkmcnt(0)
	s_barrier
	buffer_gl0_inv
	v_cmp_ge_u64_e64 s4, v[12:13], v[8:9]
	v_cmp_neq_f64_e32 vcc_lo, 0, v[4:5]
	s_delay_alu instid0(VALU_DEP_2) | instskip(NEXT) | instid1(SALU_CYCLE_1)
	s_or_b32 s4, s4, vcc_lo
	s_and_b32 s19, exec_lo, s4
	v_add_co_u32 v10, s4, v10, s46
	s_delay_alu instid0(VALU_DEP_1) | instskip(SKIP_3) | instid1(SALU_CYCLE_1)
	v_add_co_ci_u32_e64 v11, s4, s47, v11, s4
	s_or_b32 s17, s19, s17
	s_and_not1_b32 s4, s16, exec_lo
	s_and_b32 s16, vcc_lo, exec_lo
	s_or_b32 s16, s4, s16
	s_and_not1_b32 exec_lo, exec_lo, s17
	s_cbranch_execz .LBB119_196
.LBB119_191:                            ;   Parent Loop BB119_46 Depth=1
                                        ; =>  This Inner Loop Header: Depth=2
	s_delay_alu instid0(VALU_DEP_1)
	v_cmp_gt_u64_e32 vcc_lo, s[24:25], v[12:13]
	v_mov_b32_e32 v4, 0
	v_mov_b32_e32 v5, 0
	s_and_saveexec_b32 s4, vcc_lo
	s_cbranch_execz .LBB119_193
; %bb.192:                              ;   in Loop: Header=BB119_191 Depth=2
	global_load_b64 v[4:5], v[10:11], off
.LBB119_193:                            ;   in Loop: Header=BB119_191 Depth=2
	s_or_b32 exec_lo, exec_lo, s4
	s_and_saveexec_b32 s4, vcc_lo
	s_cbranch_execz .LBB119_190
; %bb.194:                              ;   in Loop: Header=BB119_191 Depth=2
	s_waitcnt vmcnt(0)
	v_cmp_o_f64_e32 vcc_lo, v[4:5], v[4:5]
	v_ashrrev_i32_e32 v2, 31, v5
	s_delay_alu instid0(VALU_DEP_1) | instskip(SKIP_1) | instid1(VALU_DEP_2)
	v_or_b32_e32 v6, 0x80000000, v2
	v_xor_b32_e32 v2, v2, v4
	v_xor_b32_e32 v6, v6, v5
	s_delay_alu instid0(VALU_DEP_1) | instskip(NEXT) | instid1(VALU_DEP_3)
	v_cndmask_b32_e32 v6, -1, v6, vcc_lo
	v_cndmask_b32_e32 v2, -1, v2, vcc_lo
	s_delay_alu instid0(VALU_DEP_2) | instskip(NEXT) | instid1(VALU_DEP_2)
	v_and_b32_e32 v7, s67, v6
	v_and_b32_e32 v6, s66, v2
	s_delay_alu instid0(VALU_DEP_1)
	v_cmp_eq_u64_e32 vcc_lo, s[64:65], v[6:7]
	s_and_b32 exec_lo, exec_lo, vcc_lo
	s_cbranch_execz .LBB119_190
; %bb.195:                              ;   in Loop: Header=BB119_191 Depth=2
	v_mov_b32_e32 v2, v21
	ds_store_b128 v21, v[2:5] offset:3072
	s_branch .LBB119_190
.LBB119_196:                            ;   in Loop: Header=BB119_46 Depth=1
	s_or_b32 exec_lo, exec_lo, s17
	s_delay_alu instid0(SALU_CYCLE_1)
	s_and_b32 s4, s16, exec_lo
.LBB119_197:                            ;   in Loop: Header=BB119_46 Depth=1
	s_or_b32 exec_lo, exec_lo, s5
	s_mov_b32 s23, -1
	s_mov_b32 s22, 0
	s_mov_b32 s19, 0
.LBB119_198:                            ;   in Loop: Header=BB119_46 Depth=1
	s_mov_b32 s5, 0
                                        ; implicit-def: $sgpr54
	s_and_saveexec_b32 s52, s4
	s_cbranch_execz .LBB119_309
; %bb.199:                              ;   in Loop: Header=BB119_46 Depth=1
	s_xor_b32 s4, s68, -1
	s_mov_b32 s54, 1
	s_and_not1_b32 vcc_lo, exec_lo, s4
	s_cbranch_vccnz .LBB119_210
; %bb.200:                              ;   in Loop: Header=BB119_46 Depth=1
	v_cmp_gt_u64_e64 s4, s[50:51], s[14:15]
	s_mov_b32 s68, -1
                                        ; implicit-def: $sgpr54
                                        ; implicit-def: $sgpr16_sgpr17
	s_delay_alu instid0(VALU_DEP_1)
	s_and_b32 vcc_lo, exec_lo, s4
                                        ; implicit-def: $sgpr4_sgpr5
	s_cbranch_vccnz .LBB119_206
; %bb.201:                              ;   in Loop: Header=BB119_46 Depth=1
	ds_load_b64 v[4:5], v21 offset:5120
	s_waitcnt lgkmcnt(0)
	v_cmp_ne_u64_e32 vcc_lo, 0, v[4:5]
	s_cbranch_vccnz .LBB119_205
; %bb.202:                              ;   in Loop: Header=BB119_46 Depth=1
	s_and_saveexec_b32 s4, s3
	s_cbranch_execz .LBB119_204
; %bb.203:                              ;   in Loop: Header=BB119_46 Depth=1
	v_dual_mov_b32 v4, s14 :: v_dual_mov_b32 v5, s15
	ds_store_b64 v21, v[4:5] offset:5128
.LBB119_204:                            ;   in Loop: Header=BB119_46 Depth=1
	s_or_b32 exec_lo, exec_lo, s4
	s_waitcnt lgkmcnt(0)
	s_barrier
	buffer_gl0_inv
.LBB119_205:                            ;   in Loop: Header=BB119_46 Depth=1
	s_lshl_b64 s[4:5], 1, s21
	s_and_b64 s[16:17], s[64:65], s[12:13]
	s_mov_b32 s68, 0
	s_or_b64 s[4:5], s[16:17], s[4:5]
	s_or_b64 s[16:17], s[66:67], s[8:9]
	s_mov_b32 s54, 8
.LBB119_206:                            ;   in Loop: Header=BB119_46 Depth=1
	s_and_not1_b32 vcc_lo, exec_lo, s68
	s_cbranch_vccnz .LBB119_208
; %bb.207:                              ;   in Loop: Header=BB119_46 Depth=1
	s_sub_u32 s50, s50, s14
	s_subb_u32 s51, s51, s15
	s_mov_b32 s68, -1
	s_mov_b32 s54, 0
	s_mov_b64 s[4:5], s[64:65]
	s_mov_b64 s[16:17], s[66:67]
.LBB119_208:                            ;   in Loop: Header=BB119_46 Depth=1
	s_delay_alu instid0(SALU_CYCLE_1)
	s_mov_b64 s[66:67], s[16:17]
	s_mov_b64 s[64:65], s[4:5]
	s_and_not1_b32 vcc_lo, exec_lo, s68
	s_mov_b32 s5, -1
	s_cbranch_vccz .LBB119_211
.LBB119_209:                            ;   in Loop: Header=BB119_46 Depth=1
                                        ; implicit-def: $sgpr17
                                        ; implicit-def: $sgpr68
                                        ; implicit-def: $sgpr16
	s_branch .LBB119_308
.LBB119_210:                            ;   in Loop: Header=BB119_46 Depth=1
	s_mov_b64 s[50:51], 1
	s_mov_b32 s5, -1
	s_cbranch_execnz .LBB119_209
.LBB119_211:                            ;   in Loop: Header=BB119_46 Depth=1
	s_cmp_eq_u64 s[10:11], 1
	s_cselect_b32 s4, -1, 0
	s_cmp_eq_u64 s[50:51], 1
	s_cselect_b32 s5, -1, 0
	s_delay_alu instid0(SALU_CYCLE_1)
	s_and_b32 s70, s4, s5
	s_mov_b32 s4, -1
	s_and_b32 vcc_lo, exec_lo, s70
	s_cbranch_vccz .LBB119_226
; %bb.212:                              ;   in Loop: Header=BB119_46 Depth=1
	ds_load_b64 v[4:5], v21 offset:5120
	s_waitcnt lgkmcnt(0)
	s_barrier
	buffer_gl0_inv
	v_readfirstlane_b32 s14, v4
	v_readfirstlane_b32 s15, v5
	s_and_saveexec_b32 s4, s0
	s_cbranch_execz .LBB119_214
; %bb.213:                              ;   in Loop: Header=BB119_46 Depth=1
	v_mov_b32_e32 v20, v21
	ds_store_b64 v44, v[20:21]
.LBB119_214:                            ;   in Loop: Header=BB119_46 Depth=1
	s_or_b32 exec_lo, exec_lo, s4
	s_lshl_b64 s[4:5], 2, s21
	s_and_b64 s[16:17], s[64:65], s[12:13]
	s_or_b64 s[66:67], s[66:67], s[8:9]
	s_or_b64 s[64:65], s[16:17], s[4:5]
	s_cmp_eq_u64 s[14:15], 0
	s_waitcnt lgkmcnt(0)
	s_barrier
	buffer_gl0_inv
	s_cbranch_scc1 .LBB119_229
; %bb.215:                              ;   in Loop: Header=BB119_46 Depth=1
	s_add_u32 s16, s82, s14
	s_addc_u32 s5, s83, s15
	s_mov_b32 s4, s53
	s_delay_alu instid0(SALU_CYCLE_1)
	s_cmp_lg_u64 s[4:5], 0
	s_cbranch_scc0 .LBB119_274
; %bb.216:                              ;   in Loop: Header=BB119_46 Depth=1
	v_cvt_f32_u32_e32 v2, s33
	s_sub_u32 s54, 0, s33
	s_subb_u32 s68, 0, 0
	s_delay_alu instid0(VALU_DEP_1) | instskip(NEXT) | instid1(VALU_DEP_1)
	v_fmac_f32_e64 v2, 0, 0x4f800000
	v_rcp_f32_e32 v2, v2
	s_waitcnt_depctr 0xfff
	v_mul_f32_e32 v2, 0x5f7ffffc, v2
	s_delay_alu instid0(VALU_DEP_1) | instskip(NEXT) | instid1(VALU_DEP_1)
	v_mul_f32_e32 v4, 0x2f800000, v2
	v_trunc_f32_e32 v4, v4
	s_delay_alu instid0(VALU_DEP_1) | instskip(SKIP_1) | instid1(VALU_DEP_2)
	v_fmac_f32_e32 v2, 0xcf800000, v4
	v_cvt_u32_f32_e32 v4, v4
	v_cvt_u32_f32_e32 v2, v2
	s_delay_alu instid0(VALU_DEP_2) | instskip(NEXT) | instid1(VALU_DEP_2)
	v_readfirstlane_b32 s4, v4
	v_readfirstlane_b32 s17, v2
	s_delay_alu instid0(VALU_DEP_2) | instskip(NEXT) | instid1(VALU_DEP_1)
	s_mul_i32 s69, s54, s4
	s_mul_hi_u32 s72, s54, s17
	s_mul_i32 s71, s68, s17
	s_add_i32 s69, s72, s69
	s_mul_i32 s73, s54, s17
	s_add_i32 s69, s69, s71
	s_mul_hi_u32 s72, s17, s73
	s_mul_hi_u32 s74, s4, s73
	s_mul_i32 s71, s4, s73
	s_mul_hi_u32 s73, s17, s69
	s_mul_i32 s17, s17, s69
	s_mul_hi_u32 s75, s4, s69
	s_add_u32 s17, s72, s17
	s_addc_u32 s72, 0, s73
	s_add_u32 s17, s17, s71
	s_mul_i32 s69, s4, s69
	s_addc_u32 s17, s72, s74
	s_addc_u32 s71, s75, 0
	s_add_u32 s17, s17, s69
	s_addc_u32 s69, 0, s71
	v_add_co_u32 v2, s17, v2, s17
	s_delay_alu instid0(VALU_DEP_1) | instskip(SKIP_1) | instid1(VALU_DEP_1)
	s_cmp_lg_u32 s17, 0
	s_addc_u32 s4, s4, s69
	v_readfirstlane_b32 s17, v2
	s_mul_i32 s69, s54, s4
	s_delay_alu instid0(VALU_DEP_1)
	s_mul_hi_u32 s71, s54, s17
	s_mul_i32 s68, s68, s17
	s_add_i32 s69, s71, s69
	s_mul_i32 s54, s54, s17
	s_add_i32 s69, s69, s68
	s_mul_hi_u32 s71, s4, s54
	s_mul_i32 s72, s4, s54
	s_mul_hi_u32 s54, s17, s54
	s_mul_hi_u32 s73, s17, s69
	s_mul_i32 s17, s17, s69
	s_mul_hi_u32 s68, s4, s69
	s_add_u32 s17, s54, s17
	s_addc_u32 s54, 0, s73
	s_add_u32 s17, s17, s72
	s_mul_i32 s69, s4, s69
	s_addc_u32 s17, s54, s71
	s_addc_u32 s54, s68, 0
	s_add_u32 s17, s17, s69
	s_addc_u32 s54, 0, s54
	v_add_co_u32 v2, s17, v2, s17
	s_delay_alu instid0(VALU_DEP_1) | instskip(SKIP_1) | instid1(VALU_DEP_1)
	s_cmp_lg_u32 s17, 0
	s_addc_u32 s4, s4, s54
	v_readfirstlane_b32 s17, v2
	s_mul_i32 s68, s16, s4
	s_mul_hi_u32 s54, s16, s4
	s_mul_hi_u32 s69, s5, s4
	s_mul_i32 s4, s5, s4
	s_mul_hi_u32 s71, s16, s17
	s_mul_hi_u32 s72, s5, s17
	s_mul_i32 s17, s5, s17
	s_add_u32 s68, s71, s68
	s_addc_u32 s54, 0, s54
	s_add_u32 s17, s68, s17
	s_addc_u32 s17, s54, s72
	s_addc_u32 s54, s69, 0
	s_add_u32 s4, s17, s4
	s_addc_u32 s17, 0, s54
	s_mul_hi_u32 s54, s33, s4
	s_mul_i32 s4, s33, s4
	s_mul_i32 s17, s33, s17
	v_sub_co_u32 v2, s4, s16, s4
	s_add_i32 s54, s54, s17
	s_cmp_lg_u32 s4, 0
	s_delay_alu instid0(VALU_DEP_1) | instskip(SKIP_2) | instid1(VALU_DEP_1)
	v_sub_co_u32 v4, s4, v2, s33
	s_subb_u32 s17, s5, s54
	s_cmp_lg_u32 s4, 0
	v_cmp_le_u32_e32 vcc_lo, s33, v4
	v_sub_co_u32 v5, s4, v4, s33
	s_subb_u32 s54, s17, 0
	s_cmp_lg_u32 s4, 0
	v_cndmask_b32_e64 v6, 0, -1, vcc_lo
	s_subb_u32 s4, s54, 0
	s_cmp_eq_u32 s54, 0
	v_mov_b32_e32 v8, s4
	s_cselect_b32 vcc_lo, -1, 0
	s_cmp_eq_u32 s17, 0
	v_cndmask_b32_e32 v6, -1, v6, vcc_lo
	v_cmp_le_u32_e32 vcc_lo, s33, v2
	s_cselect_b32 s4, -1, 0
	v_cndmask_b32_e64 v7, 0, -1, vcc_lo
	s_delay_alu instid0(VALU_DEP_3) | instskip(NEXT) | instid1(VALU_DEP_2)
	v_cmp_ne_u32_e32 vcc_lo, 0, v6
	v_cndmask_b32_e64 v6, -1, v7, s4
	v_cndmask_b32_e32 v7, s54, v8, vcc_lo
	v_cndmask_b32_e32 v4, v4, v5, vcc_lo
	s_delay_alu instid0(VALU_DEP_3) | instskip(NEXT) | instid1(VALU_DEP_3)
	v_cmp_ne_u32_e32 vcc_lo, 0, v6
	v_cndmask_b32_e32 v5, s17, v7, vcc_lo
	s_delay_alu instid0(VALU_DEP_3)
	v_cndmask_b32_e32 v4, v2, v4, vcc_lo
	s_cbranch_execnz .LBB119_218
.LBB119_217:                            ;   in Loop: Header=BB119_46 Depth=1
	v_cvt_f32_u32_e32 v2, s33
	s_sub_i32 s4, 0, s33
	s_delay_alu instid0(VALU_DEP_1) | instskip(SKIP_2) | instid1(VALU_DEP_1)
	v_rcp_iflag_f32_e32 v2, v2
	s_waitcnt_depctr 0xfff
	v_mul_f32_e32 v2, 0x4f7ffffe, v2
	v_cvt_u32_f32_e32 v2, v2
	s_delay_alu instid0(VALU_DEP_1) | instskip(NEXT) | instid1(VALU_DEP_1)
	v_mul_lo_u32 v4, s4, v2
	v_mul_hi_u32 v4, v2, v4
	s_delay_alu instid0(VALU_DEP_1) | instskip(NEXT) | instid1(VALU_DEP_1)
	v_add_nc_u32_e32 v2, v2, v4
	v_mul_hi_u32 v2, s16, v2
	s_delay_alu instid0(VALU_DEP_1) | instskip(NEXT) | instid1(VALU_DEP_1)
	v_mul_lo_u32 v2, v2, s33
	v_sub_nc_u32_e32 v2, s16, v2
	s_delay_alu instid0(VALU_DEP_1) | instskip(SKIP_1) | instid1(VALU_DEP_2)
	v_subrev_nc_u32_e32 v4, s33, v2
	v_cmp_le_u32_e32 vcc_lo, s33, v2
	v_cndmask_b32_e32 v2, v2, v4, vcc_lo
	s_delay_alu instid0(VALU_DEP_1) | instskip(SKIP_1) | instid1(VALU_DEP_2)
	v_subrev_nc_u32_e32 v4, s33, v2
	v_cmp_le_u32_e32 vcc_lo, s33, v2
	v_cndmask_b32_e32 v20, v2, v4, vcc_lo
	s_delay_alu instid0(VALU_DEP_1)
	v_dual_mov_b32 v4, v20 :: v_dual_mov_b32 v5, v21
.LBB119_218:                            ;   in Loop: Header=BB119_46 Depth=1
	s_delay_alu instid0(VALU_DEP_1) | instskip(NEXT) | instid1(VALU_DEP_2)
	v_sub_co_u32 v8, vcc_lo, s16, v4
	v_sub_co_ci_u32_e32 v9, vcc_lo, s5, v5, vcc_lo
	s_mov_b32 s4, 0
	s_mov_b32 s5, exec_lo
                                        ; implicit-def: $vgpr6_vgpr7
	s_delay_alu instid0(VALU_DEP_1)
	v_cmpx_gt_u64_e64 v[8:9], v[0:1]
	s_cbranch_execz .LBB119_231
; %bb.219:                              ;   in Loop: Header=BB119_46 Depth=1
	v_dual_mov_b32 v12, v43 :: v_dual_mov_b32 v11, v1
	v_mov_b32_e32 v10, v0
	s_mov_b32 s17, 0
                                        ; implicit-def: $sgpr16
	s_set_inst_prefetch_distance 0x1
	s_branch .LBB119_221
	.p2align	6
.LBB119_220:                            ;   in Loop: Header=BB119_221 Depth=2
	s_or_b32 exec_lo, exec_lo, s4
	s_waitcnt lgkmcnt(0)
	s_barrier
	buffer_gl0_inv
	ds_load_b128 v[4:7], v21 offset:3072
	v_add_co_u32 v10, s4, v10, s33
	s_delay_alu instid0(VALU_DEP_1) | instskip(SKIP_3) | instid1(VALU_DEP_2)
	v_add_co_ci_u32_e64 v11, s4, 0, v11, s4
	v_add_nc_u32_e32 v12, s90, v12
	s_waitcnt lgkmcnt(0)
	s_barrier
	v_cmp_ge_u64_e64 s4, v[10:11], v[8:9]
	buffer_gl0_inv
	v_cmp_neq_f64_e32 vcc_lo, 0, v[4:5]
	s_or_b32 s4, s4, vcc_lo
	s_delay_alu instid0(SALU_CYCLE_1) | instskip(NEXT) | instid1(SALU_CYCLE_1)
	s_and_b32 s4, exec_lo, s4
	s_or_b32 s17, s4, s17
	s_and_not1_b32 s4, s16, exec_lo
	s_and_b32 s16, vcc_lo, exec_lo
	s_delay_alu instid0(SALU_CYCLE_1)
	s_or_b32 s16, s4, s16
	s_and_not1_b32 exec_lo, exec_lo, s17
	s_cbranch_execz .LBB119_230
.LBB119_221:                            ;   Parent Loop BB119_46 Depth=1
                                        ; =>  This Inner Loop Header: Depth=2
	s_delay_alu instid0(VALU_DEP_1)
	v_cmp_gt_u64_e32 vcc_lo, s[14:15], v[10:11]
	v_mov_b32_e32 v4, 0
	v_mov_b32_e32 v5, 0
	s_and_saveexec_b32 s4, vcc_lo
	s_cbranch_execz .LBB119_223
; %bb.222:                              ;   in Loop: Header=BB119_221 Depth=2
	ds_load_b64 v[4:5], v12
.LBB119_223:                            ;   in Loop: Header=BB119_221 Depth=2
	s_or_b32 exec_lo, exec_lo, s4
	s_and_saveexec_b32 s4, vcc_lo
	s_cbranch_execz .LBB119_220
; %bb.224:                              ;   in Loop: Header=BB119_221 Depth=2
	s_waitcnt lgkmcnt(0)
	v_cmp_o_f64_e32 vcc_lo, v[4:5], v[4:5]
	v_ashrrev_i32_e32 v2, 31, v5
	s_delay_alu instid0(VALU_DEP_1) | instskip(SKIP_1) | instid1(VALU_DEP_2)
	v_or_b32_e32 v6, 0x80000000, v2
	v_xor_b32_e32 v2, v2, v4
	v_xor_b32_e32 v6, v6, v5
	s_delay_alu instid0(VALU_DEP_1) | instskip(NEXT) | instid1(VALU_DEP_3)
	v_cndmask_b32_e32 v6, -1, v6, vcc_lo
	v_cndmask_b32_e32 v2, -1, v2, vcc_lo
	s_delay_alu instid0(VALU_DEP_2) | instskip(NEXT) | instid1(VALU_DEP_2)
	v_and_b32_e32 v7, s67, v6
	v_and_b32_e32 v6, s66, v2
	s_delay_alu instid0(VALU_DEP_1)
	v_cmp_eq_u64_e32 vcc_lo, s[64:65], v[6:7]
	s_and_b32 exec_lo, exec_lo, vcc_lo
	s_cbranch_execz .LBB119_220
; %bb.225:                              ;   in Loop: Header=BB119_221 Depth=2
	v_mov_b32_e32 v2, v21
	ds_store_b128 v21, v[2:5] offset:3072
	s_branch .LBB119_220
.LBB119_226:                            ;   in Loop: Header=BB119_46 Depth=1
                                        ; implicit-def: $sgpr16
                                        ; implicit-def: $sgpr68
                                        ; implicit-def: $sgpr17
	s_branch .LBB119_245
.LBB119_227:                            ;   in Loop: Header=BB119_46 Depth=1
                                        ; implicit-def: $vgpr4_vgpr5
	s_branch .LBB119_170
.LBB119_228:                            ;   in Loop: Header=BB119_46 Depth=1
                                        ; implicit-def: $vgpr4_vgpr5
	s_branch .LBB119_187
.LBB119_229:                            ;   in Loop: Header=BB119_46 Depth=1
	s_mov_b32 s16, -1
	s_mov_b32 s4, 0
                                        ; implicit-def: $sgpr17
                                        ; implicit-def: $vgpr6_vgpr7
	s_mov_b32 s68, s16
	s_cbranch_execnz .LBB119_232
	s_branch .LBB119_245
.LBB119_230:                            ;   in Loop: Header=BB119_46 Depth=1
	s_set_inst_prefetch_distance 0x2
	s_or_b32 exec_lo, exec_lo, s17
	s_delay_alu instid0(SALU_CYCLE_1)
	s_and_b32 s4, s16, exec_lo
.LBB119_231:                            ;   in Loop: Header=BB119_46 Depth=1
	s_or_b32 exec_lo, exec_lo, s5
	s_mov_b32 s17, -1
	s_mov_b32 s16, 0
	s_delay_alu instid0(SALU_CYCLE_1)
	s_mov_b32 s68, s16
	s_branch .LBB119_245
.LBB119_232:                            ;   in Loop: Header=BB119_46 Depth=1
	s_mov_b32 s54, s53
	s_delay_alu instid0(SALU_CYCLE_1)
	s_cmp_lg_u64 s[54:55], 0
	s_cbranch_scc0 .LBB119_275
; %bb.233:                              ;   in Loop: Header=BB119_46 Depth=1
	v_cvt_f32_u32_e32 v2, s33
	s_sub_u32 s14, 0, s33
	s_subb_u32 s15, 0, 0
	s_delay_alu instid0(VALU_DEP_1) | instskip(NEXT) | instid1(VALU_DEP_1)
	v_fmac_f32_e64 v2, 0, 0x4f800000
	v_rcp_f32_e32 v2, v2
	s_waitcnt_depctr 0xfff
	v_mul_f32_e32 v2, 0x5f7ffffc, v2
	s_delay_alu instid0(VALU_DEP_1) | instskip(NEXT) | instid1(VALU_DEP_1)
	v_mul_f32_e32 v4, 0x2f800000, v2
	v_trunc_f32_e32 v4, v4
	s_delay_alu instid0(VALU_DEP_1) | instskip(SKIP_1) | instid1(VALU_DEP_2)
	v_fmac_f32_e32 v2, 0xcf800000, v4
	v_cvt_u32_f32_e32 v4, v4
	v_cvt_u32_f32_e32 v2, v2
	s_delay_alu instid0(VALU_DEP_2) | instskip(NEXT) | instid1(VALU_DEP_2)
	v_readfirstlane_b32 s4, v4
	v_readfirstlane_b32 s5, v2
	s_delay_alu instid0(VALU_DEP_2) | instskip(NEXT) | instid1(VALU_DEP_1)
	s_mul_i32 s16, s14, s4
	s_mul_hi_u32 s54, s14, s5
	s_mul_i32 s17, s15, s5
	s_add_i32 s16, s54, s16
	s_mul_i32 s68, s14, s5
	s_add_i32 s16, s16, s17
	s_mul_hi_u32 s54, s5, s68
	s_mul_hi_u32 s69, s4, s68
	s_mul_i32 s17, s4, s68
	s_mul_hi_u32 s68, s5, s16
	s_mul_i32 s5, s5, s16
	s_mul_hi_u32 s71, s4, s16
	s_add_u32 s5, s54, s5
	s_addc_u32 s54, 0, s68
	s_add_u32 s5, s5, s17
	s_mul_i32 s16, s4, s16
	s_addc_u32 s5, s54, s69
	s_addc_u32 s17, s71, 0
	s_add_u32 s5, s5, s16
	s_addc_u32 s16, 0, s17
	v_add_co_u32 v2, s5, v2, s5
	s_delay_alu instid0(VALU_DEP_1) | instskip(SKIP_1) | instid1(VALU_DEP_1)
	s_cmp_lg_u32 s5, 0
	s_addc_u32 s4, s4, s16
	v_readfirstlane_b32 s5, v2
	s_mul_i32 s16, s14, s4
	s_delay_alu instid0(VALU_DEP_1)
	s_mul_hi_u32 s17, s14, s5
	s_mul_i32 s15, s15, s5
	s_add_i32 s16, s17, s16
	s_mul_i32 s14, s14, s5
	s_add_i32 s16, s16, s15
	s_mul_hi_u32 s17, s4, s14
	s_mul_i32 s54, s4, s14
	s_mul_hi_u32 s14, s5, s14
	s_mul_hi_u32 s68, s5, s16
	s_mul_i32 s5, s5, s16
	s_mul_hi_u32 s15, s4, s16
	s_add_u32 s5, s14, s5
	s_addc_u32 s14, 0, s68
	s_add_u32 s5, s5, s54
	s_mul_i32 s16, s4, s16
	s_addc_u32 s5, s14, s17
	s_addc_u32 s14, s15, 0
	s_add_u32 s5, s5, s16
	s_addc_u32 s14, 0, s14
	v_add_co_u32 v2, s5, v2, s5
	s_delay_alu instid0(VALU_DEP_1) | instskip(SKIP_1) | instid1(VALU_DEP_1)
	s_cmp_lg_u32 s5, 0
	s_addc_u32 s4, s4, s14
	v_readfirstlane_b32 s5, v2
	s_mul_i32 s15, s84, s4
	s_mul_hi_u32 s14, s84, s4
	s_mul_hi_u32 s16, s55, s4
	s_mul_i32 s4, s55, s4
	s_mul_hi_u32 s17, s84, s5
	s_mul_hi_u32 s54, s55, s5
	s_mul_i32 s5, s55, s5
	s_add_u32 s15, s17, s15
	s_addc_u32 s14, 0, s14
	s_add_u32 s5, s15, s5
	s_addc_u32 s5, s14, s54
	s_addc_u32 s14, s16, 0
	s_add_u32 s4, s5, s4
	s_addc_u32 s5, 0, s14
	s_mul_hi_u32 s14, s33, s4
	s_mul_i32 s4, s33, s4
	s_mul_i32 s5, s33, s5
	v_sub_co_u32 v2, s4, s84, s4
	s_add_i32 s14, s14, s5
	s_cmp_lg_u32 s4, 0
	s_delay_alu instid0(VALU_DEP_1) | instskip(SKIP_2) | instid1(VALU_DEP_1)
	v_sub_co_u32 v4, s4, v2, s33
	s_subb_u32 s5, s55, s14
	s_cmp_lg_u32 s4, 0
	v_cmp_le_u32_e32 vcc_lo, s33, v4
	v_sub_co_u32 v5, s4, v4, s33
	s_subb_u32 s14, s5, 0
	s_cmp_lg_u32 s4, 0
	v_cndmask_b32_e64 v6, 0, -1, vcc_lo
	s_subb_u32 s4, s14, 0
	s_cmp_eq_u32 s14, 0
	v_mov_b32_e32 v8, s4
	s_cselect_b32 vcc_lo, -1, 0
	s_cmp_eq_u32 s5, 0
	v_cndmask_b32_e32 v6, -1, v6, vcc_lo
	v_cmp_le_u32_e32 vcc_lo, s33, v2
	s_cselect_b32 s4, -1, 0
	v_cndmask_b32_e64 v7, 0, -1, vcc_lo
	s_delay_alu instid0(VALU_DEP_3) | instskip(NEXT) | instid1(VALU_DEP_2)
	v_cmp_ne_u32_e32 vcc_lo, 0, v6
	v_cndmask_b32_e64 v6, -1, v7, s4
	v_cndmask_b32_e32 v7, s14, v8, vcc_lo
	v_cndmask_b32_e32 v4, v4, v5, vcc_lo
	s_delay_alu instid0(VALU_DEP_3) | instskip(NEXT) | instid1(VALU_DEP_3)
	v_cmp_ne_u32_e32 vcc_lo, 0, v6
	v_cndmask_b32_e32 v5, s5, v7, vcc_lo
	s_delay_alu instid0(VALU_DEP_3)
	v_cndmask_b32_e32 v4, v2, v4, vcc_lo
	s_cbranch_execnz .LBB119_235
.LBB119_234:                            ;   in Loop: Header=BB119_46 Depth=1
	v_cvt_f32_u32_e32 v2, s33
	s_sub_i32 s4, 0, s33
	s_delay_alu instid0(VALU_DEP_1) | instskip(SKIP_2) | instid1(VALU_DEP_1)
	v_rcp_iflag_f32_e32 v2, v2
	s_waitcnt_depctr 0xfff
	v_mul_f32_e32 v2, 0x4f7ffffe, v2
	v_cvt_u32_f32_e32 v2, v2
	s_delay_alu instid0(VALU_DEP_1) | instskip(NEXT) | instid1(VALU_DEP_1)
	v_mul_lo_u32 v4, s4, v2
	v_mul_hi_u32 v4, v2, v4
	s_delay_alu instid0(VALU_DEP_1) | instskip(NEXT) | instid1(VALU_DEP_1)
	v_add_nc_u32_e32 v2, v2, v4
	v_mul_hi_u32 v2, s84, v2
	s_delay_alu instid0(VALU_DEP_1) | instskip(NEXT) | instid1(VALU_DEP_1)
	v_mul_lo_u32 v2, v2, s33
	v_sub_nc_u32_e32 v2, s84, v2
	s_delay_alu instid0(VALU_DEP_1) | instskip(SKIP_1) | instid1(VALU_DEP_2)
	v_subrev_nc_u32_e32 v4, s33, v2
	v_cmp_le_u32_e32 vcc_lo, s33, v2
	v_cndmask_b32_e32 v2, v2, v4, vcc_lo
	s_delay_alu instid0(VALU_DEP_1) | instskip(SKIP_1) | instid1(VALU_DEP_2)
	v_subrev_nc_u32_e32 v4, s33, v2
	v_cmp_le_u32_e32 vcc_lo, s33, v2
	v_cndmask_b32_e32 v20, v2, v4, vcc_lo
	s_delay_alu instid0(VALU_DEP_1)
	v_dual_mov_b32 v4, v20 :: v_dual_mov_b32 v5, v21
.LBB119_235:                            ;   in Loop: Header=BB119_46 Depth=1
	s_delay_alu instid0(VALU_DEP_1) | instskip(NEXT) | instid1(VALU_DEP_2)
	v_sub_co_u32 v8, vcc_lo, s84, v4
	v_sub_co_ci_u32_e32 v9, vcc_lo, s55, v5, vcc_lo
	s_mov_b32 s4, 0
	s_mov_b32 s5, exec_lo
                                        ; implicit-def: $vgpr6_vgpr7
	s_delay_alu instid0(VALU_DEP_1)
	v_cmpx_gt_u64_e64 v[8:9], v[0:1]
	s_cbranch_execz .LBB119_244
; %bb.236:                              ;   in Loop: Header=BB119_46 Depth=1
	v_dual_mov_b32 v10, v16 :: v_dual_mov_b32 v11, v17
	v_dual_mov_b32 v13, v1 :: v_dual_mov_b32 v12, v0
	s_mov_b32 s15, 0
                                        ; implicit-def: $sgpr14
	s_branch .LBB119_238
.LBB119_237:                            ;   in Loop: Header=BB119_238 Depth=2
	s_or_b32 exec_lo, exec_lo, s4
	s_waitcnt vmcnt(0) lgkmcnt(0)
	s_barrier
	buffer_gl0_inv
	ds_load_b128 v[4:7], v21 offset:3072
	v_add_co_u32 v12, s4, v12, s33
	s_delay_alu instid0(VALU_DEP_1)
	v_add_co_ci_u32_e64 v13, s4, 0, v13, s4
	s_waitcnt lgkmcnt(0)
	s_barrier
	buffer_gl0_inv
	v_cmp_ge_u64_e64 s4, v[12:13], v[8:9]
	v_cmp_neq_f64_e32 vcc_lo, 0, v[4:5]
	s_delay_alu instid0(VALU_DEP_2) | instskip(NEXT) | instid1(SALU_CYCLE_1)
	s_or_b32 s4, s4, vcc_lo
	s_and_b32 s16, exec_lo, s4
	v_add_co_u32 v10, s4, v10, s46
	s_delay_alu instid0(VALU_DEP_1) | instskip(SKIP_3) | instid1(SALU_CYCLE_1)
	v_add_co_ci_u32_e64 v11, s4, s47, v11, s4
	s_or_b32 s15, s16, s15
	s_and_not1_b32 s4, s14, exec_lo
	s_and_b32 s14, vcc_lo, exec_lo
	s_or_b32 s14, s4, s14
	s_and_not1_b32 exec_lo, exec_lo, s15
	s_cbranch_execz .LBB119_243
.LBB119_238:                            ;   Parent Loop BB119_46 Depth=1
                                        ; =>  This Inner Loop Header: Depth=2
	s_delay_alu instid0(VALU_DEP_1)
	v_cmp_gt_u64_e32 vcc_lo, s[24:25], v[12:13]
	v_mov_b32_e32 v4, 0
	v_mov_b32_e32 v5, 0
	s_and_saveexec_b32 s4, vcc_lo
	s_cbranch_execz .LBB119_240
; %bb.239:                              ;   in Loop: Header=BB119_238 Depth=2
	global_load_b64 v[4:5], v[10:11], off
.LBB119_240:                            ;   in Loop: Header=BB119_238 Depth=2
	s_or_b32 exec_lo, exec_lo, s4
	s_and_saveexec_b32 s4, vcc_lo
	s_cbranch_execz .LBB119_237
; %bb.241:                              ;   in Loop: Header=BB119_238 Depth=2
	s_waitcnt vmcnt(0)
	v_cmp_o_f64_e32 vcc_lo, v[4:5], v[4:5]
	v_ashrrev_i32_e32 v2, 31, v5
	s_delay_alu instid0(VALU_DEP_1) | instskip(SKIP_1) | instid1(VALU_DEP_2)
	v_or_b32_e32 v6, 0x80000000, v2
	v_xor_b32_e32 v2, v2, v4
	v_xor_b32_e32 v6, v6, v5
	s_delay_alu instid0(VALU_DEP_1) | instskip(NEXT) | instid1(VALU_DEP_3)
	v_cndmask_b32_e32 v6, -1, v6, vcc_lo
	v_cndmask_b32_e32 v2, -1, v2, vcc_lo
	s_delay_alu instid0(VALU_DEP_2) | instskip(NEXT) | instid1(VALU_DEP_2)
	v_and_b32_e32 v7, s67, v6
	v_and_b32_e32 v6, s66, v2
	s_delay_alu instid0(VALU_DEP_1)
	v_cmp_eq_u64_e32 vcc_lo, s[64:65], v[6:7]
	s_and_b32 exec_lo, exec_lo, vcc_lo
	s_cbranch_execz .LBB119_237
; %bb.242:                              ;   in Loop: Header=BB119_238 Depth=2
	v_mov_b32_e32 v2, v21
	ds_store_b128 v21, v[2:5] offset:3072
	s_branch .LBB119_237
.LBB119_243:                            ;   in Loop: Header=BB119_46 Depth=1
	s_or_b32 exec_lo, exec_lo, s15
	s_delay_alu instid0(SALU_CYCLE_1)
	s_and_b32 s4, s14, exec_lo
.LBB119_244:                            ;   in Loop: Header=BB119_46 Depth=1
	s_or_b32 exec_lo, exec_lo, s5
	s_mov_b32 s68, -1
	s_mov_b32 s16, 0
	s_mov_b32 s17, 0
.LBB119_245:                            ;   in Loop: Header=BB119_46 Depth=1
	s_mov_b32 s5, 0
                                        ; implicit-def: $sgpr54
	s_and_saveexec_b32 s69, s4
	s_cbranch_execz .LBB119_307
; %bb.246:                              ;   in Loop: Header=BB119_46 Depth=1
	s_xor_b32 s4, s70, -1
	s_mov_b32 s54, 1
	s_and_not1_b32 vcc_lo, exec_lo, s4
	s_cbranch_vccnz .LBB119_257
; %bb.247:                              ;   in Loop: Header=BB119_46 Depth=1
	v_cmp_gt_u64_e64 s4, s[50:51], s[10:11]
	s_mov_b32 s70, -1
                                        ; implicit-def: $sgpr54
                                        ; implicit-def: $sgpr14_sgpr15
	s_delay_alu instid0(VALU_DEP_1)
	s_and_b32 vcc_lo, exec_lo, s4
                                        ; implicit-def: $sgpr4_sgpr5
	s_cbranch_vccnz .LBB119_253
; %bb.248:                              ;   in Loop: Header=BB119_46 Depth=1
	ds_load_b64 v[4:5], v21 offset:5120
	s_waitcnt lgkmcnt(0)
	v_cmp_ne_u64_e32 vcc_lo, 0, v[4:5]
	s_cbranch_vccnz .LBB119_252
; %bb.249:                              ;   in Loop: Header=BB119_46 Depth=1
	s_and_saveexec_b32 s4, s3
	s_cbranch_execz .LBB119_251
; %bb.250:                              ;   in Loop: Header=BB119_46 Depth=1
	v_dual_mov_b32 v4, s10 :: v_dual_mov_b32 v5, s11
	ds_store_b64 v21, v[4:5] offset:5128
.LBB119_251:                            ;   in Loop: Header=BB119_46 Depth=1
	s_or_b32 exec_lo, exec_lo, s4
	s_waitcnt lgkmcnt(0)
	s_barrier
	buffer_gl0_inv
.LBB119_252:                            ;   in Loop: Header=BB119_46 Depth=1
	s_lshl_b64 s[4:5], 2, s21
	s_and_b64 s[12:13], s[64:65], s[12:13]
	s_or_b64 s[14:15], s[66:67], s[8:9]
	s_or_b64 s[4:5], s[12:13], s[4:5]
	s_mov_b32 s70, 0
	s_mov_b32 s54, 8
.LBB119_253:                            ;   in Loop: Header=BB119_46 Depth=1
	s_and_not1_b32 vcc_lo, exec_lo, s70
	s_cbranch_vccnz .LBB119_255
; %bb.254:                              ;   in Loop: Header=BB119_46 Depth=1
	s_sub_u32 s50, s50, s10
	s_subb_u32 s51, s51, s11
	s_mov_b32 s70, -1
	s_mov_b32 s54, 0
	s_mov_b64 s[4:5], s[64:65]
	s_mov_b64 s[14:15], s[66:67]
.LBB119_255:                            ;   in Loop: Header=BB119_46 Depth=1
	s_delay_alu instid0(SALU_CYCLE_1)
	s_mov_b64 s[66:67], s[14:15]
	s_mov_b64 s[64:65], s[4:5]
	s_and_not1_b32 vcc_lo, exec_lo, s70
	s_mov_b32 s10, -1
	s_cbranch_vccz .LBB119_258
.LBB119_256:                            ;   in Loop: Header=BB119_46 Depth=1
                                        ; implicit-def: $sgpr13
                                        ; implicit-def: $sgpr15
                                        ; implicit-def: $sgpr14
	s_branch .LBB119_306
.LBB119_257:                            ;   in Loop: Header=BB119_46 Depth=1
	s_mov_b64 s[50:51], 1
	s_mov_b32 s10, -1
	s_cbranch_execnz .LBB119_256
.LBB119_258:                            ;   in Loop: Header=BB119_46 Depth=1
	s_cmp_eq_u64 s[6:7], 1
	s_mov_b32 s21, -1
	s_cselect_b32 s4, -1, 0
	s_cmp_eq_u64 s[50:51], 1
	s_cselect_b32 s5, -1, 0
	s_delay_alu instid0(SALU_CYCLE_1) | instskip(NEXT) | instid1(SALU_CYCLE_1)
	s_and_b32 s12, s4, s5
	s_and_b32 vcc_lo, exec_lo, s12
	s_cbranch_vccz .LBB119_273
; %bb.259:                              ;   in Loop: Header=BB119_46 Depth=1
	ds_load_b64 v[4:5], v21 offset:5120
	s_waitcnt lgkmcnt(0)
	s_barrier
	buffer_gl0_inv
	v_readfirstlane_b32 s10, v4
	v_readfirstlane_b32 s11, v5
	s_and_saveexec_b32 s4, s0
	s_cbranch_execz .LBB119_261
; %bb.260:                              ;   in Loop: Header=BB119_46 Depth=1
	v_mov_b32_e32 v20, v21
	ds_store_b64 v44, v[20:21]
.LBB119_261:                            ;   in Loop: Header=BB119_46 Depth=1
	s_or_b32 exec_lo, exec_lo, s4
	s_or_b64 s[64:65], s[64:65], s[8:9]
	s_or_b64 s[66:67], s[66:67], s[8:9]
	s_cmp_eq_u64 s[10:11], 0
	s_waitcnt lgkmcnt(0)
	s_barrier
	buffer_gl0_inv
	s_cbranch_scc1 .LBB119_276
; %bb.262:                              ;   in Loop: Header=BB119_46 Depth=1
	s_add_u32 s13, s82, s10
	s_addc_u32 s5, s83, s11
	s_mov_b32 s4, s53
	s_delay_alu instid0(SALU_CYCLE_1)
	s_cmp_lg_u64 s[4:5], 0
	s_cbranch_scc0 .LBB119_312
; %bb.263:                              ;   in Loop: Header=BB119_46 Depth=1
	v_cvt_f32_u32_e32 v2, s33
	s_sub_u32 s15, 0, s33
	s_subb_u32 s21, 0, 0
	s_delay_alu instid0(VALU_DEP_1) | instskip(NEXT) | instid1(VALU_DEP_1)
	v_fmac_f32_e64 v2, 0, 0x4f800000
	v_rcp_f32_e32 v2, v2
	s_waitcnt_depctr 0xfff
	v_mul_f32_e32 v2, 0x5f7ffffc, v2
	s_delay_alu instid0(VALU_DEP_1) | instskip(NEXT) | instid1(VALU_DEP_1)
	v_mul_f32_e32 v4, 0x2f800000, v2
	v_trunc_f32_e32 v4, v4
	s_delay_alu instid0(VALU_DEP_1) | instskip(SKIP_1) | instid1(VALU_DEP_2)
	v_fmac_f32_e32 v2, 0xcf800000, v4
	v_cvt_u32_f32_e32 v4, v4
	v_cvt_u32_f32_e32 v2, v2
	s_delay_alu instid0(VALU_DEP_2) | instskip(NEXT) | instid1(VALU_DEP_2)
	v_readfirstlane_b32 s4, v4
	v_readfirstlane_b32 s14, v2
	s_delay_alu instid0(VALU_DEP_2) | instskip(NEXT) | instid1(VALU_DEP_1)
	s_mul_i32 s54, s15, s4
	s_mul_hi_u32 s71, s15, s14
	s_mul_i32 s70, s21, s14
	s_add_i32 s54, s71, s54
	s_mul_i32 s72, s15, s14
	s_add_i32 s54, s54, s70
	s_mul_hi_u32 s71, s14, s72
	s_mul_hi_u32 s73, s4, s72
	s_mul_i32 s70, s4, s72
	s_mul_hi_u32 s72, s14, s54
	s_mul_i32 s14, s14, s54
	s_mul_hi_u32 s74, s4, s54
	s_add_u32 s14, s71, s14
	s_addc_u32 s71, 0, s72
	s_add_u32 s14, s14, s70
	s_mul_i32 s54, s4, s54
	s_addc_u32 s14, s71, s73
	s_addc_u32 s70, s74, 0
	s_add_u32 s14, s14, s54
	s_addc_u32 s54, 0, s70
	v_add_co_u32 v2, s14, v2, s14
	s_delay_alu instid0(VALU_DEP_1) | instskip(SKIP_1) | instid1(VALU_DEP_1)
	s_cmp_lg_u32 s14, 0
	s_addc_u32 s4, s4, s54
	v_readfirstlane_b32 s14, v2
	s_mul_i32 s54, s15, s4
	s_delay_alu instid0(VALU_DEP_1)
	s_mul_hi_u32 s70, s15, s14
	s_mul_i32 s21, s21, s14
	s_add_i32 s54, s70, s54
	s_mul_i32 s15, s15, s14
	s_add_i32 s54, s54, s21
	s_mul_hi_u32 s70, s4, s15
	s_mul_i32 s71, s4, s15
	s_mul_hi_u32 s15, s14, s15
	s_mul_hi_u32 s72, s14, s54
	s_mul_i32 s14, s14, s54
	s_mul_hi_u32 s21, s4, s54
	s_add_u32 s14, s15, s14
	s_addc_u32 s15, 0, s72
	s_add_u32 s14, s14, s71
	s_mul_i32 s54, s4, s54
	s_addc_u32 s14, s15, s70
	s_addc_u32 s15, s21, 0
	s_add_u32 s14, s14, s54
	s_addc_u32 s15, 0, s15
	v_add_co_u32 v2, s14, v2, s14
	s_delay_alu instid0(VALU_DEP_1) | instskip(SKIP_1) | instid1(VALU_DEP_1)
	s_cmp_lg_u32 s14, 0
	s_addc_u32 s4, s4, s15
	v_readfirstlane_b32 s14, v2
	s_mul_i32 s21, s13, s4
	s_mul_hi_u32 s15, s13, s4
	s_mul_hi_u32 s54, s5, s4
	s_mul_i32 s4, s5, s4
	s_mul_hi_u32 s70, s13, s14
	s_mul_hi_u32 s71, s5, s14
	s_mul_i32 s14, s5, s14
	s_add_u32 s21, s70, s21
	s_addc_u32 s15, 0, s15
	s_add_u32 s14, s21, s14
	s_addc_u32 s14, s15, s71
	s_addc_u32 s15, s54, 0
	s_add_u32 s4, s14, s4
	s_addc_u32 s14, 0, s15
	s_mul_hi_u32 s15, s33, s4
	s_mul_i32 s4, s33, s4
	s_mul_i32 s14, s33, s14
	v_sub_co_u32 v2, s4, s13, s4
	s_add_i32 s15, s15, s14
	s_cmp_lg_u32 s4, 0
	s_delay_alu instid0(VALU_DEP_1) | instskip(SKIP_2) | instid1(VALU_DEP_1)
	v_sub_co_u32 v4, s4, v2, s33
	s_subb_u32 s14, s5, s15
	s_cmp_lg_u32 s4, 0
	v_cmp_le_u32_e32 vcc_lo, s33, v4
	v_sub_co_u32 v5, s4, v4, s33
	s_subb_u32 s15, s14, 0
	s_cmp_lg_u32 s4, 0
	v_cndmask_b32_e64 v6, 0, -1, vcc_lo
	s_subb_u32 s4, s15, 0
	s_cmp_eq_u32 s15, 0
	v_mov_b32_e32 v8, s4
	s_cselect_b32 vcc_lo, -1, 0
	s_cmp_eq_u32 s14, 0
	v_cndmask_b32_e32 v6, -1, v6, vcc_lo
	v_cmp_le_u32_e32 vcc_lo, s33, v2
	s_cselect_b32 s4, -1, 0
	v_cndmask_b32_e64 v7, 0, -1, vcc_lo
	s_delay_alu instid0(VALU_DEP_3) | instskip(NEXT) | instid1(VALU_DEP_2)
	v_cmp_ne_u32_e32 vcc_lo, 0, v6
	v_cndmask_b32_e64 v6, -1, v7, s4
	v_cndmask_b32_e32 v7, s15, v8, vcc_lo
	v_cndmask_b32_e32 v4, v4, v5, vcc_lo
	s_delay_alu instid0(VALU_DEP_3) | instskip(NEXT) | instid1(VALU_DEP_3)
	v_cmp_ne_u32_e32 vcc_lo, 0, v6
	v_cndmask_b32_e32 v5, s14, v7, vcc_lo
	s_delay_alu instid0(VALU_DEP_3)
	v_cndmask_b32_e32 v4, v2, v4, vcc_lo
	s_cbranch_execnz .LBB119_265
.LBB119_264:                            ;   in Loop: Header=BB119_46 Depth=1
	v_cvt_f32_u32_e32 v2, s33
	s_sub_i32 s4, 0, s33
	s_delay_alu instid0(VALU_DEP_1) | instskip(SKIP_2) | instid1(VALU_DEP_1)
	v_rcp_iflag_f32_e32 v2, v2
	s_waitcnt_depctr 0xfff
	v_mul_f32_e32 v2, 0x4f7ffffe, v2
	v_cvt_u32_f32_e32 v2, v2
	s_delay_alu instid0(VALU_DEP_1) | instskip(NEXT) | instid1(VALU_DEP_1)
	v_mul_lo_u32 v4, s4, v2
	v_mul_hi_u32 v4, v2, v4
	s_delay_alu instid0(VALU_DEP_1) | instskip(NEXT) | instid1(VALU_DEP_1)
	v_add_nc_u32_e32 v2, v2, v4
	v_mul_hi_u32 v2, s13, v2
	s_delay_alu instid0(VALU_DEP_1) | instskip(NEXT) | instid1(VALU_DEP_1)
	v_mul_lo_u32 v2, v2, s33
	v_sub_nc_u32_e32 v2, s13, v2
	s_delay_alu instid0(VALU_DEP_1) | instskip(SKIP_1) | instid1(VALU_DEP_2)
	v_subrev_nc_u32_e32 v4, s33, v2
	v_cmp_le_u32_e32 vcc_lo, s33, v2
	v_cndmask_b32_e32 v2, v2, v4, vcc_lo
	s_delay_alu instid0(VALU_DEP_1) | instskip(SKIP_1) | instid1(VALU_DEP_2)
	v_subrev_nc_u32_e32 v4, s33, v2
	v_cmp_le_u32_e32 vcc_lo, s33, v2
	v_cndmask_b32_e32 v20, v2, v4, vcc_lo
	s_delay_alu instid0(VALU_DEP_1)
	v_dual_mov_b32 v4, v20 :: v_dual_mov_b32 v5, v21
.LBB119_265:                            ;   in Loop: Header=BB119_46 Depth=1
	s_delay_alu instid0(VALU_DEP_1) | instskip(NEXT) | instid1(VALU_DEP_2)
	v_sub_co_u32 v8, vcc_lo, s13, v4
	v_sub_co_ci_u32_e32 v9, vcc_lo, s5, v5, vcc_lo
	s_mov_b32 s21, 0
	s_mov_b32 s5, exec_lo
                                        ; implicit-def: $vgpr6_vgpr7
	s_delay_alu instid0(VALU_DEP_1)
	v_cmpx_gt_u64_e64 v[8:9], v[0:1]
	s_cbranch_execz .LBB119_278
; %bb.266:                              ;   in Loop: Header=BB119_46 Depth=1
	v_dual_mov_b32 v12, v43 :: v_dual_mov_b32 v11, v1
	v_mov_b32_e32 v10, v0
	s_mov_b32 s14, 0
                                        ; implicit-def: $sgpr13
	s_set_inst_prefetch_distance 0x1
	s_branch .LBB119_268
	.p2align	6
.LBB119_267:                            ;   in Loop: Header=BB119_268 Depth=2
	s_or_b32 exec_lo, exec_lo, s4
	s_waitcnt lgkmcnt(0)
	s_barrier
	buffer_gl0_inv
	ds_load_b128 v[4:7], v21 offset:3072
	v_add_co_u32 v10, s4, v10, s33
	s_delay_alu instid0(VALU_DEP_1) | instskip(SKIP_3) | instid1(VALU_DEP_2)
	v_add_co_ci_u32_e64 v11, s4, 0, v11, s4
	v_add_nc_u32_e32 v12, s90, v12
	s_waitcnt lgkmcnt(0)
	s_barrier
	v_cmp_ge_u64_e64 s4, v[10:11], v[8:9]
	buffer_gl0_inv
	v_cmp_neq_f64_e32 vcc_lo, 0, v[4:5]
	s_or_b32 s4, s4, vcc_lo
	s_delay_alu instid0(SALU_CYCLE_1) | instskip(NEXT) | instid1(SALU_CYCLE_1)
	s_and_b32 s4, exec_lo, s4
	s_or_b32 s14, s4, s14
	s_and_not1_b32 s4, s13, exec_lo
	s_and_b32 s13, vcc_lo, exec_lo
	s_delay_alu instid0(SALU_CYCLE_1)
	s_or_b32 s13, s4, s13
	s_and_not1_b32 exec_lo, exec_lo, s14
	s_cbranch_execz .LBB119_277
.LBB119_268:                            ;   Parent Loop BB119_46 Depth=1
                                        ; =>  This Inner Loop Header: Depth=2
	s_delay_alu instid0(VALU_DEP_1)
	v_cmp_gt_u64_e32 vcc_lo, s[10:11], v[10:11]
	v_mov_b32_e32 v4, 0
	v_mov_b32_e32 v5, 0
	s_and_saveexec_b32 s4, vcc_lo
	s_cbranch_execz .LBB119_270
; %bb.269:                              ;   in Loop: Header=BB119_268 Depth=2
	ds_load_b64 v[4:5], v12
.LBB119_270:                            ;   in Loop: Header=BB119_268 Depth=2
	s_or_b32 exec_lo, exec_lo, s4
	s_and_saveexec_b32 s4, vcc_lo
	s_cbranch_execz .LBB119_267
; %bb.271:                              ;   in Loop: Header=BB119_268 Depth=2
	s_waitcnt lgkmcnt(0)
	v_cmp_o_f64_e32 vcc_lo, v[4:5], v[4:5]
	v_ashrrev_i32_e32 v2, 31, v5
	s_delay_alu instid0(VALU_DEP_1) | instskip(SKIP_1) | instid1(VALU_DEP_2)
	v_or_b32_e32 v6, 0x80000000, v2
	v_xor_b32_e32 v2, v2, v4
	v_xor_b32_e32 v6, v6, v5
	s_delay_alu instid0(VALU_DEP_1) | instskip(NEXT) | instid1(VALU_DEP_3)
	v_cndmask_b32_e32 v6, -1, v6, vcc_lo
	v_cndmask_b32_e32 v2, -1, v2, vcc_lo
	s_delay_alu instid0(VALU_DEP_2) | instskip(NEXT) | instid1(VALU_DEP_2)
	v_and_b32_e32 v7, s67, v6
	v_and_b32_e32 v6, s66, v2
	s_delay_alu instid0(VALU_DEP_1)
	v_cmp_eq_u64_e32 vcc_lo, s[64:65], v[6:7]
	s_and_b32 exec_lo, exec_lo, vcc_lo
	s_cbranch_execz .LBB119_267
; %bb.272:                              ;   in Loop: Header=BB119_268 Depth=2
	v_mov_b32_e32 v2, v21
	ds_store_b128 v21, v[2:5] offset:3072
	s_branch .LBB119_267
.LBB119_273:                            ;   in Loop: Header=BB119_46 Depth=1
                                        ; implicit-def: $sgpr13
                                        ; implicit-def: $sgpr15
                                        ; implicit-def: $sgpr14
	s_branch .LBB119_292
.LBB119_274:                            ;   in Loop: Header=BB119_46 Depth=1
                                        ; implicit-def: $vgpr4_vgpr5
	s_branch .LBB119_217
.LBB119_275:                            ;   in Loop: Header=BB119_46 Depth=1
                                        ; implicit-def: $vgpr4_vgpr5
	s_branch .LBB119_234
.LBB119_276:                            ;   in Loop: Header=BB119_46 Depth=1
	s_mov_b32 s13, -1
	s_mov_b32 s21, 0
                                        ; implicit-def: $sgpr14
                                        ; implicit-def: $vgpr6_vgpr7
	s_mov_b32 s15, s13
	s_cbranch_execnz .LBB119_279
	s_branch .LBB119_292
.LBB119_277:                            ;   in Loop: Header=BB119_46 Depth=1
	s_set_inst_prefetch_distance 0x2
	s_or_b32 exec_lo, exec_lo, s14
	s_delay_alu instid0(SALU_CYCLE_1)
	s_and_b32 s21, s13, exec_lo
.LBB119_278:                            ;   in Loop: Header=BB119_46 Depth=1
	s_or_b32 exec_lo, exec_lo, s5
	s_mov_b32 s14, -1
	s_mov_b32 s13, 0
	s_delay_alu instid0(SALU_CYCLE_1)
	s_mov_b32 s15, s13
	s_branch .LBB119_292
.LBB119_279:                            ;   in Loop: Header=BB119_46 Depth=1
	s_mov_b32 s54, s53
	s_delay_alu instid0(SALU_CYCLE_1)
	s_cmp_lg_u64 s[54:55], 0
	s_cbranch_scc0 .LBB119_313
; %bb.280:                              ;   in Loop: Header=BB119_46 Depth=1
	v_cvt_f32_u32_e32 v2, s33
	s_sub_u32 s10, 0, s33
	s_subb_u32 s11, 0, 0
	s_delay_alu instid0(VALU_DEP_1) | instskip(NEXT) | instid1(VALU_DEP_1)
	v_fmac_f32_e64 v2, 0, 0x4f800000
	v_rcp_f32_e32 v2, v2
	s_waitcnt_depctr 0xfff
	v_mul_f32_e32 v2, 0x5f7ffffc, v2
	s_delay_alu instid0(VALU_DEP_1) | instskip(NEXT) | instid1(VALU_DEP_1)
	v_mul_f32_e32 v4, 0x2f800000, v2
	v_trunc_f32_e32 v4, v4
	s_delay_alu instid0(VALU_DEP_1) | instskip(SKIP_1) | instid1(VALU_DEP_2)
	v_fmac_f32_e32 v2, 0xcf800000, v4
	v_cvt_u32_f32_e32 v4, v4
	v_cvt_u32_f32_e32 v2, v2
	s_delay_alu instid0(VALU_DEP_2) | instskip(NEXT) | instid1(VALU_DEP_2)
	v_readfirstlane_b32 s4, v4
	v_readfirstlane_b32 s5, v2
	s_delay_alu instid0(VALU_DEP_2) | instskip(NEXT) | instid1(VALU_DEP_1)
	s_mul_i32 s13, s10, s4
	s_mul_hi_u32 s15, s10, s5
	s_mul_i32 s14, s11, s5
	s_add_i32 s13, s15, s13
	s_mul_i32 s21, s10, s5
	s_add_i32 s13, s13, s14
	s_mul_hi_u32 s15, s5, s21
	s_mul_hi_u32 s54, s4, s21
	s_mul_i32 s14, s4, s21
	s_mul_hi_u32 s21, s5, s13
	s_mul_i32 s5, s5, s13
	s_mul_hi_u32 s70, s4, s13
	s_add_u32 s5, s15, s5
	s_addc_u32 s15, 0, s21
	s_add_u32 s5, s5, s14
	s_mul_i32 s13, s4, s13
	s_addc_u32 s5, s15, s54
	s_addc_u32 s14, s70, 0
	s_add_u32 s5, s5, s13
	s_addc_u32 s13, 0, s14
	v_add_co_u32 v2, s5, v2, s5
	s_delay_alu instid0(VALU_DEP_1) | instskip(SKIP_1) | instid1(VALU_DEP_1)
	s_cmp_lg_u32 s5, 0
	s_addc_u32 s4, s4, s13
	v_readfirstlane_b32 s5, v2
	s_mul_i32 s13, s10, s4
	s_delay_alu instid0(VALU_DEP_1)
	s_mul_hi_u32 s14, s10, s5
	s_mul_i32 s11, s11, s5
	s_add_i32 s13, s14, s13
	s_mul_i32 s10, s10, s5
	s_add_i32 s13, s13, s11
	s_mul_hi_u32 s14, s4, s10
	s_mul_i32 s15, s4, s10
	s_mul_hi_u32 s10, s5, s10
	s_mul_hi_u32 s21, s5, s13
	s_mul_i32 s5, s5, s13
	s_mul_hi_u32 s11, s4, s13
	s_add_u32 s5, s10, s5
	s_addc_u32 s10, 0, s21
	s_add_u32 s5, s5, s15
	s_mul_i32 s13, s4, s13
	s_addc_u32 s5, s10, s14
	s_addc_u32 s10, s11, 0
	s_add_u32 s5, s5, s13
	s_addc_u32 s10, 0, s10
	v_add_co_u32 v2, s5, v2, s5
	s_delay_alu instid0(VALU_DEP_1) | instskip(SKIP_1) | instid1(VALU_DEP_1)
	s_cmp_lg_u32 s5, 0
	s_addc_u32 s4, s4, s10
	v_readfirstlane_b32 s5, v2
	s_mul_i32 s11, s84, s4
	s_mul_hi_u32 s10, s84, s4
	s_mul_hi_u32 s13, s55, s4
	s_mul_i32 s4, s55, s4
	s_mul_hi_u32 s14, s84, s5
	s_mul_hi_u32 s15, s55, s5
	s_mul_i32 s5, s55, s5
	s_add_u32 s11, s14, s11
	s_addc_u32 s10, 0, s10
	s_add_u32 s5, s11, s5
	s_addc_u32 s5, s10, s15
	s_addc_u32 s10, s13, 0
	s_add_u32 s4, s5, s4
	s_addc_u32 s5, 0, s10
	s_mul_hi_u32 s10, s33, s4
	s_mul_i32 s4, s33, s4
	s_mul_i32 s5, s33, s5
	v_sub_co_u32 v2, s4, s84, s4
	s_add_i32 s10, s10, s5
	s_cmp_lg_u32 s4, 0
	s_delay_alu instid0(VALU_DEP_1) | instskip(SKIP_2) | instid1(VALU_DEP_1)
	v_sub_co_u32 v4, s4, v2, s33
	s_subb_u32 s5, s55, s10
	s_cmp_lg_u32 s4, 0
	v_cmp_le_u32_e32 vcc_lo, s33, v4
	v_sub_co_u32 v5, s4, v4, s33
	s_subb_u32 s10, s5, 0
	s_cmp_lg_u32 s4, 0
	v_cndmask_b32_e64 v6, 0, -1, vcc_lo
	s_subb_u32 s4, s10, 0
	s_cmp_eq_u32 s10, 0
	v_mov_b32_e32 v8, s4
	s_cselect_b32 vcc_lo, -1, 0
	s_cmp_eq_u32 s5, 0
	v_cndmask_b32_e32 v6, -1, v6, vcc_lo
	v_cmp_le_u32_e32 vcc_lo, s33, v2
	s_cselect_b32 s4, -1, 0
	v_cndmask_b32_e64 v7, 0, -1, vcc_lo
	s_delay_alu instid0(VALU_DEP_3) | instskip(NEXT) | instid1(VALU_DEP_2)
	v_cmp_ne_u32_e32 vcc_lo, 0, v6
	v_cndmask_b32_e64 v6, -1, v7, s4
	v_cndmask_b32_e32 v7, s10, v8, vcc_lo
	v_cndmask_b32_e32 v4, v4, v5, vcc_lo
	s_delay_alu instid0(VALU_DEP_3) | instskip(NEXT) | instid1(VALU_DEP_3)
	v_cmp_ne_u32_e32 vcc_lo, 0, v6
	v_cndmask_b32_e32 v5, s5, v7, vcc_lo
	s_delay_alu instid0(VALU_DEP_3)
	v_cndmask_b32_e32 v4, v2, v4, vcc_lo
	s_cbranch_execnz .LBB119_282
.LBB119_281:                            ;   in Loop: Header=BB119_46 Depth=1
	v_cvt_f32_u32_e32 v2, s33
	s_sub_i32 s4, 0, s33
	s_delay_alu instid0(VALU_DEP_1) | instskip(SKIP_2) | instid1(VALU_DEP_1)
	v_rcp_iflag_f32_e32 v2, v2
	s_waitcnt_depctr 0xfff
	v_mul_f32_e32 v2, 0x4f7ffffe, v2
	v_cvt_u32_f32_e32 v2, v2
	s_delay_alu instid0(VALU_DEP_1) | instskip(NEXT) | instid1(VALU_DEP_1)
	v_mul_lo_u32 v4, s4, v2
	v_mul_hi_u32 v4, v2, v4
	s_delay_alu instid0(VALU_DEP_1) | instskip(NEXT) | instid1(VALU_DEP_1)
	v_add_nc_u32_e32 v2, v2, v4
	v_mul_hi_u32 v2, s84, v2
	s_delay_alu instid0(VALU_DEP_1) | instskip(NEXT) | instid1(VALU_DEP_1)
	v_mul_lo_u32 v2, v2, s33
	v_sub_nc_u32_e32 v2, s84, v2
	s_delay_alu instid0(VALU_DEP_1) | instskip(SKIP_1) | instid1(VALU_DEP_2)
	v_subrev_nc_u32_e32 v4, s33, v2
	v_cmp_le_u32_e32 vcc_lo, s33, v2
	v_cndmask_b32_e32 v2, v2, v4, vcc_lo
	s_delay_alu instid0(VALU_DEP_1) | instskip(SKIP_1) | instid1(VALU_DEP_2)
	v_subrev_nc_u32_e32 v4, s33, v2
	v_cmp_le_u32_e32 vcc_lo, s33, v2
	v_cndmask_b32_e32 v20, v2, v4, vcc_lo
	s_delay_alu instid0(VALU_DEP_1)
	v_dual_mov_b32 v4, v20 :: v_dual_mov_b32 v5, v21
.LBB119_282:                            ;   in Loop: Header=BB119_46 Depth=1
	s_delay_alu instid0(VALU_DEP_1) | instskip(NEXT) | instid1(VALU_DEP_2)
	v_sub_co_u32 v8, vcc_lo, s84, v4
	v_sub_co_ci_u32_e32 v9, vcc_lo, s55, v5, vcc_lo
	s_mov_b32 s21, 0
	s_mov_b32 s5, exec_lo
                                        ; implicit-def: $vgpr6_vgpr7
	s_delay_alu instid0(VALU_DEP_1)
	v_cmpx_gt_u64_e64 v[8:9], v[0:1]
	s_cbranch_execz .LBB119_291
; %bb.283:                              ;   in Loop: Header=BB119_46 Depth=1
	v_dual_mov_b32 v10, v16 :: v_dual_mov_b32 v11, v17
	v_dual_mov_b32 v13, v1 :: v_dual_mov_b32 v12, v0
	s_mov_b32 s11, 0
                                        ; implicit-def: $sgpr10
	s_branch .LBB119_285
.LBB119_284:                            ;   in Loop: Header=BB119_285 Depth=2
	s_or_b32 exec_lo, exec_lo, s4
	s_waitcnt vmcnt(0) lgkmcnt(0)
	s_barrier
	buffer_gl0_inv
	ds_load_b128 v[4:7], v21 offset:3072
	v_add_co_u32 v12, s4, v12, s33
	s_delay_alu instid0(VALU_DEP_1)
	v_add_co_ci_u32_e64 v13, s4, 0, v13, s4
	s_waitcnt lgkmcnt(0)
	s_barrier
	buffer_gl0_inv
	v_cmp_ge_u64_e64 s4, v[12:13], v[8:9]
	v_cmp_neq_f64_e32 vcc_lo, 0, v[4:5]
	s_delay_alu instid0(VALU_DEP_2) | instskip(NEXT) | instid1(SALU_CYCLE_1)
	s_or_b32 s4, s4, vcc_lo
	s_and_b32 s13, exec_lo, s4
	v_add_co_u32 v10, s4, v10, s46
	s_delay_alu instid0(VALU_DEP_1) | instskip(SKIP_3) | instid1(SALU_CYCLE_1)
	v_add_co_ci_u32_e64 v11, s4, s47, v11, s4
	s_or_b32 s11, s13, s11
	s_and_not1_b32 s4, s10, exec_lo
	s_and_b32 s10, vcc_lo, exec_lo
	s_or_b32 s10, s4, s10
	s_and_not1_b32 exec_lo, exec_lo, s11
	s_cbranch_execz .LBB119_290
.LBB119_285:                            ;   Parent Loop BB119_46 Depth=1
                                        ; =>  This Inner Loop Header: Depth=2
	s_delay_alu instid0(VALU_DEP_1)
	v_cmp_gt_u64_e32 vcc_lo, s[24:25], v[12:13]
	v_mov_b32_e32 v4, 0
	v_mov_b32_e32 v5, 0
	s_and_saveexec_b32 s4, vcc_lo
	s_cbranch_execz .LBB119_287
; %bb.286:                              ;   in Loop: Header=BB119_285 Depth=2
	global_load_b64 v[4:5], v[10:11], off
.LBB119_287:                            ;   in Loop: Header=BB119_285 Depth=2
	s_or_b32 exec_lo, exec_lo, s4
	s_and_saveexec_b32 s4, vcc_lo
	s_cbranch_execz .LBB119_284
; %bb.288:                              ;   in Loop: Header=BB119_285 Depth=2
	s_waitcnt vmcnt(0)
	v_cmp_o_f64_e32 vcc_lo, v[4:5], v[4:5]
	v_ashrrev_i32_e32 v2, 31, v5
	s_delay_alu instid0(VALU_DEP_1) | instskip(SKIP_1) | instid1(VALU_DEP_2)
	v_or_b32_e32 v6, 0x80000000, v2
	v_xor_b32_e32 v2, v2, v4
	v_xor_b32_e32 v6, v6, v5
	s_delay_alu instid0(VALU_DEP_1) | instskip(NEXT) | instid1(VALU_DEP_3)
	v_cndmask_b32_e32 v6, -1, v6, vcc_lo
	v_cndmask_b32_e32 v2, -1, v2, vcc_lo
	s_delay_alu instid0(VALU_DEP_2) | instskip(NEXT) | instid1(VALU_DEP_2)
	v_and_b32_e32 v7, s67, v6
	v_and_b32_e32 v6, s66, v2
	s_delay_alu instid0(VALU_DEP_1)
	v_cmp_eq_u64_e32 vcc_lo, s[64:65], v[6:7]
	s_and_b32 exec_lo, exec_lo, vcc_lo
	s_cbranch_execz .LBB119_284
; %bb.289:                              ;   in Loop: Header=BB119_285 Depth=2
	v_mov_b32_e32 v2, v21
	ds_store_b128 v21, v[2:5] offset:3072
	s_branch .LBB119_284
.LBB119_290:                            ;   in Loop: Header=BB119_46 Depth=1
	s_or_b32 exec_lo, exec_lo, s11
	s_delay_alu instid0(SALU_CYCLE_1)
	s_and_b32 s21, s10, exec_lo
.LBB119_291:                            ;   in Loop: Header=BB119_46 Depth=1
	s_or_b32 exec_lo, exec_lo, s5
	s_mov_b32 s15, -1
	s_mov_b32 s13, 0
	s_mov_b32 s14, 0
.LBB119_292:                            ;   in Loop: Header=BB119_46 Depth=1
	s_mov_b32 s10, 0
                                        ; implicit-def: $sgpr54
                                        ; implicit-def: $sgpr4_sgpr5
	s_and_saveexec_b32 s70, s21
	s_cbranch_execz .LBB119_305
; %bb.293:                              ;   in Loop: Header=BB119_46 Depth=1
	s_xor_b32 s10, s12, -1
	s_mov_b64 s[4:5], 1
	s_and_not1_b32 vcc_lo, exec_lo, s10
	s_mov_b32 s54, 1
	s_cbranch_vccnz .LBB119_304
; %bb.294:                              ;   in Loop: Header=BB119_46 Depth=1
	v_cmp_gt_u64_e64 s4, s[50:51], s[6:7]
	s_delay_alu instid0(VALU_DEP_1)
	s_and_b32 vcc_lo, exec_lo, s4
	s_cbranch_vccnz .LBB119_300
; %bb.295:                              ;   in Loop: Header=BB119_46 Depth=1
	ds_load_b64 v[4:5], v21 offset:5120
	s_waitcnt lgkmcnt(0)
	v_cmp_ne_u64_e32 vcc_lo, 0, v[4:5]
	s_cbranch_vccnz .LBB119_299
; %bb.296:                              ;   in Loop: Header=BB119_46 Depth=1
	s_and_saveexec_b32 s4, s3
	s_cbranch_execz .LBB119_298
; %bb.297:                              ;   in Loop: Header=BB119_46 Depth=1
	v_dual_mov_b32 v4, s6 :: v_dual_mov_b32 v5, s7
	ds_store_b64 v21, v[4:5] offset:5128
.LBB119_298:                            ;   in Loop: Header=BB119_46 Depth=1
	s_or_b32 exec_lo, exec_lo, s4
	s_waitcnt lgkmcnt(0)
	s_barrier
	buffer_gl0_inv
.LBB119_299:                            ;   in Loop: Header=BB119_46 Depth=1
	s_or_b64 s[10:11], s[64:65], s[8:9]
	s_or_b64 s[8:9], s[66:67], s[8:9]
	s_mov_b32 s4, 0
	s_mov_b32 s54, 8
	s_branch .LBB119_301
.LBB119_300:                            ;   in Loop: Header=BB119_46 Depth=1
	s_mov_b32 s4, -1
                                        ; implicit-def: $sgpr54
                                        ; implicit-def: $sgpr10_sgpr11
                                        ; implicit-def: $sgpr8_sgpr9
.LBB119_301:                            ;   in Loop: Header=BB119_46 Depth=1
	s_delay_alu instid0(SALU_CYCLE_1)
	s_and_not1_b32 vcc_lo, exec_lo, s4
	s_cbranch_vccnz .LBB119_303
; %bb.302:                              ;   in Loop: Header=BB119_46 Depth=1
	s_sub_u32 s50, s50, s6
	s_subb_u32 s51, s51, s7
	s_mov_b32 s54, 8
	s_mov_b64 s[10:11], s[64:65]
	s_mov_b64 s[8:9], s[66:67]
.LBB119_303:                            ;   in Loop: Header=BB119_46 Depth=1
	s_mov_b64 s[4:5], s[50:51]
	s_mov_b64 s[64:65], s[10:11]
	;; [unrolled: 1-line block ×3, first 2 shown]
.LBB119_304:                            ;   in Loop: Header=BB119_46 Depth=1
	s_mov_b32 s10, exec_lo
.LBB119_305:                            ;   in Loop: Header=BB119_46 Depth=1
	s_or_b32 exec_lo, exec_lo, s70
	s_mov_b64 s[50:51], s[4:5]
.LBB119_306:                            ;   in Loop: Header=BB119_46 Depth=1
	s_and_not1_b32 s4, s16, exec_lo
	s_and_b32 s5, s13, exec_lo
	s_and_not1_b32 s6, s17, exec_lo
	s_or_b32 s16, s4, s5
	s_and_not1_b32 s4, s68, exec_lo
	s_and_b32 s5, s15, exec_lo
	s_and_b32 s7, s14, exec_lo
	s_or_b32 s68, s4, s5
	s_or_b32 s17, s6, s7
	s_and_b32 s5, s10, exec_lo
.LBB119_307:                            ;   in Loop: Header=BB119_46 Depth=1
	s_or_b32 exec_lo, exec_lo, s69
.LBB119_308:                            ;   in Loop: Header=BB119_46 Depth=1
	s_delay_alu instid0(SALU_CYCLE_1)
	s_and_not1_b32 s4, s22, exec_lo
	s_and_b32 s6, s16, exec_lo
	s_and_not1_b32 s7, s19, exec_lo
	s_or_b32 s22, s4, s6
	s_and_not1_b32 s4, s23, exec_lo
	s_and_b32 s6, s68, exec_lo
	s_and_b32 s8, s17, exec_lo
	s_or_b32 s23, s4, s6
	s_or_b32 s19, s7, s8
	s_and_b32 s5, s5, exec_lo
.LBB119_309:                            ;   in Loop: Header=BB119_46 Depth=1
	s_or_b32 exec_lo, exec_lo, s52
	s_and_saveexec_b32 s4, s5
	s_delay_alu instid0(SALU_CYCLE_1)
	s_xor_b32 s4, exec_lo, s4
	s_cbranch_execz .LBB119_44
.LBB119_310:                            ;   in Loop: Header=BB119_46 Depth=1
	s_and_b32 s5, s54, -9
	s_delay_alu instid0(SALU_CYCLE_1)
	s_cmp_eq_u32 s5, 0
	s_cbranch_scc1 .LBB119_42
; %bb.311:                              ;   in Loop: Header=BB119_46 Depth=1
	s_mov_b32 s5, -1
	s_mov_b32 s6, -1
                                        ; implicit-def: $sgpr66_sgpr67
                                        ; implicit-def: $sgpr50_sgpr51
                                        ; implicit-def: $sgpr95
                                        ; implicit-def: $sgpr98
	s_branch .LBB119_43
.LBB119_312:                            ;   in Loop: Header=BB119_46 Depth=1
                                        ; implicit-def: $vgpr4_vgpr5
	s_branch .LBB119_264
.LBB119_313:                            ;   in Loop: Header=BB119_46 Depth=1
                                        ; implicit-def: $vgpr4_vgpr5
	s_branch .LBB119_281
.LBB119_314:
	s_or_b32 exec_lo, exec_lo, s91
	s_xor_b32 s3, s94, -1
	s_xor_b32 s1, s92, -1
	;; [unrolled: 1-line block ×3, first 2 shown]
	s_mov_b32 s0, 0
	s_and_saveexec_b32 s5, s1
	s_delay_alu instid0(SALU_CYCLE_1)
	s_xor_b32 s1, exec_lo, s5
	s_cbranch_execz .LBB119_328
; %bb.315:
	s_and_saveexec_b32 s0, s3
	s_delay_alu instid0(SALU_CYCLE_1)
	s_xor_b32 s3, exec_lo, s0
	s_cbranch_execz .LBB119_326
; %bb.316:
	s_and_saveexec_b32 s0, s4
	s_delay_alu instid0(SALU_CYCLE_1)
	s_xor_b32 s0, exec_lo, s0
; %bb.317:
	v_lshrrev_b32_e32 v2, 31, v5
	s_delay_alu instid0(VALU_DEP_1) | instskip(NEXT) | instid1(VALU_DEP_1)
	v_add_co_u32 v2, s4, v2, -1
	v_add_co_ci_u32_e64 v3, null, 0, -1, s4
	s_delay_alu instid0(VALU_DEP_2) | instskip(NEXT) | instid1(VALU_DEP_2)
	v_xor_b32_e32 v6, v2, v4
	v_or_b32_e32 v3, 0x80000000, v3
	s_delay_alu instid0(VALU_DEP_1)
	v_xor_b32_e32 v7, v3, v5
; %bb.318:
	s_or_b32 exec_lo, exec_lo, s0
	s_mul_i32 s0, s36, s35
	s_mul_hi_u32 s4, s36, s34
	s_mul_i32 s5, s37, s34
	s_add_i32 s0, s4, s0
	s_mul_i32 s4, s36, s34
	s_add_i32 s5, s0, s5
	v_mov_b32_e32 v2, 0
	s_lshl_b64 s[4:5], s[4:5], 3
	s_delay_alu instid0(SALU_CYCLE_1) | instskip(SKIP_2) | instid1(SALU_CYCLE_1)
	s_add_u32 s0, s44, s4
	s_addc_u32 s6, s45, s5
	s_lshl_b64 s[4:5], s[26:27], 3
	s_add_u32 s4, s0, s4
	s_addc_u32 s5, s6, s5
	global_store_b64 v2, v[6:7], s[4:5]
	s_and_saveexec_b32 s4, s2
	s_cbranch_execz .LBB119_325
; %bb.319:
	v_cmp_u_f64_e32 vcc_lo, v[6:7], v[6:7]
	s_mov_b32 s2, 0
                                        ; implicit-def: $sgpr5
                                        ; implicit-def: $sgpr8
                                        ; implicit-def: $sgpr7
	s_xor_b32 s6, vcc_lo, -1
	s_set_inst_prefetch_distance 0x1
	s_branch .LBB119_321
	.p2align	6
.LBB119_320:                            ;   in Loop: Header=BB119_321 Depth=1
	s_or_b32 exec_lo, exec_lo, s9
	s_delay_alu instid0(SALU_CYCLE_1) | instskip(NEXT) | instid1(SALU_CYCLE_1)
	s_and_b32 s0, exec_lo, s8
	s_or_b32 s2, s0, s2
	s_and_not1_b32 s0, s5, exec_lo
	s_and_b32 s5, s7, exec_lo
	s_delay_alu instid0(SALU_CYCLE_1)
	s_or_b32 s5, s0, s5
	s_and_not1_b32 exec_lo, exec_lo, s2
	s_cbranch_execz .LBB119_323
.LBB119_321:                            ; =>This Inner Loop Header: Depth=1
	global_load_b64 v[2:3], v[16:17], off
	s_or_b32 s7, s7, exec_lo
	s_or_b32 s8, s8, exec_lo
	s_waitcnt vmcnt(0)
	v_cmp_o_f64_e32 vcc_lo, v[2:3], v[2:3]
	v_cmp_neq_f64_e64 s0, v[2:3], v[6:7]
	v_dual_mov_b32 v3, v1 :: v_dual_mov_b32 v2, v0
                                        ; implicit-def: $vgpr0_vgpr1
	s_or_b32 s9, vcc_lo, s6
	s_delay_alu instid0(VALU_DEP_2) | instid1(SALU_CYCLE_1)
	s_and_b32 s0, s0, s9
	s_delay_alu instid0(SALU_CYCLE_1)
	s_and_saveexec_b32 s9, s0
	s_cbranch_execz .LBB119_320
; %bb.322:                              ;   in Loop: Header=BB119_321 Depth=1
	v_add_co_u32 v0, vcc_lo, v2, s33
	v_add_co_ci_u32_e32 v1, vcc_lo, 0, v3, vcc_lo
	v_add_co_u32 v16, s0, v16, s46
	s_delay_alu instid0(VALU_DEP_1) | instskip(NEXT) | instid1(VALU_DEP_3)
	v_add_co_ci_u32_e64 v17, s0, s47, v17, s0
	v_cmp_le_u64_e32 vcc_lo, s[24:25], v[0:1]
	s_and_not1_b32 s0, s8, exec_lo
	s_and_not1_b32 s7, s7, exec_lo
	s_and_b32 s8, vcc_lo, exec_lo
	s_delay_alu instid0(SALU_CYCLE_1)
	s_or_b32 s8, s0, s8
	s_branch .LBB119_320
.LBB119_323:
	s_set_inst_prefetch_distance 0x2
	s_or_b32 exec_lo, exec_lo, s2
	s_and_saveexec_b32 s0, s5
	s_delay_alu instid0(SALU_CYCLE_1)
	s_xor_b32 s0, exec_lo, s0
	s_cbranch_execz .LBB119_325
; %bb.324:
	s_mul_i32 s0, s40, s39
	s_mul_hi_u32 s2, s40, s38
	s_mul_i32 s6, s40, s38
	s_add_i32 s0, s2, s0
	s_mul_i32 s2, s41, s38
	v_mov_b32_e32 v0, 0
	s_add_i32 s7, s0, s2
	s_delay_alu instid0(SALU_CYCLE_1) | instskip(NEXT) | instid1(SALU_CYCLE_1)
	s_lshl_b64 s[6:7], s[6:7], 3
	s_add_u32 s0, s42, s6
	s_addc_u32 s2, s43, s7
	s_lshl_b64 s[6:7], s[30:31], 3
	s_delay_alu instid0(SALU_CYCLE_1)
	s_add_u32 s6, s0, s6
	s_addc_u32 s7, s2, s7
	global_store_b64 v0, v[2:3], s[6:7]
.LBB119_325:
	s_or_b32 exec_lo, exec_lo, s4
.LBB119_326:
	s_or_saveexec_b32 s0, s3
	s_mov_b32 s2, 0
	s_xor_b32 exec_lo, exec_lo, s0
	s_cbranch_execnz .LBB119_334
.LBB119_327:
	s_or_b32 exec_lo, exec_lo, s0
	s_delay_alu instid0(SALU_CYCLE_1)
	s_and_b32 s0, s2, exec_lo
.LBB119_328:
	s_and_not1_saveexec_b32 s1, s1
	s_cbranch_execnz .LBB119_332
; %bb.329:
	s_or_b32 exec_lo, exec_lo, s1
	s_and_saveexec_b32 s1, s0
.LBB119_330:
	; divergent unreachable
.LBB119_331:
	s_nop 0
	s_sendmsg sendmsg(MSG_DEALLOC_VGPRS)
	s_endpgm
.LBB119_332:
	s_cbranch_execnz .LBB119_336
; %bb.333:
	s_or_b32 s0, s0, exec_lo
	s_or_b32 exec_lo, exec_lo, s1
	s_and_saveexec_b32 s1, s0
	s_cbranch_execnz .LBB119_330
	s_branch .LBB119_331
.LBB119_334:
	s_cbranch_execnz .LBB119_338
; %bb.335:
	s_mov_b32 s2, exec_lo
	s_branch .LBB119_327
.LBB119_336:
	s_trap 2
	s_sendmsg_rtn_b32 s0, sendmsg(MSG_RTN_GET_DOORBELL)
	s_mov_b32 ttmp2, m0
	s_waitcnt lgkmcnt(0)
	s_and_b32 s0, s0, 0x3ff
	s_delay_alu instid0(SALU_CYCLE_1) | instskip(NEXT) | instid1(SALU_CYCLE_1)
	s_bitset1_b32 s0, 10
	s_mov_b32 m0, s0
	s_sendmsg sendmsg(MSG_INTERRUPT)
	s_mov_b32 m0, ttmp2
.LBB119_337:                            ; =>This Inner Loop Header: Depth=1
	s_sethalt 5
	s_branch .LBB119_337
.LBB119_338:
	s_trap 2
	s_sendmsg_rtn_b32 s0, sendmsg(MSG_RTN_GET_DOORBELL)
	s_mov_b32 ttmp2, m0
	s_waitcnt lgkmcnt(0)
	s_and_b32 s0, s0, 0x3ff
	s_delay_alu instid0(SALU_CYCLE_1) | instskip(NEXT) | instid1(SALU_CYCLE_1)
	s_bitset1_b32 s0, 10
	s_mov_b32 m0, s0
	s_sendmsg sendmsg(MSG_INTERRUPT)
	s_mov_b32 m0, ttmp2
.LBB119_339:                            ; =>This Inner Loop Header: Depth=1
	s_sethalt 5
	s_branch .LBB119_339
	.section	.rodata,"a",@progbits
	.p2align	6, 0x0
	.amdhsa_kernel _ZN2at6native12_GLOBAL__N_112gatherMedianIdmLin1EEEvNS_4cuda6detail10TensorInfoIT_T0_EENS5_IlS7_EENS5_IKS6_S7_EES7_S7_S7_b
		.amdhsa_group_segment_fixed_size 5152
		.amdhsa_private_segment_fixed_size 0
		.amdhsa_kernarg_size 1536
		.amdhsa_user_sgpr_count 13
		.amdhsa_user_sgpr_dispatch_ptr 0
		.amdhsa_user_sgpr_queue_ptr 0
		.amdhsa_user_sgpr_kernarg_segment_ptr 1
		.amdhsa_user_sgpr_dispatch_id 0
		.amdhsa_user_sgpr_private_segment_size 0
		.amdhsa_wavefront_size32 1
		.amdhsa_uses_dynamic_stack 0
		.amdhsa_enable_private_segment 0
		.amdhsa_system_sgpr_workgroup_id_x 1
		.amdhsa_system_sgpr_workgroup_id_y 1
		.amdhsa_system_sgpr_workgroup_id_z 1
		.amdhsa_system_sgpr_workgroup_info 0
		.amdhsa_system_vgpr_workitem_id 0
		.amdhsa_next_free_vgpr 63
		.amdhsa_next_free_sgpr 104
		.amdhsa_reserve_vcc 1
		.amdhsa_float_round_mode_32 0
		.amdhsa_float_round_mode_16_64 0
		.amdhsa_float_denorm_mode_32 3
		.amdhsa_float_denorm_mode_16_64 3
		.amdhsa_dx10_clamp 1
		.amdhsa_ieee_mode 1
		.amdhsa_fp16_overflow 0
		.amdhsa_workgroup_processor_mode 1
		.amdhsa_memory_ordered 1
		.amdhsa_forward_progress 0
		.amdhsa_shared_vgpr_count 0
		.amdhsa_exception_fp_ieee_invalid_op 0
		.amdhsa_exception_fp_denorm_src 0
		.amdhsa_exception_fp_ieee_div_zero 0
		.amdhsa_exception_fp_ieee_overflow 0
		.amdhsa_exception_fp_ieee_underflow 0
		.amdhsa_exception_fp_ieee_inexact 0
		.amdhsa_exception_int_div_zero 0
	.end_amdhsa_kernel
	.section	.text._ZN2at6native12_GLOBAL__N_112gatherMedianIdmLin1EEEvNS_4cuda6detail10TensorInfoIT_T0_EENS5_IlS7_EENS5_IKS6_S7_EES7_S7_S7_b,"axG",@progbits,_ZN2at6native12_GLOBAL__N_112gatherMedianIdmLin1EEEvNS_4cuda6detail10TensorInfoIT_T0_EENS5_IlS7_EENS5_IKS6_S7_EES7_S7_S7_b,comdat
.Lfunc_end119:
	.size	_ZN2at6native12_GLOBAL__N_112gatherMedianIdmLin1EEEvNS_4cuda6detail10TensorInfoIT_T0_EENS5_IlS7_EENS5_IKS6_S7_EES7_S7_S7_b, .Lfunc_end119-_ZN2at6native12_GLOBAL__N_112gatherMedianIdmLin1EEEvNS_4cuda6detail10TensorInfoIT_T0_EENS5_IlS7_EENS5_IKS6_S7_EES7_S7_S7_b
                                        ; -- End function
	.section	.AMDGPU.csdata,"",@progbits
; Kernel info:
; codeLenInByte = 20588
; NumSgprs: 106
; NumVgprs: 63
; ScratchSize: 0
; MemoryBound: 0
; FloatMode: 240
; IeeeMode: 1
; LDSByteSize: 5152 bytes/workgroup (compile time only)
; SGPRBlocks: 13
; VGPRBlocks: 7
; NumSGPRsForWavesPerEU: 106
; NumVGPRsForWavesPerEU: 63
; Occupancy: 16
; WaveLimiterHint : 1
; COMPUTE_PGM_RSRC2:SCRATCH_EN: 0
; COMPUTE_PGM_RSRC2:USER_SGPR: 13
; COMPUTE_PGM_RSRC2:TRAP_HANDLER: 0
; COMPUTE_PGM_RSRC2:TGID_X_EN: 1
; COMPUTE_PGM_RSRC2:TGID_Y_EN: 1
; COMPUTE_PGM_RSRC2:TGID_Z_EN: 1
; COMPUTE_PGM_RSRC2:TIDIG_COMP_CNT: 0
	.section	.text._ZN2at6native12_GLOBAL__N_112gatherMedianIfjLi1EEEvNS_4cuda6detail10TensorInfoIT_T0_EENS5_IlS7_EENS5_IKS6_S7_EES7_S7_S7_b,"axG",@progbits,_ZN2at6native12_GLOBAL__N_112gatherMedianIfjLi1EEEvNS_4cuda6detail10TensorInfoIT_T0_EENS5_IlS7_EENS5_IKS6_S7_EES7_S7_S7_b,comdat
	.globl	_ZN2at6native12_GLOBAL__N_112gatherMedianIfjLi1EEEvNS_4cuda6detail10TensorInfoIT_T0_EENS5_IlS7_EENS5_IKS6_S7_EES7_S7_S7_b ; -- Begin function _ZN2at6native12_GLOBAL__N_112gatherMedianIfjLi1EEEvNS_4cuda6detail10TensorInfoIT_T0_EENS5_IlS7_EENS5_IKS6_S7_EES7_S7_S7_b
	.p2align	8
	.type	_ZN2at6native12_GLOBAL__N_112gatherMedianIfjLi1EEEvNS_4cuda6detail10TensorInfoIT_T0_EENS5_IlS7_EENS5_IKS6_S7_EES7_S7_S7_b,@function
_ZN2at6native12_GLOBAL__N_112gatherMedianIfjLi1EEEvNS_4cuda6detail10TensorInfoIT_T0_EENS5_IlS7_EENS5_IKS6_S7_EES7_S7_S7_b: ; @_ZN2at6native12_GLOBAL__N_112gatherMedianIfjLi1EEEvNS_4cuda6detail10TensorInfoIT_T0_EENS5_IlS7_EENS5_IKS6_S7_EES7_S7_S7_b
; %bb.0:
	s_clause 0x1
	s_load_b64 s[8:9], s[0:1], 0x298
	s_load_b128 s[28:31], s[0:1], 0x288
	s_add_u32 s6, s0, 0x298
	s_addc_u32 s7, s1, 0
	s_waitcnt lgkmcnt(0)
	s_mul_i32 s2, s9, s15
	s_delay_alu instid0(SALU_CYCLE_1) | instskip(NEXT) | instid1(SALU_CYCLE_1)
	s_add_i32 s2, s2, s14
	s_mul_i32 s27, s2, s8
	s_delay_alu instid0(SALU_CYCLE_1) | instskip(NEXT) | instid1(SALU_CYCLE_1)
	s_add_i32 s27, s27, s13
	s_cmp_ge_u32 s27, s29
	s_cbranch_scc1 .LBB120_271
; %bb.1:
	s_clause 0x3
	s_load_b32 s2, s[0:1], 0x21c
	s_load_b64 s[10:11], s[0:1], 0x1b0
	s_load_b64 s[34:35], s[0:1], 0xd8
	;; [unrolled: 1-line block ×3, first 2 shown]
	v_mul_lo_u32 v5, v0, s30
	s_mov_b32 s5, 0
	v_mov_b32_e32 v3, 0
	s_waitcnt lgkmcnt(0)
	s_mul_i32 s4, s2, s27
	v_cmp_gt_u32_e64 s2, s28, v0
	s_lshl_b64 s[14:15], s[4:5], 2
	s_delay_alu instid0(SALU_CYCLE_1) | instskip(SKIP_1) | instid1(VALU_DEP_1)
	s_add_u32 s29, s10, s14
	s_addc_u32 s33, s11, s15
	s_and_saveexec_b32 s4, s2
	s_cbranch_execz .LBB120_5
; %bb.2:
	s_load_b32 s3, s[6:7], 0xc
	v_mul_lo_u32 v1, v0, s30
	v_dual_mov_b32 v3, 0 :: v_dual_mov_b32 v2, 0
	v_mov_b32_e32 v4, v0
	s_waitcnt lgkmcnt(0)
	s_and_b32 s9, s3, 0xffff
	s_delay_alu instid0(SALU_CYCLE_1)
	s_mul_i32 s10, s30, s9
	.p2align	6
.LBB120_3:                              ; =>This Inner Loop Header: Depth=1
	s_delay_alu instid0(VALU_DEP_3) | instskip(SKIP_2) | instid1(VALU_DEP_3)
	v_lshlrev_b64 v[6:7], 2, v[1:2]
	v_add_nc_u32_e32 v4, s9, v4
	v_add_nc_u32_e32 v1, s10, v1
	v_add_co_u32 v6, vcc_lo, s29, v6
	s_delay_alu instid0(VALU_DEP_4) | instskip(NEXT) | instid1(VALU_DEP_4)
	v_add_co_ci_u32_e32 v7, vcc_lo, s33, v7, vcc_lo
	v_cmp_le_u32_e32 vcc_lo, s28, v4
	global_load_b32 v6, v[6:7], off
	s_or_b32 s5, vcc_lo, s5
	s_waitcnt vmcnt(0)
	v_cmp_u_f32_e64 s3, v6, v6
	s_delay_alu instid0(VALU_DEP_1)
	v_add_co_ci_u32_e64 v3, s3, 0, v3, s3
	s_and_not1_b32 exec_lo, exec_lo, s5
	s_cbranch_execnz .LBB120_3
; %bb.4:
	s_or_b32 exec_lo, exec_lo, s5
.LBB120_5:
	s_delay_alu instid0(SALU_CYCLE_1) | instskip(SKIP_4) | instid1(VALU_DEP_1)
	s_or_b32 exec_lo, exec_lo, s4
	s_clause 0x1
	s_load_b32 s40, s[0:1], 0x144
	s_load_b32 s41, s[0:1], 0x6c
	v_cmp_eq_u32_e64 s0, 0, v0
	s_and_saveexec_b32 s1, s0
	s_cbranch_execz .LBB120_7
; %bb.6:
	v_mov_b32_e32 v1, 0
	s_delay_alu instid0(VALU_DEP_1)
	v_mov_b32_e32 v2, v1
	ds_store_b64 v1, v[1:2] offset:4096
.LBB120_7:
	s_or_b32 exec_lo, exec_lo, s1
	s_delay_alu instid0(SALU_CYCLE_1)
	s_mov_b32 s1, exec_lo
	s_waitcnt lgkmcnt(0)
	s_barrier
	buffer_gl0_inv
	v_cmpx_ne_u32_e32 0, v3
	s_cbranch_execz .LBB120_12
; %bb.8:
	v_mov_b32_e32 v1, 0
	s_mov_b32 s3, exec_lo
	s_mov_b64 s[4:5], 0
.LBB120_9:                              ; =>This Inner Loop Header: Depth=1
	s_ctz_i32_b32 s9, s3
	s_delay_alu instid0(SALU_CYCLE_1) | instskip(SKIP_1) | instid1(VALU_DEP_2)
	v_readlane_b32 s10, v3, s9
	v_readlane_b32 s11, v1, s9
	s_add_u32 s4, s4, s10
	s_delay_alu instid0(VALU_DEP_1) | instskip(SKIP_1) | instid1(SALU_CYCLE_1)
	s_addc_u32 s5, s5, s11
	s_lshl_b32 s9, 1, s9
	s_and_not1_b32 s3, s3, s9
	s_delay_alu instid0(SALU_CYCLE_1)
	s_cmp_lg_u32 s3, 0
	s_cbranch_scc1 .LBB120_9
; %bb.10:
	v_mbcnt_lo_u32_b32 v1, exec_lo, 0
	s_mov_b32 s3, exec_lo
	s_delay_alu instid0(VALU_DEP_1)
	v_cmpx_eq_u32_e32 0, v1
	s_xor_b32 s3, exec_lo, s3
	s_cbranch_execz .LBB120_12
; %bb.11:
	v_mov_b32_e32 v1, s4
	v_dual_mov_b32 v3, 0 :: v_dual_mov_b32 v2, s5
	ds_add_u64 v3, v[1:2] offset:4096
.LBB120_12:
	s_or_b32 exec_lo, exec_lo, s1
	v_mov_b32_e32 v1, 0
	s_waitcnt lgkmcnt(0)
	s_barrier
	buffer_gl0_inv
	s_bitcmp1_b32 s31, 0
	ds_load_b64 v[1:2], v1 offset:4096
	s_cselect_b32 s1, -1, 0
	s_mov_b32 s69, s28
	s_waitcnt lgkmcnt(0)
	v_cmp_gt_i64_e32 vcc_lo, 1, v[1:2]
	s_or_b32 s1, s1, vcc_lo
	s_delay_alu instid0(SALU_CYCLE_1)
	s_and_not1_b32 vcc_lo, exec_lo, s1
	s_cbranch_vccnz .LBB120_14
; %bb.13:
	v_not_b32_e32 v1, v1
	v_not_b32_e32 v2, v2
	s_delay_alu instid0(VALU_DEP_2) | instskip(NEXT) | instid1(VALU_DEP_2)
	v_add_co_u32 v1, vcc_lo, v1, s28
	v_add_co_ci_u32_e32 v2, vcc_lo, 0, v2, vcc_lo
	s_delay_alu instid0(VALU_DEP_1) | instskip(NEXT) | instid1(VALU_DEP_1)
	v_lshrrev_b32_e32 v3, 31, v2
	v_add_co_u32 v1, vcc_lo, v1, v3
	v_add_co_ci_u32_e32 v2, vcc_lo, 0, v2, vcc_lo
	s_delay_alu instid0(VALU_DEP_1) | instskip(NEXT) | instid1(VALU_DEP_1)
	v_alignbit_b32 v1, v2, v1, 1
	v_readfirstlane_b32 s1, v1
	s_delay_alu instid0(VALU_DEP_1)
	s_add_i32 s69, s1, 1
.LBB120_14:
	s_and_saveexec_b32 s1, s0
	s_cbranch_execz .LBB120_16
; %bb.15:
	v_dual_mov_b32 v1, 0 :: v_dual_mov_b32 v2, s28
	ds_store_b32 v1, v1 offset:4112
	ds_store_b64 v1, v[1:2] offset:4104
.LBB120_16:
	s_or_b32 exec_lo, exec_lo, s1
	s_waitcnt lgkmcnt(0)
	s_barrier
	buffer_gl0_inv
	s_load_b32 s5, s[6:7], 0xc
	v_mbcnt_lo_u32_b32 v16, -1, 0
	v_cmp_gt_u32_e32 vcc_lo, 32, v0
	v_lshrrev_b32_e32 v1, 3, v0
	v_mov_b32_e32 v7, 0
	v_lshlrev_b32_e32 v17, 2, v0
	v_cmp_gt_i32_e64 s4, 4, v16
	v_cmp_gt_u32_e64 s1, 2, v0
	s_delay_alu instid0(VALU_DEP_4) | instskip(NEXT) | instid1(VALU_DEP_4)
	v_dual_mov_b32 v6, v7 :: v_dual_and_b32 v19, 0x7c, v1
	v_add_nc_u32_e32 v18, 0xc00, v17
	s_delay_alu instid0(VALU_DEP_4)
	s_and_b32 s45, vcc_lo, s4
	v_or_b32_e32 v4, 2, v17
	v_or_b32_e32 v13, 3, v17
	v_cmp_eq_u32_e64 s3, 0, v16
	v_lshlrev_b32_e32 v26, 4, v0
	v_lshl_or_b32 v27, v16, 2, 0xc00
	v_mul_lo_u32 v20, s30, v4
	v_mul_lo_u32 v23, s30, v13
	v_mov_b32_e32 v13, 1.0
	s_waitcnt lgkmcnt(0)
	s_and_b32 s31, s5, 0xffff
	s_bfe_u32 s4, s5, 0xb0005
	s_lshl_b32 s43, s31, 2
	s_add_i32 s46, s31, -1
	v_cvt_f32_u32_e32 v2, s43
	s_add_i32 s9, s46, s28
	s_cmpk_gt_u32 s28, 0x300
	v_mad_u64_u32 v[8:9], null, s30, v17, s[30:31]
	s_delay_alu instid0(VALU_DEP_2)
	v_rcp_iflag_f32_e32 v2, v2
	s_cselect_b32 s47, -1, 0
	s_cmp_gt_u32 s31, 31
	v_mov_b32_e32 v15, 0
	s_cselect_b32 s48, -1, 0
	s_cmp_lt_u32 s13, s8
	s_mul_i32 s44, s30, s31
	s_cselect_b32 s5, 12, 18
	s_mov_b32 s42, 0
	s_add_u32 s38, s6, s5
	s_waitcnt_depctr 0xfff
	v_mul_f32_e32 v1, 0x4f7ffffe, v2
	s_addc_u32 s39, s7, 0
	s_add_i32 s5, s4, -1
	s_bfe_u32 s49, s31, 0x30005
	v_cvt_f32_u32_e32 v2, s31
	v_cvt_u32_f32_e32 v1, v1
	s_cmp_gt_u32 s5, 6
	s_mov_b32 s62, 30
	s_cselect_b32 s50, -1, 0
	s_and_b32 s51, s4, 0x7f8
	v_readfirstlane_b32 s4, v1
	s_cmp_lg_u32 s49, 0
	v_rcp_iflag_f32_e32 v3, v2
	s_cselect_b32 s52, -1, 0
	s_sub_i32 s5, 0, s43
	v_lshlrev_b64 v[1:2], v16, -1
	s_mul_i32 s5, s5, s4
	v_lshlrev_b32_e32 v24, 2, v5
	s_mul_hi_u32 s5, s4, s5
	s_mov_b32 s65, 0
	s_add_i32 s53, s4, s5
	v_not_b32_e32 v21, v1
	s_mul_hi_u32 s4, s28, s53
	s_waitcnt_depctr 0xfff
	v_mul_f32_e32 v9, 0x4f7ffffe, v3
	s_mul_i32 s4, s4, s43
	v_lshlrev_b64 v[2:3], 2, v[5:6]
	s_sub_i32 s4, s28, s4
	v_add3_u32 v1, s31, s28, v0
	v_cvt_u32_f32_e32 v6, v9
	s_sub_i32 s5, s4, s43
	s_cmp_ge_u32 s4, s43
	v_add_co_u32 v9, vcc_lo, s29, v2
	s_cselect_b32 s4, s5, s4
	v_readfirstlane_b32 s5, v6
	s_sub_i32 s6, s4, s43
	s_cmp_ge_u32 s4, s43
	v_add_co_ci_u32_e32 v10, vcc_lo, s33, v3, vcc_lo
	s_cselect_b32 s4, s6, s4
	s_sub_i32 s6, 0, s31
	s_sub_i32 s54, s28, s4
	s_mul_i32 s6, s6, s5
	v_add_nc_u32_e32 v22, s54, v0
	s_mul_hi_u32 s6, s5, s6
	v_subrev_nc_u32_e32 v3, s4, v1
	s_add_i32 s55, s5, s6
	v_cmp_gt_u32_e64 s4, s54, v17
	s_mul_hi_u32 s5, s9, s55
	v_mul_lo_u32 v6, v22, s30
	s_mul_i32 s5, s5, s31
	v_mul_lo_u32 v25, s30, v3
	s_sub_i32 s5, s9, s5
	s_mov_b32 s67, 0
	s_sub_i32 s6, s5, s31
	s_cmp_ge_u32 s5, s31
	s_mov_b32 s68, 0
	s_cselect_b32 s6, s6, s5
	v_lshlrev_b64 v[1:2], 2, v[6:7]
	s_sub_i32 s7, s6, s31
	s_cmp_ge_u32 s6, s31
	v_cmp_gt_u32_e64 s5, s28, v22
	s_cselect_b32 s6, s7, s6
	s_lshl_b32 s56, s44, 2
	s_sub_i32 s57, s9, s6
	v_add_co_u32 v11, vcc_lo, s29, v1
	v_add_co_ci_u32_e32 v12, vcc_lo, s33, v2, vcc_lo
	v_cmp_gt_u32_e64 s6, s57, v0
	s_lshl_b32 s58, s31, 4
                                        ; implicit-def: $sgpr59
                                        ; implicit-def: $sgpr61
                                        ; implicit-def: $sgpr60
                                        ; implicit-def: $sgpr64
                                        ; implicit-def: $sgpr66
                                        ; implicit-def: $sgpr63
	s_branch .LBB120_21
.LBB120_17:                             ;   in Loop: Header=BB120_21 Depth=1
	s_xor_b32 s65, s65, 1
	s_add_i32 s11, s62, -2
	s_cmp_eq_u32 s62, 0
	s_mov_b32 s7, 0
	s_cselect_b32 s9, -1, 0
	s_mov_b32 s62, s11
.LBB120_18:                             ;   in Loop: Header=BB120_21 Depth=1
	s_and_not1_b32 s11, s13, exec_lo
	s_and_b32 s7, s7, exec_lo
	s_and_not1_b32 s15, s15, exec_lo
	s_or_b32 s13, s11, s7
	s_and_not1_b32 s12, s12, exec_lo
	s_or_not1_b32 s11, s9, exec_lo
	s_mov_b32 s69, s20
.LBB120_19:                             ;   in Loop: Header=BB120_21 Depth=1
	s_or_b32 exec_lo, exec_lo, s8
	s_delay_alu instid0(SALU_CYCLE_1)
	s_and_not1_b32 s7, s63, exec_lo
	s_and_b32 s8, s13, exec_lo
	s_and_not1_b32 s9, s64, exec_lo
	s_or_b32 s63, s7, s8
	s_and_not1_b32 s7, s66, exec_lo
	s_and_b32 s8, s15, exec_lo
	s_and_b32 s12, s12, exec_lo
	s_or_b32 s66, s7, s8
	s_or_b32 s64, s9, s12
	s_or_not1_b32 s12, s11, exec_lo
.LBB120_20:                             ;   in Loop: Header=BB120_21 Depth=1
	s_or_b32 exec_lo, exec_lo, s10
	s_delay_alu instid0(SALU_CYCLE_1)
	s_and_b32 s7, exec_lo, s12
	v_mov_b32_e32 v1, s67
	s_or_b32 s42, s7, s42
	s_and_not1_b32 s7, s60, exec_lo
	s_and_b32 s8, s63, exec_lo
	s_and_not1_b32 s9, s59, exec_lo
	s_or_b32 s60, s7, s8
	s_and_not1_b32 s7, s61, exec_lo
	s_and_b32 s8, s66, exec_lo
	s_and_b32 s10, s64, exec_lo
	s_or_b32 s61, s7, s8
	s_or_b32 s59, s9, s10
	s_and_not1_b32 exec_lo, exec_lo, s42
	s_cbranch_execz .LBB120_254
.LBB120_21:                             ; =>This Loop Header: Depth=1
                                        ;     Child Loop BB120_29 Depth 2
                                        ;     Child Loop BB120_44 Depth 2
	;; [unrolled: 1-line block ×16, first 2 shown]
	ds_load_b64 v[1:2], v7 offset:4104
	s_waitcnt lgkmcnt(0)
	v_readfirstlane_b32 s70, v1
	s_delay_alu instid0(VALU_DEP_1)
	s_cmp_lg_u32 s70, 0
	s_cbranch_scc1 .LBB120_51
; %bb.22:                               ;   in Loop: Header=BB120_21 Depth=1
	s_and_b32 vcc_lo, exec_lo, s47
	s_cbranch_vccz .LBB120_37
; %bb.23:                               ;   in Loop: Header=BB120_21 Depth=1
	v_cmp_gt_u32_e32 vcc_lo, 0x301, v2
	s_mov_b32 s70, 0
	s_mov_b32 s7, 0
	s_cbranch_vccz .LBB120_38
; %bb.24:                               ;   in Loop: Header=BB120_21 Depth=1
	v_mov_b32_e32 v1, 0
	s_and_saveexec_b32 s7, s2
	s_cbranch_execz .LBB120_26
; %bb.25:                               ;   in Loop: Header=BB120_21 Depth=1
	global_load_b32 v1, v[9:10], off
.LBB120_26:                             ;   in Loop: Header=BB120_21 Depth=1
	s_or_b32 exec_lo, exec_lo, s7
	s_and_saveexec_b32 s9, s2
	s_cbranch_execz .LBB120_139
; %bb.27:                               ;   in Loop: Header=BB120_21 Depth=1
	global_load_u16 v2, v7, s[38:39]
	v_mov_b32_e32 v4, v0
	s_mov_b32 s10, 0
	s_waitcnt vmcnt(0)
	v_add_nc_u32_e32 v3, v0, v2
	s_delay_alu instid0(VALU_DEP_1)
	v_mul_lo_u32 v6, s30, v3
	v_mul_lo_u32 v3, s30, v2
	s_branch .LBB120_29
.LBB120_28:                             ;   in Loop: Header=BB120_29 Depth=2
	s_or_b32 exec_lo, exec_lo, s8
	v_add_nc_u32_e32 v6, v6, v3
	s_waitcnt vmcnt(0)
	v_mov_b32_e32 v1, v14
	s_and_not1_b32 exec_lo, exec_lo, s10
	s_cbranch_execz .LBB120_139
.LBB120_29:                             ;   Parent Loop BB120_21 Depth=1
                                        ; =>  This Inner Loop Header: Depth=2
	v_add_nc_u32_e32 v4, v4, v2
	s_waitcnt lgkmcnt(0)
	v_mov_b32_e32 v28, 0
	v_mov_b32_e32 v14, 0
	s_mov_b32 s8, exec_lo
	v_cmp_le_u32_e32 vcc_lo, s28, v4
	v_cmpx_gt_u32_e64 s28, v4
	s_cbranch_execz .LBB120_31
; %bb.30:                               ;   in Loop: Header=BB120_29 Depth=2
	v_lshlrev_b64 v[29:30], 2, v[6:7]
	s_delay_alu instid0(VALU_DEP_1) | instskip(NEXT) | instid1(VALU_DEP_1)
	v_add_co_u32 v29, s7, s29, v29
	v_add_co_ci_u32_e64 v30, s7, s33, v30, s7
	global_load_b32 v14, v[29:30], off
.LBB120_31:                             ;   in Loop: Header=BB120_29 Depth=2
	s_or_b32 exec_lo, exec_lo, s8
	v_cmp_lt_i32_e64 s7, -1, v1
	s_delay_alu instid0(VALU_DEP_1) | instskip(SKIP_1) | instid1(VALU_DEP_2)
	v_cndmask_b32_e64 v29, -1, 0x80000000, s7
	v_cmp_o_f32_e64 s7, v1, v1
	v_xor_b32_e32 v29, v29, v1
	s_delay_alu instid0(VALU_DEP_1) | instskip(NEXT) | instid1(VALU_DEP_1)
	v_cndmask_b32_e64 v29, -1, v29, s7
	v_and_b32_e32 v29, s68, v29
	s_delay_alu instid0(VALU_DEP_1) | instskip(NEXT) | instid1(VALU_DEP_1)
	v_cmp_eq_u32_e64 s7, s67, v29
	s_cmp_lg_u32 s7, 0
	s_cselect_b32 s8, -1, 0
	s_delay_alu instid0(SALU_CYCLE_1) | instskip(NEXT) | instid1(SALU_CYCLE_1)
	s_and_b32 s8, s3, s8
	s_and_saveexec_b32 s11, s8
	s_cbranch_execz .LBB120_35
; %bb.32:                               ;   in Loop: Header=BB120_29 Depth=2
	s_mov_b32 s14, exec_lo
	s_bcnt1_i32_b32 s12, s7
	v_mbcnt_lo_u32_b32 v28, s14, 0
	s_mov_b32 s13, exec_lo
                                        ; implicit-def: $vgpr29
	s_delay_alu instid0(VALU_DEP_1)
	v_cmpx_eq_u32_e32 0, v28
	s_cbranch_execz .LBB120_34
; %bb.33:                               ;   in Loop: Header=BB120_29 Depth=2
	s_bcnt1_i32_b32 s8, s14
	s_delay_alu instid0(SALU_CYCLE_1) | instskip(NEXT) | instid1(SALU_CYCLE_1)
	s_mul_i32 s8, s12, s8
	v_mov_b32_e32 v29, s8
	ds_add_rtn_u32 v29, v7, v29 offset:4112
.LBB120_34:                             ;   in Loop: Header=BB120_29 Depth=2
	s_or_b32 exec_lo, exec_lo, s13
	s_waitcnt lgkmcnt(0)
	v_readfirstlane_b32 s8, v29
	s_delay_alu instid0(VALU_DEP_1)
	v_mad_u32_u24 v28, s12, v28, s8
.LBB120_35:                             ;   in Loop: Header=BB120_29 Depth=2
	s_or_b32 exec_lo, exec_lo, s11
	ds_bpermute_b32 v28, v7, v28
	s_and_b32 s8, exec_lo, vcc_lo
	s_delay_alu instid0(SALU_CYCLE_1)
	s_or_b32 s10, s8, s10
	s_and_saveexec_b32 s8, s7
	s_cbranch_execz .LBB120_28
; %bb.36:                               ;   in Loop: Header=BB120_29 Depth=2
	v_and_b32_e32 v29, s7, v21
	s_delay_alu instid0(VALU_DEP_1) | instskip(NEXT) | instid1(VALU_DEP_1)
	v_bcnt_u32_b32 v29, v29, 0
	v_lshlrev_b32_e32 v29, 2, v29
	s_waitcnt lgkmcnt(0)
	s_delay_alu instid0(VALU_DEP_1)
	v_lshl_add_u32 v28, v28, 2, v29
	ds_store_b32 v28, v1
	s_branch .LBB120_28
.LBB120_37:                             ;   in Loop: Header=BB120_21 Depth=1
	s_mov_b32 s70, -1
	s_mov_b32 s7, 0
.LBB120_38:                             ;   in Loop: Header=BB120_21 Depth=1
	s_and_b32 vcc_lo, exec_lo, s70
	s_cbranch_vccz .LBB120_49
.LBB120_39:                             ;   in Loop: Header=BB120_21 Depth=1
	v_mov_b32_e32 v1, 0
	s_and_saveexec_b32 s7, s2
	s_cbranch_execz .LBB120_41
; %bb.40:                               ;   in Loop: Header=BB120_21 Depth=1
	global_load_b32 v1, v[9:10], off
.LBB120_41:                             ;   in Loop: Header=BB120_21 Depth=1
	s_or_b32 exec_lo, exec_lo, s7
	s_and_saveexec_b32 s8, s2
	s_cbranch_execz .LBB120_46
; %bb.42:                               ;   in Loop: Header=BB120_21 Depth=1
	global_load_u16 v2, v7, s[38:39]
	v_mov_b32_e32 v28, v0
	s_mov_b32 s9, 0
	s_waitcnt vmcnt(0)
	v_dual_mov_b32 v14, v17 :: v_dual_add_nc_u32 v3, v0, v2
	v_lshlrev_b32_e32 v4, 2, v2
	s_delay_alu instid0(VALU_DEP_2)
	v_mul_lo_u32 v6, s30, v3
	v_mul_lo_u32 v3, s30, v2
	s_set_inst_prefetch_distance 0x1
	s_branch .LBB120_44
	.p2align	6
.LBB120_43:                             ;   in Loop: Header=BB120_44 Depth=2
	s_or_b32 exec_lo, exec_lo, s10
	ds_store_b32 v14, v1
	s_waitcnt vmcnt(0)
	v_dual_mov_b32 v1, v29 :: v_dual_add_nc_u32 v14, v14, v4
	v_add_nc_u32_e32 v6, v6, v3
	s_and_b32 s7, exec_lo, vcc_lo
	s_delay_alu instid0(SALU_CYCLE_1) | instskip(NEXT) | instid1(SALU_CYCLE_1)
	s_or_b32 s9, s7, s9
	s_and_not1_b32 exec_lo, exec_lo, s9
	s_cbranch_execz .LBB120_46
.LBB120_44:                             ;   Parent Loop BB120_21 Depth=1
                                        ; =>  This Inner Loop Header: Depth=2
	v_dual_mov_b32 v29, 0 :: v_dual_add_nc_u32 v28, v28, v2
	s_mov_b32 s10, exec_lo
	s_delay_alu instid0(VALU_DEP_1)
	v_cmp_le_u32_e32 vcc_lo, s28, v28
	v_cmpx_gt_u32_e64 s28, v28
	s_cbranch_execz .LBB120_43
; %bb.45:                               ;   in Loop: Header=BB120_44 Depth=2
	v_lshlrev_b64 v[29:30], 2, v[6:7]
	s_delay_alu instid0(VALU_DEP_1) | instskip(NEXT) | instid1(VALU_DEP_1)
	v_add_co_u32 v29, s7, s29, v29
	v_add_co_ci_u32_e64 v30, s7, s33, v30, s7
	global_load_b32 v29, v[29:30], off
	s_branch .LBB120_43
.LBB120_46:                             ;   in Loop: Header=BB120_21 Depth=1
	s_set_inst_prefetch_distance 0x2
	s_or_b32 exec_lo, exec_lo, s8
	s_waitcnt vmcnt(0) lgkmcnt(0)
	s_barrier
	buffer_gl0_inv
	s_and_saveexec_b32 s7, s0
	s_cbranch_execz .LBB120_48
; %bb.47:                               ;   in Loop: Header=BB120_21 Depth=1
	v_mov_b32_e32 v1, s28
	ds_store_b32 v7, v1 offset:4104
.LBB120_48:                             ;   in Loop: Header=BB120_21 Depth=1
	s_or_b32 exec_lo, exec_lo, s7
	s_mov_b32 s7, -1
	s_waitcnt lgkmcnt(0)
	s_barrier
                                        ; implicit-def: $sgpr70
.LBB120_49:                             ;   in Loop: Header=BB120_21 Depth=1
	s_and_b32 vcc_lo, exec_lo, s7
	s_cbranch_vccz .LBB120_51
; %bb.50:                               ;   in Loop: Header=BB120_21 Depth=1
	buffer_gl0_inv
	ds_load_b32 v1, v7 offset:4104
	s_waitcnt lgkmcnt(0)
	v_readfirstlane_b32 s70, v1
.LBB120_51:                             ;   in Loop: Header=BB120_21 Depth=1
	s_delay_alu instid0(VALU_DEP_1)
	s_cmp_lt_i32 s70, 1
	s_cbranch_scc0 .LBB120_55
; %bb.52:                               ;   in Loop: Header=BB120_21 Depth=1
	v_dual_mov_b32 v1, 0 :: v_dual_mov_b32 v2, 0
	v_dual_mov_b32 v3, 0 :: v_dual_mov_b32 v4, 0
	s_mov_b32 s19, 0
	s_and_saveexec_b32 s18, s4
	s_cbranch_execnz .LBB120_56
; %bb.53:                               ;   in Loop: Header=BB120_21 Depth=1
	s_or_b32 exec_lo, exec_lo, s18
	v_mov_b32_e32 v28, 0
	s_and_saveexec_b32 s7, s5
	s_cbranch_execnz .LBB120_59
.LBB120_54:                             ;   in Loop: Header=BB120_21 Depth=1
	s_or_b32 exec_lo, exec_lo, s7
	s_and_saveexec_b32 s11, s5
	s_cbranch_execnz .LBB120_60
	s_branch .LBB120_65
.LBB120_55:                             ;   in Loop: Header=BB120_21 Depth=1
                                        ; implicit-def: $vgpr4
	s_cbranch_execnz .LBB120_66
	s_branch .LBB120_75
.LBB120_56:                             ;   in Loop: Header=BB120_21 Depth=1
	v_mov_b32_e32 v14, v17
	s_and_b32 s20, s62, 0xfe
	s_mov_b32 s21, 0
	s_mov_b32 s22, 0
	;; [unrolled: 1-line block ×5, first 2 shown]
.LBB120_57:                             ;   Parent Loop BB120_21 Depth=1
                                        ; =>  This Inner Loop Header: Depth=2
	v_add_nc_u32_e32 v6, s21, v24
	v_add_nc_u32_e32 v14, s43, v14
	s_delay_alu instid0(VALU_DEP_2) | instskip(SKIP_1) | instid1(VALU_DEP_1)
	v_lshlrev_b64 v[1:2], 2, v[6:7]
	v_add_nc_u32_e32 v6, s21, v8
	v_lshlrev_b64 v[3:4], 2, v[6:7]
	v_add_nc_u32_e32 v6, s21, v20
	s_delay_alu instid0(VALU_DEP_4) | instskip(SKIP_1) | instid1(VALU_DEP_3)
	v_add_co_u32 v1, vcc_lo, s29, v1
	v_add_co_ci_u32_e32 v2, vcc_lo, s33, v2, vcc_lo
	v_lshlrev_b64 v[28:29], 2, v[6:7]
	v_add_nc_u32_e32 v6, s21, v23
	s_add_i32 s21, s21, s56
	global_load_b32 v30, v[1:2], off
	v_add_co_u32 v1, vcc_lo, s29, v3
	v_add_co_ci_u32_e32 v2, vcc_lo, s33, v4, vcc_lo
	v_add_co_u32 v28, vcc_lo, s29, v28
	v_add_co_ci_u32_e32 v29, vcc_lo, s33, v29, vcc_lo
	v_lshlrev_b64 v[3:4], 2, v[6:7]
	s_clause 0x1
	global_load_b32 v6, v[1:2], off
	global_load_b32 v28, v[28:29], off
	v_add_co_u32 v1, vcc_lo, s29, v3
	v_add_co_ci_u32_e32 v2, vcc_lo, s33, v4, vcc_lo
	v_cmp_le_u32_e32 vcc_lo, s54, v14
	global_load_b32 v1, v[1:2], off
	s_waitcnt vmcnt(3)
	v_cmp_lt_i32_e64 s7, -1, v30
	s_delay_alu instid0(VALU_DEP_1) | instskip(SKIP_2) | instid1(VALU_DEP_2)
	v_cndmask_b32_e64 v2, -1, 0x80000000, s7
	s_waitcnt vmcnt(2)
	v_cmp_lt_i32_e64 s7, -1, v6
	v_xor_b32_e32 v2, v2, v30
	s_waitcnt vmcnt(1)
	v_cmp_lt_i32_e64 s8, -1, v28
	s_delay_alu instid0(VALU_DEP_3) | instskip(SKIP_1) | instid1(VALU_DEP_3)
	v_cndmask_b32_e64 v3, -1, 0x80000000, s7
	v_cmp_o_f32_e64 s7, v30, v30
	v_cndmask_b32_e64 v4, -1, 0x80000000, s8
	s_delay_alu instid0(VALU_DEP_3) | instskip(NEXT) | instid1(VALU_DEP_3)
	v_xor_b32_e32 v3, v3, v6
	v_cndmask_b32_e64 v2, -1, v2, s7
	v_cmp_o_f32_e64 s7, v6, v6
	s_delay_alu instid0(VALU_DEP_4)
	v_xor_b32_e32 v4, v4, v28
	s_waitcnt vmcnt(0)
	v_cmp_o_f32_e64 s12, v1, v1
	v_and_b32_e32 v29, s68, v2
	v_cndmask_b32_e64 v3, -1, v3, s7
	v_cmp_lt_i32_e64 s7, -1, v1
	v_bfe_u32 v2, v2, s20, 2
	s_delay_alu instid0(VALU_DEP_2) | instskip(SKIP_1) | instid1(VALU_DEP_3)
	v_cndmask_b32_e64 v6, -1, 0x80000000, s7
	v_cmp_o_f32_e64 s7, v28, v28
	v_cmp_eq_u32_e64 s8, 0, v2
	v_and_b32_e32 v28, s68, v3
	v_bfe_u32 v3, v3, s20, 2
	v_xor_b32_e32 v6, v6, v1
	v_cndmask_b32_e64 v4, -1, v4, s7
	v_cmp_eq_u32_e64 s7, s67, v29
	v_cmp_eq_u32_e64 s9, 1, v2
	;; [unrolled: 1-line block ×4, first 2 shown]
	v_cndmask_b32_e64 v1, -1, v6, s12
	s_and_b32 s8, s7, s8
	v_cmp_eq_u32_e64 s12, s67, v28
	v_cmp_eq_u32_e64 s13, 0, v3
	v_cndmask_b32_e64 v6, 0, 1, s8
	v_cmp_eq_u32_e64 s8, 1, v3
	s_and_b32 s9, s7, s9
	v_and_b32_e32 v2, s68, v4
	v_bfe_u32 v4, v4, s20, 2
	v_cndmask_b32_e64 v28, 0, 1, s9
	v_cmp_eq_u32_e64 s9, 2, v3
	s_and_b32 s10, s7, s10
	s_and_b32 s7, s7, s11
	v_cndmask_b32_e64 v29, 0, 1, s10
	s_and_b32 s13, s12, s13
	s_and_b32 s8, s12, s8
	v_cmp_eq_u32_e64 s10, 3, v3
	v_cndmask_b32_e64 v3, 0, 1, s7
	v_cmp_eq_u32_e64 s7, s67, v2
	v_cmp_eq_u32_e64 s11, 0, v4
	v_cmp_ne_u32_e64 s14, 0, v6
	v_cndmask_b32_e64 v6, 0, 1, s13
	v_cmp_eq_u32_e64 s13, 1, v4
	v_cmp_ne_u32_e64 s15, 0, v28
	v_cndmask_b32_e64 v28, 0, 1, s8
	v_cmp_eq_u32_e64 s8, 2, v4
	s_and_b32 s9, s12, s9
	v_and_b32_e32 v2, s68, v1
	v_bfe_u32 v1, v1, s20, 2
	v_cmp_ne_u32_e64 s16, 0, v29
	v_cndmask_b32_e64 v29, 0, 1, s9
	v_cmp_eq_u32_e64 s9, 3, v4
	s_and_b32 s10, s12, s10
	s_and_b32 s11, s7, s11
	;; [unrolled: 1-line block ×4, first 2 shown]
	v_cmp_ne_u32_e64 s17, 0, v3
	v_cndmask_b32_e64 v3, 0, 1, s10
	v_cmp_eq_u32_e64 s10, s67, v2
	v_cmp_eq_u32_e64 s12, 0, v1
	s_bcnt1_i32_b32 s26, s14
	v_cmp_ne_u32_e64 s14, 0, v6
	v_cndmask_b32_e64 v2, 0, 1, s11
	v_cmp_eq_u32_e64 s11, 1, v1
	v_cndmask_b32_e64 v4, 0, 1, s13
	v_cmp_eq_u32_e64 s13, 2, v1
	;; [unrolled: 2-line block ×3, first 2 shown]
	s_and_b32 s7, s7, s9
	s_bcnt1_i32_b32 s73, s17
	v_cndmask_b32_e64 v1, 0, 1, s7
	v_cmp_ne_u32_e64 s17, 0, v3
	s_and_b32 s9, s10, s12
	s_and_b32 s11, s10, s11
	;; [unrolled: 1-line block ×4, first 2 shown]
	v_cmp_ne_u32_e64 s7, 0, v2
	v_cndmask_b32_e64 v2, 0, 1, s9
	v_cmp_ne_u32_e64 s9, 0, v4
	v_cndmask_b32_e64 v3, 0, 1, s11
	v_cndmask_b32_e64 v4, 0, 1, s12
	v_cmp_ne_u32_e64 s12, 0, v1
	v_cndmask_b32_e64 v1, 0, 1, s8
	s_bcnt1_i32_b32 s71, s15
	v_cmp_ne_u32_e64 s15, 0, v28
	s_bcnt1_i32_b32 s72, s16
	v_cmp_ne_u32_e64 s16, 0, v29
	s_add_i32 s22, s73, s22
	v_cmp_ne_u32_e64 s11, 0, v6
	s_bcnt1_i32_b32 s13, s17
	s_bcnt1_i32_b32 s17, s7
	s_add_i32 s13, s22, s13
	v_cmp_ne_u32_e64 s7, 0, v2
	s_bcnt1_i32_b32 s22, s9
	v_cmp_ne_u32_e64 s8, 0, v3
	v_cmp_ne_u32_e64 s9, 0, v4
	;; [unrolled: 1-line block ×3, first 2 shown]
	s_add_i32 s25, s26, s25
	s_add_i32 s24, s71, s24
	;; [unrolled: 1-line block ×3, first 2 shown]
	s_bcnt1_i32_b32 s14, s14
	s_bcnt1_i32_b32 s15, s15
	;; [unrolled: 1-line block ×3, first 2 shown]
	s_add_i32 s14, s25, s14
	s_add_i32 s15, s24, s15
	;; [unrolled: 1-line block ×3, first 2 shown]
	s_bcnt1_i32_b32 s11, s11
	s_bcnt1_i32_b32 s12, s12
	s_add_i32 s14, s14, s17
	s_add_i32 s15, s15, s22
	;; [unrolled: 1-line block ×4, first 2 shown]
	s_bcnt1_i32_b32 s7, s7
	s_bcnt1_i32_b32 s8, s8
	;; [unrolled: 1-line block ×4, first 2 shown]
	s_add_i32 s25, s14, s7
	s_add_i32 s24, s15, s8
	s_add_i32 s23, s11, s9
	v_mov_b32_e32 v2, s24
	s_add_i32 s22, s12, s10
	v_mov_b32_e32 v1, s25
	v_dual_mov_b32 v3, s23 :: v_dual_mov_b32 v4, s22
	s_or_b32 s19, vcc_lo, s19
	s_delay_alu instid0(SALU_CYCLE_1)
	s_and_not1_b32 exec_lo, exec_lo, s19
	s_cbranch_execnz .LBB120_57
; %bb.58:                               ;   in Loop: Header=BB120_21 Depth=1
	s_or_b32 exec_lo, exec_lo, s19
	s_delay_alu instid0(SALU_CYCLE_1)
	s_or_b32 exec_lo, exec_lo, s18
	v_mov_b32_e32 v28, 0
	s_and_saveexec_b32 s7, s5
	s_cbranch_execz .LBB120_54
.LBB120_59:                             ;   in Loop: Header=BB120_21 Depth=1
	global_load_b32 v28, v[11:12], off
	s_or_b32 exec_lo, exec_lo, s7
	s_and_saveexec_b32 s11, s5
	s_cbranch_execz .LBB120_65
.LBB120_60:                             ;   in Loop: Header=BB120_21 Depth=1
	v_mov_b32_e32 v6, v25
	v_mov_b32_e32 v14, v22
	s_and_b32 s13, s62, 0xfe
	s_mov_b32 s12, 0
	s_branch .LBB120_62
.LBB120_61:                             ;   in Loop: Header=BB120_62 Depth=2
	s_or_b32 exec_lo, exec_lo, s8
	s_waitcnt vmcnt(0)
	v_cmp_lt_i32_e64 s7, -1, v28
	s_and_b32 s8, exec_lo, vcc_lo
	v_add_nc_u32_e32 v6, s44, v6
	s_or_b32 s12, s8, s12
	s_delay_alu instid0(VALU_DEP_2) | instskip(SKIP_1) | instid1(VALU_DEP_2)
	v_cndmask_b32_e64 v30, -1, 0x80000000, s7
	v_cmp_o_f32_e64 s7, v28, v28
	v_xor_b32_e32 v30, v30, v28
	s_delay_alu instid0(VALU_DEP_1) | instskip(NEXT) | instid1(VALU_DEP_1)
	v_cndmask_b32_e64 v28, -1, v30, s7
	v_and_b32_e32 v30, s68, v28
	v_bfe_u32 v28, v28, s13, 2
	s_delay_alu instid0(VALU_DEP_2) | instskip(NEXT) | instid1(VALU_DEP_2)
	v_cmp_eq_u32_e32 vcc_lo, s67, v30
	v_cmp_eq_u32_e64 s7, 0, v28
	v_cmp_eq_u32_e64 s8, 1, v28
	;; [unrolled: 1-line block ×4, first 2 shown]
	s_delay_alu instid0(VALU_DEP_4) | instskip(NEXT) | instid1(SALU_CYCLE_1)
	s_and_b32 s7, vcc_lo, s7
	v_cndmask_b32_e64 v28, 0, 1, s7
	s_and_b32 s7, vcc_lo, s8
	s_delay_alu instid0(SALU_CYCLE_1) | instskip(SKIP_1) | instid1(SALU_CYCLE_1)
	v_cndmask_b32_e64 v30, 0, 1, s7
	s_and_b32 s7, vcc_lo, s9
	v_cndmask_b32_e64 v31, 0, 1, s7
	s_and_b32 s7, vcc_lo, s10
	v_cmp_ne_u32_e32 vcc_lo, 0, v28
	v_cndmask_b32_e64 v32, 0, 1, s7
	v_cmp_ne_u32_e64 s7, 0, v30
	v_cmp_ne_u32_e64 s8, 0, v31
	v_mov_b32_e32 v28, v29
	s_bcnt1_i32_b32 s10, vcc_lo
	v_cmp_ne_u32_e64 s9, 0, v32
	s_bcnt1_i32_b32 s7, s7
	s_bcnt1_i32_b32 s8, s8
	v_add_nc_u32_e32 v1, s10, v1
	v_add_nc_u32_e32 v2, s7, v2
	s_bcnt1_i32_b32 s9, s9
	v_add_nc_u32_e32 v3, s8, v3
	v_add_nc_u32_e32 v4, s9, v4
	s_and_not1_b32 exec_lo, exec_lo, s12
	s_cbranch_execz .LBB120_64
.LBB120_62:                             ;   Parent Loop BB120_21 Depth=1
                                        ; =>  This Inner Loop Header: Depth=2
	s_delay_alu instid0(VALU_DEP_1) | instskip(SKIP_1) | instid1(VALU_DEP_1)
	v_dual_mov_b32 v29, 0 :: v_dual_add_nc_u32 v14, s31, v14
	s_mov_b32 s8, exec_lo
	v_cmp_le_u32_e32 vcc_lo, s28, v14
	v_cmpx_gt_u32_e64 s28, v14
	s_cbranch_execz .LBB120_61
; %bb.63:                               ;   in Loop: Header=BB120_62 Depth=2
	v_lshlrev_b64 v[29:30], 2, v[6:7]
	s_delay_alu instid0(VALU_DEP_1) | instskip(NEXT) | instid1(VALU_DEP_1)
	v_add_co_u32 v29, s7, s29, v29
	v_add_co_ci_u32_e64 v30, s7, s33, v30, s7
	global_load_b32 v29, v[29:30], off
	s_branch .LBB120_61
.LBB120_64:                             ;   in Loop: Header=BB120_21 Depth=1
	s_or_b32 exec_lo, exec_lo, s12
.LBB120_65:                             ;   in Loop: Header=BB120_21 Depth=1
	s_delay_alu instid0(SALU_CYCLE_1)
	s_or_b32 exec_lo, exec_lo, s11
	s_branch .LBB120_75
.LBB120_66:                             ;   in Loop: Header=BB120_21 Depth=1
	s_mul_hi_u32 s7, s70, s53
	v_dual_mov_b32 v1, 0 :: v_dual_mov_b32 v2, 0
	s_mul_i32 s7, s7, s43
	v_dual_mov_b32 v3, 0 :: v_dual_mov_b32 v4, 0
	s_sub_i32 s7, s70, s7
	s_mov_b32 s73, 0
	s_sub_i32 s8, s7, s43
	s_cmp_ge_u32 s7, s43
	s_mov_b32 s72, exec_lo
	s_cselect_b32 s7, s8, s7
	s_delay_alu instid0(SALU_CYCLE_1) | instskip(SKIP_2) | instid1(SALU_CYCLE_1)
	s_sub_i32 s8, s7, s43
	s_cmp_ge_u32 s7, s43
	s_cselect_b32 s7, s8, s7
	s_sub_i32 s71, s70, s7
	s_delay_alu instid0(SALU_CYCLE_1)
	v_cmpx_gt_u32_e64 s71, v17
	s_cbranch_execz .LBB120_70
; %bb.67:                               ;   in Loop: Header=BB120_21 Depth=1
	v_mov_b32_e32 v6, v26
	v_mov_b32_e32 v14, v17
	s_and_b32 s74, s62, 0xfe
	s_mov_b32 s75, 0
	s_mov_b32 s76, 0
	;; [unrolled: 1-line block ×4, first 2 shown]
.LBB120_68:                             ;   Parent Loop BB120_21 Depth=1
                                        ; =>  This Inner Loop Header: Depth=2
	ds_load_b128 v[1:4], v6
	s_waitcnt lgkmcnt(0)
	v_cmp_lt_i32_e64 s7, -1, v1
	v_cmp_o_f32_e64 s10, v1, v1
	v_cmp_o_f32_e64 s8, v3, v3
	;; [unrolled: 1-line block ×3, first 2 shown]
	s_waitcnt vmcnt(0)
	v_cndmask_b32_e64 v28, -1, 0x80000000, s7
	v_cmp_lt_i32_e64 s7, -1, v2
	s_delay_alu instid0(VALU_DEP_2) | instskip(NEXT) | instid1(VALU_DEP_2)
	v_xor_b32_e32 v28, v28, v1
	v_cndmask_b32_e64 v29, -1, 0x80000000, s7
	v_cmp_lt_i32_e64 s7, -1, v3
	s_delay_alu instid0(VALU_DEP_3) | instskip(NEXT) | instid1(VALU_DEP_3)
	v_cndmask_b32_e64 v1, -1, v28, s10
	v_xor_b32_e32 v29, v29, v2
	s_delay_alu instid0(VALU_DEP_3) | instskip(SKIP_1) | instid1(VALU_DEP_4)
	v_cndmask_b32_e64 v30, -1, 0x80000000, s7
	v_cmp_lt_i32_e64 s7, -1, v4
	v_and_b32_e32 v28, s68, v1
	v_bfe_u32 v1, v1, s74, 2
	s_delay_alu instid0(VALU_DEP_3) | instskip(SKIP_2) | instid1(VALU_DEP_4)
	v_cndmask_b32_e64 v31, -1, 0x80000000, s7
	v_cmp_o_f32_e64 s7, v2, v2
	v_xor_b32_e32 v2, v30, v3
	v_cmp_eq_u32_e64 s11, 0, v1
	v_cmp_eq_u32_e64 s15, 1, v1
	v_xor_b32_e32 v3, v31, v4
	v_cndmask_b32_e64 v4, -1, v29, s7
	v_cndmask_b32_e64 v2, -1, v2, s8
	v_cmp_eq_u32_e64 s7, s67, v28
	v_cmp_eq_u32_e64 s19, 2, v1
	v_cndmask_b32_e64 v3, -1, v3, s9
	v_and_b32_e32 v29, s68, v4
	v_bfe_u32 v4, v4, s74, 2
	v_and_b32_e32 v30, s68, v2
	v_bfe_u32 v2, v2, s74, 2
	;; [unrolled: 2-line block ×3, first 2 shown]
	v_cmp_eq_u32_e64 s8, s67, v29
	v_cmp_eq_u32_e64 s12, 0, v4
	;; [unrolled: 1-line block ×4, first 2 shown]
	s_and_b32 s11, s7, s11
	v_cmp_eq_u32_e64 s10, s67, v31
	v_cmp_eq_u32_e64 s14, 0, v3
	;; [unrolled: 1-line block ×3, first 2 shown]
	v_cndmask_b32_e64 v1, 0, 1, s11
	s_and_b32 s11, s8, s12
	v_cmp_eq_u32_e64 s17, 1, v2
	v_cmp_eq_u32_e64 s21, 2, v2
	;; [unrolled: 1-line block ×3, first 2 shown]
	v_cndmask_b32_e64 v2, 0, 1, s11
	s_and_b32 s11, s9, s13
	v_cmp_eq_u32_e64 s16, 1, v4
	v_cmp_eq_u32_e64 s18, 1, v3
	;; [unrolled: 1-line block ×4, first 2 shown]
	v_cndmask_b32_e64 v3, 0, 1, s11
	s_and_b32 s11, s10, s14
	v_cmp_eq_u32_e64 s20, 2, v4
	v_cmp_eq_u32_e64 s24, 3, v4
	v_cndmask_b32_e64 v4, 0, 1, s11
	s_and_b32 s11, s7, s15
	s_delay_alu instid0(SALU_CYCLE_1) | instskip(SKIP_1) | instid1(SALU_CYCLE_1)
	v_cndmask_b32_e64 v28, 0, 1, s11
	s_and_b32 s11, s8, s16
	v_cndmask_b32_e64 v29, 0, 1, s11
	s_and_b32 s11, s9, s17
	s_delay_alu instid0(SALU_CYCLE_1) | instskip(SKIP_1) | instid1(VALU_DEP_2)
	v_cndmask_b32_e64 v30, 0, 1, s11
	s_and_b32 s11, s10, s18
	v_cmp_ne_u32_e64 s12, 0, v29
	v_cndmask_b32_e64 v31, 0, 1, s11
	s_and_b32 s11, s7, s19
	s_and_b32 s7, s7, s23
	v_cndmask_b32_e64 v32, 0, 1, s11
	v_cndmask_b32_e64 v36, 0, 1, s7
	s_and_b32 s7, s8, s24
	s_and_b32 s11, s8, s20
	v_cndmask_b32_e64 v37, 0, 1, s7
	s_and_b32 s7, s9, s25
	v_cndmask_b32_e64 v33, 0, 1, s11
	v_cndmask_b32_e64 v38, 0, 1, s7
	s_and_b32 s7, s10, s26
	s_and_b32 s11, s9, s21
	v_cndmask_b32_e64 v39, 0, 1, s7
	v_cmp_ne_u32_e64 s7, 0, v1
	v_cmp_ne_u32_e64 s8, 0, v2
	v_cndmask_b32_e64 v34, 0, 1, s11
	s_and_b32 s11, s10, s22
	v_cmp_ne_u32_e64 s9, 0, v3
	v_cndmask_b32_e64 v35, 0, 1, s11
	v_cmp_ne_u32_e64 s11, 0, v28
	v_cmp_ne_u32_e64 s15, 0, v32
	;; [unrolled: 1-line block ×3, first 2 shown]
	s_bcnt1_i32_b32 s7, s7
	v_cmp_ne_u32_e64 s10, 0, v4
	v_cmp_ne_u32_e64 s16, 0, v33
	;; [unrolled: 1-line block ×3, first 2 shown]
	s_bcnt1_i32_b32 s8, s8
	s_add_i32 s7, s7, s78
	v_cmp_ne_u32_e64 s13, 0, v30
	v_cmp_ne_u32_e64 s17, 0, v34
	;; [unrolled: 1-line block ×3, first 2 shown]
	s_bcnt1_i32_b32 s9, s9
	s_add_i32 s7, s7, s8
	s_bcnt1_i32_b32 s11, s11
	s_bcnt1_i32_b32 s15, s15
	;; [unrolled: 1-line block ×3, first 2 shown]
	v_cmp_ne_u32_e64 s14, 0, v31
	v_cmp_ne_u32_e64 s18, 0, v35
	v_cmp_ne_u32_e64 s22, 0, v39
	s_bcnt1_i32_b32 s10, s10
	s_add_i32 s7, s7, s9
	s_bcnt1_i32_b32 s12, s12
	s_bcnt1_i32_b32 s16, s16
	;; [unrolled: 1-line block ×3, first 2 shown]
	s_add_i32 s11, s11, s77
	s_add_i32 s15, s15, s76
	;; [unrolled: 1-line block ×4, first 2 shown]
	s_delay_alu instid0(SALU_CYCLE_1)
	v_dual_mov_b32 v1, s78 :: v_dual_add_nc_u32 v14, s43, v14
	s_bcnt1_i32_b32 s13, s13
	s_bcnt1_i32_b32 s17, s17
	;; [unrolled: 1-line block ×3, first 2 shown]
	s_add_i32 s8, s11, s12
	s_add_i32 s11, s15, s16
	;; [unrolled: 1-line block ×3, first 2 shown]
	s_bcnt1_i32_b32 s14, s14
	s_bcnt1_i32_b32 s18, s18
	;; [unrolled: 1-line block ×3, first 2 shown]
	s_add_i32 s8, s8, s13
	s_add_i32 s9, s11, s17
	;; [unrolled: 1-line block ×3, first 2 shown]
	v_cmp_le_u32_e32 vcc_lo, s71, v14
	s_add_i32 s77, s8, s14
	s_add_i32 s76, s9, s18
	;; [unrolled: 1-line block ×3, first 2 shown]
	v_dual_mov_b32 v3, s76 :: v_dual_add_nc_u32 v6, s58, v6
	v_mov_b32_e32 v2, s77
	v_mov_b32_e32 v4, s75
	s_or_b32 s73, vcc_lo, s73
	s_delay_alu instid0(SALU_CYCLE_1)
	s_and_not1_b32 exec_lo, exec_lo, s73
	s_cbranch_execnz .LBB120_68
; %bb.69:                               ;   in Loop: Header=BB120_21 Depth=1
	s_or_b32 exec_lo, exec_lo, s73
.LBB120_70:                             ;   in Loop: Header=BB120_21 Depth=1
	s_delay_alu instid0(SALU_CYCLE_1) | instskip(SKIP_2) | instid1(VALU_DEP_1)
	s_or_b32 exec_lo, exec_lo, s72
	v_add_nc_u32_e32 v6, s71, v0
	s_mov_b32 s12, exec_lo
	v_cmpx_gt_u32_e64 s70, v6
	s_cbranch_execz .LBB120_74
; %bb.71:                               ;   in Loop: Header=BB120_21 Depth=1
	v_lshlrev_b32_e32 v14, 2, v6
	s_and_b32 s14, s62, 0xfe
	s_mov_b32 s13, 0
.LBB120_72:                             ;   Parent Loop BB120_21 Depth=1
                                        ; =>  This Inner Loop Header: Depth=2
	s_waitcnt vmcnt(0)
	ds_load_b32 v28, v14
	v_add_nc_u32_e32 v6, s31, v6
	v_add_nc_u32_e32 v14, s43, v14
	s_delay_alu instid0(VALU_DEP_2) | instskip(SKIP_2) | instid1(VALU_DEP_1)
	v_cmp_le_u32_e32 vcc_lo, s70, v6
	s_waitcnt lgkmcnt(0)
	v_cmp_lt_i32_e64 s7, -1, v28
	v_cndmask_b32_e64 v29, -1, 0x80000000, s7
	v_cmp_o_f32_e64 s7, v28, v28
	s_delay_alu instid0(VALU_DEP_2) | instskip(NEXT) | instid1(VALU_DEP_1)
	v_xor_b32_e32 v29, v29, v28
	v_cndmask_b32_e64 v28, -1, v29, s7
	s_delay_alu instid0(VALU_DEP_1) | instskip(SKIP_1) | instid1(VALU_DEP_2)
	v_and_b32_e32 v29, s68, v28
	v_bfe_u32 v28, v28, s14, 2
	v_cmp_eq_u32_e64 s7, s67, v29
	s_delay_alu instid0(VALU_DEP_2) | instskip(SKIP_3) | instid1(VALU_DEP_4)
	v_cmp_eq_u32_e64 s8, 0, v28
	v_cmp_eq_u32_e64 s9, 1, v28
	;; [unrolled: 1-line block ×4, first 2 shown]
	s_and_b32 s8, s7, s8
	s_delay_alu instid0(SALU_CYCLE_1) | instskip(SKIP_1) | instid1(SALU_CYCLE_1)
	v_cndmask_b32_e64 v28, 0, 1, s8
	s_and_b32 s8, s7, s9
	v_cndmask_b32_e64 v29, 0, 1, s8
	s_and_b32 s8, s7, s10
	s_and_b32 s7, s7, s11
	v_cndmask_b32_e64 v30, 0, 1, s8
	v_cndmask_b32_e64 v31, 0, 1, s7
	v_cmp_ne_u32_e64 s7, 0, v28
	v_cmp_ne_u32_e64 s8, 0, v29
	s_delay_alu instid0(VALU_DEP_4) | instskip(NEXT) | instid1(VALU_DEP_4)
	v_cmp_ne_u32_e64 s9, 0, v30
	v_cmp_ne_u32_e64 s10, 0, v31
	s_delay_alu instid0(VALU_DEP_4) | instskip(NEXT) | instid1(VALU_DEP_3)
	s_bcnt1_i32_b32 s7, s7
	s_bcnt1_i32_b32 s8, s8
	v_add_nc_u32_e32 v1, s7, v1
	s_bcnt1_i32_b32 s9, s9
	s_bcnt1_i32_b32 s10, s10
	v_add_nc_u32_e32 v2, s8, v2
	v_add_nc_u32_e32 v3, s9, v3
	;; [unrolled: 1-line block ×3, first 2 shown]
	s_or_b32 s13, vcc_lo, s13
	s_delay_alu instid0(SALU_CYCLE_1)
	s_and_not1_b32 exec_lo, exec_lo, s13
	s_cbranch_execnz .LBB120_72
; %bb.73:                               ;   in Loop: Header=BB120_21 Depth=1
	s_or_b32 exec_lo, exec_lo, s13
.LBB120_74:                             ;   in Loop: Header=BB120_21 Depth=1
	s_delay_alu instid0(SALU_CYCLE_1)
	s_or_b32 exec_lo, exec_lo, s12
.LBB120_75:                             ;   in Loop: Header=BB120_21 Depth=1
	s_lshl_b32 s7, s65, 7
	s_and_saveexec_b32 s8, s3
	s_cbranch_execz .LBB120_77
; %bb.76:                               ;   in Loop: Header=BB120_21 Depth=1
	v_or_b32_e32 v6, s7, v19
	s_delay_alu instid0(VALU_DEP_1)
	v_lshlrev_b32_e32 v6, 2, v6
	ds_store_b128 v6, v[1:4] offset:3072
.LBB120_77:                             ;   in Loop: Header=BB120_21 Depth=1
	s_or_b32 exec_lo, exec_lo, s8
	s_waitcnt vmcnt(0) lgkmcnt(0)
	s_barrier
	buffer_gl0_inv
	s_and_saveexec_b32 s8, s45
	s_cbranch_execz .LBB120_87
; %bb.78:                               ;   in Loop: Header=BB120_21 Depth=1
	v_mov_b32_e32 v1, 0
	s_and_not1_b32 vcc_lo, exec_lo, s48
	s_cbranch_vccnz .LBB120_86
; %bb.79:                               ;   in Loop: Header=BB120_21 Depth=1
	v_mov_b32_e32 v1, 0
	s_and_not1_b32 vcc_lo, exec_lo, s50
	s_mov_b32 s9, 0
	s_cbranch_vccnz .LBB120_83
; %bb.80:                               ;   in Loop: Header=BB120_21 Depth=1
	v_lshl_add_u32 v2, s65, 9, v27
	v_mov_b32_e32 v1, 0
	.p2align	6
.LBB120_81:                             ;   Parent Loop BB120_21 Depth=1
                                        ; =>  This Inner Loop Header: Depth=2
	ds_load_2addr_b32 v[3:4], v2 offset1:4
	ds_load_2addr_b32 v[28:29], v2 offset0:8 offset1:12
	ds_load_2addr_b32 v[30:31], v2 offset0:16 offset1:20
	;; [unrolled: 1-line block ×3, first 2 shown]
	v_add_nc_u32_e32 v2, 0x80, v2
	s_add_i32 s9, s9, 8
	s_delay_alu instid0(SALU_CYCLE_1) | instskip(SKIP_3) | instid1(VALU_DEP_1)
	s_cmp_eq_u32 s51, s9
	s_waitcnt lgkmcnt(3)
	v_add3_u32 v1, v3, v1, v4
	s_waitcnt lgkmcnt(2)
	v_add3_u32 v1, v28, v1, v29
	s_waitcnt lgkmcnt(1)
	s_delay_alu instid0(VALU_DEP_1) | instskip(SKIP_1) | instid1(VALU_DEP_1)
	v_add3_u32 v1, v30, v1, v31
	s_waitcnt lgkmcnt(0)
	v_add3_u32 v1, v32, v1, v33
	s_cbranch_scc0 .LBB120_81
; %bb.82:                               ;   in Loop: Header=BB120_21 Depth=1
	s_mov_b32 s9, s51
.LBB120_83:                             ;   in Loop: Header=BB120_21 Depth=1
	s_and_not1_b32 vcc_lo, exec_lo, s52
	s_cbranch_vccnz .LBB120_86
; %bb.84:                               ;   in Loop: Header=BB120_21 Depth=1
	s_lshl_b32 s10, s65, 9
	s_lshl_b32 s9, s9, 4
	s_delay_alu instid0(SALU_CYCLE_1)
	v_add3_u32 v2, s10, s9, v27
	s_mov_b32 s9, s49
.LBB120_85:                             ;   Parent Loop BB120_21 Depth=1
                                        ; =>  This Inner Loop Header: Depth=2
	ds_load_b32 v3, v2
	v_add_nc_u32_e32 v2, 16, v2
	s_add_i32 s9, s9, -1
	s_delay_alu instid0(SALU_CYCLE_1)
	s_cmp_lg_u32 s9, 0
	s_waitcnt lgkmcnt(0)
	v_add_nc_u32_e32 v1, v3, v1
	s_cbranch_scc1 .LBB120_85
.LBB120_86:                             ;   in Loop: Header=BB120_21 Depth=1
	v_add_lshl_u32 v2, s7, v16, 2
	ds_store_b32 v2, v1 offset:3072
.LBB120_87:                             ;   in Loop: Header=BB120_21 Depth=1
	s_or_b32 exec_lo, exec_lo, s8
	s_lshl_b32 s7, s7, 2
	s_waitcnt lgkmcnt(0)
	v_mov_b32_e32 v1, s7
	s_barrier
	buffer_gl0_inv
	s_and_b32 s16, s62, 0xfe
	s_mov_b32 s12, -1
	ds_load_b128 v[1:4], v1 offset:3072
	s_lshl_b32 s9, 3, s16
	s_delay_alu instid0(SALU_CYCLE_1) | instskip(SKIP_4) | instid1(VALU_DEP_3)
	s_not_b32 s17, s9
	s_waitcnt lgkmcnt(0)
	v_readfirstlane_b32 s11, v1
	v_readfirstlane_b32 s19, v2
	v_readfirstlane_b32 s14, v3
	s_cmp_eq_u32 s11, 1
	s_cselect_b32 s7, -1, 0
	s_cmp_eq_u32 s69, 1
	s_cselect_b32 s8, -1, 0
	s_delay_alu instid0(SALU_CYCLE_1)
	s_and_b32 s13, s7, s8
	v_readfirstlane_b32 s8, v4
	s_and_b32 vcc_lo, exec_lo, s13
	s_cbranch_vccz .LBB120_99
; %bb.88:                               ;   in Loop: Header=BB120_21 Depth=1
	ds_load_b32 v1, v7 offset:4104
	s_waitcnt lgkmcnt(0)
	s_barrier
	buffer_gl0_inv
	v_readfirstlane_b32 s10, v1
	s_and_saveexec_b32 s7, s1
	s_cbranch_execz .LBB120_90
; %bb.89:                               ;   in Loop: Header=BB120_21 Depth=1
	ds_store_b32 v18, v7
.LBB120_90:                             ;   in Loop: Header=BB120_21 Depth=1
	s_or_b32 exec_lo, exec_lo, s7
	s_and_b32 s67, s67, s17
	s_or_b32 s68, s68, s9
	s_cmp_eq_u32 s10, 0
	s_waitcnt lgkmcnt(0)
	s_barrier
	buffer_gl0_inv
	s_cbranch_scc1 .LBB120_100
; %bb.91:                               ;   in Loop: Header=BB120_21 Depth=1
	s_add_i32 s7, s10, s46
                                        ; implicit-def: $vgpr15
	s_delay_alu instid0(SALU_CYCLE_1) | instskip(NEXT) | instid1(SALU_CYCLE_1)
	s_mul_hi_u32 s15, s7, s55
	s_mul_i32 s15, s15, s31
	s_delay_alu instid0(SALU_CYCLE_1) | instskip(NEXT) | instid1(SALU_CYCLE_1)
	s_sub_i32 s15, s7, s15
	s_sub_i32 s18, s15, s31
	s_cmp_ge_u32 s15, s31
	s_cselect_b32 s15, s18, s15
	s_delay_alu instid0(SALU_CYCLE_1) | instskip(SKIP_2) | instid1(SALU_CYCLE_1)
	s_sub_i32 s18, s15, s31
	s_cmp_ge_u32 s15, s31
	s_cselect_b32 s15, s18, s15
	s_sub_i32 s18, s7, s15
	s_mov_b32 s7, 0
	s_mov_b32 s15, exec_lo
	v_cmpx_gt_u32_e64 s18, v0
	s_cbranch_execz .LBB120_102
; %bb.92:                               ;   in Loop: Header=BB120_21 Depth=1
	v_dual_mov_b32 v1, v17 :: v_dual_mov_b32 v2, v0
	s_mov_b32 s20, 0
                                        ; implicit-def: $sgpr21
	s_set_inst_prefetch_distance 0x1
	s_branch .LBB120_94
	.p2align	6
.LBB120_93:                             ;   in Loop: Header=BB120_94 Depth=2
	s_or_b32 exec_lo, exec_lo, s7
	s_waitcnt lgkmcnt(0)
	s_barrier
	buffer_gl0_inv
	ds_load_b64 v[14:15], v7 offset:3072
	v_add_nc_u32_e32 v2, s31, v2
	v_add_nc_u32_e32 v1, s43, v1
	s_waitcnt lgkmcnt(0)
	s_barrier
	buffer_gl0_inv
	v_cmp_le_u32_e32 vcc_lo, s18, v2
	v_cmp_neq_f32_e64 s7, 0, v14
	s_delay_alu instid0(VALU_DEP_1) | instskip(NEXT) | instid1(SALU_CYCLE_1)
	s_or_b32 s22, vcc_lo, s7
	s_and_b32 s22, exec_lo, s22
	s_delay_alu instid0(SALU_CYCLE_1) | instskip(SKIP_2) | instid1(SALU_CYCLE_1)
	s_or_b32 s20, s22, s20
	s_and_not1_b32 s21, s21, exec_lo
	s_and_b32 s7, s7, exec_lo
	s_or_b32 s21, s21, s7
	s_and_not1_b32 exec_lo, exec_lo, s20
	s_cbranch_execz .LBB120_101
.LBB120_94:                             ;   Parent Loop BB120_21 Depth=1
                                        ; =>  This Inner Loop Header: Depth=2
	s_delay_alu instid0(VALU_DEP_1)
	v_cmp_gt_u32_e32 vcc_lo, s10, v2
	v_mov_b32_e32 v14, 0
	s_and_saveexec_b32 s7, vcc_lo
	s_cbranch_execz .LBB120_96
; %bb.95:                               ;   in Loop: Header=BB120_94 Depth=2
	ds_load_b32 v14, v1
.LBB120_96:                             ;   in Loop: Header=BB120_94 Depth=2
	s_or_b32 exec_lo, exec_lo, s7
	s_and_saveexec_b32 s7, vcc_lo
	s_cbranch_execz .LBB120_93
; %bb.97:                               ;   in Loop: Header=BB120_94 Depth=2
	s_waitcnt lgkmcnt(0)
	v_cmp_lt_i32_e32 vcc_lo, -1, v14
	v_cndmask_b32_e64 v3, -1, 0x80000000, vcc_lo
	v_cmp_o_f32_e32 vcc_lo, v14, v14
	s_delay_alu instid0(VALU_DEP_2) | instskip(NEXT) | instid1(VALU_DEP_1)
	v_xor_b32_e32 v3, v3, v14
	v_cndmask_b32_e32 v3, -1, v3, vcc_lo
	s_delay_alu instid0(VALU_DEP_1) | instskip(NEXT) | instid1(VALU_DEP_1)
	v_and_b32_e32 v3, s68, v3
	v_cmp_eq_u32_e32 vcc_lo, s67, v3
	s_and_b32 exec_lo, exec_lo, vcc_lo
	s_cbranch_execz .LBB120_93
; %bb.98:                               ;   in Loop: Header=BB120_94 Depth=2
	ds_store_b64 v7, v[13:14] offset:3072
	s_branch .LBB120_93
.LBB120_99:                             ;   in Loop: Header=BB120_21 Depth=1
	s_mov_b32 s7, -1
                                        ; implicit-def: $sgpr10
                                        ; implicit-def: $sgpr18
                                        ; implicit-def: $sgpr15
	s_branch .LBB120_113
.LBB120_100:                            ;   in Loop: Header=BB120_21 Depth=1
	s_mov_b32 s10, -1
	s_mov_b32 s7, 0
                                        ; implicit-def: $sgpr15
                                        ; implicit-def: $vgpr15
	s_mov_b32 s18, s10
	s_cbranch_execnz .LBB120_103
	s_branch .LBB120_113
.LBB120_101:                            ;   in Loop: Header=BB120_21 Depth=1
	s_set_inst_prefetch_distance 0x2
	s_or_b32 exec_lo, exec_lo, s20
	s_delay_alu instid0(SALU_CYCLE_1)
	s_and_b32 s7, s21, exec_lo
.LBB120_102:                            ;   in Loop: Header=BB120_21 Depth=1
	s_or_b32 exec_lo, exec_lo, s15
	s_mov_b32 s15, -1
	s_mov_b32 s10, 0
	s_delay_alu instid0(SALU_CYCLE_1)
	s_mov_b32 s18, s10
	s_branch .LBB120_113
.LBB120_103:                            ;   in Loop: Header=BB120_21 Depth=1
	s_mov_b32 s7, 0
                                        ; implicit-def: $vgpr15
	s_and_saveexec_b32 s10, s6
	s_cbranch_execz .LBB120_112
; %bb.104:                              ;   in Loop: Header=BB120_21 Depth=1
	v_dual_mov_b32 v6, v5 :: v_dual_mov_b32 v1, v0
	s_mov_b32 s15, 0
                                        ; implicit-def: $sgpr18
	s_set_inst_prefetch_distance 0x1
	s_branch .LBB120_106
	.p2align	6
.LBB120_105:                            ;   in Loop: Header=BB120_106 Depth=2
	s_or_b32 exec_lo, exec_lo, s7
	s_waitcnt vmcnt(0) lgkmcnt(0)
	s_barrier
	buffer_gl0_inv
	ds_load_b64 v[14:15], v7 offset:3072
	v_add_nc_u32_e32 v1, s31, v1
	v_add_nc_u32_e32 v6, s44, v6
	s_waitcnt lgkmcnt(0)
	s_barrier
	buffer_gl0_inv
	v_cmp_le_u32_e32 vcc_lo, s57, v1
	v_cmp_neq_f32_e64 s7, 0, v14
	s_delay_alu instid0(VALU_DEP_1) | instskip(NEXT) | instid1(SALU_CYCLE_1)
	s_or_b32 s20, vcc_lo, s7
	s_and_b32 s20, exec_lo, s20
	s_delay_alu instid0(SALU_CYCLE_1) | instskip(SKIP_2) | instid1(SALU_CYCLE_1)
	s_or_b32 s15, s20, s15
	s_and_not1_b32 s18, s18, exec_lo
	s_and_b32 s7, s7, exec_lo
	s_or_b32 s18, s18, s7
	s_and_not1_b32 exec_lo, exec_lo, s15
	s_cbranch_execz .LBB120_111
.LBB120_106:                            ;   Parent Loop BB120_21 Depth=1
                                        ; =>  This Inner Loop Header: Depth=2
	s_delay_alu instid0(VALU_DEP_1)
	v_cmp_gt_u32_e32 vcc_lo, s28, v1
	v_mov_b32_e32 v14, 0
	s_and_saveexec_b32 s20, vcc_lo
	s_cbranch_execz .LBB120_108
; %bb.107:                              ;   in Loop: Header=BB120_106 Depth=2
	v_lshlrev_b64 v[2:3], 2, v[6:7]
	s_delay_alu instid0(VALU_DEP_1) | instskip(NEXT) | instid1(VALU_DEP_1)
	v_add_co_u32 v2, s7, s29, v2
	v_add_co_ci_u32_e64 v3, s7, s33, v3, s7
	global_load_b32 v14, v[2:3], off
.LBB120_108:                            ;   in Loop: Header=BB120_106 Depth=2
	s_or_b32 exec_lo, exec_lo, s20
	s_and_saveexec_b32 s7, vcc_lo
	s_cbranch_execz .LBB120_105
; %bb.109:                              ;   in Loop: Header=BB120_106 Depth=2
	s_waitcnt vmcnt(0)
	v_cmp_lt_i32_e32 vcc_lo, -1, v14
	v_cndmask_b32_e64 v2, -1, 0x80000000, vcc_lo
	v_cmp_o_f32_e32 vcc_lo, v14, v14
	s_delay_alu instid0(VALU_DEP_2) | instskip(NEXT) | instid1(VALU_DEP_1)
	v_xor_b32_e32 v2, v2, v14
	v_cndmask_b32_e32 v2, -1, v2, vcc_lo
	s_delay_alu instid0(VALU_DEP_1) | instskip(NEXT) | instid1(VALU_DEP_1)
	v_and_b32_e32 v2, s68, v2
	v_cmp_eq_u32_e32 vcc_lo, s67, v2
	s_and_b32 exec_lo, exec_lo, vcc_lo
	s_cbranch_execz .LBB120_105
; %bb.110:                              ;   in Loop: Header=BB120_106 Depth=2
	ds_store_b64 v7, v[13:14] offset:3072
	s_branch .LBB120_105
.LBB120_111:                            ;   in Loop: Header=BB120_21 Depth=1
	s_set_inst_prefetch_distance 0x2
	s_or_b32 exec_lo, exec_lo, s15
	s_delay_alu instid0(SALU_CYCLE_1)
	s_and_b32 s7, s18, exec_lo
.LBB120_112:                            ;   in Loop: Header=BB120_21 Depth=1
	s_or_b32 exec_lo, exec_lo, s10
	s_mov_b32 s18, -1
	s_mov_b32 s10, 0
	s_mov_b32 s15, 0
.LBB120_113:                            ;   in Loop: Header=BB120_21 Depth=1
	s_and_not1_b32 s20, s63, exec_lo
	s_and_b32 s10, s10, exec_lo
	s_and_b32 s18, s18, exec_lo
	s_or_b32 s63, s20, s10
	s_and_not1_b32 s10, s66, exec_lo
	s_and_not1_b32 s20, s64, exec_lo
	s_and_b32 s15, s15, exec_lo
	s_or_b32 s66, s10, s18
	s_or_b32 s64, s20, s15
	s_and_saveexec_b32 s10, s7
	s_cbranch_execz .LBB120_20
; %bb.114:                              ;   in Loop: Header=BB120_21 Depth=1
	s_xor_b32 s7, s13, -1
	s_mov_b32 s12, 0
	s_and_not1_b32 vcc_lo, exec_lo, s7
	s_mov_b32 s20, 1
	s_cbranch_vccnz .LBB120_125
; %bb.115:                              ;   in Loop: Header=BB120_21 Depth=1
	s_cmp_gt_u32 s69, s11
	s_mov_b32 s12, -1
                                        ; implicit-def: $sgpr7
                                        ; implicit-def: $sgpr13
                                        ; implicit-def: $sgpr15
	s_cbranch_scc1 .LBB120_121
; %bb.116:                              ;   in Loop: Header=BB120_21 Depth=1
	ds_load_b32 v1, v7 offset:4104
	s_waitcnt lgkmcnt(0)
	v_cmp_ne_u32_e32 vcc_lo, 0, v1
	s_cbranch_vccnz .LBB120_120
; %bb.117:                              ;   in Loop: Header=BB120_21 Depth=1
	s_and_saveexec_b32 s7, s0
	s_cbranch_execz .LBB120_119
; %bb.118:                              ;   in Loop: Header=BB120_21 Depth=1
	v_mov_b32_e32 v1, s11
	ds_store_b32 v7, v1 offset:4108
.LBB120_119:                            ;   in Loop: Header=BB120_21 Depth=1
	s_or_b32 exec_lo, exec_lo, s7
	s_waitcnt lgkmcnt(0)
	s_barrier
	buffer_gl0_inv
.LBB120_120:                            ;   in Loop: Header=BB120_21 Depth=1
	s_and_b32 s13, s67, s17
	s_or_b32 s15, s68, s9
	s_mov_b32 s12, 0
	s_mov_b32 s7, 8
.LBB120_121:                            ;   in Loop: Header=BB120_21 Depth=1
	s_and_not1_b32 vcc_lo, exec_lo, s12
	s_cbranch_vccnz .LBB120_123
; %bb.122:                              ;   in Loop: Header=BB120_21 Depth=1
	s_sub_i32 s69, s69, s11
	s_mov_b32 s12, -1
	s_mov_b32 s7, 0
	s_mov_b32 s13, s67
	;; [unrolled: 1-line block ×3, first 2 shown]
.LBB120_123:                            ;   in Loop: Header=BB120_21 Depth=1
	s_delay_alu instid0(SALU_CYCLE_1)
	s_mov_b32 s68, s15
	s_mov_b32 s67, s13
	;; [unrolled: 1-line block ×3, first 2 shown]
	s_and_b32 vcc_lo, exec_lo, s12
	s_mov_b32 s11, -1
	s_cbranch_vccnz .LBB120_126
.LBB120_124:                            ;   in Loop: Header=BB120_21 Depth=1
	s_mov_b32 s23, -1
                                        ; implicit-def: $sgpr12
                                        ; implicit-def: $sgpr15
                                        ; implicit-def: $sgpr13
                                        ; implicit-def: $sgpr69
	s_delay_alu instid0(SALU_CYCLE_1) | instskip(NEXT) | instid1(SALU_CYCLE_1)
	s_and_saveexec_b32 s8, s23
	s_xor_b32 s8, exec_lo, s8
	s_cbranch_execz .LBB120_19
	s_branch .LBB120_252
.LBB120_125:                            ;   in Loop: Header=BB120_21 Depth=1
	s_mov_b32 s7, 1
	s_and_b32 vcc_lo, exec_lo, s12
	s_mov_b32 s11, -1
	s_cbranch_vccz .LBB120_124
.LBB120_126:                            ;   in Loop: Header=BB120_21 Depth=1
	s_cmp_eq_u32 s19, 1
	s_mov_b32 s22, -1
	s_cselect_b32 s7, -1, 0
	s_cmp_eq_u32 s20, 1
	s_cselect_b32 s12, -1, 0
	s_delay_alu instid0(SALU_CYCLE_1) | instskip(NEXT) | instid1(SALU_CYCLE_1)
	s_and_b32 s21, s7, s12
	s_and_b32 vcc_lo, exec_lo, s21
	s_cbranch_vccz .LBB120_138
; %bb.127:                              ;   in Loop: Header=BB120_21 Depth=1
	ds_load_b32 v1, v7 offset:4104
	s_waitcnt lgkmcnt(0)
	s_barrier
	buffer_gl0_inv
	v_readfirstlane_b32 s12, v1
	s_and_saveexec_b32 s7, s1
	s_cbranch_execz .LBB120_129
; %bb.128:                              ;   in Loop: Header=BB120_21 Depth=1
	ds_store_b32 v18, v7
.LBB120_129:                            ;   in Loop: Header=BB120_21 Depth=1
	s_or_b32 exec_lo, exec_lo, s7
	s_lshl_b32 s7, 1, s16
	s_and_b32 s13, s67, s17
	s_or_b32 s68, s68, s9
	s_or_b32 s67, s13, s7
	s_cmp_eq_u32 s12, 0
	s_waitcnt lgkmcnt(0)
	s_barrier
	buffer_gl0_inv
	s_cbranch_scc1 .LBB120_142
; %bb.130:                              ;   in Loop: Header=BB120_21 Depth=1
	s_add_i32 s7, s12, s46
	s_mov_b32 s22, 0
	s_mul_hi_u32 s13, s7, s55
                                        ; implicit-def: $vgpr15
	s_delay_alu instid0(SALU_CYCLE_1) | instskip(NEXT) | instid1(SALU_CYCLE_1)
	s_mul_i32 s13, s13, s31
	s_sub_i32 s13, s7, s13
	s_delay_alu instid0(SALU_CYCLE_1) | instskip(SKIP_2) | instid1(SALU_CYCLE_1)
	s_sub_i32 s15, s13, s31
	s_cmp_ge_u32 s13, s31
	s_cselect_b32 s13, s15, s13
	s_sub_i32 s15, s13, s31
	s_cmp_ge_u32 s13, s31
	s_cselect_b32 s13, s15, s13
	s_delay_alu instid0(SALU_CYCLE_1)
	s_sub_i32 s15, s7, s13
	s_mov_b32 s13, exec_lo
	v_cmpx_gt_u32_e64 s15, v0
	s_cbranch_execz .LBB120_144
; %bb.131:                              ;   in Loop: Header=BB120_21 Depth=1
	v_dual_mov_b32 v1, v17 :: v_dual_mov_b32 v2, v0
	s_mov_b32 s18, 0
                                        ; implicit-def: $sgpr22
	s_set_inst_prefetch_distance 0x1
	s_branch .LBB120_133
	.p2align	6
.LBB120_132:                            ;   in Loop: Header=BB120_133 Depth=2
	s_or_b32 exec_lo, exec_lo, s7
	s_waitcnt lgkmcnt(0)
	s_barrier
	buffer_gl0_inv
	ds_load_b64 v[14:15], v7 offset:3072
	v_add_nc_u32_e32 v2, s31, v2
	v_add_nc_u32_e32 v1, s43, v1
	s_waitcnt lgkmcnt(0)
	s_barrier
	buffer_gl0_inv
	v_cmp_le_u32_e32 vcc_lo, s15, v2
	v_cmp_neq_f32_e64 s7, 0, v14
	s_delay_alu instid0(VALU_DEP_1) | instskip(NEXT) | instid1(SALU_CYCLE_1)
	s_or_b32 s23, vcc_lo, s7
	s_and_b32 s23, exec_lo, s23
	s_delay_alu instid0(SALU_CYCLE_1) | instskip(SKIP_2) | instid1(SALU_CYCLE_1)
	s_or_b32 s18, s23, s18
	s_and_not1_b32 s22, s22, exec_lo
	s_and_b32 s7, s7, exec_lo
	s_or_b32 s22, s22, s7
	s_and_not1_b32 exec_lo, exec_lo, s18
	s_cbranch_execz .LBB120_143
.LBB120_133:                            ;   Parent Loop BB120_21 Depth=1
                                        ; =>  This Inner Loop Header: Depth=2
	s_delay_alu instid0(VALU_DEP_1)
	v_cmp_gt_u32_e32 vcc_lo, s12, v2
	v_mov_b32_e32 v14, 0
	s_and_saveexec_b32 s7, vcc_lo
	s_cbranch_execz .LBB120_135
; %bb.134:                              ;   in Loop: Header=BB120_133 Depth=2
	ds_load_b32 v14, v1
.LBB120_135:                            ;   in Loop: Header=BB120_133 Depth=2
	s_or_b32 exec_lo, exec_lo, s7
	s_and_saveexec_b32 s7, vcc_lo
	s_cbranch_execz .LBB120_132
; %bb.136:                              ;   in Loop: Header=BB120_133 Depth=2
	s_waitcnt lgkmcnt(0)
	v_cmp_lt_i32_e32 vcc_lo, -1, v14
	v_cndmask_b32_e64 v3, -1, 0x80000000, vcc_lo
	v_cmp_o_f32_e32 vcc_lo, v14, v14
	s_delay_alu instid0(VALU_DEP_2) | instskip(NEXT) | instid1(VALU_DEP_1)
	v_xor_b32_e32 v3, v3, v14
	v_cndmask_b32_e32 v3, -1, v3, vcc_lo
	s_delay_alu instid0(VALU_DEP_1) | instskip(NEXT) | instid1(VALU_DEP_1)
	v_and_b32_e32 v3, s68, v3
	v_cmp_eq_u32_e32 vcc_lo, s67, v3
	s_and_b32 exec_lo, exec_lo, vcc_lo
	s_cbranch_execz .LBB120_132
; %bb.137:                              ;   in Loop: Header=BB120_133 Depth=2
	ds_store_b64 v7, v[13:14] offset:3072
	s_branch .LBB120_132
.LBB120_138:                            ;   in Loop: Header=BB120_21 Depth=1
                                        ; implicit-def: $sgpr13
                                        ; implicit-def: $sgpr15
                                        ; implicit-def: $sgpr12
	s_branch .LBB120_155
.LBB120_139:                            ;   in Loop: Header=BB120_21 Depth=1
	s_or_b32 exec_lo, exec_lo, s9
	s_waitcnt vmcnt(0) lgkmcnt(0)
	s_barrier
	buffer_gl0_inv
	s_and_saveexec_b32 s7, s0
	s_cbranch_execz .LBB120_141
; %bb.140:                              ;   in Loop: Header=BB120_21 Depth=1
	ds_load_b32 v1, v7 offset:4112
	s_waitcnt lgkmcnt(0)
	ds_store_b32 v7, v1 offset:4104
.LBB120_141:                            ;   in Loop: Header=BB120_21 Depth=1
	s_or_b32 exec_lo, exec_lo, s7
	s_waitcnt lgkmcnt(0)
	s_mov_b32 s7, -1
	s_barrier
	s_and_b32 vcc_lo, exec_lo, s70
	s_cbranch_vccnz .LBB120_39
	s_branch .LBB120_49
.LBB120_142:                            ;   in Loop: Header=BB120_21 Depth=1
	s_mov_b32 s13, -1
	s_mov_b32 s22, 0
                                        ; implicit-def: $sgpr12
                                        ; implicit-def: $vgpr15
	s_mov_b32 s15, s13
	s_cbranch_execnz .LBB120_145
	s_branch .LBB120_155
.LBB120_143:                            ;   in Loop: Header=BB120_21 Depth=1
	s_set_inst_prefetch_distance 0x2
	s_or_b32 exec_lo, exec_lo, s18
	s_delay_alu instid0(SALU_CYCLE_1)
	s_and_b32 s22, s22, exec_lo
.LBB120_144:                            ;   in Loop: Header=BB120_21 Depth=1
	s_or_b32 exec_lo, exec_lo, s13
	s_mov_b32 s12, -1
	s_mov_b32 s13, 0
	s_delay_alu instid0(SALU_CYCLE_1)
	s_mov_b32 s15, s13
	s_branch .LBB120_155
.LBB120_145:                            ;   in Loop: Header=BB120_21 Depth=1
	s_mov_b32 s22, 0
                                        ; implicit-def: $vgpr15
	s_and_saveexec_b32 s12, s6
	s_cbranch_execz .LBB120_154
; %bb.146:                              ;   in Loop: Header=BB120_21 Depth=1
	v_dual_mov_b32 v6, v5 :: v_dual_mov_b32 v1, v0
	s_mov_b32 s13, 0
                                        ; implicit-def: $sgpr15
	s_set_inst_prefetch_distance 0x1
	s_branch .LBB120_148
	.p2align	6
.LBB120_147:                            ;   in Loop: Header=BB120_148 Depth=2
	s_or_b32 exec_lo, exec_lo, s7
	s_waitcnt vmcnt(0) lgkmcnt(0)
	s_barrier
	buffer_gl0_inv
	ds_load_b64 v[14:15], v7 offset:3072
	v_add_nc_u32_e32 v1, s31, v1
	v_add_nc_u32_e32 v6, s44, v6
	s_waitcnt lgkmcnt(0)
	s_barrier
	buffer_gl0_inv
	v_cmp_le_u32_e32 vcc_lo, s57, v1
	v_cmp_neq_f32_e64 s7, 0, v14
	s_delay_alu instid0(VALU_DEP_1) | instskip(NEXT) | instid1(SALU_CYCLE_1)
	s_or_b32 s18, vcc_lo, s7
	s_and_b32 s18, exec_lo, s18
	s_delay_alu instid0(SALU_CYCLE_1) | instskip(SKIP_2) | instid1(SALU_CYCLE_1)
	s_or_b32 s13, s18, s13
	s_and_not1_b32 s15, s15, exec_lo
	s_and_b32 s7, s7, exec_lo
	s_or_b32 s15, s15, s7
	s_and_not1_b32 exec_lo, exec_lo, s13
	s_cbranch_execz .LBB120_153
.LBB120_148:                            ;   Parent Loop BB120_21 Depth=1
                                        ; =>  This Inner Loop Header: Depth=2
	s_delay_alu instid0(VALU_DEP_1)
	v_cmp_gt_u32_e32 vcc_lo, s28, v1
	v_mov_b32_e32 v14, 0
	s_and_saveexec_b32 s18, vcc_lo
	s_cbranch_execz .LBB120_150
; %bb.149:                              ;   in Loop: Header=BB120_148 Depth=2
	v_lshlrev_b64 v[2:3], 2, v[6:7]
	s_delay_alu instid0(VALU_DEP_1) | instskip(NEXT) | instid1(VALU_DEP_1)
	v_add_co_u32 v2, s7, s29, v2
	v_add_co_ci_u32_e64 v3, s7, s33, v3, s7
	global_load_b32 v14, v[2:3], off
.LBB120_150:                            ;   in Loop: Header=BB120_148 Depth=2
	s_or_b32 exec_lo, exec_lo, s18
	s_and_saveexec_b32 s7, vcc_lo
	s_cbranch_execz .LBB120_147
; %bb.151:                              ;   in Loop: Header=BB120_148 Depth=2
	s_waitcnt vmcnt(0)
	v_cmp_lt_i32_e32 vcc_lo, -1, v14
	v_cndmask_b32_e64 v2, -1, 0x80000000, vcc_lo
	v_cmp_o_f32_e32 vcc_lo, v14, v14
	s_delay_alu instid0(VALU_DEP_2) | instskip(NEXT) | instid1(VALU_DEP_1)
	v_xor_b32_e32 v2, v2, v14
	v_cndmask_b32_e32 v2, -1, v2, vcc_lo
	s_delay_alu instid0(VALU_DEP_1) | instskip(NEXT) | instid1(VALU_DEP_1)
	v_and_b32_e32 v2, s68, v2
	v_cmp_eq_u32_e32 vcc_lo, s67, v2
	s_and_b32 exec_lo, exec_lo, vcc_lo
	s_cbranch_execz .LBB120_147
; %bb.152:                              ;   in Loop: Header=BB120_148 Depth=2
	ds_store_b64 v7, v[13:14] offset:3072
	s_branch .LBB120_147
.LBB120_153:                            ;   in Loop: Header=BB120_21 Depth=1
	s_set_inst_prefetch_distance 0x2
	s_or_b32 exec_lo, exec_lo, s13
	s_delay_alu instid0(SALU_CYCLE_1)
	s_and_b32 s22, s15, exec_lo
.LBB120_154:                            ;   in Loop: Header=BB120_21 Depth=1
	s_or_b32 exec_lo, exec_lo, s12
	s_mov_b32 s15, -1
	s_mov_b32 s13, 0
	s_mov_b32 s12, 0
.LBB120_155:                            ;   in Loop: Header=BB120_21 Depth=1
	s_mov_b32 s23, 0
                                        ; implicit-def: $sgpr7
	s_and_saveexec_b32 s18, s22
	s_cbranch_execz .LBB120_251
; %bb.156:                              ;   in Loop: Header=BB120_21 Depth=1
	s_xor_b32 s7, s21, -1
	s_mov_b32 s21, 0
	s_and_not1_b32 vcc_lo, exec_lo, s7
	s_mov_b32 s24, 1
	s_cbranch_vccnz .LBB120_167
; %bb.157:                              ;   in Loop: Header=BB120_21 Depth=1
	s_cmp_gt_u32 s20, s19
	s_mov_b32 s21, -1
                                        ; implicit-def: $sgpr7
                                        ; implicit-def: $sgpr22
                                        ; implicit-def: $sgpr23
	s_cbranch_scc1 .LBB120_163
; %bb.158:                              ;   in Loop: Header=BB120_21 Depth=1
	ds_load_b32 v1, v7 offset:4104
	s_waitcnt lgkmcnt(0)
	v_cmp_ne_u32_e32 vcc_lo, 0, v1
	s_cbranch_vccnz .LBB120_162
; %bb.159:                              ;   in Loop: Header=BB120_21 Depth=1
	s_and_saveexec_b32 s7, s0
	s_cbranch_execz .LBB120_161
; %bb.160:                              ;   in Loop: Header=BB120_21 Depth=1
	v_mov_b32_e32 v1, s19
	ds_store_b32 v7, v1 offset:4108
.LBB120_161:                            ;   in Loop: Header=BB120_21 Depth=1
	s_or_b32 exec_lo, exec_lo, s7
	s_waitcnt lgkmcnt(0)
	s_barrier
	buffer_gl0_inv
.LBB120_162:                            ;   in Loop: Header=BB120_21 Depth=1
	s_lshl_b32 s7, 1, s16
	s_and_b32 s21, s67, s17
	s_or_b32 s23, s68, s9
	s_or_b32 s22, s21, s7
	s_mov_b32 s21, 0
	s_mov_b32 s7, 8
.LBB120_163:                            ;   in Loop: Header=BB120_21 Depth=1
	s_and_not1_b32 vcc_lo, exec_lo, s21
	s_cbranch_vccnz .LBB120_165
; %bb.164:                              ;   in Loop: Header=BB120_21 Depth=1
	s_sub_i32 s20, s20, s19
	s_mov_b32 s21, -1
	s_mov_b32 s7, 0
	s_mov_b32 s22, s67
	s_mov_b32 s23, s68
.LBB120_165:                            ;   in Loop: Header=BB120_21 Depth=1
	s_delay_alu instid0(SALU_CYCLE_1)
	s_mov_b32 s68, s23
	s_mov_b32 s67, s22
	;; [unrolled: 1-line block ×3, first 2 shown]
	s_and_not1_b32 vcc_lo, exec_lo, s21
	s_mov_b32 s26, -1
	s_cbranch_vccz .LBB120_168
.LBB120_166:                            ;   in Loop: Header=BB120_21 Depth=1
                                        ; implicit-def: $sgpr20
                                        ; implicit-def: $sgpr21
                                        ; implicit-def: $sgpr19
	s_branch .LBB120_250
.LBB120_167:                            ;   in Loop: Header=BB120_21 Depth=1
	s_mov_b32 s7, 1
	s_and_not1_b32 vcc_lo, exec_lo, s21
	s_mov_b32 s26, -1
	s_cbranch_vccnz .LBB120_166
.LBB120_168:                            ;   in Loop: Header=BB120_21 Depth=1
	s_cmp_eq_u32 s14, 1
	s_mov_b32 s25, -1
	s_cselect_b32 s7, -1, 0
	s_cmp_eq_u32 s24, 1
	s_cselect_b32 s19, -1, 0
	s_delay_alu instid0(SALU_CYCLE_1) | instskip(NEXT) | instid1(SALU_CYCLE_1)
	s_and_b32 s23, s7, s19
	s_and_b32 vcc_lo, exec_lo, s23
	s_cbranch_vccz .LBB120_180
; %bb.169:                              ;   in Loop: Header=BB120_21 Depth=1
	ds_load_b32 v1, v7 offset:4104
	s_waitcnt lgkmcnt(0)
	s_barrier
	buffer_gl0_inv
	v_readfirstlane_b32 s19, v1
	s_and_saveexec_b32 s7, s1
	s_cbranch_execz .LBB120_171
; %bb.170:                              ;   in Loop: Header=BB120_21 Depth=1
	ds_store_b32 v18, v7
.LBB120_171:                            ;   in Loop: Header=BB120_21 Depth=1
	s_or_b32 exec_lo, exec_lo, s7
	s_lshl_b32 s7, 2, s16
	s_and_b32 s20, s67, s17
	s_or_b32 s68, s68, s9
	s_or_b32 s67, s20, s7
	s_cmp_eq_u32 s19, 0
	s_waitcnt lgkmcnt(0)
	s_barrier
	buffer_gl0_inv
	s_cbranch_scc1 .LBB120_181
; %bb.172:                              ;   in Loop: Header=BB120_21 Depth=1
	s_add_i32 s7, s19, s46
	s_mov_b32 s25, 0
	s_mul_hi_u32 s20, s7, s55
                                        ; implicit-def: $vgpr15
	s_delay_alu instid0(SALU_CYCLE_1) | instskip(NEXT) | instid1(SALU_CYCLE_1)
	s_mul_i32 s20, s20, s31
	s_sub_i32 s20, s7, s20
	s_delay_alu instid0(SALU_CYCLE_1) | instskip(SKIP_2) | instid1(SALU_CYCLE_1)
	s_sub_i32 s21, s20, s31
	s_cmp_ge_u32 s20, s31
	s_cselect_b32 s20, s21, s20
	s_sub_i32 s21, s20, s31
	s_cmp_ge_u32 s20, s31
	s_cselect_b32 s20, s21, s20
	s_delay_alu instid0(SALU_CYCLE_1)
	s_sub_i32 s21, s7, s20
	s_mov_b32 s20, exec_lo
	v_cmpx_gt_u32_e64 s21, v0
	s_cbranch_execz .LBB120_183
; %bb.173:                              ;   in Loop: Header=BB120_21 Depth=1
	v_dual_mov_b32 v1, v17 :: v_dual_mov_b32 v2, v0
	s_mov_b32 s22, 0
                                        ; implicit-def: $sgpr25
	s_set_inst_prefetch_distance 0x1
	s_branch .LBB120_175
	.p2align	6
.LBB120_174:                            ;   in Loop: Header=BB120_175 Depth=2
	s_or_b32 exec_lo, exec_lo, s7
	s_waitcnt lgkmcnt(0)
	s_barrier
	buffer_gl0_inv
	ds_load_b64 v[14:15], v7 offset:3072
	v_add_nc_u32_e32 v2, s31, v2
	v_add_nc_u32_e32 v1, s43, v1
	s_waitcnt lgkmcnt(0)
	s_barrier
	buffer_gl0_inv
	v_cmp_le_u32_e32 vcc_lo, s21, v2
	v_cmp_neq_f32_e64 s7, 0, v14
	s_delay_alu instid0(VALU_DEP_1) | instskip(NEXT) | instid1(SALU_CYCLE_1)
	s_or_b32 s26, vcc_lo, s7
	s_and_b32 s26, exec_lo, s26
	s_delay_alu instid0(SALU_CYCLE_1) | instskip(SKIP_2) | instid1(SALU_CYCLE_1)
	s_or_b32 s22, s26, s22
	s_and_not1_b32 s25, s25, exec_lo
	s_and_b32 s7, s7, exec_lo
	s_or_b32 s25, s25, s7
	s_and_not1_b32 exec_lo, exec_lo, s22
	s_cbranch_execz .LBB120_182
.LBB120_175:                            ;   Parent Loop BB120_21 Depth=1
                                        ; =>  This Inner Loop Header: Depth=2
	s_delay_alu instid0(VALU_DEP_1)
	v_cmp_gt_u32_e32 vcc_lo, s19, v2
	v_mov_b32_e32 v14, 0
	s_and_saveexec_b32 s7, vcc_lo
	s_cbranch_execz .LBB120_177
; %bb.176:                              ;   in Loop: Header=BB120_175 Depth=2
	ds_load_b32 v14, v1
.LBB120_177:                            ;   in Loop: Header=BB120_175 Depth=2
	s_or_b32 exec_lo, exec_lo, s7
	s_and_saveexec_b32 s7, vcc_lo
	s_cbranch_execz .LBB120_174
; %bb.178:                              ;   in Loop: Header=BB120_175 Depth=2
	s_waitcnt lgkmcnt(0)
	v_cmp_lt_i32_e32 vcc_lo, -1, v14
	v_cndmask_b32_e64 v3, -1, 0x80000000, vcc_lo
	v_cmp_o_f32_e32 vcc_lo, v14, v14
	s_delay_alu instid0(VALU_DEP_2) | instskip(NEXT) | instid1(VALU_DEP_1)
	v_xor_b32_e32 v3, v3, v14
	v_cndmask_b32_e32 v3, -1, v3, vcc_lo
	s_delay_alu instid0(VALU_DEP_1) | instskip(NEXT) | instid1(VALU_DEP_1)
	v_and_b32_e32 v3, s68, v3
	v_cmp_eq_u32_e32 vcc_lo, s67, v3
	s_and_b32 exec_lo, exec_lo, vcc_lo
	s_cbranch_execz .LBB120_174
; %bb.179:                              ;   in Loop: Header=BB120_175 Depth=2
	ds_store_b64 v7, v[13:14] offset:3072
	s_branch .LBB120_174
.LBB120_180:                            ;   in Loop: Header=BB120_21 Depth=1
                                        ; implicit-def: $sgpr19
                                        ; implicit-def: $sgpr21
                                        ; implicit-def: $sgpr20
	s_branch .LBB120_194
.LBB120_181:                            ;   in Loop: Header=BB120_21 Depth=1
	s_mov_b32 s19, -1
	s_mov_b32 s25, 0
                                        ; implicit-def: $sgpr20
                                        ; implicit-def: $vgpr15
	s_mov_b32 s21, s19
	s_cbranch_execnz .LBB120_184
	s_branch .LBB120_194
.LBB120_182:                            ;   in Loop: Header=BB120_21 Depth=1
	s_set_inst_prefetch_distance 0x2
	s_or_b32 exec_lo, exec_lo, s22
	s_delay_alu instid0(SALU_CYCLE_1)
	s_and_b32 s25, s25, exec_lo
.LBB120_183:                            ;   in Loop: Header=BB120_21 Depth=1
	s_or_b32 exec_lo, exec_lo, s20
	s_mov_b32 s20, -1
	s_mov_b32 s19, 0
	s_delay_alu instid0(SALU_CYCLE_1)
	s_mov_b32 s21, s19
	s_branch .LBB120_194
.LBB120_184:                            ;   in Loop: Header=BB120_21 Depth=1
	s_mov_b32 s25, 0
                                        ; implicit-def: $vgpr15
	s_and_saveexec_b32 s19, s6
	s_cbranch_execz .LBB120_193
; %bb.185:                              ;   in Loop: Header=BB120_21 Depth=1
	v_dual_mov_b32 v6, v5 :: v_dual_mov_b32 v1, v0
	s_mov_b32 s20, 0
                                        ; implicit-def: $sgpr21
	s_set_inst_prefetch_distance 0x1
	s_branch .LBB120_187
	.p2align	6
.LBB120_186:                            ;   in Loop: Header=BB120_187 Depth=2
	s_or_b32 exec_lo, exec_lo, s7
	s_waitcnt vmcnt(0) lgkmcnt(0)
	s_barrier
	buffer_gl0_inv
	ds_load_b64 v[14:15], v7 offset:3072
	v_add_nc_u32_e32 v1, s31, v1
	v_add_nc_u32_e32 v6, s44, v6
	s_waitcnt lgkmcnt(0)
	s_barrier
	buffer_gl0_inv
	v_cmp_le_u32_e32 vcc_lo, s57, v1
	v_cmp_neq_f32_e64 s7, 0, v14
	s_delay_alu instid0(VALU_DEP_1) | instskip(NEXT) | instid1(SALU_CYCLE_1)
	s_or_b32 s22, vcc_lo, s7
	s_and_b32 s22, exec_lo, s22
	s_delay_alu instid0(SALU_CYCLE_1) | instskip(SKIP_2) | instid1(SALU_CYCLE_1)
	s_or_b32 s20, s22, s20
	s_and_not1_b32 s21, s21, exec_lo
	s_and_b32 s7, s7, exec_lo
	s_or_b32 s21, s21, s7
	s_and_not1_b32 exec_lo, exec_lo, s20
	s_cbranch_execz .LBB120_192
.LBB120_187:                            ;   Parent Loop BB120_21 Depth=1
                                        ; =>  This Inner Loop Header: Depth=2
	s_delay_alu instid0(VALU_DEP_1)
	v_cmp_gt_u32_e32 vcc_lo, s28, v1
	v_mov_b32_e32 v14, 0
	s_and_saveexec_b32 s22, vcc_lo
	s_cbranch_execz .LBB120_189
; %bb.188:                              ;   in Loop: Header=BB120_187 Depth=2
	v_lshlrev_b64 v[2:3], 2, v[6:7]
	s_delay_alu instid0(VALU_DEP_1) | instskip(NEXT) | instid1(VALU_DEP_1)
	v_add_co_u32 v2, s7, s29, v2
	v_add_co_ci_u32_e64 v3, s7, s33, v3, s7
	global_load_b32 v14, v[2:3], off
.LBB120_189:                            ;   in Loop: Header=BB120_187 Depth=2
	s_or_b32 exec_lo, exec_lo, s22
	s_and_saveexec_b32 s7, vcc_lo
	s_cbranch_execz .LBB120_186
; %bb.190:                              ;   in Loop: Header=BB120_187 Depth=2
	s_waitcnt vmcnt(0)
	v_cmp_lt_i32_e32 vcc_lo, -1, v14
	v_cndmask_b32_e64 v2, -1, 0x80000000, vcc_lo
	v_cmp_o_f32_e32 vcc_lo, v14, v14
	s_delay_alu instid0(VALU_DEP_2) | instskip(NEXT) | instid1(VALU_DEP_1)
	v_xor_b32_e32 v2, v2, v14
	v_cndmask_b32_e32 v2, -1, v2, vcc_lo
	s_delay_alu instid0(VALU_DEP_1) | instskip(NEXT) | instid1(VALU_DEP_1)
	v_and_b32_e32 v2, s68, v2
	v_cmp_eq_u32_e32 vcc_lo, s67, v2
	s_and_b32 exec_lo, exec_lo, vcc_lo
	s_cbranch_execz .LBB120_186
; %bb.191:                              ;   in Loop: Header=BB120_187 Depth=2
	ds_store_b64 v7, v[13:14] offset:3072
	s_branch .LBB120_186
.LBB120_192:                            ;   in Loop: Header=BB120_21 Depth=1
	s_set_inst_prefetch_distance 0x2
	s_or_b32 exec_lo, exec_lo, s20
	s_delay_alu instid0(SALU_CYCLE_1)
	s_and_b32 s25, s21, exec_lo
.LBB120_193:                            ;   in Loop: Header=BB120_21 Depth=1
	s_or_b32 exec_lo, exec_lo, s19
	s_mov_b32 s21, -1
	s_mov_b32 s19, 0
	s_mov_b32 s20, 0
.LBB120_194:                            ;   in Loop: Header=BB120_21 Depth=1
	s_mov_b32 s26, 0
                                        ; implicit-def: $sgpr7
	s_and_saveexec_b32 s22, s25
	s_cbranch_execz .LBB120_249
; %bb.195:                              ;   in Loop: Header=BB120_21 Depth=1
	s_xor_b32 s7, s23, -1
	s_mov_b32 s25, 0
	s_and_not1_b32 vcc_lo, exec_lo, s7
	s_mov_b32 s23, 1
	s_cbranch_vccnz .LBB120_206
; %bb.196:                              ;   in Loop: Header=BB120_21 Depth=1
	s_cmp_gt_u32 s24, s14
	s_mov_b32 s25, -1
                                        ; implicit-def: $sgpr7
                                        ; implicit-def: $sgpr23
                                        ; implicit-def: $sgpr26
	s_cbranch_scc1 .LBB120_202
; %bb.197:                              ;   in Loop: Header=BB120_21 Depth=1
	ds_load_b32 v1, v7 offset:4104
	s_waitcnt lgkmcnt(0)
	v_cmp_ne_u32_e32 vcc_lo, 0, v1
	s_cbranch_vccnz .LBB120_201
; %bb.198:                              ;   in Loop: Header=BB120_21 Depth=1
	s_and_saveexec_b32 s7, s0
	s_cbranch_execz .LBB120_200
; %bb.199:                              ;   in Loop: Header=BB120_21 Depth=1
	v_mov_b32_e32 v1, s14
	ds_store_b32 v7, v1 offset:4108
.LBB120_200:                            ;   in Loop: Header=BB120_21 Depth=1
	s_or_b32 exec_lo, exec_lo, s7
	s_waitcnt lgkmcnt(0)
	s_barrier
	buffer_gl0_inv
.LBB120_201:                            ;   in Loop: Header=BB120_21 Depth=1
	s_lshl_b32 s7, 2, s16
	s_and_b32 s16, s67, s17
	s_or_b32 s26, s68, s9
	s_or_b32 s23, s16, s7
	s_mov_b32 s25, 0
	s_mov_b32 s7, 8
.LBB120_202:                            ;   in Loop: Header=BB120_21 Depth=1
	s_and_not1_b32 vcc_lo, exec_lo, s25
	s_cbranch_vccnz .LBB120_204
; %bb.203:                              ;   in Loop: Header=BB120_21 Depth=1
	s_sub_i32 s24, s24, s14
	s_mov_b32 s25, -1
	s_mov_b32 s7, 0
	s_mov_b32 s23, s67
	;; [unrolled: 1-line block ×3, first 2 shown]
.LBB120_204:                            ;   in Loop: Header=BB120_21 Depth=1
	s_delay_alu instid0(SALU_CYCLE_1)
	s_mov_b32 s68, s26
	s_mov_b32 s67, s23
	s_mov_b32 s23, s24
	s_and_not1_b32 vcc_lo, exec_lo, s25
	s_mov_b32 s69, -1
	s_cbranch_vccz .LBB120_207
.LBB120_205:                            ;   in Loop: Header=BB120_21 Depth=1
                                        ; implicit-def: $sgpr16
                                        ; implicit-def: $sgpr24
                                        ; implicit-def: $sgpr17
	s_branch .LBB120_248
.LBB120_206:                            ;   in Loop: Header=BB120_21 Depth=1
	s_mov_b32 s7, 1
	s_and_not1_b32 vcc_lo, exec_lo, s25
	s_mov_b32 s69, -1
	s_cbranch_vccnz .LBB120_205
.LBB120_207:                            ;   in Loop: Header=BB120_21 Depth=1
	s_cmp_eq_u32 s8, 1
	s_mov_b32 s25, -1
	s_cselect_b32 s7, -1, 0
	s_cmp_eq_u32 s23, 1
	s_cselect_b32 s14, -1, 0
	s_delay_alu instid0(SALU_CYCLE_1) | instskip(NEXT) | instid1(SALU_CYCLE_1)
	s_and_b32 s14, s7, s14
	s_and_b32 vcc_lo, exec_lo, s14
	s_cbranch_vccz .LBB120_219
; %bb.208:                              ;   in Loop: Header=BB120_21 Depth=1
	ds_load_b32 v1, v7 offset:4104
	s_waitcnt lgkmcnt(0)
	s_barrier
	buffer_gl0_inv
	v_readfirstlane_b32 s16, v1
	s_and_saveexec_b32 s7, s1
	s_cbranch_execz .LBB120_210
; %bb.209:                              ;   in Loop: Header=BB120_21 Depth=1
	ds_store_b32 v18, v7
.LBB120_210:                            ;   in Loop: Header=BB120_21 Depth=1
	s_or_b32 exec_lo, exec_lo, s7
	s_or_b32 s67, s67, s9
	s_or_b32 s68, s68, s9
	s_cmp_eq_u32 s16, 0
	s_waitcnt lgkmcnt(0)
	s_barrier
	buffer_gl0_inv
	s_cbranch_scc1 .LBB120_220
; %bb.211:                              ;   in Loop: Header=BB120_21 Depth=1
	s_add_i32 s7, s16, s46
	s_mov_b32 s25, 0
	s_mul_hi_u32 s17, s7, s55
                                        ; implicit-def: $vgpr15
	s_delay_alu instid0(SALU_CYCLE_1) | instskip(NEXT) | instid1(SALU_CYCLE_1)
	s_mul_i32 s17, s17, s31
	s_sub_i32 s17, s7, s17
	s_delay_alu instid0(SALU_CYCLE_1) | instskip(SKIP_2) | instid1(SALU_CYCLE_1)
	s_sub_i32 s24, s17, s31
	s_cmp_ge_u32 s17, s31
	s_cselect_b32 s17, s24, s17
	s_sub_i32 s24, s17, s31
	s_cmp_ge_u32 s17, s31
	s_cselect_b32 s17, s24, s17
	s_delay_alu instid0(SALU_CYCLE_1)
	s_sub_i32 s24, s7, s17
	s_mov_b32 s17, exec_lo
	v_cmpx_gt_u32_e64 s24, v0
	s_cbranch_execz .LBB120_222
; %bb.212:                              ;   in Loop: Header=BB120_21 Depth=1
	v_dual_mov_b32 v1, v17 :: v_dual_mov_b32 v2, v0
                                        ; implicit-def: $sgpr26
	s_set_inst_prefetch_distance 0x1
	s_branch .LBB120_214
	.p2align	6
.LBB120_213:                            ;   in Loop: Header=BB120_214 Depth=2
	s_or_b32 exec_lo, exec_lo, s7
	s_waitcnt lgkmcnt(0)
	s_barrier
	buffer_gl0_inv
	ds_load_b64 v[14:15], v7 offset:3072
	v_add_nc_u32_e32 v2, s31, v2
	v_add_nc_u32_e32 v1, s43, v1
	s_waitcnt lgkmcnt(0)
	s_barrier
	buffer_gl0_inv
	v_cmp_le_u32_e32 vcc_lo, s24, v2
	v_cmp_neq_f32_e64 s7, 0, v14
	s_delay_alu instid0(VALU_DEP_1) | instskip(NEXT) | instid1(SALU_CYCLE_1)
	s_or_b32 s69, vcc_lo, s7
	s_and_b32 s69, exec_lo, s69
	s_delay_alu instid0(SALU_CYCLE_1) | instskip(SKIP_2) | instid1(SALU_CYCLE_1)
	s_or_b32 s25, s69, s25
	s_and_not1_b32 s26, s26, exec_lo
	s_and_b32 s7, s7, exec_lo
	s_or_b32 s26, s26, s7
	s_and_not1_b32 exec_lo, exec_lo, s25
	s_cbranch_execz .LBB120_221
.LBB120_214:                            ;   Parent Loop BB120_21 Depth=1
                                        ; =>  This Inner Loop Header: Depth=2
	s_delay_alu instid0(VALU_DEP_1)
	v_cmp_gt_u32_e32 vcc_lo, s16, v2
	v_mov_b32_e32 v14, 0
	s_and_saveexec_b32 s7, vcc_lo
	s_cbranch_execz .LBB120_216
; %bb.215:                              ;   in Loop: Header=BB120_214 Depth=2
	ds_load_b32 v14, v1
.LBB120_216:                            ;   in Loop: Header=BB120_214 Depth=2
	s_or_b32 exec_lo, exec_lo, s7
	s_and_saveexec_b32 s7, vcc_lo
	s_cbranch_execz .LBB120_213
; %bb.217:                              ;   in Loop: Header=BB120_214 Depth=2
	s_waitcnt lgkmcnt(0)
	v_cmp_lt_i32_e32 vcc_lo, -1, v14
	v_cndmask_b32_e64 v3, -1, 0x80000000, vcc_lo
	v_cmp_o_f32_e32 vcc_lo, v14, v14
	s_delay_alu instid0(VALU_DEP_2) | instskip(NEXT) | instid1(VALU_DEP_1)
	v_xor_b32_e32 v3, v3, v14
	v_cndmask_b32_e32 v3, -1, v3, vcc_lo
	s_delay_alu instid0(VALU_DEP_1) | instskip(NEXT) | instid1(VALU_DEP_1)
	v_and_b32_e32 v3, s68, v3
	v_cmp_eq_u32_e32 vcc_lo, s67, v3
	s_and_b32 exec_lo, exec_lo, vcc_lo
	s_cbranch_execz .LBB120_213
; %bb.218:                              ;   in Loop: Header=BB120_214 Depth=2
	ds_store_b64 v7, v[13:14] offset:3072
	s_branch .LBB120_213
.LBB120_219:                            ;   in Loop: Header=BB120_21 Depth=1
                                        ; implicit-def: $sgpr16
                                        ; implicit-def: $sgpr24
                                        ; implicit-def: $sgpr17
	s_branch .LBB120_233
.LBB120_220:                            ;   in Loop: Header=BB120_21 Depth=1
	s_mov_b32 s16, -1
	s_mov_b32 s25, 0
                                        ; implicit-def: $sgpr17
                                        ; implicit-def: $vgpr15
	s_mov_b32 s24, s16
	s_cbranch_execnz .LBB120_223
	s_branch .LBB120_233
.LBB120_221:                            ;   in Loop: Header=BB120_21 Depth=1
	s_set_inst_prefetch_distance 0x2
	s_or_b32 exec_lo, exec_lo, s25
	s_delay_alu instid0(SALU_CYCLE_1)
	s_and_b32 s25, s26, exec_lo
.LBB120_222:                            ;   in Loop: Header=BB120_21 Depth=1
	s_or_b32 exec_lo, exec_lo, s17
	s_mov_b32 s17, -1
	s_mov_b32 s16, 0
	s_delay_alu instid0(SALU_CYCLE_1)
	s_mov_b32 s24, s16
	s_branch .LBB120_233
.LBB120_223:                            ;   in Loop: Header=BB120_21 Depth=1
	s_mov_b32 s25, 0
                                        ; implicit-def: $vgpr15
	s_and_saveexec_b32 s16, s6
	s_cbranch_execz .LBB120_232
; %bb.224:                              ;   in Loop: Header=BB120_21 Depth=1
	v_dual_mov_b32 v6, v5 :: v_dual_mov_b32 v1, v0
	s_mov_b32 s17, 0
                                        ; implicit-def: $sgpr24
	s_set_inst_prefetch_distance 0x1
	s_branch .LBB120_226
	.p2align	6
.LBB120_225:                            ;   in Loop: Header=BB120_226 Depth=2
	s_or_b32 exec_lo, exec_lo, s7
	s_waitcnt vmcnt(0) lgkmcnt(0)
	s_barrier
	buffer_gl0_inv
	ds_load_b64 v[14:15], v7 offset:3072
	v_add_nc_u32_e32 v1, s31, v1
	v_add_nc_u32_e32 v6, s44, v6
	s_waitcnt lgkmcnt(0)
	s_barrier
	buffer_gl0_inv
	v_cmp_le_u32_e32 vcc_lo, s57, v1
	v_cmp_neq_f32_e64 s7, 0, v14
	s_delay_alu instid0(VALU_DEP_1) | instskip(NEXT) | instid1(SALU_CYCLE_1)
	s_or_b32 s25, vcc_lo, s7
	s_and_b32 s25, exec_lo, s25
	s_delay_alu instid0(SALU_CYCLE_1) | instskip(SKIP_2) | instid1(SALU_CYCLE_1)
	s_or_b32 s17, s25, s17
	s_and_not1_b32 s24, s24, exec_lo
	s_and_b32 s7, s7, exec_lo
	s_or_b32 s24, s24, s7
	s_and_not1_b32 exec_lo, exec_lo, s17
	s_cbranch_execz .LBB120_231
.LBB120_226:                            ;   Parent Loop BB120_21 Depth=1
                                        ; =>  This Inner Loop Header: Depth=2
	s_delay_alu instid0(VALU_DEP_1)
	v_cmp_gt_u32_e32 vcc_lo, s28, v1
	v_mov_b32_e32 v14, 0
	s_and_saveexec_b32 s25, vcc_lo
	s_cbranch_execz .LBB120_228
; %bb.227:                              ;   in Loop: Header=BB120_226 Depth=2
	v_lshlrev_b64 v[2:3], 2, v[6:7]
	s_delay_alu instid0(VALU_DEP_1) | instskip(NEXT) | instid1(VALU_DEP_1)
	v_add_co_u32 v2, s7, s29, v2
	v_add_co_ci_u32_e64 v3, s7, s33, v3, s7
	global_load_b32 v14, v[2:3], off
.LBB120_228:                            ;   in Loop: Header=BB120_226 Depth=2
	s_or_b32 exec_lo, exec_lo, s25
	s_and_saveexec_b32 s7, vcc_lo
	s_cbranch_execz .LBB120_225
; %bb.229:                              ;   in Loop: Header=BB120_226 Depth=2
	s_waitcnt vmcnt(0)
	v_cmp_lt_i32_e32 vcc_lo, -1, v14
	v_cndmask_b32_e64 v2, -1, 0x80000000, vcc_lo
	v_cmp_o_f32_e32 vcc_lo, v14, v14
	s_delay_alu instid0(VALU_DEP_2) | instskip(NEXT) | instid1(VALU_DEP_1)
	v_xor_b32_e32 v2, v2, v14
	v_cndmask_b32_e32 v2, -1, v2, vcc_lo
	s_delay_alu instid0(VALU_DEP_1) | instskip(NEXT) | instid1(VALU_DEP_1)
	v_and_b32_e32 v2, s68, v2
	v_cmp_eq_u32_e32 vcc_lo, s67, v2
	s_and_b32 exec_lo, exec_lo, vcc_lo
	s_cbranch_execz .LBB120_225
; %bb.230:                              ;   in Loop: Header=BB120_226 Depth=2
	ds_store_b64 v7, v[13:14] offset:3072
	s_branch .LBB120_225
.LBB120_231:                            ;   in Loop: Header=BB120_21 Depth=1
	s_set_inst_prefetch_distance 0x2
	s_or_b32 exec_lo, exec_lo, s17
	s_delay_alu instid0(SALU_CYCLE_1)
	s_and_b32 s25, s24, exec_lo
.LBB120_232:                            ;   in Loop: Header=BB120_21 Depth=1
	s_or_b32 exec_lo, exec_lo, s16
	s_mov_b32 s24, -1
	s_mov_b32 s16, 0
	s_mov_b32 s17, 0
.LBB120_233:                            ;   in Loop: Header=BB120_21 Depth=1
	s_mov_b32 s69, 0
                                        ; implicit-def: $sgpr7
	s_and_saveexec_b32 s26, s25
	s_cbranch_execz .LBB120_247
; %bb.234:                              ;   in Loop: Header=BB120_21 Depth=1
	s_xor_b32 s7, s14, -1
	s_delay_alu instid0(SALU_CYCLE_1)
	s_and_not1_b32 vcc_lo, exec_lo, s7
	s_mov_b32 s7, 1
	s_cbranch_vccnz .LBB120_241
; %bb.235:                              ;   in Loop: Header=BB120_21 Depth=1
	s_cmp_gt_u32 s23, s8
	s_cbranch_scc1 .LBB120_242
; %bb.236:                              ;   in Loop: Header=BB120_21 Depth=1
	ds_load_b32 v1, v7 offset:4104
	s_waitcnt lgkmcnt(0)
	v_cmp_ne_u32_e32 vcc_lo, 0, v1
	s_cbranch_vccnz .LBB120_240
; %bb.237:                              ;   in Loop: Header=BB120_21 Depth=1
	s_and_saveexec_b32 s7, s0
	s_cbranch_execz .LBB120_239
; %bb.238:                              ;   in Loop: Header=BB120_21 Depth=1
	v_mov_b32_e32 v1, s8
	ds_store_b32 v7, v1 offset:4108
.LBB120_239:                            ;   in Loop: Header=BB120_21 Depth=1
	s_or_b32 exec_lo, exec_lo, s7
	s_waitcnt lgkmcnt(0)
	s_barrier
	buffer_gl0_inv
.LBB120_240:                            ;   in Loop: Header=BB120_21 Depth=1
	s_or_b32 s14, s67, s9
	s_or_b32 s9, s68, s9
	s_mov_b32 s25, 0
	s_mov_b32 s7, 8
	s_branch .LBB120_243
.LBB120_241:                            ;   in Loop: Header=BB120_21 Depth=1
	s_mov_b32 s23, 1
	s_branch .LBB120_246
.LBB120_242:                            ;   in Loop: Header=BB120_21 Depth=1
	s_mov_b32 s25, -1
                                        ; implicit-def: $sgpr7
                                        ; implicit-def: $sgpr14
                                        ; implicit-def: $sgpr9
.LBB120_243:                            ;   in Loop: Header=BB120_21 Depth=1
	s_delay_alu instid0(SALU_CYCLE_1)
	s_and_not1_b32 vcc_lo, exec_lo, s25
	s_cbranch_vccnz .LBB120_245
; %bb.244:                              ;   in Loop: Header=BB120_21 Depth=1
	s_sub_i32 s23, s23, s8
	s_mov_b32 s7, 8
	s_mov_b32 s14, s67
	;; [unrolled: 1-line block ×3, first 2 shown]
.LBB120_245:                            ;   in Loop: Header=BB120_21 Depth=1
	s_mov_b32 s67, s14
	s_mov_b32 s68, s9
.LBB120_246:                            ;   in Loop: Header=BB120_21 Depth=1
	s_mov_b32 s69, exec_lo
.LBB120_247:                            ;   in Loop: Header=BB120_21 Depth=1
	s_or_b32 exec_lo, exec_lo, s26
.LBB120_248:                            ;   in Loop: Header=BB120_21 Depth=1
	s_delay_alu instid0(SALU_CYCLE_1)
	s_and_not1_b32 s8, s19, exec_lo
	s_and_b32 s9, s16, exec_lo
	s_and_not1_b32 s14, s20, exec_lo
	s_or_b32 s19, s8, s9
	s_and_not1_b32 s8, s21, exec_lo
	s_and_b32 s9, s24, exec_lo
	s_and_b32 s16, s17, exec_lo
	s_or_b32 s21, s8, s9
	s_or_b32 s20, s14, s16
	s_and_b32 s26, s69, exec_lo
	s_mov_b32 s24, s23
.LBB120_249:                            ;   in Loop: Header=BB120_21 Depth=1
	s_or_b32 exec_lo, exec_lo, s22
.LBB120_250:                            ;   in Loop: Header=BB120_21 Depth=1
	s_delay_alu instid0(SALU_CYCLE_1)
	s_and_not1_b32 s8, s13, exec_lo
	s_and_b32 s9, s19, exec_lo
	s_and_not1_b32 s12, s12, exec_lo
	s_or_b32 s13, s8, s9
	s_and_not1_b32 s8, s15, exec_lo
	s_and_b32 s9, s21, exec_lo
	s_and_b32 s14, s20, exec_lo
	s_or_b32 s15, s8, s9
	s_or_b32 s12, s12, s14
	s_and_b32 s23, s26, exec_lo
	s_mov_b32 s20, s24
.LBB120_251:                            ;   in Loop: Header=BB120_21 Depth=1
	s_or_b32 exec_lo, exec_lo, s18
                                        ; implicit-def: $sgpr69
	s_and_saveexec_b32 s8, s23
	s_delay_alu instid0(SALU_CYCLE_1)
	s_xor_b32 s8, exec_lo, s8
	s_cbranch_execz .LBB120_19
.LBB120_252:                            ;   in Loop: Header=BB120_21 Depth=1
	s_and_b32 s7, s7, -9
	s_delay_alu instid0(SALU_CYCLE_1)
	s_cmp_eq_u32 s7, 0
	s_cbranch_scc1 .LBB120_17
; %bb.253:                              ;   in Loop: Header=BB120_21 Depth=1
	s_mov_b32 s7, -1
	s_mov_b32 s9, -1
                                        ; implicit-def: $sgpr68
                                        ; implicit-def: $sgpr20
                                        ; implicit-def: $sgpr62
                                        ; implicit-def: $sgpr65
	s_branch .LBB120_18
.LBB120_254:
	s_or_b32 exec_lo, exec_lo, s42
	s_xor_b32 s4, s61, -1
	s_xor_b32 s3, s59, -1
	;; [unrolled: 1-line block ×3, first 2 shown]
	s_mov_b32 s0, 0
	s_and_saveexec_b32 s5, s3
	s_delay_alu instid0(SALU_CYCLE_1)
	s_xor_b32 s3, exec_lo, s5
	s_cbranch_execz .LBB120_268
; %bb.255:
	s_and_saveexec_b32 s0, s4
	s_delay_alu instid0(SALU_CYCLE_1)
	s_xor_b32 s4, exec_lo, s0
	s_cbranch_execz .LBB120_266
; %bb.256:
	s_and_saveexec_b32 s0, s1
	s_delay_alu instid0(SALU_CYCLE_1)
	s_xor_b32 s0, exec_lo, s0
; %bb.257:
	v_cmp_lt_i32_e32 vcc_lo, -1, v1
	v_cndmask_b32_e64 v2, 0x80000000, -1, vcc_lo
	s_delay_alu instid0(VALU_DEP_1)
	v_xor_b32_e32 v15, v2, v1
; %bb.258:
	s_or_b32 exec_lo, exec_lo, s0
	s_mul_i32 s0, s41, s27
	s_mov_b32 s1, 0
	v_mov_b32_e32 v6, 0
	s_lshl_b64 s[6:7], s[0:1], 2
	s_delay_alu instid0(SALU_CYCLE_1)
	s_add_u32 s6, s36, s6
	s_addc_u32 s7, s37, s7
	global_store_b32 v6, v15, s[6:7]
	s_and_saveexec_b32 s5, s2
	s_cbranch_execz .LBB120_265
; %bb.259:
	v_cmp_u_f32_e32 vcc_lo, v15, v15
                                        ; implicit-def: $sgpr2
                                        ; implicit-def: $sgpr8
                                        ; implicit-def: $sgpr7
	s_xor_b32 s6, vcc_lo, -1
	s_set_inst_prefetch_distance 0x1
	s_branch .LBB120_261
	.p2align	6
.LBB120_260:                            ;   in Loop: Header=BB120_261 Depth=1
	s_or_b32 exec_lo, exec_lo, s0
	s_delay_alu instid0(SALU_CYCLE_1) | instskip(NEXT) | instid1(SALU_CYCLE_1)
	s_and_b32 s0, exec_lo, s8
	s_or_b32 s1, s0, s1
	s_and_not1_b32 s0, s2, exec_lo
	s_and_b32 s2, s7, exec_lo
	s_delay_alu instid0(SALU_CYCLE_1)
	s_or_b32 s2, s0, s2
	s_and_not1_b32 exec_lo, exec_lo, s1
	s_cbranch_execz .LBB120_263
.LBB120_261:                            ; =>This Inner Loop Header: Depth=1
	v_lshlrev_b64 v[1:2], 2, v[5:6]
	s_or_b32 s7, s7, exec_lo
	s_or_b32 s8, s8, exec_lo
	s_delay_alu instid0(VALU_DEP_1) | instskip(NEXT) | instid1(VALU_DEP_2)
	v_add_co_u32 v1, vcc_lo, s29, v1
	v_add_co_ci_u32_e32 v2, vcc_lo, s33, v2, vcc_lo
	global_load_b32 v1, v[1:2], off
	s_waitcnt vmcnt(0)
	v_cmp_o_f32_e32 vcc_lo, v1, v1
	v_cmp_neq_f32_e64 s0, v1, v15
	v_mov_b32_e32 v1, v0
                                        ; implicit-def: $vgpr0
	s_or_b32 s9, vcc_lo, s6
	s_delay_alu instid0(VALU_DEP_2) | instid1(SALU_CYCLE_1)
	s_and_b32 s9, s0, s9
	s_delay_alu instid0(SALU_CYCLE_1)
	s_and_saveexec_b32 s0, s9
	s_cbranch_execz .LBB120_260
; %bb.262:                              ;   in Loop: Header=BB120_261 Depth=1
	v_add_nc_u32_e32 v0, s31, v1
	s_and_not1_b32 s8, s8, exec_lo
	v_add_nc_u32_e32 v5, s44, v5
	s_and_not1_b32 s7, s7, exec_lo
	s_delay_alu instid0(VALU_DEP_2) | instskip(SKIP_1) | instid1(SALU_CYCLE_1)
	v_cmp_le_u32_e32 vcc_lo, s28, v0
	s_and_b32 s9, vcc_lo, exec_lo
	s_or_b32 s8, s8, s9
	s_branch .LBB120_260
.LBB120_263:
	s_set_inst_prefetch_distance 0x2
	s_or_b32 exec_lo, exec_lo, s1
	s_and_saveexec_b32 s0, s2
	s_delay_alu instid0(SALU_CYCLE_1)
	s_xor_b32 s0, exec_lo, s0
	s_cbranch_execz .LBB120_265
; %bb.264:
	s_mul_i32 s0, s40, s27
	s_mov_b32 s1, 0
	v_mov_b32_e32 v2, 0
	s_lshl_b64 s[0:1], s[0:1], 3
	s_delay_alu instid0(SALU_CYCLE_1)
	s_add_u32 s0, s34, s0
	s_addc_u32 s1, s35, s1
	global_store_b64 v2, v[1:2], s[0:1]
.LBB120_265:
	s_or_b32 exec_lo, exec_lo, s5
.LBB120_266:
	s_or_saveexec_b32 s0, s4
	s_mov_b32 s1, 0
	s_xor_b32 exec_lo, exec_lo, s0
	s_cbranch_execnz .LBB120_274
.LBB120_267:
	s_or_b32 exec_lo, exec_lo, s0
	s_delay_alu instid0(SALU_CYCLE_1)
	s_and_b32 s0, s1, exec_lo
.LBB120_268:
	s_and_not1_saveexec_b32 s1, s3
	s_cbranch_execnz .LBB120_272
; %bb.269:
	s_or_b32 exec_lo, exec_lo, s1
	s_and_saveexec_b32 s1, s0
.LBB120_270:
	; divergent unreachable
.LBB120_271:
	s_nop 0
	s_sendmsg sendmsg(MSG_DEALLOC_VGPRS)
	s_endpgm
.LBB120_272:
	s_cbranch_execnz .LBB120_276
; %bb.273:
	s_or_b32 s0, s0, exec_lo
	s_or_b32 exec_lo, exec_lo, s1
	s_and_saveexec_b32 s1, s0
	s_cbranch_execnz .LBB120_270
	s_branch .LBB120_271
.LBB120_274:
	s_cbranch_execnz .LBB120_278
; %bb.275:
	s_mov_b32 s1, exec_lo
	s_branch .LBB120_267
.LBB120_276:
	s_trap 2
	s_sendmsg_rtn_b32 s0, sendmsg(MSG_RTN_GET_DOORBELL)
	s_mov_b32 ttmp2, m0
	s_waitcnt lgkmcnt(0)
	s_and_b32 s0, s0, 0x3ff
	s_delay_alu instid0(SALU_CYCLE_1) | instskip(NEXT) | instid1(SALU_CYCLE_1)
	s_bitset1_b32 s0, 10
	s_mov_b32 m0, s0
	s_sendmsg sendmsg(MSG_INTERRUPT)
	s_mov_b32 m0, ttmp2
.LBB120_277:                            ; =>This Inner Loop Header: Depth=1
	s_sethalt 5
	s_branch .LBB120_277
.LBB120_278:
	s_trap 2
	s_sendmsg_rtn_b32 s0, sendmsg(MSG_RTN_GET_DOORBELL)
	s_mov_b32 ttmp2, m0
	s_waitcnt lgkmcnt(0)
	s_and_b32 s0, s0, 0x3ff
	s_delay_alu instid0(SALU_CYCLE_1) | instskip(NEXT) | instid1(SALU_CYCLE_1)
	s_bitset1_b32 s0, 10
	s_mov_b32 m0, s0
	s_sendmsg sendmsg(MSG_INTERRUPT)
	s_mov_b32 m0, ttmp2
.LBB120_279:                            ; =>This Inner Loop Header: Depth=1
	s_sethalt 5
	s_branch .LBB120_279
	.section	.rodata,"a",@progbits
	.p2align	6, 0x0
	.amdhsa_kernel _ZN2at6native12_GLOBAL__N_112gatherMedianIfjLi1EEEvNS_4cuda6detail10TensorInfoIT_T0_EENS5_IlS7_EENS5_IKS6_S7_EES7_S7_S7_b
		.amdhsa_group_segment_fixed_size 4120
		.amdhsa_private_segment_fixed_size 0
		.amdhsa_kernarg_size 920
		.amdhsa_user_sgpr_count 13
		.amdhsa_user_sgpr_dispatch_ptr 0
		.amdhsa_user_sgpr_queue_ptr 0
		.amdhsa_user_sgpr_kernarg_segment_ptr 1
		.amdhsa_user_sgpr_dispatch_id 0
		.amdhsa_user_sgpr_private_segment_size 0
		.amdhsa_wavefront_size32 1
		.amdhsa_uses_dynamic_stack 0
		.amdhsa_enable_private_segment 0
		.amdhsa_system_sgpr_workgroup_id_x 1
		.amdhsa_system_sgpr_workgroup_id_y 1
		.amdhsa_system_sgpr_workgroup_id_z 1
		.amdhsa_system_sgpr_workgroup_info 0
		.amdhsa_system_vgpr_workitem_id 0
		.amdhsa_next_free_vgpr 40
		.amdhsa_next_free_sgpr 79
		.amdhsa_reserve_vcc 1
		.amdhsa_float_round_mode_32 0
		.amdhsa_float_round_mode_16_64 0
		.amdhsa_float_denorm_mode_32 3
		.amdhsa_float_denorm_mode_16_64 3
		.amdhsa_dx10_clamp 1
		.amdhsa_ieee_mode 1
		.amdhsa_fp16_overflow 0
		.amdhsa_workgroup_processor_mode 1
		.amdhsa_memory_ordered 1
		.amdhsa_forward_progress 0
		.amdhsa_shared_vgpr_count 0
		.amdhsa_exception_fp_ieee_invalid_op 0
		.amdhsa_exception_fp_denorm_src 0
		.amdhsa_exception_fp_ieee_div_zero 0
		.amdhsa_exception_fp_ieee_overflow 0
		.amdhsa_exception_fp_ieee_underflow 0
		.amdhsa_exception_fp_ieee_inexact 0
		.amdhsa_exception_int_div_zero 0
	.end_amdhsa_kernel
	.section	.text._ZN2at6native12_GLOBAL__N_112gatherMedianIfjLi1EEEvNS_4cuda6detail10TensorInfoIT_T0_EENS5_IlS7_EENS5_IKS6_S7_EES7_S7_S7_b,"axG",@progbits,_ZN2at6native12_GLOBAL__N_112gatherMedianIfjLi1EEEvNS_4cuda6detail10TensorInfoIT_T0_EENS5_IlS7_EENS5_IKS6_S7_EES7_S7_S7_b,comdat
.Lfunc_end120:
	.size	_ZN2at6native12_GLOBAL__N_112gatherMedianIfjLi1EEEvNS_4cuda6detail10TensorInfoIT_T0_EENS5_IlS7_EENS5_IKS6_S7_EES7_S7_S7_b, .Lfunc_end120-_ZN2at6native12_GLOBAL__N_112gatherMedianIfjLi1EEEvNS_4cuda6detail10TensorInfoIT_T0_EENS5_IlS7_EENS5_IKS6_S7_EES7_S7_S7_b
                                        ; -- End function
	.section	.AMDGPU.csdata,"",@progbits
; Kernel info:
; codeLenInByte = 10324
; NumSgprs: 81
; NumVgprs: 40
; ScratchSize: 0
; MemoryBound: 0
; FloatMode: 240
; IeeeMode: 1
; LDSByteSize: 4120 bytes/workgroup (compile time only)
; SGPRBlocks: 10
; VGPRBlocks: 4
; NumSGPRsForWavesPerEU: 81
; NumVGPRsForWavesPerEU: 40
; Occupancy: 16
; WaveLimiterHint : 1
; COMPUTE_PGM_RSRC2:SCRATCH_EN: 0
; COMPUTE_PGM_RSRC2:USER_SGPR: 13
; COMPUTE_PGM_RSRC2:TRAP_HANDLER: 0
; COMPUTE_PGM_RSRC2:TGID_X_EN: 1
; COMPUTE_PGM_RSRC2:TGID_Y_EN: 1
; COMPUTE_PGM_RSRC2:TGID_Z_EN: 1
; COMPUTE_PGM_RSRC2:TIDIG_COMP_CNT: 0
	.section	.text._ZN2at6native12_GLOBAL__N_112gatherMedianIfjLi2EEEvNS_4cuda6detail10TensorInfoIT_T0_EENS5_IlS7_EENS5_IKS6_S7_EES7_S7_S7_b,"axG",@progbits,_ZN2at6native12_GLOBAL__N_112gatherMedianIfjLi2EEEvNS_4cuda6detail10TensorInfoIT_T0_EENS5_IlS7_EENS5_IKS6_S7_EES7_S7_S7_b,comdat
	.globl	_ZN2at6native12_GLOBAL__N_112gatherMedianIfjLi2EEEvNS_4cuda6detail10TensorInfoIT_T0_EENS5_IlS7_EENS5_IKS6_S7_EES7_S7_S7_b ; -- Begin function _ZN2at6native12_GLOBAL__N_112gatherMedianIfjLi2EEEvNS_4cuda6detail10TensorInfoIT_T0_EENS5_IlS7_EENS5_IKS6_S7_EES7_S7_S7_b
	.p2align	8
	.type	_ZN2at6native12_GLOBAL__N_112gatherMedianIfjLi2EEEvNS_4cuda6detail10TensorInfoIT_T0_EENS5_IlS7_EENS5_IKS6_S7_EES7_S7_S7_b,@function
_ZN2at6native12_GLOBAL__N_112gatherMedianIfjLi2EEEvNS_4cuda6detail10TensorInfoIT_T0_EENS5_IlS7_EENS5_IKS6_S7_EES7_S7_S7_b: ; @_ZN2at6native12_GLOBAL__N_112gatherMedianIfjLi2EEEvNS_4cuda6detail10TensorInfoIT_T0_EENS5_IlS7_EENS5_IKS6_S7_EES7_S7_S7_b
; %bb.0:
	s_clause 0x1
	s_load_b64 s[8:9], s[0:1], 0x298
	s_load_b128 s[28:31], s[0:1], 0x288
	s_add_u32 s6, s0, 0x298
	s_addc_u32 s7, s1, 0
	s_waitcnt lgkmcnt(0)
	s_mul_i32 s2, s9, s15
	s_delay_alu instid0(SALU_CYCLE_1) | instskip(NEXT) | instid1(SALU_CYCLE_1)
	s_add_i32 s2, s2, s14
	s_mul_i32 s27, s2, s8
	s_delay_alu instid0(SALU_CYCLE_1) | instskip(NEXT) | instid1(SALU_CYCLE_1)
	s_add_i32 s27, s27, s13
	s_cmp_ge_u32 s27, s29
	s_cbranch_scc1 .LBB121_271
; %bb.1:
	s_clause 0x8
	s_load_b32 s46, s[0:1], 0xc
	s_load_b32 s2, s[0:1], 0x1bc
	;; [unrolled: 1-line block ×3, first 2 shown]
	s_load_b64 s[4:5], s[0:1], 0x1b0
	s_load_b64 s[10:11], s[0:1], 0x21c
	;; [unrolled: 1-line block ×6, first 2 shown]
	v_mul_lo_u32 v5, v0, s30
	s_waitcnt lgkmcnt(0)
	v_cvt_f32_u32_e32 v1, s46
	v_cvt_f32_u32_e32 v2, s2
	;; [unrolled: 1-line block ×3, first 2 shown]
	s_sub_i32 s16, 0, s2
	s_sub_i32 s3, 0, s46
	v_rcp_iflag_f32_e32 v1, v1
	v_rcp_iflag_f32_e32 v2, v2
	;; [unrolled: 1-line block ×3, first 2 shown]
	s_sub_i32 s15, 0, s29
	s_waitcnt_depctr 0xfff
	v_dual_mul_f32 v1, 0x4f7ffffe, v1 :: v_dual_mul_f32 v2, 0x4f7ffffe, v2
	v_mul_f32_e32 v3, 0x4f7ffffe, v3
	s_delay_alu instid0(VALU_DEP_2) | instskip(NEXT) | instid1(VALU_DEP_3)
	v_cvt_u32_f32_e32 v1, v1
	v_cvt_u32_f32_e32 v2, v2
	s_delay_alu instid0(VALU_DEP_3) | instskip(NEXT) | instid1(VALU_DEP_3)
	v_cvt_u32_f32_e32 v3, v3
	v_readfirstlane_b32 s9, v1
	s_delay_alu instid0(VALU_DEP_3) | instskip(NEXT) | instid1(VALU_DEP_3)
	v_readfirstlane_b32 s12, v2
	v_readfirstlane_b32 s14, v3
	v_mov_b32_e32 v3, 0
	s_delay_alu instid0(VALU_DEP_4) | instskip(NEXT) | instid1(VALU_DEP_3)
	s_mul_i32 s3, s3, s9
	s_mul_i32 s16, s16, s12
	s_mul_hi_u32 s3, s9, s3
	s_mul_hi_u32 s16, s12, s16
	s_mul_i32 s15, s15, s14
	s_add_i32 s12, s12, s16
	s_add_i32 s9, s9, s3
	s_mul_hi_u32 s12, s27, s12
	s_mul_hi_u32 s15, s14, s15
	s_mul_i32 s3, s12, s2
	s_add_i32 s14, s14, s15
	s_sub_i32 s3, s27, s3
	s_add_i32 s15, s12, 1
	s_sub_i32 s16, s3, s2
	s_cmp_ge_u32 s3, s2
	s_mul_hi_u32 s47, s27, s9
	s_cselect_b32 s0, s15, s12
	s_cselect_b32 s1, s16, s3
	s_add_i32 s3, s0, 1
	s_cmp_ge_u32 s1, s2
	s_mul_hi_u32 s33, s27, s14
	s_cselect_b32 s1, s3, s0
	s_mov_b32 s3, 0
	s_mul_i32 s2, s1, s2
	s_mul_i32 s1, s1, s10
	s_sub_i32 s2, s27, s2
	v_cmp_gt_u32_e64 s0, s28, v0
	s_mul_i32 s2, s2, s11
	s_delay_alu instid0(SALU_CYCLE_1) | instskip(NEXT) | instid1(SALU_CYCLE_1)
	s_add_i32 s2, s1, s2
	s_lshl_b64 s[10:11], s[2:3], 2
	s_delay_alu instid0(SALU_CYCLE_1)
	s_add_u32 s44, s4, s10
	s_addc_u32 s45, s5, s11
	s_and_saveexec_b32 s2, s0
	s_cbranch_execz .LBB121_5
; %bb.2:
	s_load_b32 s1, s[6:7], 0xc
	v_mul_lo_u32 v1, v0, s30
	v_dual_mov_b32 v3, 0 :: v_dual_mov_b32 v2, 0
	v_mov_b32_e32 v4, v0
	s_waitcnt lgkmcnt(0)
	s_and_b32 s4, s1, 0xffff
	s_delay_alu instid0(SALU_CYCLE_1)
	s_mul_i32 s5, s30, s4
	.p2align	6
.LBB121_3:                              ; =>This Inner Loop Header: Depth=1
	s_delay_alu instid0(VALU_DEP_3) | instskip(SKIP_2) | instid1(VALU_DEP_3)
	v_lshlrev_b64 v[6:7], 2, v[1:2]
	v_add_nc_u32_e32 v4, s4, v4
	v_add_nc_u32_e32 v1, s5, v1
	v_add_co_u32 v6, vcc_lo, s44, v6
	s_delay_alu instid0(VALU_DEP_4) | instskip(NEXT) | instid1(VALU_DEP_4)
	v_add_co_ci_u32_e32 v7, vcc_lo, s45, v7, vcc_lo
	v_cmp_le_u32_e32 vcc_lo, s28, v4
	global_load_b32 v6, v[6:7], off
	s_or_b32 s3, vcc_lo, s3
	s_waitcnt vmcnt(0)
	v_cmp_u_f32_e64 s1, v6, v6
	s_delay_alu instid0(VALU_DEP_1)
	v_add_co_ci_u32_e64 v3, s1, 0, v3, s1
	s_and_not1_b32 exec_lo, exec_lo, s3
	s_cbranch_execnz .LBB121_3
; %bb.4:
	s_or_b32 exec_lo, exec_lo, s3
.LBB121_5:
	s_delay_alu instid0(SALU_CYCLE_1) | instskip(SKIP_1) | instid1(VALU_DEP_1)
	s_or_b32 exec_lo, exec_lo, s2
	v_cmp_eq_u32_e64 s1, 0, v0
	s_and_saveexec_b32 s2, s1
	s_cbranch_execz .LBB121_7
; %bb.6:
	v_mov_b32_e32 v1, 0
	s_delay_alu instid0(VALU_DEP_1)
	v_mov_b32_e32 v2, v1
	ds_store_b64 v1, v[1:2] offset:4096
.LBB121_7:
	s_or_b32 exec_lo, exec_lo, s2
	s_delay_alu instid0(SALU_CYCLE_1)
	s_mov_b32 s4, exec_lo
	s_waitcnt lgkmcnt(0)
	s_barrier
	buffer_gl0_inv
	v_cmpx_ne_u32_e32 0, v3
	s_cbranch_execz .LBB121_12
; %bb.8:
	v_mov_b32_e32 v1, 0
	s_mov_b32 s5, exec_lo
	s_mov_b64 s[2:3], 0
.LBB121_9:                              ; =>This Inner Loop Header: Depth=1
	s_ctz_i32_b32 s9, s5
	s_delay_alu instid0(SALU_CYCLE_1) | instskip(SKIP_1) | instid1(VALU_DEP_2)
	v_readlane_b32 s10, v3, s9
	v_readlane_b32 s11, v1, s9
	s_add_u32 s2, s2, s10
	s_delay_alu instid0(VALU_DEP_1) | instskip(SKIP_1) | instid1(SALU_CYCLE_1)
	s_addc_u32 s3, s3, s11
	s_lshl_b32 s9, 1, s9
	s_and_not1_b32 s5, s5, s9
	s_delay_alu instid0(SALU_CYCLE_1)
	s_cmp_lg_u32 s5, 0
	s_cbranch_scc1 .LBB121_9
; %bb.10:
	v_mbcnt_lo_u32_b32 v1, exec_lo, 0
	s_mov_b32 s5, exec_lo
	s_delay_alu instid0(VALU_DEP_1)
	v_cmpx_eq_u32_e32 0, v1
	s_xor_b32 s5, exec_lo, s5
	s_cbranch_execz .LBB121_12
; %bb.11:
	v_mov_b32_e32 v1, s2
	v_dual_mov_b32 v3, 0 :: v_dual_mov_b32 v2, s3
	ds_add_u64 v3, v[1:2] offset:4096
.LBB121_12:
	s_or_b32 exec_lo, exec_lo, s4
	v_mov_b32_e32 v1, 0
	s_waitcnt lgkmcnt(0)
	s_barrier
	buffer_gl0_inv
	s_bitcmp1_b32 s31, 0
	ds_load_b64 v[1:2], v1 offset:4096
	s_cselect_b32 s2, -1, 0
	s_mov_b32 s75, s28
	s_waitcnt lgkmcnt(0)
	v_cmp_gt_i64_e32 vcc_lo, 1, v[1:2]
	s_or_b32 s2, s2, vcc_lo
	s_delay_alu instid0(SALU_CYCLE_1)
	s_and_not1_b32 vcc_lo, exec_lo, s2
	s_cbranch_vccnz .LBB121_14
; %bb.13:
	v_not_b32_e32 v1, v1
	v_not_b32_e32 v2, v2
	s_delay_alu instid0(VALU_DEP_2) | instskip(NEXT) | instid1(VALU_DEP_2)
	v_add_co_u32 v1, vcc_lo, v1, s28
	v_add_co_ci_u32_e32 v2, vcc_lo, 0, v2, vcc_lo
	s_delay_alu instid0(VALU_DEP_1) | instskip(NEXT) | instid1(VALU_DEP_1)
	v_lshrrev_b32_e32 v3, 31, v2
	v_add_co_u32 v1, vcc_lo, v1, v3
	v_add_co_ci_u32_e32 v2, vcc_lo, 0, v2, vcc_lo
	s_delay_alu instid0(VALU_DEP_1) | instskip(NEXT) | instid1(VALU_DEP_1)
	v_alignbit_b32 v1, v2, v1, 1
	v_readfirstlane_b32 s2, v1
	s_delay_alu instid0(VALU_DEP_1)
	s_add_i32 s75, s2, 1
.LBB121_14:
	s_and_saveexec_b32 s2, s1
	s_cbranch_execz .LBB121_16
; %bb.15:
	v_dual_mov_b32 v1, 0 :: v_dual_mov_b32 v2, s28
	ds_store_b32 v1, v1 offset:4112
	ds_store_b64 v1, v[1:2] offset:4104
.LBB121_16:
	s_or_b32 exec_lo, exec_lo, s2
	s_waitcnt lgkmcnt(0)
	s_barrier
	buffer_gl0_inv
	s_load_b32 s5, s[6:7], 0xc
	v_mbcnt_lo_u32_b32 v16, -1, 0
	v_cmp_gt_u32_e32 vcc_lo, 32, v0
	v_lshrrev_b32_e32 v1, 3, v0
	v_mov_b32_e32 v7, 0
	v_lshlrev_b32_e32 v17, 2, v0
	v_cmp_gt_i32_e64 s4, 4, v16
	v_cmp_gt_u32_e64 s2, 2, v0
	s_delay_alu instid0(VALU_DEP_4) | instskip(NEXT) | instid1(VALU_DEP_4)
	v_dual_mov_b32 v6, v7 :: v_dual_and_b32 v19, 0x7c, v1
	v_add_nc_u32_e32 v18, 0xc00, v17
	s_delay_alu instid0(VALU_DEP_4)
	s_and_b32 s51, vcc_lo, s4
	v_or_b32_e32 v4, 2, v17
	v_or_b32_e32 v13, 3, v17
	v_cmp_eq_u32_e64 s3, 0, v16
	v_lshlrev_b32_e32 v26, 4, v0
	v_lshl_or_b32 v27, v16, 2, 0xc00
	v_mul_lo_u32 v20, s30, v4
	v_mul_lo_u32 v23, s30, v13
	v_mov_b32_e32 v13, 1.0
	s_waitcnt lgkmcnt(0)
	s_and_b32 s31, s5, 0xffff
	s_bfe_u32 s4, s5, 0xb0005
	s_lshl_b32 s50, s31, 2
	s_add_i32 s52, s31, -1
	v_cvt_f32_u32_e32 v2, s50
	s_add_i32 s9, s52, s28
	s_cmpk_gt_u32 s28, 0x300
	v_mad_u64_u32 v[8:9], null, s30, v17, s[30:31]
	s_delay_alu instid0(VALU_DEP_2)
	v_rcp_iflag_f32_e32 v2, v2
	s_cselect_b32 s53, -1, 0
	s_cmp_gt_u32 s31, 31
	v_mov_b32_e32 v15, 0
	s_cselect_b32 s54, -1, 0
	s_cmp_lt_u32 s13, s8
	s_mul_i32 s49, s30, s31
	s_cselect_b32 s5, 12, 18
	s_mov_b32 s48, 0
	s_add_u32 s42, s6, s5
	s_waitcnt_depctr 0xfff
	v_mul_f32_e32 v1, 0x4f7ffffe, v2
	s_addc_u32 s43, s7, 0
	s_add_i32 s5, s4, -1
	s_bfe_u32 s55, s31, 0x30005
	v_cvt_f32_u32_e32 v2, s31
	v_cvt_u32_f32_e32 v1, v1
	s_cmp_gt_u32 s5, 6
	s_mov_b32 s68, 30
	s_cselect_b32 s56, -1, 0
	s_and_b32 s57, s4, 0x7f8
	v_readfirstlane_b32 s4, v1
	s_cmp_lg_u32 s55, 0
	v_rcp_iflag_f32_e32 v3, v2
	s_cselect_b32 s58, -1, 0
	s_sub_i32 s5, 0, s50
	v_lshlrev_b64 v[1:2], v16, -1
	s_mul_i32 s5, s5, s4
	v_lshlrev_b32_e32 v24, 2, v5
	s_mul_hi_u32 s5, s4, s5
	s_mov_b32 s71, 0
	s_add_i32 s59, s4, s5
	v_not_b32_e32 v21, v1
	s_mul_hi_u32 s4, s28, s59
	s_waitcnt_depctr 0xfff
	v_mul_f32_e32 v9, 0x4f7ffffe, v3
	s_mul_i32 s4, s4, s50
	v_lshlrev_b64 v[2:3], 2, v[5:6]
	s_sub_i32 s4, s28, s4
	v_add3_u32 v1, s31, s28, v0
	v_cvt_u32_f32_e32 v6, v9
	s_sub_i32 s5, s4, s50
	s_cmp_ge_u32 s4, s50
	v_add_co_u32 v9, vcc_lo, s44, v2
	s_cselect_b32 s4, s5, s4
	v_readfirstlane_b32 s5, v6
	s_sub_i32 s6, s4, s50
	s_cmp_ge_u32 s4, s50
	v_add_co_ci_u32_e32 v10, vcc_lo, s45, v3, vcc_lo
	s_cselect_b32 s4, s6, s4
	s_sub_i32 s6, 0, s31
	s_sub_i32 s60, s28, s4
	s_mul_i32 s6, s6, s5
	v_add_nc_u32_e32 v22, s60, v0
	s_mul_hi_u32 s6, s5, s6
	v_subrev_nc_u32_e32 v3, s4, v1
	s_add_i32 s61, s5, s6
	v_cmp_gt_u32_e64 s4, s60, v17
	s_mul_hi_u32 s5, s9, s61
	v_mul_lo_u32 v6, v22, s30
	s_mul_i32 s5, s5, s31
	v_mul_lo_u32 v25, s30, v3
	s_sub_i32 s5, s9, s5
	s_mov_b32 s73, 0
	s_sub_i32 s6, s5, s31
	s_cmp_ge_u32 s5, s31
	s_mov_b32 s74, 0
	s_cselect_b32 s6, s6, s5
	v_lshlrev_b64 v[1:2], 2, v[6:7]
	s_sub_i32 s7, s6, s31
	s_cmp_ge_u32 s6, s31
	v_cmp_gt_u32_e64 s5, s28, v22
	s_cselect_b32 s6, s7, s6
	s_lshl_b32 s62, s49, 2
	s_sub_i32 s63, s9, s6
	v_add_co_u32 v11, vcc_lo, s44, v1
	v_add_co_ci_u32_e32 v12, vcc_lo, s45, v2, vcc_lo
	v_cmp_gt_u32_e64 s6, s63, v0
	s_lshl_b32 s64, s31, 4
                                        ; implicit-def: $sgpr65
                                        ; implicit-def: $sgpr67
                                        ; implicit-def: $sgpr66
                                        ; implicit-def: $sgpr70
                                        ; implicit-def: $sgpr72
                                        ; implicit-def: $sgpr69
	s_branch .LBB121_21
.LBB121_17:                             ;   in Loop: Header=BB121_21 Depth=1
	s_xor_b32 s71, s71, 1
	s_add_i32 s11, s68, -2
	s_cmp_eq_u32 s68, 0
	s_mov_b32 s7, 0
	s_cselect_b32 s9, -1, 0
	s_mov_b32 s68, s11
.LBB121_18:                             ;   in Loop: Header=BB121_21 Depth=1
	s_and_not1_b32 s11, s13, exec_lo
	s_and_b32 s7, s7, exec_lo
	s_and_not1_b32 s15, s15, exec_lo
	s_or_b32 s13, s11, s7
	s_and_not1_b32 s12, s12, exec_lo
	s_or_not1_b32 s11, s9, exec_lo
	s_mov_b32 s75, s20
.LBB121_19:                             ;   in Loop: Header=BB121_21 Depth=1
	s_or_b32 exec_lo, exec_lo, s8
	s_delay_alu instid0(SALU_CYCLE_1)
	s_and_not1_b32 s7, s69, exec_lo
	s_and_b32 s8, s13, exec_lo
	s_and_not1_b32 s9, s70, exec_lo
	s_or_b32 s69, s7, s8
	s_and_not1_b32 s7, s72, exec_lo
	s_and_b32 s8, s15, exec_lo
	s_and_b32 s12, s12, exec_lo
	s_or_b32 s72, s7, s8
	s_or_b32 s70, s9, s12
	s_or_not1_b32 s12, s11, exec_lo
.LBB121_20:                             ;   in Loop: Header=BB121_21 Depth=1
	s_or_b32 exec_lo, exec_lo, s10
	s_delay_alu instid0(SALU_CYCLE_1)
	s_and_b32 s7, exec_lo, s12
	v_mov_b32_e32 v1, s73
	s_or_b32 s48, s7, s48
	s_and_not1_b32 s7, s66, exec_lo
	s_and_b32 s8, s69, exec_lo
	s_and_not1_b32 s9, s65, exec_lo
	s_or_b32 s66, s7, s8
	s_and_not1_b32 s7, s67, exec_lo
	s_and_b32 s8, s72, exec_lo
	s_and_b32 s10, s70, exec_lo
	s_or_b32 s67, s7, s8
	s_or_b32 s65, s9, s10
	s_and_not1_b32 exec_lo, exec_lo, s48
	s_cbranch_execz .LBB121_254
.LBB121_21:                             ; =>This Loop Header: Depth=1
                                        ;     Child Loop BB121_29 Depth 2
                                        ;     Child Loop BB121_44 Depth 2
	;; [unrolled: 1-line block ×16, first 2 shown]
	ds_load_b64 v[1:2], v7 offset:4104
	s_waitcnt lgkmcnt(0)
	v_readfirstlane_b32 s76, v1
	s_delay_alu instid0(VALU_DEP_1)
	s_cmp_lg_u32 s76, 0
	s_cbranch_scc1 .LBB121_51
; %bb.22:                               ;   in Loop: Header=BB121_21 Depth=1
	s_and_b32 vcc_lo, exec_lo, s53
	s_cbranch_vccz .LBB121_37
; %bb.23:                               ;   in Loop: Header=BB121_21 Depth=1
	v_cmp_gt_u32_e32 vcc_lo, 0x301, v2
	s_mov_b32 s76, 0
	s_mov_b32 s7, 0
	s_cbranch_vccz .LBB121_38
; %bb.24:                               ;   in Loop: Header=BB121_21 Depth=1
	v_mov_b32_e32 v1, 0
	s_and_saveexec_b32 s7, s0
	s_cbranch_execz .LBB121_26
; %bb.25:                               ;   in Loop: Header=BB121_21 Depth=1
	global_load_b32 v1, v[9:10], off
.LBB121_26:                             ;   in Loop: Header=BB121_21 Depth=1
	s_or_b32 exec_lo, exec_lo, s7
	s_and_saveexec_b32 s9, s0
	s_cbranch_execz .LBB121_139
; %bb.27:                               ;   in Loop: Header=BB121_21 Depth=1
	global_load_u16 v2, v7, s[42:43]
	v_mov_b32_e32 v4, v0
	s_mov_b32 s10, 0
	s_waitcnt vmcnt(0)
	v_add_nc_u32_e32 v3, v0, v2
	s_delay_alu instid0(VALU_DEP_1)
	v_mul_lo_u32 v6, s30, v3
	v_mul_lo_u32 v3, s30, v2
	s_branch .LBB121_29
.LBB121_28:                             ;   in Loop: Header=BB121_29 Depth=2
	s_or_b32 exec_lo, exec_lo, s8
	v_add_nc_u32_e32 v6, v6, v3
	s_waitcnt vmcnt(0)
	v_mov_b32_e32 v1, v14
	s_and_not1_b32 exec_lo, exec_lo, s10
	s_cbranch_execz .LBB121_139
.LBB121_29:                             ;   Parent Loop BB121_21 Depth=1
                                        ; =>  This Inner Loop Header: Depth=2
	v_add_nc_u32_e32 v4, v4, v2
	s_waitcnt lgkmcnt(0)
	v_mov_b32_e32 v28, 0
	v_mov_b32_e32 v14, 0
	s_mov_b32 s8, exec_lo
	v_cmp_le_u32_e32 vcc_lo, s28, v4
	v_cmpx_gt_u32_e64 s28, v4
	s_cbranch_execz .LBB121_31
; %bb.30:                               ;   in Loop: Header=BB121_29 Depth=2
	v_lshlrev_b64 v[29:30], 2, v[6:7]
	s_delay_alu instid0(VALU_DEP_1) | instskip(NEXT) | instid1(VALU_DEP_1)
	v_add_co_u32 v29, s7, s44, v29
	v_add_co_ci_u32_e64 v30, s7, s45, v30, s7
	global_load_b32 v14, v[29:30], off
.LBB121_31:                             ;   in Loop: Header=BB121_29 Depth=2
	s_or_b32 exec_lo, exec_lo, s8
	v_cmp_lt_i32_e64 s7, -1, v1
	s_delay_alu instid0(VALU_DEP_1) | instskip(SKIP_1) | instid1(VALU_DEP_2)
	v_cndmask_b32_e64 v29, -1, 0x80000000, s7
	v_cmp_o_f32_e64 s7, v1, v1
	v_xor_b32_e32 v29, v29, v1
	s_delay_alu instid0(VALU_DEP_1) | instskip(NEXT) | instid1(VALU_DEP_1)
	v_cndmask_b32_e64 v29, -1, v29, s7
	v_and_b32_e32 v29, s74, v29
	s_delay_alu instid0(VALU_DEP_1) | instskip(NEXT) | instid1(VALU_DEP_1)
	v_cmp_eq_u32_e64 s7, s73, v29
	s_cmp_lg_u32 s7, 0
	s_cselect_b32 s8, -1, 0
	s_delay_alu instid0(SALU_CYCLE_1) | instskip(NEXT) | instid1(SALU_CYCLE_1)
	s_and_b32 s8, s3, s8
	s_and_saveexec_b32 s11, s8
	s_cbranch_execz .LBB121_35
; %bb.32:                               ;   in Loop: Header=BB121_29 Depth=2
	s_mov_b32 s14, exec_lo
	s_bcnt1_i32_b32 s12, s7
	v_mbcnt_lo_u32_b32 v28, s14, 0
	s_mov_b32 s13, exec_lo
                                        ; implicit-def: $vgpr29
	s_delay_alu instid0(VALU_DEP_1)
	v_cmpx_eq_u32_e32 0, v28
	s_cbranch_execz .LBB121_34
; %bb.33:                               ;   in Loop: Header=BB121_29 Depth=2
	s_bcnt1_i32_b32 s8, s14
	s_delay_alu instid0(SALU_CYCLE_1) | instskip(NEXT) | instid1(SALU_CYCLE_1)
	s_mul_i32 s8, s12, s8
	v_mov_b32_e32 v29, s8
	ds_add_rtn_u32 v29, v7, v29 offset:4112
.LBB121_34:                             ;   in Loop: Header=BB121_29 Depth=2
	s_or_b32 exec_lo, exec_lo, s13
	s_waitcnt lgkmcnt(0)
	v_readfirstlane_b32 s8, v29
	s_delay_alu instid0(VALU_DEP_1)
	v_mad_u32_u24 v28, s12, v28, s8
.LBB121_35:                             ;   in Loop: Header=BB121_29 Depth=2
	s_or_b32 exec_lo, exec_lo, s11
	ds_bpermute_b32 v28, v7, v28
	s_and_b32 s8, exec_lo, vcc_lo
	s_delay_alu instid0(SALU_CYCLE_1)
	s_or_b32 s10, s8, s10
	s_and_saveexec_b32 s8, s7
	s_cbranch_execz .LBB121_28
; %bb.36:                               ;   in Loop: Header=BB121_29 Depth=2
	v_and_b32_e32 v29, s7, v21
	s_delay_alu instid0(VALU_DEP_1) | instskip(NEXT) | instid1(VALU_DEP_1)
	v_bcnt_u32_b32 v29, v29, 0
	v_lshlrev_b32_e32 v29, 2, v29
	s_waitcnt lgkmcnt(0)
	s_delay_alu instid0(VALU_DEP_1)
	v_lshl_add_u32 v28, v28, 2, v29
	ds_store_b32 v28, v1
	s_branch .LBB121_28
.LBB121_37:                             ;   in Loop: Header=BB121_21 Depth=1
	s_mov_b32 s76, -1
	s_mov_b32 s7, 0
.LBB121_38:                             ;   in Loop: Header=BB121_21 Depth=1
	s_and_b32 vcc_lo, exec_lo, s76
	s_cbranch_vccz .LBB121_49
.LBB121_39:                             ;   in Loop: Header=BB121_21 Depth=1
	v_mov_b32_e32 v1, 0
	s_and_saveexec_b32 s7, s0
	s_cbranch_execz .LBB121_41
; %bb.40:                               ;   in Loop: Header=BB121_21 Depth=1
	global_load_b32 v1, v[9:10], off
.LBB121_41:                             ;   in Loop: Header=BB121_21 Depth=1
	s_or_b32 exec_lo, exec_lo, s7
	s_and_saveexec_b32 s8, s0
	s_cbranch_execz .LBB121_46
; %bb.42:                               ;   in Loop: Header=BB121_21 Depth=1
	global_load_u16 v2, v7, s[42:43]
	v_mov_b32_e32 v28, v0
	s_mov_b32 s9, 0
	s_waitcnt vmcnt(0)
	v_dual_mov_b32 v14, v17 :: v_dual_add_nc_u32 v3, v0, v2
	v_lshlrev_b32_e32 v4, 2, v2
	s_delay_alu instid0(VALU_DEP_2)
	v_mul_lo_u32 v6, s30, v3
	v_mul_lo_u32 v3, s30, v2
	s_set_inst_prefetch_distance 0x1
	s_branch .LBB121_44
	.p2align	6
.LBB121_43:                             ;   in Loop: Header=BB121_44 Depth=2
	s_or_b32 exec_lo, exec_lo, s10
	ds_store_b32 v14, v1
	s_waitcnt vmcnt(0)
	v_dual_mov_b32 v1, v29 :: v_dual_add_nc_u32 v14, v14, v4
	v_add_nc_u32_e32 v6, v6, v3
	s_and_b32 s7, exec_lo, vcc_lo
	s_delay_alu instid0(SALU_CYCLE_1) | instskip(NEXT) | instid1(SALU_CYCLE_1)
	s_or_b32 s9, s7, s9
	s_and_not1_b32 exec_lo, exec_lo, s9
	s_cbranch_execz .LBB121_46
.LBB121_44:                             ;   Parent Loop BB121_21 Depth=1
                                        ; =>  This Inner Loop Header: Depth=2
	v_dual_mov_b32 v29, 0 :: v_dual_add_nc_u32 v28, v28, v2
	s_mov_b32 s10, exec_lo
	s_delay_alu instid0(VALU_DEP_1)
	v_cmp_le_u32_e32 vcc_lo, s28, v28
	v_cmpx_gt_u32_e64 s28, v28
	s_cbranch_execz .LBB121_43
; %bb.45:                               ;   in Loop: Header=BB121_44 Depth=2
	v_lshlrev_b64 v[29:30], 2, v[6:7]
	s_delay_alu instid0(VALU_DEP_1) | instskip(NEXT) | instid1(VALU_DEP_1)
	v_add_co_u32 v29, s7, s44, v29
	v_add_co_ci_u32_e64 v30, s7, s45, v30, s7
	global_load_b32 v29, v[29:30], off
	s_branch .LBB121_43
.LBB121_46:                             ;   in Loop: Header=BB121_21 Depth=1
	s_set_inst_prefetch_distance 0x2
	s_or_b32 exec_lo, exec_lo, s8
	s_waitcnt vmcnt(0) lgkmcnt(0)
	s_barrier
	buffer_gl0_inv
	s_and_saveexec_b32 s7, s1
	s_cbranch_execz .LBB121_48
; %bb.47:                               ;   in Loop: Header=BB121_21 Depth=1
	v_mov_b32_e32 v1, s28
	ds_store_b32 v7, v1 offset:4104
.LBB121_48:                             ;   in Loop: Header=BB121_21 Depth=1
	s_or_b32 exec_lo, exec_lo, s7
	s_mov_b32 s7, -1
	s_waitcnt lgkmcnt(0)
	s_barrier
                                        ; implicit-def: $sgpr76
.LBB121_49:                             ;   in Loop: Header=BB121_21 Depth=1
	s_and_b32 vcc_lo, exec_lo, s7
	s_cbranch_vccz .LBB121_51
; %bb.50:                               ;   in Loop: Header=BB121_21 Depth=1
	buffer_gl0_inv
	ds_load_b32 v1, v7 offset:4104
	s_waitcnt lgkmcnt(0)
	v_readfirstlane_b32 s76, v1
.LBB121_51:                             ;   in Loop: Header=BB121_21 Depth=1
	s_delay_alu instid0(VALU_DEP_1)
	s_cmp_lt_i32 s76, 1
	s_cbranch_scc0 .LBB121_55
; %bb.52:                               ;   in Loop: Header=BB121_21 Depth=1
	v_dual_mov_b32 v1, 0 :: v_dual_mov_b32 v2, 0
	v_dual_mov_b32 v3, 0 :: v_dual_mov_b32 v4, 0
	s_mov_b32 s19, 0
	s_and_saveexec_b32 s18, s4
	s_cbranch_execnz .LBB121_56
; %bb.53:                               ;   in Loop: Header=BB121_21 Depth=1
	s_or_b32 exec_lo, exec_lo, s18
	v_mov_b32_e32 v28, 0
	s_and_saveexec_b32 s7, s5
	s_cbranch_execnz .LBB121_59
.LBB121_54:                             ;   in Loop: Header=BB121_21 Depth=1
	s_or_b32 exec_lo, exec_lo, s7
	s_and_saveexec_b32 s11, s5
	s_cbranch_execnz .LBB121_60
	s_branch .LBB121_65
.LBB121_55:                             ;   in Loop: Header=BB121_21 Depth=1
                                        ; implicit-def: $vgpr4
	s_cbranch_execnz .LBB121_66
	s_branch .LBB121_75
.LBB121_56:                             ;   in Loop: Header=BB121_21 Depth=1
	v_mov_b32_e32 v14, v17
	s_and_b32 s20, s68, 0xfe
	s_mov_b32 s21, 0
	s_mov_b32 s22, 0
	;; [unrolled: 1-line block ×5, first 2 shown]
.LBB121_57:                             ;   Parent Loop BB121_21 Depth=1
                                        ; =>  This Inner Loop Header: Depth=2
	v_add_nc_u32_e32 v6, s21, v24
	v_add_nc_u32_e32 v14, s50, v14
	s_delay_alu instid0(VALU_DEP_2) | instskip(SKIP_1) | instid1(VALU_DEP_1)
	v_lshlrev_b64 v[1:2], 2, v[6:7]
	v_add_nc_u32_e32 v6, s21, v8
	v_lshlrev_b64 v[3:4], 2, v[6:7]
	v_add_nc_u32_e32 v6, s21, v20
	s_delay_alu instid0(VALU_DEP_4) | instskip(SKIP_1) | instid1(VALU_DEP_3)
	v_add_co_u32 v1, vcc_lo, s44, v1
	v_add_co_ci_u32_e32 v2, vcc_lo, s45, v2, vcc_lo
	v_lshlrev_b64 v[28:29], 2, v[6:7]
	v_add_nc_u32_e32 v6, s21, v23
	s_add_i32 s21, s21, s62
	global_load_b32 v30, v[1:2], off
	v_add_co_u32 v1, vcc_lo, s44, v3
	v_add_co_ci_u32_e32 v2, vcc_lo, s45, v4, vcc_lo
	v_add_co_u32 v28, vcc_lo, s44, v28
	v_add_co_ci_u32_e32 v29, vcc_lo, s45, v29, vcc_lo
	v_lshlrev_b64 v[3:4], 2, v[6:7]
	s_clause 0x1
	global_load_b32 v6, v[1:2], off
	global_load_b32 v28, v[28:29], off
	v_add_co_u32 v1, vcc_lo, s44, v3
	v_add_co_ci_u32_e32 v2, vcc_lo, s45, v4, vcc_lo
	v_cmp_le_u32_e32 vcc_lo, s60, v14
	global_load_b32 v1, v[1:2], off
	s_waitcnt vmcnt(3)
	v_cmp_lt_i32_e64 s7, -1, v30
	s_delay_alu instid0(VALU_DEP_1) | instskip(SKIP_2) | instid1(VALU_DEP_2)
	v_cndmask_b32_e64 v2, -1, 0x80000000, s7
	s_waitcnt vmcnt(2)
	v_cmp_lt_i32_e64 s7, -1, v6
	v_xor_b32_e32 v2, v2, v30
	s_waitcnt vmcnt(1)
	v_cmp_lt_i32_e64 s8, -1, v28
	s_delay_alu instid0(VALU_DEP_3) | instskip(SKIP_1) | instid1(VALU_DEP_3)
	v_cndmask_b32_e64 v3, -1, 0x80000000, s7
	v_cmp_o_f32_e64 s7, v30, v30
	v_cndmask_b32_e64 v4, -1, 0x80000000, s8
	s_delay_alu instid0(VALU_DEP_3) | instskip(NEXT) | instid1(VALU_DEP_3)
	v_xor_b32_e32 v3, v3, v6
	v_cndmask_b32_e64 v2, -1, v2, s7
	v_cmp_o_f32_e64 s7, v6, v6
	s_delay_alu instid0(VALU_DEP_4)
	v_xor_b32_e32 v4, v4, v28
	s_waitcnt vmcnt(0)
	v_cmp_o_f32_e64 s12, v1, v1
	v_and_b32_e32 v29, s74, v2
	v_cndmask_b32_e64 v3, -1, v3, s7
	v_cmp_lt_i32_e64 s7, -1, v1
	v_bfe_u32 v2, v2, s20, 2
	s_delay_alu instid0(VALU_DEP_2) | instskip(SKIP_1) | instid1(VALU_DEP_3)
	v_cndmask_b32_e64 v6, -1, 0x80000000, s7
	v_cmp_o_f32_e64 s7, v28, v28
	v_cmp_eq_u32_e64 s8, 0, v2
	v_and_b32_e32 v28, s74, v3
	v_bfe_u32 v3, v3, s20, 2
	v_xor_b32_e32 v6, v6, v1
	v_cndmask_b32_e64 v4, -1, v4, s7
	v_cmp_eq_u32_e64 s7, s73, v29
	v_cmp_eq_u32_e64 s9, 1, v2
	;; [unrolled: 1-line block ×4, first 2 shown]
	v_cndmask_b32_e64 v1, -1, v6, s12
	s_and_b32 s8, s7, s8
	v_cmp_eq_u32_e64 s12, s73, v28
	v_cmp_eq_u32_e64 s13, 0, v3
	v_cndmask_b32_e64 v6, 0, 1, s8
	v_cmp_eq_u32_e64 s8, 1, v3
	s_and_b32 s9, s7, s9
	v_and_b32_e32 v2, s74, v4
	v_bfe_u32 v4, v4, s20, 2
	v_cndmask_b32_e64 v28, 0, 1, s9
	v_cmp_eq_u32_e64 s9, 2, v3
	s_and_b32 s10, s7, s10
	s_and_b32 s7, s7, s11
	v_cndmask_b32_e64 v29, 0, 1, s10
	s_and_b32 s13, s12, s13
	s_and_b32 s8, s12, s8
	v_cmp_eq_u32_e64 s10, 3, v3
	v_cndmask_b32_e64 v3, 0, 1, s7
	v_cmp_eq_u32_e64 s7, s73, v2
	v_cmp_eq_u32_e64 s11, 0, v4
	v_cmp_ne_u32_e64 s14, 0, v6
	v_cndmask_b32_e64 v6, 0, 1, s13
	v_cmp_eq_u32_e64 s13, 1, v4
	v_cmp_ne_u32_e64 s15, 0, v28
	v_cndmask_b32_e64 v28, 0, 1, s8
	v_cmp_eq_u32_e64 s8, 2, v4
	s_and_b32 s9, s12, s9
	v_and_b32_e32 v2, s74, v1
	v_bfe_u32 v1, v1, s20, 2
	v_cmp_ne_u32_e64 s16, 0, v29
	v_cndmask_b32_e64 v29, 0, 1, s9
	v_cmp_eq_u32_e64 s9, 3, v4
	s_and_b32 s10, s12, s10
	s_and_b32 s11, s7, s11
	s_and_b32 s13, s7, s13
	s_and_b32 s8, s7, s8
	v_cmp_ne_u32_e64 s17, 0, v3
	v_cndmask_b32_e64 v3, 0, 1, s10
	v_cmp_eq_u32_e64 s10, s73, v2
	v_cmp_eq_u32_e64 s12, 0, v1
	s_bcnt1_i32_b32 s26, s14
	v_cmp_ne_u32_e64 s14, 0, v6
	v_cndmask_b32_e64 v2, 0, 1, s11
	v_cmp_eq_u32_e64 s11, 1, v1
	v_cndmask_b32_e64 v4, 0, 1, s13
	v_cmp_eq_u32_e64 s13, 2, v1
	;; [unrolled: 2-line block ×3, first 2 shown]
	s_and_b32 s7, s7, s9
	s_bcnt1_i32_b32 s79, s17
	v_cndmask_b32_e64 v1, 0, 1, s7
	v_cmp_ne_u32_e64 s17, 0, v3
	s_and_b32 s9, s10, s12
	s_and_b32 s11, s10, s11
	;; [unrolled: 1-line block ×4, first 2 shown]
	v_cmp_ne_u32_e64 s7, 0, v2
	v_cndmask_b32_e64 v2, 0, 1, s9
	v_cmp_ne_u32_e64 s9, 0, v4
	v_cndmask_b32_e64 v3, 0, 1, s11
	v_cndmask_b32_e64 v4, 0, 1, s12
	v_cmp_ne_u32_e64 s12, 0, v1
	v_cndmask_b32_e64 v1, 0, 1, s8
	s_bcnt1_i32_b32 s77, s15
	v_cmp_ne_u32_e64 s15, 0, v28
	s_bcnt1_i32_b32 s78, s16
	v_cmp_ne_u32_e64 s16, 0, v29
	s_add_i32 s22, s79, s22
	v_cmp_ne_u32_e64 s11, 0, v6
	s_bcnt1_i32_b32 s13, s17
	s_bcnt1_i32_b32 s17, s7
	s_add_i32 s13, s22, s13
	v_cmp_ne_u32_e64 s7, 0, v2
	s_bcnt1_i32_b32 s22, s9
	v_cmp_ne_u32_e64 s8, 0, v3
	v_cmp_ne_u32_e64 s9, 0, v4
	;; [unrolled: 1-line block ×3, first 2 shown]
	s_add_i32 s25, s26, s25
	s_add_i32 s24, s77, s24
	;; [unrolled: 1-line block ×3, first 2 shown]
	s_bcnt1_i32_b32 s14, s14
	s_bcnt1_i32_b32 s15, s15
	;; [unrolled: 1-line block ×3, first 2 shown]
	s_add_i32 s14, s25, s14
	s_add_i32 s15, s24, s15
	;; [unrolled: 1-line block ×3, first 2 shown]
	s_bcnt1_i32_b32 s11, s11
	s_bcnt1_i32_b32 s12, s12
	s_add_i32 s14, s14, s17
	s_add_i32 s15, s15, s22
	;; [unrolled: 1-line block ×4, first 2 shown]
	s_bcnt1_i32_b32 s7, s7
	s_bcnt1_i32_b32 s8, s8
	;; [unrolled: 1-line block ×4, first 2 shown]
	s_add_i32 s25, s14, s7
	s_add_i32 s24, s15, s8
	;; [unrolled: 1-line block ×3, first 2 shown]
	v_mov_b32_e32 v2, s24
	s_add_i32 s22, s12, s10
	v_mov_b32_e32 v1, s25
	v_dual_mov_b32 v3, s23 :: v_dual_mov_b32 v4, s22
	s_or_b32 s19, vcc_lo, s19
	s_delay_alu instid0(SALU_CYCLE_1)
	s_and_not1_b32 exec_lo, exec_lo, s19
	s_cbranch_execnz .LBB121_57
; %bb.58:                               ;   in Loop: Header=BB121_21 Depth=1
	s_or_b32 exec_lo, exec_lo, s19
	s_delay_alu instid0(SALU_CYCLE_1)
	s_or_b32 exec_lo, exec_lo, s18
	v_mov_b32_e32 v28, 0
	s_and_saveexec_b32 s7, s5
	s_cbranch_execz .LBB121_54
.LBB121_59:                             ;   in Loop: Header=BB121_21 Depth=1
	global_load_b32 v28, v[11:12], off
	s_or_b32 exec_lo, exec_lo, s7
	s_and_saveexec_b32 s11, s5
	s_cbranch_execz .LBB121_65
.LBB121_60:                             ;   in Loop: Header=BB121_21 Depth=1
	v_mov_b32_e32 v6, v25
	v_mov_b32_e32 v14, v22
	s_and_b32 s13, s68, 0xfe
	s_mov_b32 s12, 0
	s_branch .LBB121_62
.LBB121_61:                             ;   in Loop: Header=BB121_62 Depth=2
	s_or_b32 exec_lo, exec_lo, s8
	s_waitcnt vmcnt(0)
	v_cmp_lt_i32_e64 s7, -1, v28
	s_and_b32 s8, exec_lo, vcc_lo
	v_add_nc_u32_e32 v6, s49, v6
	s_or_b32 s12, s8, s12
	s_delay_alu instid0(VALU_DEP_2) | instskip(SKIP_1) | instid1(VALU_DEP_2)
	v_cndmask_b32_e64 v30, -1, 0x80000000, s7
	v_cmp_o_f32_e64 s7, v28, v28
	v_xor_b32_e32 v30, v30, v28
	s_delay_alu instid0(VALU_DEP_1) | instskip(NEXT) | instid1(VALU_DEP_1)
	v_cndmask_b32_e64 v28, -1, v30, s7
	v_and_b32_e32 v30, s74, v28
	v_bfe_u32 v28, v28, s13, 2
	s_delay_alu instid0(VALU_DEP_2) | instskip(NEXT) | instid1(VALU_DEP_2)
	v_cmp_eq_u32_e32 vcc_lo, s73, v30
	v_cmp_eq_u32_e64 s7, 0, v28
	v_cmp_eq_u32_e64 s8, 1, v28
	;; [unrolled: 1-line block ×4, first 2 shown]
	s_delay_alu instid0(VALU_DEP_4) | instskip(NEXT) | instid1(SALU_CYCLE_1)
	s_and_b32 s7, vcc_lo, s7
	v_cndmask_b32_e64 v28, 0, 1, s7
	s_and_b32 s7, vcc_lo, s8
	s_delay_alu instid0(SALU_CYCLE_1) | instskip(SKIP_1) | instid1(SALU_CYCLE_1)
	v_cndmask_b32_e64 v30, 0, 1, s7
	s_and_b32 s7, vcc_lo, s9
	v_cndmask_b32_e64 v31, 0, 1, s7
	s_and_b32 s7, vcc_lo, s10
	v_cmp_ne_u32_e32 vcc_lo, 0, v28
	v_cndmask_b32_e64 v32, 0, 1, s7
	v_cmp_ne_u32_e64 s7, 0, v30
	v_cmp_ne_u32_e64 s8, 0, v31
	v_mov_b32_e32 v28, v29
	s_bcnt1_i32_b32 s10, vcc_lo
	v_cmp_ne_u32_e64 s9, 0, v32
	s_bcnt1_i32_b32 s7, s7
	s_bcnt1_i32_b32 s8, s8
	v_add_nc_u32_e32 v1, s10, v1
	v_add_nc_u32_e32 v2, s7, v2
	s_bcnt1_i32_b32 s9, s9
	v_add_nc_u32_e32 v3, s8, v3
	v_add_nc_u32_e32 v4, s9, v4
	s_and_not1_b32 exec_lo, exec_lo, s12
	s_cbranch_execz .LBB121_64
.LBB121_62:                             ;   Parent Loop BB121_21 Depth=1
                                        ; =>  This Inner Loop Header: Depth=2
	s_delay_alu instid0(VALU_DEP_1) | instskip(SKIP_1) | instid1(VALU_DEP_1)
	v_dual_mov_b32 v29, 0 :: v_dual_add_nc_u32 v14, s31, v14
	s_mov_b32 s8, exec_lo
	v_cmp_le_u32_e32 vcc_lo, s28, v14
	v_cmpx_gt_u32_e64 s28, v14
	s_cbranch_execz .LBB121_61
; %bb.63:                               ;   in Loop: Header=BB121_62 Depth=2
	v_lshlrev_b64 v[29:30], 2, v[6:7]
	s_delay_alu instid0(VALU_DEP_1) | instskip(NEXT) | instid1(VALU_DEP_1)
	v_add_co_u32 v29, s7, s44, v29
	v_add_co_ci_u32_e64 v30, s7, s45, v30, s7
	global_load_b32 v29, v[29:30], off
	s_branch .LBB121_61
.LBB121_64:                             ;   in Loop: Header=BB121_21 Depth=1
	s_or_b32 exec_lo, exec_lo, s12
.LBB121_65:                             ;   in Loop: Header=BB121_21 Depth=1
	s_delay_alu instid0(SALU_CYCLE_1)
	s_or_b32 exec_lo, exec_lo, s11
	s_branch .LBB121_75
.LBB121_66:                             ;   in Loop: Header=BB121_21 Depth=1
	s_mul_hi_u32 s7, s76, s59
	v_dual_mov_b32 v1, 0 :: v_dual_mov_b32 v2, 0
	s_mul_i32 s7, s7, s50
	v_dual_mov_b32 v3, 0 :: v_dual_mov_b32 v4, 0
	s_sub_i32 s7, s76, s7
	s_mov_b32 s79, 0
	s_sub_i32 s8, s7, s50
	s_cmp_ge_u32 s7, s50
	s_mov_b32 s78, exec_lo
	s_cselect_b32 s7, s8, s7
	s_delay_alu instid0(SALU_CYCLE_1) | instskip(SKIP_2) | instid1(SALU_CYCLE_1)
	s_sub_i32 s8, s7, s50
	s_cmp_ge_u32 s7, s50
	s_cselect_b32 s7, s8, s7
	s_sub_i32 s77, s76, s7
	s_delay_alu instid0(SALU_CYCLE_1)
	v_cmpx_gt_u32_e64 s77, v17
	s_cbranch_execz .LBB121_70
; %bb.67:                               ;   in Loop: Header=BB121_21 Depth=1
	v_mov_b32_e32 v6, v26
	v_mov_b32_e32 v14, v17
	s_and_b32 s80, s68, 0xfe
	s_mov_b32 s81, 0
	s_mov_b32 s82, 0
	;; [unrolled: 1-line block ×4, first 2 shown]
.LBB121_68:                             ;   Parent Loop BB121_21 Depth=1
                                        ; =>  This Inner Loop Header: Depth=2
	ds_load_b128 v[1:4], v6
	s_waitcnt lgkmcnt(0)
	v_cmp_lt_i32_e64 s7, -1, v1
	v_cmp_o_f32_e64 s10, v1, v1
	v_cmp_o_f32_e64 s8, v3, v3
	;; [unrolled: 1-line block ×3, first 2 shown]
	s_waitcnt vmcnt(0)
	v_cndmask_b32_e64 v28, -1, 0x80000000, s7
	v_cmp_lt_i32_e64 s7, -1, v2
	s_delay_alu instid0(VALU_DEP_2) | instskip(NEXT) | instid1(VALU_DEP_2)
	v_xor_b32_e32 v28, v28, v1
	v_cndmask_b32_e64 v29, -1, 0x80000000, s7
	v_cmp_lt_i32_e64 s7, -1, v3
	s_delay_alu instid0(VALU_DEP_3) | instskip(NEXT) | instid1(VALU_DEP_3)
	v_cndmask_b32_e64 v1, -1, v28, s10
	v_xor_b32_e32 v29, v29, v2
	s_delay_alu instid0(VALU_DEP_3) | instskip(SKIP_1) | instid1(VALU_DEP_4)
	v_cndmask_b32_e64 v30, -1, 0x80000000, s7
	v_cmp_lt_i32_e64 s7, -1, v4
	v_and_b32_e32 v28, s74, v1
	v_bfe_u32 v1, v1, s80, 2
	s_delay_alu instid0(VALU_DEP_3) | instskip(SKIP_2) | instid1(VALU_DEP_4)
	v_cndmask_b32_e64 v31, -1, 0x80000000, s7
	v_cmp_o_f32_e64 s7, v2, v2
	v_xor_b32_e32 v2, v30, v3
	v_cmp_eq_u32_e64 s11, 0, v1
	v_cmp_eq_u32_e64 s15, 1, v1
	v_xor_b32_e32 v3, v31, v4
	v_cndmask_b32_e64 v4, -1, v29, s7
	v_cndmask_b32_e64 v2, -1, v2, s8
	v_cmp_eq_u32_e64 s7, s73, v28
	v_cmp_eq_u32_e64 s19, 2, v1
	v_cndmask_b32_e64 v3, -1, v3, s9
	v_and_b32_e32 v29, s74, v4
	v_bfe_u32 v4, v4, s80, 2
	v_and_b32_e32 v30, s74, v2
	v_bfe_u32 v2, v2, s80, 2
	;; [unrolled: 2-line block ×3, first 2 shown]
	v_cmp_eq_u32_e64 s8, s73, v29
	v_cmp_eq_u32_e64 s12, 0, v4
	;; [unrolled: 1-line block ×4, first 2 shown]
	s_and_b32 s11, s7, s11
	v_cmp_eq_u32_e64 s10, s73, v31
	v_cmp_eq_u32_e64 s14, 0, v3
	;; [unrolled: 1-line block ×3, first 2 shown]
	v_cndmask_b32_e64 v1, 0, 1, s11
	s_and_b32 s11, s8, s12
	v_cmp_eq_u32_e64 s17, 1, v2
	v_cmp_eq_u32_e64 s21, 2, v2
	;; [unrolled: 1-line block ×3, first 2 shown]
	v_cndmask_b32_e64 v2, 0, 1, s11
	s_and_b32 s11, s9, s13
	v_cmp_eq_u32_e64 s16, 1, v4
	v_cmp_eq_u32_e64 s18, 1, v3
	v_cmp_eq_u32_e64 s22, 2, v3
	v_cmp_eq_u32_e64 s26, 3, v3
	v_cndmask_b32_e64 v3, 0, 1, s11
	s_and_b32 s11, s10, s14
	v_cmp_eq_u32_e64 s20, 2, v4
	v_cmp_eq_u32_e64 s24, 3, v4
	v_cndmask_b32_e64 v4, 0, 1, s11
	s_and_b32 s11, s7, s15
	s_delay_alu instid0(SALU_CYCLE_1) | instskip(SKIP_1) | instid1(SALU_CYCLE_1)
	v_cndmask_b32_e64 v28, 0, 1, s11
	s_and_b32 s11, s8, s16
	v_cndmask_b32_e64 v29, 0, 1, s11
	s_and_b32 s11, s9, s17
	s_delay_alu instid0(SALU_CYCLE_1) | instskip(SKIP_1) | instid1(VALU_DEP_2)
	v_cndmask_b32_e64 v30, 0, 1, s11
	s_and_b32 s11, s10, s18
	v_cmp_ne_u32_e64 s12, 0, v29
	v_cndmask_b32_e64 v31, 0, 1, s11
	s_and_b32 s11, s7, s19
	s_and_b32 s7, s7, s23
	v_cndmask_b32_e64 v32, 0, 1, s11
	v_cndmask_b32_e64 v36, 0, 1, s7
	s_and_b32 s7, s8, s24
	s_and_b32 s11, s8, s20
	v_cndmask_b32_e64 v37, 0, 1, s7
	s_and_b32 s7, s9, s25
	v_cndmask_b32_e64 v33, 0, 1, s11
	v_cndmask_b32_e64 v38, 0, 1, s7
	s_and_b32 s7, s10, s26
	s_and_b32 s11, s9, s21
	v_cndmask_b32_e64 v39, 0, 1, s7
	v_cmp_ne_u32_e64 s7, 0, v1
	v_cmp_ne_u32_e64 s8, 0, v2
	v_cndmask_b32_e64 v34, 0, 1, s11
	s_and_b32 s11, s10, s22
	v_cmp_ne_u32_e64 s9, 0, v3
	v_cndmask_b32_e64 v35, 0, 1, s11
	v_cmp_ne_u32_e64 s11, 0, v28
	v_cmp_ne_u32_e64 s15, 0, v32
	;; [unrolled: 1-line block ×3, first 2 shown]
	s_bcnt1_i32_b32 s7, s7
	v_cmp_ne_u32_e64 s10, 0, v4
	v_cmp_ne_u32_e64 s16, 0, v33
	v_cmp_ne_u32_e64 s20, 0, v37
	s_bcnt1_i32_b32 s8, s8
	s_add_i32 s7, s7, s84
	v_cmp_ne_u32_e64 s13, 0, v30
	v_cmp_ne_u32_e64 s17, 0, v34
	v_cmp_ne_u32_e64 s21, 0, v38
	s_bcnt1_i32_b32 s9, s9
	s_add_i32 s7, s7, s8
	s_bcnt1_i32_b32 s11, s11
	s_bcnt1_i32_b32 s15, s15
	;; [unrolled: 1-line block ×3, first 2 shown]
	v_cmp_ne_u32_e64 s14, 0, v31
	v_cmp_ne_u32_e64 s18, 0, v35
	;; [unrolled: 1-line block ×3, first 2 shown]
	s_bcnt1_i32_b32 s10, s10
	s_add_i32 s7, s7, s9
	s_bcnt1_i32_b32 s12, s12
	s_bcnt1_i32_b32 s16, s16
	;; [unrolled: 1-line block ×3, first 2 shown]
	s_add_i32 s11, s11, s83
	s_add_i32 s15, s15, s82
	;; [unrolled: 1-line block ×4, first 2 shown]
	s_delay_alu instid0(SALU_CYCLE_1)
	v_dual_mov_b32 v1, s84 :: v_dual_add_nc_u32 v14, s50, v14
	s_bcnt1_i32_b32 s13, s13
	s_bcnt1_i32_b32 s17, s17
	;; [unrolled: 1-line block ×3, first 2 shown]
	s_add_i32 s8, s11, s12
	s_add_i32 s11, s15, s16
	s_add_i32 s12, s19, s20
	s_bcnt1_i32_b32 s14, s14
	s_bcnt1_i32_b32 s18, s18
	;; [unrolled: 1-line block ×3, first 2 shown]
	s_add_i32 s8, s8, s13
	s_add_i32 s9, s11, s17
	;; [unrolled: 1-line block ×3, first 2 shown]
	v_cmp_le_u32_e32 vcc_lo, s77, v14
	s_add_i32 s83, s8, s14
	s_add_i32 s82, s9, s18
	;; [unrolled: 1-line block ×3, first 2 shown]
	v_dual_mov_b32 v3, s82 :: v_dual_add_nc_u32 v6, s64, v6
	v_mov_b32_e32 v2, s83
	v_mov_b32_e32 v4, s81
	s_or_b32 s79, vcc_lo, s79
	s_delay_alu instid0(SALU_CYCLE_1)
	s_and_not1_b32 exec_lo, exec_lo, s79
	s_cbranch_execnz .LBB121_68
; %bb.69:                               ;   in Loop: Header=BB121_21 Depth=1
	s_or_b32 exec_lo, exec_lo, s79
.LBB121_70:                             ;   in Loop: Header=BB121_21 Depth=1
	s_delay_alu instid0(SALU_CYCLE_1) | instskip(SKIP_2) | instid1(VALU_DEP_1)
	s_or_b32 exec_lo, exec_lo, s78
	v_add_nc_u32_e32 v6, s77, v0
	s_mov_b32 s12, exec_lo
	v_cmpx_gt_u32_e64 s76, v6
	s_cbranch_execz .LBB121_74
; %bb.71:                               ;   in Loop: Header=BB121_21 Depth=1
	v_lshlrev_b32_e32 v14, 2, v6
	s_and_b32 s14, s68, 0xfe
	s_mov_b32 s13, 0
.LBB121_72:                             ;   Parent Loop BB121_21 Depth=1
                                        ; =>  This Inner Loop Header: Depth=2
	s_waitcnt vmcnt(0)
	ds_load_b32 v28, v14
	v_add_nc_u32_e32 v6, s31, v6
	v_add_nc_u32_e32 v14, s50, v14
	s_delay_alu instid0(VALU_DEP_2) | instskip(SKIP_2) | instid1(VALU_DEP_1)
	v_cmp_le_u32_e32 vcc_lo, s76, v6
	s_waitcnt lgkmcnt(0)
	v_cmp_lt_i32_e64 s7, -1, v28
	v_cndmask_b32_e64 v29, -1, 0x80000000, s7
	v_cmp_o_f32_e64 s7, v28, v28
	s_delay_alu instid0(VALU_DEP_2) | instskip(NEXT) | instid1(VALU_DEP_1)
	v_xor_b32_e32 v29, v29, v28
	v_cndmask_b32_e64 v28, -1, v29, s7
	s_delay_alu instid0(VALU_DEP_1) | instskip(SKIP_1) | instid1(VALU_DEP_2)
	v_and_b32_e32 v29, s74, v28
	v_bfe_u32 v28, v28, s14, 2
	v_cmp_eq_u32_e64 s7, s73, v29
	s_delay_alu instid0(VALU_DEP_2) | instskip(SKIP_3) | instid1(VALU_DEP_4)
	v_cmp_eq_u32_e64 s8, 0, v28
	v_cmp_eq_u32_e64 s9, 1, v28
	;; [unrolled: 1-line block ×4, first 2 shown]
	s_and_b32 s8, s7, s8
	s_delay_alu instid0(SALU_CYCLE_1) | instskip(SKIP_1) | instid1(SALU_CYCLE_1)
	v_cndmask_b32_e64 v28, 0, 1, s8
	s_and_b32 s8, s7, s9
	v_cndmask_b32_e64 v29, 0, 1, s8
	s_and_b32 s8, s7, s10
	s_and_b32 s7, s7, s11
	v_cndmask_b32_e64 v30, 0, 1, s8
	v_cndmask_b32_e64 v31, 0, 1, s7
	v_cmp_ne_u32_e64 s7, 0, v28
	v_cmp_ne_u32_e64 s8, 0, v29
	s_delay_alu instid0(VALU_DEP_4) | instskip(NEXT) | instid1(VALU_DEP_4)
	v_cmp_ne_u32_e64 s9, 0, v30
	v_cmp_ne_u32_e64 s10, 0, v31
	s_delay_alu instid0(VALU_DEP_4) | instskip(NEXT) | instid1(VALU_DEP_3)
	s_bcnt1_i32_b32 s7, s7
	s_bcnt1_i32_b32 s8, s8
	v_add_nc_u32_e32 v1, s7, v1
	s_bcnt1_i32_b32 s9, s9
	s_bcnt1_i32_b32 s10, s10
	v_add_nc_u32_e32 v2, s8, v2
	v_add_nc_u32_e32 v3, s9, v3
	;; [unrolled: 1-line block ×3, first 2 shown]
	s_or_b32 s13, vcc_lo, s13
	s_delay_alu instid0(SALU_CYCLE_1)
	s_and_not1_b32 exec_lo, exec_lo, s13
	s_cbranch_execnz .LBB121_72
; %bb.73:                               ;   in Loop: Header=BB121_21 Depth=1
	s_or_b32 exec_lo, exec_lo, s13
.LBB121_74:                             ;   in Loop: Header=BB121_21 Depth=1
	s_delay_alu instid0(SALU_CYCLE_1)
	s_or_b32 exec_lo, exec_lo, s12
.LBB121_75:                             ;   in Loop: Header=BB121_21 Depth=1
	s_lshl_b32 s7, s71, 7
	s_and_saveexec_b32 s8, s3
	s_cbranch_execz .LBB121_77
; %bb.76:                               ;   in Loop: Header=BB121_21 Depth=1
	v_or_b32_e32 v6, s7, v19
	s_delay_alu instid0(VALU_DEP_1)
	v_lshlrev_b32_e32 v6, 2, v6
	ds_store_b128 v6, v[1:4] offset:3072
.LBB121_77:                             ;   in Loop: Header=BB121_21 Depth=1
	s_or_b32 exec_lo, exec_lo, s8
	s_waitcnt vmcnt(0) lgkmcnt(0)
	s_barrier
	buffer_gl0_inv
	s_and_saveexec_b32 s8, s51
	s_cbranch_execz .LBB121_87
; %bb.78:                               ;   in Loop: Header=BB121_21 Depth=1
	v_mov_b32_e32 v1, 0
	s_and_not1_b32 vcc_lo, exec_lo, s54
	s_cbranch_vccnz .LBB121_86
; %bb.79:                               ;   in Loop: Header=BB121_21 Depth=1
	v_mov_b32_e32 v1, 0
	s_and_not1_b32 vcc_lo, exec_lo, s56
	s_mov_b32 s9, 0
	s_cbranch_vccnz .LBB121_83
; %bb.80:                               ;   in Loop: Header=BB121_21 Depth=1
	v_lshl_add_u32 v2, s71, 9, v27
	v_mov_b32_e32 v1, 0
	.p2align	6
.LBB121_81:                             ;   Parent Loop BB121_21 Depth=1
                                        ; =>  This Inner Loop Header: Depth=2
	ds_load_2addr_b32 v[3:4], v2 offset1:4
	ds_load_2addr_b32 v[28:29], v2 offset0:8 offset1:12
	ds_load_2addr_b32 v[30:31], v2 offset0:16 offset1:20
	;; [unrolled: 1-line block ×3, first 2 shown]
	v_add_nc_u32_e32 v2, 0x80, v2
	s_add_i32 s9, s9, 8
	s_delay_alu instid0(SALU_CYCLE_1) | instskip(SKIP_3) | instid1(VALU_DEP_1)
	s_cmp_eq_u32 s57, s9
	s_waitcnt lgkmcnt(3)
	v_add3_u32 v1, v3, v1, v4
	s_waitcnt lgkmcnt(2)
	v_add3_u32 v1, v28, v1, v29
	s_waitcnt lgkmcnt(1)
	s_delay_alu instid0(VALU_DEP_1) | instskip(SKIP_1) | instid1(VALU_DEP_1)
	v_add3_u32 v1, v30, v1, v31
	s_waitcnt lgkmcnt(0)
	v_add3_u32 v1, v32, v1, v33
	s_cbranch_scc0 .LBB121_81
; %bb.82:                               ;   in Loop: Header=BB121_21 Depth=1
	s_mov_b32 s9, s57
.LBB121_83:                             ;   in Loop: Header=BB121_21 Depth=1
	s_and_not1_b32 vcc_lo, exec_lo, s58
	s_cbranch_vccnz .LBB121_86
; %bb.84:                               ;   in Loop: Header=BB121_21 Depth=1
	s_lshl_b32 s10, s71, 9
	s_lshl_b32 s9, s9, 4
	s_delay_alu instid0(SALU_CYCLE_1)
	v_add3_u32 v2, s10, s9, v27
	s_mov_b32 s9, s55
.LBB121_85:                             ;   Parent Loop BB121_21 Depth=1
                                        ; =>  This Inner Loop Header: Depth=2
	ds_load_b32 v3, v2
	v_add_nc_u32_e32 v2, 16, v2
	s_add_i32 s9, s9, -1
	s_delay_alu instid0(SALU_CYCLE_1)
	s_cmp_lg_u32 s9, 0
	s_waitcnt lgkmcnt(0)
	v_add_nc_u32_e32 v1, v3, v1
	s_cbranch_scc1 .LBB121_85
.LBB121_86:                             ;   in Loop: Header=BB121_21 Depth=1
	v_add_lshl_u32 v2, s7, v16, 2
	ds_store_b32 v2, v1 offset:3072
.LBB121_87:                             ;   in Loop: Header=BB121_21 Depth=1
	s_or_b32 exec_lo, exec_lo, s8
	s_lshl_b32 s7, s7, 2
	s_waitcnt lgkmcnt(0)
	v_mov_b32_e32 v1, s7
	s_barrier
	buffer_gl0_inv
	s_and_b32 s16, s68, 0xfe
	s_mov_b32 s12, -1
	ds_load_b128 v[1:4], v1 offset:3072
	s_lshl_b32 s9, 3, s16
	s_delay_alu instid0(SALU_CYCLE_1) | instskip(SKIP_4) | instid1(VALU_DEP_3)
	s_not_b32 s17, s9
	s_waitcnt lgkmcnt(0)
	v_readfirstlane_b32 s11, v1
	v_readfirstlane_b32 s19, v2
	;; [unrolled: 1-line block ×3, first 2 shown]
	s_cmp_eq_u32 s11, 1
	s_cselect_b32 s7, -1, 0
	s_cmp_eq_u32 s75, 1
	s_cselect_b32 s8, -1, 0
	s_delay_alu instid0(SALU_CYCLE_1)
	s_and_b32 s13, s7, s8
	v_readfirstlane_b32 s8, v4
	s_and_b32 vcc_lo, exec_lo, s13
	s_cbranch_vccz .LBB121_99
; %bb.88:                               ;   in Loop: Header=BB121_21 Depth=1
	ds_load_b32 v1, v7 offset:4104
	s_waitcnt lgkmcnt(0)
	s_barrier
	buffer_gl0_inv
	v_readfirstlane_b32 s10, v1
	s_and_saveexec_b32 s7, s2
	s_cbranch_execz .LBB121_90
; %bb.89:                               ;   in Loop: Header=BB121_21 Depth=1
	ds_store_b32 v18, v7
.LBB121_90:                             ;   in Loop: Header=BB121_21 Depth=1
	s_or_b32 exec_lo, exec_lo, s7
	s_and_b32 s73, s73, s17
	s_or_b32 s74, s74, s9
	s_cmp_eq_u32 s10, 0
	s_waitcnt lgkmcnt(0)
	s_barrier
	buffer_gl0_inv
	s_cbranch_scc1 .LBB121_100
; %bb.91:                               ;   in Loop: Header=BB121_21 Depth=1
	s_add_i32 s7, s10, s52
                                        ; implicit-def: $vgpr15
	s_delay_alu instid0(SALU_CYCLE_1) | instskip(NEXT) | instid1(SALU_CYCLE_1)
	s_mul_hi_u32 s15, s7, s61
	s_mul_i32 s15, s15, s31
	s_delay_alu instid0(SALU_CYCLE_1) | instskip(NEXT) | instid1(SALU_CYCLE_1)
	s_sub_i32 s15, s7, s15
	s_sub_i32 s18, s15, s31
	s_cmp_ge_u32 s15, s31
	s_cselect_b32 s15, s18, s15
	s_delay_alu instid0(SALU_CYCLE_1) | instskip(SKIP_2) | instid1(SALU_CYCLE_1)
	s_sub_i32 s18, s15, s31
	s_cmp_ge_u32 s15, s31
	s_cselect_b32 s15, s18, s15
	s_sub_i32 s18, s7, s15
	s_mov_b32 s7, 0
	s_mov_b32 s15, exec_lo
	v_cmpx_gt_u32_e64 s18, v0
	s_cbranch_execz .LBB121_102
; %bb.92:                               ;   in Loop: Header=BB121_21 Depth=1
	v_dual_mov_b32 v1, v17 :: v_dual_mov_b32 v2, v0
	s_mov_b32 s20, 0
                                        ; implicit-def: $sgpr21
	s_set_inst_prefetch_distance 0x1
	s_branch .LBB121_94
	.p2align	6
.LBB121_93:                             ;   in Loop: Header=BB121_94 Depth=2
	s_or_b32 exec_lo, exec_lo, s7
	s_waitcnt lgkmcnt(0)
	s_barrier
	buffer_gl0_inv
	ds_load_b64 v[14:15], v7 offset:3072
	v_add_nc_u32_e32 v2, s31, v2
	v_add_nc_u32_e32 v1, s50, v1
	s_waitcnt lgkmcnt(0)
	s_barrier
	buffer_gl0_inv
	v_cmp_le_u32_e32 vcc_lo, s18, v2
	v_cmp_neq_f32_e64 s7, 0, v14
	s_delay_alu instid0(VALU_DEP_1) | instskip(NEXT) | instid1(SALU_CYCLE_1)
	s_or_b32 s22, vcc_lo, s7
	s_and_b32 s22, exec_lo, s22
	s_delay_alu instid0(SALU_CYCLE_1) | instskip(SKIP_2) | instid1(SALU_CYCLE_1)
	s_or_b32 s20, s22, s20
	s_and_not1_b32 s21, s21, exec_lo
	s_and_b32 s7, s7, exec_lo
	s_or_b32 s21, s21, s7
	s_and_not1_b32 exec_lo, exec_lo, s20
	s_cbranch_execz .LBB121_101
.LBB121_94:                             ;   Parent Loop BB121_21 Depth=1
                                        ; =>  This Inner Loop Header: Depth=2
	s_delay_alu instid0(VALU_DEP_1)
	v_cmp_gt_u32_e32 vcc_lo, s10, v2
	v_mov_b32_e32 v14, 0
	s_and_saveexec_b32 s7, vcc_lo
	s_cbranch_execz .LBB121_96
; %bb.95:                               ;   in Loop: Header=BB121_94 Depth=2
	ds_load_b32 v14, v1
.LBB121_96:                             ;   in Loop: Header=BB121_94 Depth=2
	s_or_b32 exec_lo, exec_lo, s7
	s_and_saveexec_b32 s7, vcc_lo
	s_cbranch_execz .LBB121_93
; %bb.97:                               ;   in Loop: Header=BB121_94 Depth=2
	s_waitcnt lgkmcnt(0)
	v_cmp_lt_i32_e32 vcc_lo, -1, v14
	v_cndmask_b32_e64 v3, -1, 0x80000000, vcc_lo
	v_cmp_o_f32_e32 vcc_lo, v14, v14
	s_delay_alu instid0(VALU_DEP_2) | instskip(NEXT) | instid1(VALU_DEP_1)
	v_xor_b32_e32 v3, v3, v14
	v_cndmask_b32_e32 v3, -1, v3, vcc_lo
	s_delay_alu instid0(VALU_DEP_1) | instskip(NEXT) | instid1(VALU_DEP_1)
	v_and_b32_e32 v3, s74, v3
	v_cmp_eq_u32_e32 vcc_lo, s73, v3
	s_and_b32 exec_lo, exec_lo, vcc_lo
	s_cbranch_execz .LBB121_93
; %bb.98:                               ;   in Loop: Header=BB121_94 Depth=2
	ds_store_b64 v7, v[13:14] offset:3072
	s_branch .LBB121_93
.LBB121_99:                             ;   in Loop: Header=BB121_21 Depth=1
	s_mov_b32 s7, -1
                                        ; implicit-def: $sgpr10
                                        ; implicit-def: $sgpr18
                                        ; implicit-def: $sgpr15
	s_branch .LBB121_113
.LBB121_100:                            ;   in Loop: Header=BB121_21 Depth=1
	s_mov_b32 s10, -1
	s_mov_b32 s7, 0
                                        ; implicit-def: $sgpr15
                                        ; implicit-def: $vgpr15
	s_mov_b32 s18, s10
	s_cbranch_execnz .LBB121_103
	s_branch .LBB121_113
.LBB121_101:                            ;   in Loop: Header=BB121_21 Depth=1
	s_set_inst_prefetch_distance 0x2
	s_or_b32 exec_lo, exec_lo, s20
	s_delay_alu instid0(SALU_CYCLE_1)
	s_and_b32 s7, s21, exec_lo
.LBB121_102:                            ;   in Loop: Header=BB121_21 Depth=1
	s_or_b32 exec_lo, exec_lo, s15
	s_mov_b32 s15, -1
	s_mov_b32 s10, 0
	s_delay_alu instid0(SALU_CYCLE_1)
	s_mov_b32 s18, s10
	s_branch .LBB121_113
.LBB121_103:                            ;   in Loop: Header=BB121_21 Depth=1
	s_mov_b32 s7, 0
                                        ; implicit-def: $vgpr15
	s_and_saveexec_b32 s10, s6
	s_cbranch_execz .LBB121_112
; %bb.104:                              ;   in Loop: Header=BB121_21 Depth=1
	v_dual_mov_b32 v6, v5 :: v_dual_mov_b32 v1, v0
	s_mov_b32 s15, 0
                                        ; implicit-def: $sgpr18
	s_set_inst_prefetch_distance 0x1
	s_branch .LBB121_106
	.p2align	6
.LBB121_105:                            ;   in Loop: Header=BB121_106 Depth=2
	s_or_b32 exec_lo, exec_lo, s7
	s_waitcnt vmcnt(0) lgkmcnt(0)
	s_barrier
	buffer_gl0_inv
	ds_load_b64 v[14:15], v7 offset:3072
	v_add_nc_u32_e32 v1, s31, v1
	v_add_nc_u32_e32 v6, s49, v6
	s_waitcnt lgkmcnt(0)
	s_barrier
	buffer_gl0_inv
	v_cmp_le_u32_e32 vcc_lo, s63, v1
	v_cmp_neq_f32_e64 s7, 0, v14
	s_delay_alu instid0(VALU_DEP_1) | instskip(NEXT) | instid1(SALU_CYCLE_1)
	s_or_b32 s20, vcc_lo, s7
	s_and_b32 s20, exec_lo, s20
	s_delay_alu instid0(SALU_CYCLE_1) | instskip(SKIP_2) | instid1(SALU_CYCLE_1)
	s_or_b32 s15, s20, s15
	s_and_not1_b32 s18, s18, exec_lo
	s_and_b32 s7, s7, exec_lo
	s_or_b32 s18, s18, s7
	s_and_not1_b32 exec_lo, exec_lo, s15
	s_cbranch_execz .LBB121_111
.LBB121_106:                            ;   Parent Loop BB121_21 Depth=1
                                        ; =>  This Inner Loop Header: Depth=2
	s_delay_alu instid0(VALU_DEP_1)
	v_cmp_gt_u32_e32 vcc_lo, s28, v1
	v_mov_b32_e32 v14, 0
	s_and_saveexec_b32 s20, vcc_lo
	s_cbranch_execz .LBB121_108
; %bb.107:                              ;   in Loop: Header=BB121_106 Depth=2
	v_lshlrev_b64 v[2:3], 2, v[6:7]
	s_delay_alu instid0(VALU_DEP_1) | instskip(NEXT) | instid1(VALU_DEP_1)
	v_add_co_u32 v2, s7, s44, v2
	v_add_co_ci_u32_e64 v3, s7, s45, v3, s7
	global_load_b32 v14, v[2:3], off
.LBB121_108:                            ;   in Loop: Header=BB121_106 Depth=2
	s_or_b32 exec_lo, exec_lo, s20
	s_and_saveexec_b32 s7, vcc_lo
	s_cbranch_execz .LBB121_105
; %bb.109:                              ;   in Loop: Header=BB121_106 Depth=2
	s_waitcnt vmcnt(0)
	v_cmp_lt_i32_e32 vcc_lo, -1, v14
	v_cndmask_b32_e64 v2, -1, 0x80000000, vcc_lo
	v_cmp_o_f32_e32 vcc_lo, v14, v14
	s_delay_alu instid0(VALU_DEP_2) | instskip(NEXT) | instid1(VALU_DEP_1)
	v_xor_b32_e32 v2, v2, v14
	v_cndmask_b32_e32 v2, -1, v2, vcc_lo
	s_delay_alu instid0(VALU_DEP_1) | instskip(NEXT) | instid1(VALU_DEP_1)
	v_and_b32_e32 v2, s74, v2
	v_cmp_eq_u32_e32 vcc_lo, s73, v2
	s_and_b32 exec_lo, exec_lo, vcc_lo
	s_cbranch_execz .LBB121_105
; %bb.110:                              ;   in Loop: Header=BB121_106 Depth=2
	ds_store_b64 v7, v[13:14] offset:3072
	s_branch .LBB121_105
.LBB121_111:                            ;   in Loop: Header=BB121_21 Depth=1
	s_set_inst_prefetch_distance 0x2
	s_or_b32 exec_lo, exec_lo, s15
	s_delay_alu instid0(SALU_CYCLE_1)
	s_and_b32 s7, s18, exec_lo
.LBB121_112:                            ;   in Loop: Header=BB121_21 Depth=1
	s_or_b32 exec_lo, exec_lo, s10
	s_mov_b32 s18, -1
	s_mov_b32 s10, 0
	s_mov_b32 s15, 0
.LBB121_113:                            ;   in Loop: Header=BB121_21 Depth=1
	s_and_not1_b32 s20, s69, exec_lo
	s_and_b32 s10, s10, exec_lo
	s_and_b32 s18, s18, exec_lo
	s_or_b32 s69, s20, s10
	s_and_not1_b32 s10, s72, exec_lo
	s_and_not1_b32 s20, s70, exec_lo
	s_and_b32 s15, s15, exec_lo
	s_or_b32 s72, s10, s18
	s_or_b32 s70, s20, s15
	s_and_saveexec_b32 s10, s7
	s_cbranch_execz .LBB121_20
; %bb.114:                              ;   in Loop: Header=BB121_21 Depth=1
	s_xor_b32 s7, s13, -1
	s_mov_b32 s12, 0
	s_and_not1_b32 vcc_lo, exec_lo, s7
	s_mov_b32 s20, 1
	s_cbranch_vccnz .LBB121_125
; %bb.115:                              ;   in Loop: Header=BB121_21 Depth=1
	s_cmp_gt_u32 s75, s11
	s_mov_b32 s12, -1
                                        ; implicit-def: $sgpr7
                                        ; implicit-def: $sgpr13
                                        ; implicit-def: $sgpr15
	s_cbranch_scc1 .LBB121_121
; %bb.116:                              ;   in Loop: Header=BB121_21 Depth=1
	ds_load_b32 v1, v7 offset:4104
	s_waitcnt lgkmcnt(0)
	v_cmp_ne_u32_e32 vcc_lo, 0, v1
	s_cbranch_vccnz .LBB121_120
; %bb.117:                              ;   in Loop: Header=BB121_21 Depth=1
	s_and_saveexec_b32 s7, s1
	s_cbranch_execz .LBB121_119
; %bb.118:                              ;   in Loop: Header=BB121_21 Depth=1
	v_mov_b32_e32 v1, s11
	ds_store_b32 v7, v1 offset:4108
.LBB121_119:                            ;   in Loop: Header=BB121_21 Depth=1
	s_or_b32 exec_lo, exec_lo, s7
	s_waitcnt lgkmcnt(0)
	s_barrier
	buffer_gl0_inv
.LBB121_120:                            ;   in Loop: Header=BB121_21 Depth=1
	s_and_b32 s13, s73, s17
	s_or_b32 s15, s74, s9
	s_mov_b32 s12, 0
	s_mov_b32 s7, 8
.LBB121_121:                            ;   in Loop: Header=BB121_21 Depth=1
	s_and_not1_b32 vcc_lo, exec_lo, s12
	s_cbranch_vccnz .LBB121_123
; %bb.122:                              ;   in Loop: Header=BB121_21 Depth=1
	s_sub_i32 s75, s75, s11
	s_mov_b32 s12, -1
	s_mov_b32 s7, 0
	s_mov_b32 s13, s73
	s_mov_b32 s15, s74
.LBB121_123:                            ;   in Loop: Header=BB121_21 Depth=1
	s_delay_alu instid0(SALU_CYCLE_1)
	s_mov_b32 s74, s15
	s_mov_b32 s73, s13
	;; [unrolled: 1-line block ×3, first 2 shown]
	s_and_b32 vcc_lo, exec_lo, s12
	s_mov_b32 s11, -1
	s_cbranch_vccnz .LBB121_126
.LBB121_124:                            ;   in Loop: Header=BB121_21 Depth=1
	s_mov_b32 s23, -1
                                        ; implicit-def: $sgpr12
                                        ; implicit-def: $sgpr15
                                        ; implicit-def: $sgpr13
                                        ; implicit-def: $sgpr75
	s_delay_alu instid0(SALU_CYCLE_1) | instskip(NEXT) | instid1(SALU_CYCLE_1)
	s_and_saveexec_b32 s8, s23
	s_xor_b32 s8, exec_lo, s8
	s_cbranch_execz .LBB121_19
	s_branch .LBB121_252
.LBB121_125:                            ;   in Loop: Header=BB121_21 Depth=1
	s_mov_b32 s7, 1
	s_and_b32 vcc_lo, exec_lo, s12
	s_mov_b32 s11, -1
	s_cbranch_vccz .LBB121_124
.LBB121_126:                            ;   in Loop: Header=BB121_21 Depth=1
	s_cmp_eq_u32 s19, 1
	s_mov_b32 s22, -1
	s_cselect_b32 s7, -1, 0
	s_cmp_eq_u32 s20, 1
	s_cselect_b32 s12, -1, 0
	s_delay_alu instid0(SALU_CYCLE_1) | instskip(NEXT) | instid1(SALU_CYCLE_1)
	s_and_b32 s21, s7, s12
	s_and_b32 vcc_lo, exec_lo, s21
	s_cbranch_vccz .LBB121_138
; %bb.127:                              ;   in Loop: Header=BB121_21 Depth=1
	ds_load_b32 v1, v7 offset:4104
	s_waitcnt lgkmcnt(0)
	s_barrier
	buffer_gl0_inv
	v_readfirstlane_b32 s12, v1
	s_and_saveexec_b32 s7, s2
	s_cbranch_execz .LBB121_129
; %bb.128:                              ;   in Loop: Header=BB121_21 Depth=1
	ds_store_b32 v18, v7
.LBB121_129:                            ;   in Loop: Header=BB121_21 Depth=1
	s_or_b32 exec_lo, exec_lo, s7
	s_lshl_b32 s7, 1, s16
	s_and_b32 s13, s73, s17
	s_or_b32 s74, s74, s9
	s_or_b32 s73, s13, s7
	s_cmp_eq_u32 s12, 0
	s_waitcnt lgkmcnt(0)
	s_barrier
	buffer_gl0_inv
	s_cbranch_scc1 .LBB121_142
; %bb.130:                              ;   in Loop: Header=BB121_21 Depth=1
	s_add_i32 s7, s12, s52
	s_mov_b32 s22, 0
	s_mul_hi_u32 s13, s7, s61
                                        ; implicit-def: $vgpr15
	s_delay_alu instid0(SALU_CYCLE_1) | instskip(NEXT) | instid1(SALU_CYCLE_1)
	s_mul_i32 s13, s13, s31
	s_sub_i32 s13, s7, s13
	s_delay_alu instid0(SALU_CYCLE_1) | instskip(SKIP_2) | instid1(SALU_CYCLE_1)
	s_sub_i32 s15, s13, s31
	s_cmp_ge_u32 s13, s31
	s_cselect_b32 s13, s15, s13
	s_sub_i32 s15, s13, s31
	s_cmp_ge_u32 s13, s31
	s_cselect_b32 s13, s15, s13
	s_delay_alu instid0(SALU_CYCLE_1)
	s_sub_i32 s15, s7, s13
	s_mov_b32 s13, exec_lo
	v_cmpx_gt_u32_e64 s15, v0
	s_cbranch_execz .LBB121_144
; %bb.131:                              ;   in Loop: Header=BB121_21 Depth=1
	v_dual_mov_b32 v1, v17 :: v_dual_mov_b32 v2, v0
	s_mov_b32 s18, 0
                                        ; implicit-def: $sgpr22
	s_set_inst_prefetch_distance 0x1
	s_branch .LBB121_133
	.p2align	6
.LBB121_132:                            ;   in Loop: Header=BB121_133 Depth=2
	s_or_b32 exec_lo, exec_lo, s7
	s_waitcnt lgkmcnt(0)
	s_barrier
	buffer_gl0_inv
	ds_load_b64 v[14:15], v7 offset:3072
	v_add_nc_u32_e32 v2, s31, v2
	v_add_nc_u32_e32 v1, s50, v1
	s_waitcnt lgkmcnt(0)
	s_barrier
	buffer_gl0_inv
	v_cmp_le_u32_e32 vcc_lo, s15, v2
	v_cmp_neq_f32_e64 s7, 0, v14
	s_delay_alu instid0(VALU_DEP_1) | instskip(NEXT) | instid1(SALU_CYCLE_1)
	s_or_b32 s23, vcc_lo, s7
	s_and_b32 s23, exec_lo, s23
	s_delay_alu instid0(SALU_CYCLE_1) | instskip(SKIP_2) | instid1(SALU_CYCLE_1)
	s_or_b32 s18, s23, s18
	s_and_not1_b32 s22, s22, exec_lo
	s_and_b32 s7, s7, exec_lo
	s_or_b32 s22, s22, s7
	s_and_not1_b32 exec_lo, exec_lo, s18
	s_cbranch_execz .LBB121_143
.LBB121_133:                            ;   Parent Loop BB121_21 Depth=1
                                        ; =>  This Inner Loop Header: Depth=2
	s_delay_alu instid0(VALU_DEP_1)
	v_cmp_gt_u32_e32 vcc_lo, s12, v2
	v_mov_b32_e32 v14, 0
	s_and_saveexec_b32 s7, vcc_lo
	s_cbranch_execz .LBB121_135
; %bb.134:                              ;   in Loop: Header=BB121_133 Depth=2
	ds_load_b32 v14, v1
.LBB121_135:                            ;   in Loop: Header=BB121_133 Depth=2
	s_or_b32 exec_lo, exec_lo, s7
	s_and_saveexec_b32 s7, vcc_lo
	s_cbranch_execz .LBB121_132
; %bb.136:                              ;   in Loop: Header=BB121_133 Depth=2
	s_waitcnt lgkmcnt(0)
	v_cmp_lt_i32_e32 vcc_lo, -1, v14
	v_cndmask_b32_e64 v3, -1, 0x80000000, vcc_lo
	v_cmp_o_f32_e32 vcc_lo, v14, v14
	s_delay_alu instid0(VALU_DEP_2) | instskip(NEXT) | instid1(VALU_DEP_1)
	v_xor_b32_e32 v3, v3, v14
	v_cndmask_b32_e32 v3, -1, v3, vcc_lo
	s_delay_alu instid0(VALU_DEP_1) | instskip(NEXT) | instid1(VALU_DEP_1)
	v_and_b32_e32 v3, s74, v3
	v_cmp_eq_u32_e32 vcc_lo, s73, v3
	s_and_b32 exec_lo, exec_lo, vcc_lo
	s_cbranch_execz .LBB121_132
; %bb.137:                              ;   in Loop: Header=BB121_133 Depth=2
	ds_store_b64 v7, v[13:14] offset:3072
	s_branch .LBB121_132
.LBB121_138:                            ;   in Loop: Header=BB121_21 Depth=1
                                        ; implicit-def: $sgpr13
                                        ; implicit-def: $sgpr15
                                        ; implicit-def: $sgpr12
	s_branch .LBB121_155
.LBB121_139:                            ;   in Loop: Header=BB121_21 Depth=1
	s_or_b32 exec_lo, exec_lo, s9
	s_waitcnt vmcnt(0) lgkmcnt(0)
	s_barrier
	buffer_gl0_inv
	s_and_saveexec_b32 s7, s1
	s_cbranch_execz .LBB121_141
; %bb.140:                              ;   in Loop: Header=BB121_21 Depth=1
	ds_load_b32 v1, v7 offset:4112
	s_waitcnt lgkmcnt(0)
	ds_store_b32 v7, v1 offset:4104
.LBB121_141:                            ;   in Loop: Header=BB121_21 Depth=1
	s_or_b32 exec_lo, exec_lo, s7
	s_waitcnt lgkmcnt(0)
	s_mov_b32 s7, -1
	s_barrier
	s_and_b32 vcc_lo, exec_lo, s76
	s_cbranch_vccnz .LBB121_39
	s_branch .LBB121_49
.LBB121_142:                            ;   in Loop: Header=BB121_21 Depth=1
	s_mov_b32 s13, -1
	s_mov_b32 s22, 0
                                        ; implicit-def: $sgpr12
                                        ; implicit-def: $vgpr15
	s_mov_b32 s15, s13
	s_cbranch_execnz .LBB121_145
	s_branch .LBB121_155
.LBB121_143:                            ;   in Loop: Header=BB121_21 Depth=1
	s_set_inst_prefetch_distance 0x2
	s_or_b32 exec_lo, exec_lo, s18
	s_delay_alu instid0(SALU_CYCLE_1)
	s_and_b32 s22, s22, exec_lo
.LBB121_144:                            ;   in Loop: Header=BB121_21 Depth=1
	s_or_b32 exec_lo, exec_lo, s13
	s_mov_b32 s12, -1
	s_mov_b32 s13, 0
	s_delay_alu instid0(SALU_CYCLE_1)
	s_mov_b32 s15, s13
	s_branch .LBB121_155
.LBB121_145:                            ;   in Loop: Header=BB121_21 Depth=1
	s_mov_b32 s22, 0
                                        ; implicit-def: $vgpr15
	s_and_saveexec_b32 s12, s6
	s_cbranch_execz .LBB121_154
; %bb.146:                              ;   in Loop: Header=BB121_21 Depth=1
	v_dual_mov_b32 v6, v5 :: v_dual_mov_b32 v1, v0
	s_mov_b32 s13, 0
                                        ; implicit-def: $sgpr15
	s_set_inst_prefetch_distance 0x1
	s_branch .LBB121_148
	.p2align	6
.LBB121_147:                            ;   in Loop: Header=BB121_148 Depth=2
	s_or_b32 exec_lo, exec_lo, s7
	s_waitcnt vmcnt(0) lgkmcnt(0)
	s_barrier
	buffer_gl0_inv
	ds_load_b64 v[14:15], v7 offset:3072
	v_add_nc_u32_e32 v1, s31, v1
	v_add_nc_u32_e32 v6, s49, v6
	s_waitcnt lgkmcnt(0)
	s_barrier
	buffer_gl0_inv
	v_cmp_le_u32_e32 vcc_lo, s63, v1
	v_cmp_neq_f32_e64 s7, 0, v14
	s_delay_alu instid0(VALU_DEP_1) | instskip(NEXT) | instid1(SALU_CYCLE_1)
	s_or_b32 s18, vcc_lo, s7
	s_and_b32 s18, exec_lo, s18
	s_delay_alu instid0(SALU_CYCLE_1) | instskip(SKIP_2) | instid1(SALU_CYCLE_1)
	s_or_b32 s13, s18, s13
	s_and_not1_b32 s15, s15, exec_lo
	s_and_b32 s7, s7, exec_lo
	s_or_b32 s15, s15, s7
	s_and_not1_b32 exec_lo, exec_lo, s13
	s_cbranch_execz .LBB121_153
.LBB121_148:                            ;   Parent Loop BB121_21 Depth=1
                                        ; =>  This Inner Loop Header: Depth=2
	s_delay_alu instid0(VALU_DEP_1)
	v_cmp_gt_u32_e32 vcc_lo, s28, v1
	v_mov_b32_e32 v14, 0
	s_and_saveexec_b32 s18, vcc_lo
	s_cbranch_execz .LBB121_150
; %bb.149:                              ;   in Loop: Header=BB121_148 Depth=2
	v_lshlrev_b64 v[2:3], 2, v[6:7]
	s_delay_alu instid0(VALU_DEP_1) | instskip(NEXT) | instid1(VALU_DEP_1)
	v_add_co_u32 v2, s7, s44, v2
	v_add_co_ci_u32_e64 v3, s7, s45, v3, s7
	global_load_b32 v14, v[2:3], off
.LBB121_150:                            ;   in Loop: Header=BB121_148 Depth=2
	s_or_b32 exec_lo, exec_lo, s18
	s_and_saveexec_b32 s7, vcc_lo
	s_cbranch_execz .LBB121_147
; %bb.151:                              ;   in Loop: Header=BB121_148 Depth=2
	s_waitcnt vmcnt(0)
	v_cmp_lt_i32_e32 vcc_lo, -1, v14
	v_cndmask_b32_e64 v2, -1, 0x80000000, vcc_lo
	v_cmp_o_f32_e32 vcc_lo, v14, v14
	s_delay_alu instid0(VALU_DEP_2) | instskip(NEXT) | instid1(VALU_DEP_1)
	v_xor_b32_e32 v2, v2, v14
	v_cndmask_b32_e32 v2, -1, v2, vcc_lo
	s_delay_alu instid0(VALU_DEP_1) | instskip(NEXT) | instid1(VALU_DEP_1)
	v_and_b32_e32 v2, s74, v2
	v_cmp_eq_u32_e32 vcc_lo, s73, v2
	s_and_b32 exec_lo, exec_lo, vcc_lo
	s_cbranch_execz .LBB121_147
; %bb.152:                              ;   in Loop: Header=BB121_148 Depth=2
	ds_store_b64 v7, v[13:14] offset:3072
	s_branch .LBB121_147
.LBB121_153:                            ;   in Loop: Header=BB121_21 Depth=1
	s_set_inst_prefetch_distance 0x2
	s_or_b32 exec_lo, exec_lo, s13
	s_delay_alu instid0(SALU_CYCLE_1)
	s_and_b32 s22, s15, exec_lo
.LBB121_154:                            ;   in Loop: Header=BB121_21 Depth=1
	s_or_b32 exec_lo, exec_lo, s12
	s_mov_b32 s15, -1
	s_mov_b32 s13, 0
	s_mov_b32 s12, 0
.LBB121_155:                            ;   in Loop: Header=BB121_21 Depth=1
	s_mov_b32 s23, 0
                                        ; implicit-def: $sgpr7
	s_and_saveexec_b32 s18, s22
	s_cbranch_execz .LBB121_251
; %bb.156:                              ;   in Loop: Header=BB121_21 Depth=1
	s_xor_b32 s7, s21, -1
	s_mov_b32 s21, 0
	s_and_not1_b32 vcc_lo, exec_lo, s7
	s_mov_b32 s24, 1
	s_cbranch_vccnz .LBB121_167
; %bb.157:                              ;   in Loop: Header=BB121_21 Depth=1
	s_cmp_gt_u32 s20, s19
	s_mov_b32 s21, -1
                                        ; implicit-def: $sgpr7
                                        ; implicit-def: $sgpr22
                                        ; implicit-def: $sgpr23
	s_cbranch_scc1 .LBB121_163
; %bb.158:                              ;   in Loop: Header=BB121_21 Depth=1
	ds_load_b32 v1, v7 offset:4104
	s_waitcnt lgkmcnt(0)
	v_cmp_ne_u32_e32 vcc_lo, 0, v1
	s_cbranch_vccnz .LBB121_162
; %bb.159:                              ;   in Loop: Header=BB121_21 Depth=1
	s_and_saveexec_b32 s7, s1
	s_cbranch_execz .LBB121_161
; %bb.160:                              ;   in Loop: Header=BB121_21 Depth=1
	v_mov_b32_e32 v1, s19
	ds_store_b32 v7, v1 offset:4108
.LBB121_161:                            ;   in Loop: Header=BB121_21 Depth=1
	s_or_b32 exec_lo, exec_lo, s7
	s_waitcnt lgkmcnt(0)
	s_barrier
	buffer_gl0_inv
.LBB121_162:                            ;   in Loop: Header=BB121_21 Depth=1
	s_lshl_b32 s7, 1, s16
	s_and_b32 s21, s73, s17
	s_or_b32 s23, s74, s9
	s_or_b32 s22, s21, s7
	s_mov_b32 s21, 0
	s_mov_b32 s7, 8
.LBB121_163:                            ;   in Loop: Header=BB121_21 Depth=1
	s_and_not1_b32 vcc_lo, exec_lo, s21
	s_cbranch_vccnz .LBB121_165
; %bb.164:                              ;   in Loop: Header=BB121_21 Depth=1
	s_sub_i32 s20, s20, s19
	s_mov_b32 s21, -1
	s_mov_b32 s7, 0
	s_mov_b32 s22, s73
	;; [unrolled: 1-line block ×3, first 2 shown]
.LBB121_165:                            ;   in Loop: Header=BB121_21 Depth=1
	s_delay_alu instid0(SALU_CYCLE_1)
	s_mov_b32 s74, s23
	s_mov_b32 s73, s22
	;; [unrolled: 1-line block ×3, first 2 shown]
	s_and_not1_b32 vcc_lo, exec_lo, s21
	s_mov_b32 s26, -1
	s_cbranch_vccz .LBB121_168
.LBB121_166:                            ;   in Loop: Header=BB121_21 Depth=1
                                        ; implicit-def: $sgpr20
                                        ; implicit-def: $sgpr21
                                        ; implicit-def: $sgpr19
	s_branch .LBB121_250
.LBB121_167:                            ;   in Loop: Header=BB121_21 Depth=1
	s_mov_b32 s7, 1
	s_and_not1_b32 vcc_lo, exec_lo, s21
	s_mov_b32 s26, -1
	s_cbranch_vccnz .LBB121_166
.LBB121_168:                            ;   in Loop: Header=BB121_21 Depth=1
	s_cmp_eq_u32 s14, 1
	s_mov_b32 s25, -1
	s_cselect_b32 s7, -1, 0
	s_cmp_eq_u32 s24, 1
	s_cselect_b32 s19, -1, 0
	s_delay_alu instid0(SALU_CYCLE_1) | instskip(NEXT) | instid1(SALU_CYCLE_1)
	s_and_b32 s23, s7, s19
	s_and_b32 vcc_lo, exec_lo, s23
	s_cbranch_vccz .LBB121_180
; %bb.169:                              ;   in Loop: Header=BB121_21 Depth=1
	ds_load_b32 v1, v7 offset:4104
	s_waitcnt lgkmcnt(0)
	s_barrier
	buffer_gl0_inv
	v_readfirstlane_b32 s19, v1
	s_and_saveexec_b32 s7, s2
	s_cbranch_execz .LBB121_171
; %bb.170:                              ;   in Loop: Header=BB121_21 Depth=1
	ds_store_b32 v18, v7
.LBB121_171:                            ;   in Loop: Header=BB121_21 Depth=1
	s_or_b32 exec_lo, exec_lo, s7
	s_lshl_b32 s7, 2, s16
	s_and_b32 s20, s73, s17
	s_or_b32 s74, s74, s9
	s_or_b32 s73, s20, s7
	s_cmp_eq_u32 s19, 0
	s_waitcnt lgkmcnt(0)
	s_barrier
	buffer_gl0_inv
	s_cbranch_scc1 .LBB121_181
; %bb.172:                              ;   in Loop: Header=BB121_21 Depth=1
	s_add_i32 s7, s19, s52
	s_mov_b32 s25, 0
	s_mul_hi_u32 s20, s7, s61
                                        ; implicit-def: $vgpr15
	s_delay_alu instid0(SALU_CYCLE_1) | instskip(NEXT) | instid1(SALU_CYCLE_1)
	s_mul_i32 s20, s20, s31
	s_sub_i32 s20, s7, s20
	s_delay_alu instid0(SALU_CYCLE_1) | instskip(SKIP_2) | instid1(SALU_CYCLE_1)
	s_sub_i32 s21, s20, s31
	s_cmp_ge_u32 s20, s31
	s_cselect_b32 s20, s21, s20
	s_sub_i32 s21, s20, s31
	s_cmp_ge_u32 s20, s31
	s_cselect_b32 s20, s21, s20
	s_delay_alu instid0(SALU_CYCLE_1)
	s_sub_i32 s21, s7, s20
	s_mov_b32 s20, exec_lo
	v_cmpx_gt_u32_e64 s21, v0
	s_cbranch_execz .LBB121_183
; %bb.173:                              ;   in Loop: Header=BB121_21 Depth=1
	v_dual_mov_b32 v1, v17 :: v_dual_mov_b32 v2, v0
	s_mov_b32 s22, 0
                                        ; implicit-def: $sgpr25
	s_set_inst_prefetch_distance 0x1
	s_branch .LBB121_175
	.p2align	6
.LBB121_174:                            ;   in Loop: Header=BB121_175 Depth=2
	s_or_b32 exec_lo, exec_lo, s7
	s_waitcnt lgkmcnt(0)
	s_barrier
	buffer_gl0_inv
	ds_load_b64 v[14:15], v7 offset:3072
	v_add_nc_u32_e32 v2, s31, v2
	v_add_nc_u32_e32 v1, s50, v1
	s_waitcnt lgkmcnt(0)
	s_barrier
	buffer_gl0_inv
	v_cmp_le_u32_e32 vcc_lo, s21, v2
	v_cmp_neq_f32_e64 s7, 0, v14
	s_delay_alu instid0(VALU_DEP_1) | instskip(NEXT) | instid1(SALU_CYCLE_1)
	s_or_b32 s26, vcc_lo, s7
	s_and_b32 s26, exec_lo, s26
	s_delay_alu instid0(SALU_CYCLE_1) | instskip(SKIP_2) | instid1(SALU_CYCLE_1)
	s_or_b32 s22, s26, s22
	s_and_not1_b32 s25, s25, exec_lo
	s_and_b32 s7, s7, exec_lo
	s_or_b32 s25, s25, s7
	s_and_not1_b32 exec_lo, exec_lo, s22
	s_cbranch_execz .LBB121_182
.LBB121_175:                            ;   Parent Loop BB121_21 Depth=1
                                        ; =>  This Inner Loop Header: Depth=2
	s_delay_alu instid0(VALU_DEP_1)
	v_cmp_gt_u32_e32 vcc_lo, s19, v2
	v_mov_b32_e32 v14, 0
	s_and_saveexec_b32 s7, vcc_lo
	s_cbranch_execz .LBB121_177
; %bb.176:                              ;   in Loop: Header=BB121_175 Depth=2
	ds_load_b32 v14, v1
.LBB121_177:                            ;   in Loop: Header=BB121_175 Depth=2
	s_or_b32 exec_lo, exec_lo, s7
	s_and_saveexec_b32 s7, vcc_lo
	s_cbranch_execz .LBB121_174
; %bb.178:                              ;   in Loop: Header=BB121_175 Depth=2
	s_waitcnt lgkmcnt(0)
	v_cmp_lt_i32_e32 vcc_lo, -1, v14
	v_cndmask_b32_e64 v3, -1, 0x80000000, vcc_lo
	v_cmp_o_f32_e32 vcc_lo, v14, v14
	s_delay_alu instid0(VALU_DEP_2) | instskip(NEXT) | instid1(VALU_DEP_1)
	v_xor_b32_e32 v3, v3, v14
	v_cndmask_b32_e32 v3, -1, v3, vcc_lo
	s_delay_alu instid0(VALU_DEP_1) | instskip(NEXT) | instid1(VALU_DEP_1)
	v_and_b32_e32 v3, s74, v3
	v_cmp_eq_u32_e32 vcc_lo, s73, v3
	s_and_b32 exec_lo, exec_lo, vcc_lo
	s_cbranch_execz .LBB121_174
; %bb.179:                              ;   in Loop: Header=BB121_175 Depth=2
	ds_store_b64 v7, v[13:14] offset:3072
	s_branch .LBB121_174
.LBB121_180:                            ;   in Loop: Header=BB121_21 Depth=1
                                        ; implicit-def: $sgpr19
                                        ; implicit-def: $sgpr21
                                        ; implicit-def: $sgpr20
	s_branch .LBB121_194
.LBB121_181:                            ;   in Loop: Header=BB121_21 Depth=1
	s_mov_b32 s19, -1
	s_mov_b32 s25, 0
                                        ; implicit-def: $sgpr20
                                        ; implicit-def: $vgpr15
	s_mov_b32 s21, s19
	s_cbranch_execnz .LBB121_184
	s_branch .LBB121_194
.LBB121_182:                            ;   in Loop: Header=BB121_21 Depth=1
	s_set_inst_prefetch_distance 0x2
	s_or_b32 exec_lo, exec_lo, s22
	s_delay_alu instid0(SALU_CYCLE_1)
	s_and_b32 s25, s25, exec_lo
.LBB121_183:                            ;   in Loop: Header=BB121_21 Depth=1
	s_or_b32 exec_lo, exec_lo, s20
	s_mov_b32 s20, -1
	s_mov_b32 s19, 0
	s_delay_alu instid0(SALU_CYCLE_1)
	s_mov_b32 s21, s19
	s_branch .LBB121_194
.LBB121_184:                            ;   in Loop: Header=BB121_21 Depth=1
	s_mov_b32 s25, 0
                                        ; implicit-def: $vgpr15
	s_and_saveexec_b32 s19, s6
	s_cbranch_execz .LBB121_193
; %bb.185:                              ;   in Loop: Header=BB121_21 Depth=1
	v_dual_mov_b32 v6, v5 :: v_dual_mov_b32 v1, v0
	s_mov_b32 s20, 0
                                        ; implicit-def: $sgpr21
	s_set_inst_prefetch_distance 0x1
	s_branch .LBB121_187
	.p2align	6
.LBB121_186:                            ;   in Loop: Header=BB121_187 Depth=2
	s_or_b32 exec_lo, exec_lo, s7
	s_waitcnt vmcnt(0) lgkmcnt(0)
	s_barrier
	buffer_gl0_inv
	ds_load_b64 v[14:15], v7 offset:3072
	v_add_nc_u32_e32 v1, s31, v1
	v_add_nc_u32_e32 v6, s49, v6
	s_waitcnt lgkmcnt(0)
	s_barrier
	buffer_gl0_inv
	v_cmp_le_u32_e32 vcc_lo, s63, v1
	v_cmp_neq_f32_e64 s7, 0, v14
	s_delay_alu instid0(VALU_DEP_1) | instskip(NEXT) | instid1(SALU_CYCLE_1)
	s_or_b32 s22, vcc_lo, s7
	s_and_b32 s22, exec_lo, s22
	s_delay_alu instid0(SALU_CYCLE_1) | instskip(SKIP_2) | instid1(SALU_CYCLE_1)
	s_or_b32 s20, s22, s20
	s_and_not1_b32 s21, s21, exec_lo
	s_and_b32 s7, s7, exec_lo
	s_or_b32 s21, s21, s7
	s_and_not1_b32 exec_lo, exec_lo, s20
	s_cbranch_execz .LBB121_192
.LBB121_187:                            ;   Parent Loop BB121_21 Depth=1
                                        ; =>  This Inner Loop Header: Depth=2
	s_delay_alu instid0(VALU_DEP_1)
	v_cmp_gt_u32_e32 vcc_lo, s28, v1
	v_mov_b32_e32 v14, 0
	s_and_saveexec_b32 s22, vcc_lo
	s_cbranch_execz .LBB121_189
; %bb.188:                              ;   in Loop: Header=BB121_187 Depth=2
	v_lshlrev_b64 v[2:3], 2, v[6:7]
	s_delay_alu instid0(VALU_DEP_1) | instskip(NEXT) | instid1(VALU_DEP_1)
	v_add_co_u32 v2, s7, s44, v2
	v_add_co_ci_u32_e64 v3, s7, s45, v3, s7
	global_load_b32 v14, v[2:3], off
.LBB121_189:                            ;   in Loop: Header=BB121_187 Depth=2
	s_or_b32 exec_lo, exec_lo, s22
	s_and_saveexec_b32 s7, vcc_lo
	s_cbranch_execz .LBB121_186
; %bb.190:                              ;   in Loop: Header=BB121_187 Depth=2
	s_waitcnt vmcnt(0)
	v_cmp_lt_i32_e32 vcc_lo, -1, v14
	v_cndmask_b32_e64 v2, -1, 0x80000000, vcc_lo
	v_cmp_o_f32_e32 vcc_lo, v14, v14
	s_delay_alu instid0(VALU_DEP_2) | instskip(NEXT) | instid1(VALU_DEP_1)
	v_xor_b32_e32 v2, v2, v14
	v_cndmask_b32_e32 v2, -1, v2, vcc_lo
	s_delay_alu instid0(VALU_DEP_1) | instskip(NEXT) | instid1(VALU_DEP_1)
	v_and_b32_e32 v2, s74, v2
	v_cmp_eq_u32_e32 vcc_lo, s73, v2
	s_and_b32 exec_lo, exec_lo, vcc_lo
	s_cbranch_execz .LBB121_186
; %bb.191:                              ;   in Loop: Header=BB121_187 Depth=2
	ds_store_b64 v7, v[13:14] offset:3072
	s_branch .LBB121_186
.LBB121_192:                            ;   in Loop: Header=BB121_21 Depth=1
	s_set_inst_prefetch_distance 0x2
	s_or_b32 exec_lo, exec_lo, s20
	s_delay_alu instid0(SALU_CYCLE_1)
	s_and_b32 s25, s21, exec_lo
.LBB121_193:                            ;   in Loop: Header=BB121_21 Depth=1
	s_or_b32 exec_lo, exec_lo, s19
	s_mov_b32 s21, -1
	s_mov_b32 s19, 0
	s_mov_b32 s20, 0
.LBB121_194:                            ;   in Loop: Header=BB121_21 Depth=1
	s_mov_b32 s26, 0
                                        ; implicit-def: $sgpr7
	s_and_saveexec_b32 s22, s25
	s_cbranch_execz .LBB121_249
; %bb.195:                              ;   in Loop: Header=BB121_21 Depth=1
	s_xor_b32 s7, s23, -1
	s_mov_b32 s25, 0
	s_and_not1_b32 vcc_lo, exec_lo, s7
	s_mov_b32 s23, 1
	s_cbranch_vccnz .LBB121_206
; %bb.196:                              ;   in Loop: Header=BB121_21 Depth=1
	s_cmp_gt_u32 s24, s14
	s_mov_b32 s25, -1
                                        ; implicit-def: $sgpr7
                                        ; implicit-def: $sgpr23
                                        ; implicit-def: $sgpr26
	s_cbranch_scc1 .LBB121_202
; %bb.197:                              ;   in Loop: Header=BB121_21 Depth=1
	ds_load_b32 v1, v7 offset:4104
	s_waitcnt lgkmcnt(0)
	v_cmp_ne_u32_e32 vcc_lo, 0, v1
	s_cbranch_vccnz .LBB121_201
; %bb.198:                              ;   in Loop: Header=BB121_21 Depth=1
	s_and_saveexec_b32 s7, s1
	s_cbranch_execz .LBB121_200
; %bb.199:                              ;   in Loop: Header=BB121_21 Depth=1
	v_mov_b32_e32 v1, s14
	ds_store_b32 v7, v1 offset:4108
.LBB121_200:                            ;   in Loop: Header=BB121_21 Depth=1
	s_or_b32 exec_lo, exec_lo, s7
	s_waitcnt lgkmcnt(0)
	s_barrier
	buffer_gl0_inv
.LBB121_201:                            ;   in Loop: Header=BB121_21 Depth=1
	s_lshl_b32 s7, 2, s16
	s_and_b32 s16, s73, s17
	s_or_b32 s26, s74, s9
	s_or_b32 s23, s16, s7
	s_mov_b32 s25, 0
	s_mov_b32 s7, 8
.LBB121_202:                            ;   in Loop: Header=BB121_21 Depth=1
	s_and_not1_b32 vcc_lo, exec_lo, s25
	s_cbranch_vccnz .LBB121_204
; %bb.203:                              ;   in Loop: Header=BB121_21 Depth=1
	s_sub_i32 s24, s24, s14
	s_mov_b32 s25, -1
	s_mov_b32 s7, 0
	s_mov_b32 s23, s73
	s_mov_b32 s26, s74
.LBB121_204:                            ;   in Loop: Header=BB121_21 Depth=1
	s_delay_alu instid0(SALU_CYCLE_1)
	s_mov_b32 s74, s26
	s_mov_b32 s73, s23
	;; [unrolled: 1-line block ×3, first 2 shown]
	s_and_not1_b32 vcc_lo, exec_lo, s25
	s_mov_b32 s75, -1
	s_cbranch_vccz .LBB121_207
.LBB121_205:                            ;   in Loop: Header=BB121_21 Depth=1
                                        ; implicit-def: $sgpr16
                                        ; implicit-def: $sgpr24
                                        ; implicit-def: $sgpr17
	s_branch .LBB121_248
.LBB121_206:                            ;   in Loop: Header=BB121_21 Depth=1
	s_mov_b32 s7, 1
	s_and_not1_b32 vcc_lo, exec_lo, s25
	s_mov_b32 s75, -1
	s_cbranch_vccnz .LBB121_205
.LBB121_207:                            ;   in Loop: Header=BB121_21 Depth=1
	s_cmp_eq_u32 s8, 1
	s_mov_b32 s25, -1
	s_cselect_b32 s7, -1, 0
	s_cmp_eq_u32 s23, 1
	s_cselect_b32 s14, -1, 0
	s_delay_alu instid0(SALU_CYCLE_1) | instskip(NEXT) | instid1(SALU_CYCLE_1)
	s_and_b32 s14, s7, s14
	s_and_b32 vcc_lo, exec_lo, s14
	s_cbranch_vccz .LBB121_219
; %bb.208:                              ;   in Loop: Header=BB121_21 Depth=1
	ds_load_b32 v1, v7 offset:4104
	s_waitcnt lgkmcnt(0)
	s_barrier
	buffer_gl0_inv
	v_readfirstlane_b32 s16, v1
	s_and_saveexec_b32 s7, s2
	s_cbranch_execz .LBB121_210
; %bb.209:                              ;   in Loop: Header=BB121_21 Depth=1
	ds_store_b32 v18, v7
.LBB121_210:                            ;   in Loop: Header=BB121_21 Depth=1
	s_or_b32 exec_lo, exec_lo, s7
	s_or_b32 s73, s73, s9
	s_or_b32 s74, s74, s9
	s_cmp_eq_u32 s16, 0
	s_waitcnt lgkmcnt(0)
	s_barrier
	buffer_gl0_inv
	s_cbranch_scc1 .LBB121_220
; %bb.211:                              ;   in Loop: Header=BB121_21 Depth=1
	s_add_i32 s7, s16, s52
	s_mov_b32 s25, 0
	s_mul_hi_u32 s17, s7, s61
                                        ; implicit-def: $vgpr15
	s_delay_alu instid0(SALU_CYCLE_1) | instskip(NEXT) | instid1(SALU_CYCLE_1)
	s_mul_i32 s17, s17, s31
	s_sub_i32 s17, s7, s17
	s_delay_alu instid0(SALU_CYCLE_1) | instskip(SKIP_2) | instid1(SALU_CYCLE_1)
	s_sub_i32 s24, s17, s31
	s_cmp_ge_u32 s17, s31
	s_cselect_b32 s17, s24, s17
	s_sub_i32 s24, s17, s31
	s_cmp_ge_u32 s17, s31
	s_cselect_b32 s17, s24, s17
	s_delay_alu instid0(SALU_CYCLE_1)
	s_sub_i32 s24, s7, s17
	s_mov_b32 s17, exec_lo
	v_cmpx_gt_u32_e64 s24, v0
	s_cbranch_execz .LBB121_222
; %bb.212:                              ;   in Loop: Header=BB121_21 Depth=1
	v_dual_mov_b32 v1, v17 :: v_dual_mov_b32 v2, v0
                                        ; implicit-def: $sgpr26
	s_set_inst_prefetch_distance 0x1
	s_branch .LBB121_214
	.p2align	6
.LBB121_213:                            ;   in Loop: Header=BB121_214 Depth=2
	s_or_b32 exec_lo, exec_lo, s7
	s_waitcnt lgkmcnt(0)
	s_barrier
	buffer_gl0_inv
	ds_load_b64 v[14:15], v7 offset:3072
	v_add_nc_u32_e32 v2, s31, v2
	v_add_nc_u32_e32 v1, s50, v1
	s_waitcnt lgkmcnt(0)
	s_barrier
	buffer_gl0_inv
	v_cmp_le_u32_e32 vcc_lo, s24, v2
	v_cmp_neq_f32_e64 s7, 0, v14
	s_delay_alu instid0(VALU_DEP_1) | instskip(NEXT) | instid1(SALU_CYCLE_1)
	s_or_b32 s75, vcc_lo, s7
	s_and_b32 s75, exec_lo, s75
	s_delay_alu instid0(SALU_CYCLE_1) | instskip(SKIP_2) | instid1(SALU_CYCLE_1)
	s_or_b32 s25, s75, s25
	s_and_not1_b32 s26, s26, exec_lo
	s_and_b32 s7, s7, exec_lo
	s_or_b32 s26, s26, s7
	s_and_not1_b32 exec_lo, exec_lo, s25
	s_cbranch_execz .LBB121_221
.LBB121_214:                            ;   Parent Loop BB121_21 Depth=1
                                        ; =>  This Inner Loop Header: Depth=2
	s_delay_alu instid0(VALU_DEP_1)
	v_cmp_gt_u32_e32 vcc_lo, s16, v2
	v_mov_b32_e32 v14, 0
	s_and_saveexec_b32 s7, vcc_lo
	s_cbranch_execz .LBB121_216
; %bb.215:                              ;   in Loop: Header=BB121_214 Depth=2
	ds_load_b32 v14, v1
.LBB121_216:                            ;   in Loop: Header=BB121_214 Depth=2
	s_or_b32 exec_lo, exec_lo, s7
	s_and_saveexec_b32 s7, vcc_lo
	s_cbranch_execz .LBB121_213
; %bb.217:                              ;   in Loop: Header=BB121_214 Depth=2
	s_waitcnt lgkmcnt(0)
	v_cmp_lt_i32_e32 vcc_lo, -1, v14
	v_cndmask_b32_e64 v3, -1, 0x80000000, vcc_lo
	v_cmp_o_f32_e32 vcc_lo, v14, v14
	s_delay_alu instid0(VALU_DEP_2) | instskip(NEXT) | instid1(VALU_DEP_1)
	v_xor_b32_e32 v3, v3, v14
	v_cndmask_b32_e32 v3, -1, v3, vcc_lo
	s_delay_alu instid0(VALU_DEP_1) | instskip(NEXT) | instid1(VALU_DEP_1)
	v_and_b32_e32 v3, s74, v3
	v_cmp_eq_u32_e32 vcc_lo, s73, v3
	s_and_b32 exec_lo, exec_lo, vcc_lo
	s_cbranch_execz .LBB121_213
; %bb.218:                              ;   in Loop: Header=BB121_214 Depth=2
	ds_store_b64 v7, v[13:14] offset:3072
	s_branch .LBB121_213
.LBB121_219:                            ;   in Loop: Header=BB121_21 Depth=1
                                        ; implicit-def: $sgpr16
                                        ; implicit-def: $sgpr24
                                        ; implicit-def: $sgpr17
	s_branch .LBB121_233
.LBB121_220:                            ;   in Loop: Header=BB121_21 Depth=1
	s_mov_b32 s16, -1
	s_mov_b32 s25, 0
                                        ; implicit-def: $sgpr17
                                        ; implicit-def: $vgpr15
	s_mov_b32 s24, s16
	s_cbranch_execnz .LBB121_223
	s_branch .LBB121_233
.LBB121_221:                            ;   in Loop: Header=BB121_21 Depth=1
	s_set_inst_prefetch_distance 0x2
	s_or_b32 exec_lo, exec_lo, s25
	s_delay_alu instid0(SALU_CYCLE_1)
	s_and_b32 s25, s26, exec_lo
.LBB121_222:                            ;   in Loop: Header=BB121_21 Depth=1
	s_or_b32 exec_lo, exec_lo, s17
	s_mov_b32 s17, -1
	s_mov_b32 s16, 0
	s_delay_alu instid0(SALU_CYCLE_1)
	s_mov_b32 s24, s16
	s_branch .LBB121_233
.LBB121_223:                            ;   in Loop: Header=BB121_21 Depth=1
	s_mov_b32 s25, 0
                                        ; implicit-def: $vgpr15
	s_and_saveexec_b32 s16, s6
	s_cbranch_execz .LBB121_232
; %bb.224:                              ;   in Loop: Header=BB121_21 Depth=1
	v_dual_mov_b32 v6, v5 :: v_dual_mov_b32 v1, v0
	s_mov_b32 s17, 0
                                        ; implicit-def: $sgpr24
	s_set_inst_prefetch_distance 0x1
	s_branch .LBB121_226
	.p2align	6
.LBB121_225:                            ;   in Loop: Header=BB121_226 Depth=2
	s_or_b32 exec_lo, exec_lo, s7
	s_waitcnt vmcnt(0) lgkmcnt(0)
	s_barrier
	buffer_gl0_inv
	ds_load_b64 v[14:15], v7 offset:3072
	v_add_nc_u32_e32 v1, s31, v1
	v_add_nc_u32_e32 v6, s49, v6
	s_waitcnt lgkmcnt(0)
	s_barrier
	buffer_gl0_inv
	v_cmp_le_u32_e32 vcc_lo, s63, v1
	v_cmp_neq_f32_e64 s7, 0, v14
	s_delay_alu instid0(VALU_DEP_1) | instskip(NEXT) | instid1(SALU_CYCLE_1)
	s_or_b32 s25, vcc_lo, s7
	s_and_b32 s25, exec_lo, s25
	s_delay_alu instid0(SALU_CYCLE_1) | instskip(SKIP_2) | instid1(SALU_CYCLE_1)
	s_or_b32 s17, s25, s17
	s_and_not1_b32 s24, s24, exec_lo
	s_and_b32 s7, s7, exec_lo
	s_or_b32 s24, s24, s7
	s_and_not1_b32 exec_lo, exec_lo, s17
	s_cbranch_execz .LBB121_231
.LBB121_226:                            ;   Parent Loop BB121_21 Depth=1
                                        ; =>  This Inner Loop Header: Depth=2
	s_delay_alu instid0(VALU_DEP_1)
	v_cmp_gt_u32_e32 vcc_lo, s28, v1
	v_mov_b32_e32 v14, 0
	s_and_saveexec_b32 s25, vcc_lo
	s_cbranch_execz .LBB121_228
; %bb.227:                              ;   in Loop: Header=BB121_226 Depth=2
	v_lshlrev_b64 v[2:3], 2, v[6:7]
	s_delay_alu instid0(VALU_DEP_1) | instskip(NEXT) | instid1(VALU_DEP_1)
	v_add_co_u32 v2, s7, s44, v2
	v_add_co_ci_u32_e64 v3, s7, s45, v3, s7
	global_load_b32 v14, v[2:3], off
.LBB121_228:                            ;   in Loop: Header=BB121_226 Depth=2
	s_or_b32 exec_lo, exec_lo, s25
	s_and_saveexec_b32 s7, vcc_lo
	s_cbranch_execz .LBB121_225
; %bb.229:                              ;   in Loop: Header=BB121_226 Depth=2
	s_waitcnt vmcnt(0)
	v_cmp_lt_i32_e32 vcc_lo, -1, v14
	v_cndmask_b32_e64 v2, -1, 0x80000000, vcc_lo
	v_cmp_o_f32_e32 vcc_lo, v14, v14
	s_delay_alu instid0(VALU_DEP_2) | instskip(NEXT) | instid1(VALU_DEP_1)
	v_xor_b32_e32 v2, v2, v14
	v_cndmask_b32_e32 v2, -1, v2, vcc_lo
	s_delay_alu instid0(VALU_DEP_1) | instskip(NEXT) | instid1(VALU_DEP_1)
	v_and_b32_e32 v2, s74, v2
	v_cmp_eq_u32_e32 vcc_lo, s73, v2
	s_and_b32 exec_lo, exec_lo, vcc_lo
	s_cbranch_execz .LBB121_225
; %bb.230:                              ;   in Loop: Header=BB121_226 Depth=2
	ds_store_b64 v7, v[13:14] offset:3072
	s_branch .LBB121_225
.LBB121_231:                            ;   in Loop: Header=BB121_21 Depth=1
	s_set_inst_prefetch_distance 0x2
	s_or_b32 exec_lo, exec_lo, s17
	s_delay_alu instid0(SALU_CYCLE_1)
	s_and_b32 s25, s24, exec_lo
.LBB121_232:                            ;   in Loop: Header=BB121_21 Depth=1
	s_or_b32 exec_lo, exec_lo, s16
	s_mov_b32 s24, -1
	s_mov_b32 s16, 0
	s_mov_b32 s17, 0
.LBB121_233:                            ;   in Loop: Header=BB121_21 Depth=1
	s_mov_b32 s75, 0
                                        ; implicit-def: $sgpr7
	s_and_saveexec_b32 s26, s25
	s_cbranch_execz .LBB121_247
; %bb.234:                              ;   in Loop: Header=BB121_21 Depth=1
	s_xor_b32 s7, s14, -1
	s_delay_alu instid0(SALU_CYCLE_1)
	s_and_not1_b32 vcc_lo, exec_lo, s7
	s_mov_b32 s7, 1
	s_cbranch_vccnz .LBB121_241
; %bb.235:                              ;   in Loop: Header=BB121_21 Depth=1
	s_cmp_gt_u32 s23, s8
	s_cbranch_scc1 .LBB121_242
; %bb.236:                              ;   in Loop: Header=BB121_21 Depth=1
	ds_load_b32 v1, v7 offset:4104
	s_waitcnt lgkmcnt(0)
	v_cmp_ne_u32_e32 vcc_lo, 0, v1
	s_cbranch_vccnz .LBB121_240
; %bb.237:                              ;   in Loop: Header=BB121_21 Depth=1
	s_and_saveexec_b32 s7, s1
	s_cbranch_execz .LBB121_239
; %bb.238:                              ;   in Loop: Header=BB121_21 Depth=1
	v_mov_b32_e32 v1, s8
	ds_store_b32 v7, v1 offset:4108
.LBB121_239:                            ;   in Loop: Header=BB121_21 Depth=1
	s_or_b32 exec_lo, exec_lo, s7
	s_waitcnt lgkmcnt(0)
	s_barrier
	buffer_gl0_inv
.LBB121_240:                            ;   in Loop: Header=BB121_21 Depth=1
	s_or_b32 s14, s73, s9
	s_or_b32 s9, s74, s9
	s_mov_b32 s25, 0
	s_mov_b32 s7, 8
	s_branch .LBB121_243
.LBB121_241:                            ;   in Loop: Header=BB121_21 Depth=1
	s_mov_b32 s23, 1
	s_branch .LBB121_246
.LBB121_242:                            ;   in Loop: Header=BB121_21 Depth=1
	s_mov_b32 s25, -1
                                        ; implicit-def: $sgpr7
                                        ; implicit-def: $sgpr14
                                        ; implicit-def: $sgpr9
.LBB121_243:                            ;   in Loop: Header=BB121_21 Depth=1
	s_delay_alu instid0(SALU_CYCLE_1)
	s_and_not1_b32 vcc_lo, exec_lo, s25
	s_cbranch_vccnz .LBB121_245
; %bb.244:                              ;   in Loop: Header=BB121_21 Depth=1
	s_sub_i32 s23, s23, s8
	s_mov_b32 s7, 8
	s_mov_b32 s14, s73
	;; [unrolled: 1-line block ×3, first 2 shown]
.LBB121_245:                            ;   in Loop: Header=BB121_21 Depth=1
	s_mov_b32 s73, s14
	s_mov_b32 s74, s9
.LBB121_246:                            ;   in Loop: Header=BB121_21 Depth=1
	s_mov_b32 s75, exec_lo
.LBB121_247:                            ;   in Loop: Header=BB121_21 Depth=1
	s_or_b32 exec_lo, exec_lo, s26
.LBB121_248:                            ;   in Loop: Header=BB121_21 Depth=1
	s_delay_alu instid0(SALU_CYCLE_1)
	s_and_not1_b32 s8, s19, exec_lo
	s_and_b32 s9, s16, exec_lo
	s_and_not1_b32 s14, s20, exec_lo
	s_or_b32 s19, s8, s9
	s_and_not1_b32 s8, s21, exec_lo
	s_and_b32 s9, s24, exec_lo
	s_and_b32 s16, s17, exec_lo
	s_or_b32 s21, s8, s9
	s_or_b32 s20, s14, s16
	s_and_b32 s26, s75, exec_lo
	s_mov_b32 s24, s23
.LBB121_249:                            ;   in Loop: Header=BB121_21 Depth=1
	s_or_b32 exec_lo, exec_lo, s22
.LBB121_250:                            ;   in Loop: Header=BB121_21 Depth=1
	s_delay_alu instid0(SALU_CYCLE_1)
	s_and_not1_b32 s8, s13, exec_lo
	s_and_b32 s9, s19, exec_lo
	s_and_not1_b32 s12, s12, exec_lo
	s_or_b32 s13, s8, s9
	s_and_not1_b32 s8, s15, exec_lo
	s_and_b32 s9, s21, exec_lo
	s_and_b32 s14, s20, exec_lo
	s_or_b32 s15, s8, s9
	s_or_b32 s12, s12, s14
	s_and_b32 s23, s26, exec_lo
	s_mov_b32 s20, s24
.LBB121_251:                            ;   in Loop: Header=BB121_21 Depth=1
	s_or_b32 exec_lo, exec_lo, s18
                                        ; implicit-def: $sgpr75
	s_and_saveexec_b32 s8, s23
	s_delay_alu instid0(SALU_CYCLE_1)
	s_xor_b32 s8, exec_lo, s8
	s_cbranch_execz .LBB121_19
.LBB121_252:                            ;   in Loop: Header=BB121_21 Depth=1
	s_and_b32 s7, s7, -9
	s_delay_alu instid0(SALU_CYCLE_1)
	s_cmp_eq_u32 s7, 0
	s_cbranch_scc1 .LBB121_17
; %bb.253:                              ;   in Loop: Header=BB121_21 Depth=1
	s_mov_b32 s7, -1
	s_mov_b32 s9, -1
                                        ; implicit-def: $sgpr74
                                        ; implicit-def: $sgpr20
                                        ; implicit-def: $sgpr68
                                        ; implicit-def: $sgpr71
	s_branch .LBB121_18
.LBB121_254:
	s_or_b32 exec_lo, exec_lo, s48
	s_xor_b32 s4, s67, -1
	s_xor_b32 s1, s65, -1
	;; [unrolled: 1-line block ×3, first 2 shown]
	s_mov_b32 s2, 0
	s_and_saveexec_b32 s5, s1
	s_delay_alu instid0(SALU_CYCLE_1)
	s_xor_b32 s1, exec_lo, s5
	s_cbranch_execz .LBB121_268
; %bb.255:
	s_and_saveexec_b32 s2, s4
	s_delay_alu instid0(SALU_CYCLE_1)
	s_xor_b32 s4, exec_lo, s2
	s_cbranch_execz .LBB121_266
; %bb.256:
	s_and_saveexec_b32 s2, s3
	s_delay_alu instid0(SALU_CYCLE_1)
	s_xor_b32 s2, exec_lo, s2
; %bb.257:
	v_cmp_lt_i32_e32 vcc_lo, -1, v1
	v_cndmask_b32_e64 v2, 0x80000000, -1, vcc_lo
	s_delay_alu instid0(VALU_DEP_1)
	v_xor_b32_e32 v15, v2, v1
; %bb.258:
	s_or_b32 exec_lo, exec_lo, s2
	s_mul_i32 s2, s47, s46
	s_add_i32 s3, s47, 1
	s_sub_i32 s2, s27, s2
	v_mov_b32_e32 v6, 0
	s_sub_i32 s5, s2, s46
	s_cmp_ge_u32 s2, s46
	s_cselect_b32 s3, s3, s47
	s_cselect_b32 s2, s5, s2
	s_add_i32 s5, s3, 1
	s_cmp_ge_u32 s2, s46
	s_cselect_b32 s2, s5, s3
	s_delay_alu instid0(SALU_CYCLE_1) | instskip(SKIP_2) | instid1(SALU_CYCLE_1)
	s_mul_i32 s3, s2, s46
	s_mul_i32 s2, s2, s38
	s_sub_i32 s3, s27, s3
	s_mul_i32 s5, s3, s39
	s_mov_b32 s3, 0
	s_add_i32 s2, s2, s5
	s_delay_alu instid0(SALU_CYCLE_1) | instskip(NEXT) | instid1(SALU_CYCLE_1)
	s_lshl_b64 s[6:7], s[2:3], 2
	s_add_u32 s6, s40, s6
	s_addc_u32 s7, s41, s7
	global_store_b32 v6, v15, s[6:7]
	s_and_saveexec_b32 s2, s0
	s_cbranch_execz .LBB121_265
; %bb.259:
	v_cmp_u_f32_e32 vcc_lo, v15, v15
                                        ; implicit-def: $sgpr5
                                        ; implicit-def: $sgpr8
                                        ; implicit-def: $sgpr7
	s_xor_b32 s6, vcc_lo, -1
	s_set_inst_prefetch_distance 0x1
	s_branch .LBB121_261
	.p2align	6
.LBB121_260:                            ;   in Loop: Header=BB121_261 Depth=1
	s_or_b32 exec_lo, exec_lo, s0
	s_delay_alu instid0(SALU_CYCLE_1) | instskip(NEXT) | instid1(SALU_CYCLE_1)
	s_and_b32 s0, exec_lo, s8
	s_or_b32 s3, s0, s3
	s_and_not1_b32 s0, s5, exec_lo
	s_and_b32 s5, s7, exec_lo
	s_delay_alu instid0(SALU_CYCLE_1)
	s_or_b32 s5, s0, s5
	s_and_not1_b32 exec_lo, exec_lo, s3
	s_cbranch_execz .LBB121_263
.LBB121_261:                            ; =>This Inner Loop Header: Depth=1
	v_lshlrev_b64 v[1:2], 2, v[5:6]
	s_or_b32 s7, s7, exec_lo
	s_or_b32 s8, s8, exec_lo
	s_delay_alu instid0(VALU_DEP_1) | instskip(NEXT) | instid1(VALU_DEP_2)
	v_add_co_u32 v1, vcc_lo, s44, v1
	v_add_co_ci_u32_e32 v2, vcc_lo, s45, v2, vcc_lo
	global_load_b32 v1, v[1:2], off
	s_waitcnt vmcnt(0)
	v_cmp_o_f32_e32 vcc_lo, v1, v1
	v_cmp_neq_f32_e64 s0, v1, v15
	v_mov_b32_e32 v1, v0
                                        ; implicit-def: $vgpr0
	s_or_b32 s9, vcc_lo, s6
	s_delay_alu instid0(VALU_DEP_2) | instid1(SALU_CYCLE_1)
	s_and_b32 s9, s0, s9
	s_delay_alu instid0(SALU_CYCLE_1)
	s_and_saveexec_b32 s0, s9
	s_cbranch_execz .LBB121_260
; %bb.262:                              ;   in Loop: Header=BB121_261 Depth=1
	v_add_nc_u32_e32 v0, s31, v1
	s_and_not1_b32 s8, s8, exec_lo
	v_add_nc_u32_e32 v5, s49, v5
	s_and_not1_b32 s7, s7, exec_lo
	s_delay_alu instid0(VALU_DEP_2) | instskip(SKIP_1) | instid1(SALU_CYCLE_1)
	v_cmp_le_u32_e32 vcc_lo, s28, v0
	s_and_b32 s9, vcc_lo, exec_lo
	s_or_b32 s8, s8, s9
	s_branch .LBB121_260
.LBB121_263:
	s_set_inst_prefetch_distance 0x2
	s_or_b32 exec_lo, exec_lo, s3
	s_and_saveexec_b32 s0, s5
	s_delay_alu instid0(SALU_CYCLE_1)
	s_xor_b32 s0, exec_lo, s0
	s_cbranch_execz .LBB121_265
; %bb.264:
	s_mul_i32 s0, s33, s29
	s_add_i32 s3, s33, 1
	s_sub_i32 s0, s27, s0
	s_mov_b32 s7, 0
	s_sub_i32 s5, s0, s29
	s_cmp_ge_u32 s0, s29
	v_mov_b32_e32 v2, 0
	s_cselect_b32 s3, s3, s33
	s_cselect_b32 s0, s5, s0
	s_add_i32 s5, s3, 1
	s_cmp_ge_u32 s0, s29
	s_cselect_b32 s0, s5, s3
	s_delay_alu instid0(SALU_CYCLE_1) | instskip(SKIP_2) | instid1(SALU_CYCLE_1)
	s_mul_i32 s3, s0, s29
	s_mul_i32 s0, s0, s36
	s_sub_i32 s3, s27, s3
	s_mul_i32 s3, s3, s37
	s_delay_alu instid0(SALU_CYCLE_1) | instskip(NEXT) | instid1(SALU_CYCLE_1)
	s_add_i32 s6, s0, s3
	s_lshl_b64 s[6:7], s[6:7], 3
	s_delay_alu instid0(SALU_CYCLE_1)
	s_add_u32 s6, s34, s6
	s_addc_u32 s7, s35, s7
	global_store_b64 v2, v[1:2], s[6:7]
.LBB121_265:
	s_or_b32 exec_lo, exec_lo, s2
.LBB121_266:
	s_or_saveexec_b32 s0, s4
	s_mov_b32 s2, 0
	s_xor_b32 exec_lo, exec_lo, s0
	s_cbranch_execnz .LBB121_274
.LBB121_267:
	s_or_b32 exec_lo, exec_lo, s0
	s_delay_alu instid0(SALU_CYCLE_1)
	s_and_b32 s2, s2, exec_lo
.LBB121_268:
	s_and_not1_saveexec_b32 s0, s1
	s_cbranch_execnz .LBB121_272
; %bb.269:
	s_or_b32 exec_lo, exec_lo, s0
	s_and_saveexec_b32 s0, s2
.LBB121_270:
	; divergent unreachable
.LBB121_271:
	s_nop 0
	s_sendmsg sendmsg(MSG_DEALLOC_VGPRS)
	s_endpgm
.LBB121_272:
	s_cbranch_execnz .LBB121_276
; %bb.273:
	s_or_b32 s2, s2, exec_lo
	s_or_b32 exec_lo, exec_lo, s0
	s_and_saveexec_b32 s0, s2
	s_cbranch_execnz .LBB121_270
	s_branch .LBB121_271
.LBB121_274:
	s_cbranch_execnz .LBB121_278
; %bb.275:
	s_mov_b32 s2, exec_lo
	s_branch .LBB121_267
.LBB121_276:
	s_trap 2
	s_sendmsg_rtn_b32 s0, sendmsg(MSG_RTN_GET_DOORBELL)
	s_mov_b32 ttmp2, m0
	s_waitcnt lgkmcnt(0)
	s_and_b32 s0, s0, 0x3ff
	s_delay_alu instid0(SALU_CYCLE_1) | instskip(NEXT) | instid1(SALU_CYCLE_1)
	s_bitset1_b32 s0, 10
	s_mov_b32 m0, s0
	s_sendmsg sendmsg(MSG_INTERRUPT)
	s_mov_b32 m0, ttmp2
.LBB121_277:                            ; =>This Inner Loop Header: Depth=1
	s_sethalt 5
	s_branch .LBB121_277
.LBB121_278:
	s_trap 2
	s_sendmsg_rtn_b32 s0, sendmsg(MSG_RTN_GET_DOORBELL)
	s_mov_b32 ttmp2, m0
	s_waitcnt lgkmcnt(0)
	s_and_b32 s0, s0, 0x3ff
	s_delay_alu instid0(SALU_CYCLE_1) | instskip(NEXT) | instid1(SALU_CYCLE_1)
	s_bitset1_b32 s0, 10
	s_mov_b32 m0, s0
	s_sendmsg sendmsg(MSG_INTERRUPT)
	s_mov_b32 m0, ttmp2
.LBB121_279:                            ; =>This Inner Loop Header: Depth=1
	s_sethalt 5
	s_branch .LBB121_279
	.section	.rodata,"a",@progbits
	.p2align	6, 0x0
	.amdhsa_kernel _ZN2at6native12_GLOBAL__N_112gatherMedianIfjLi2EEEvNS_4cuda6detail10TensorInfoIT_T0_EENS5_IlS7_EENS5_IKS6_S7_EES7_S7_S7_b
		.amdhsa_group_segment_fixed_size 4120
		.amdhsa_private_segment_fixed_size 0
		.amdhsa_kernarg_size 920
		.amdhsa_user_sgpr_count 13
		.amdhsa_user_sgpr_dispatch_ptr 0
		.amdhsa_user_sgpr_queue_ptr 0
		.amdhsa_user_sgpr_kernarg_segment_ptr 1
		.amdhsa_user_sgpr_dispatch_id 0
		.amdhsa_user_sgpr_private_segment_size 0
		.amdhsa_wavefront_size32 1
		.amdhsa_uses_dynamic_stack 0
		.amdhsa_enable_private_segment 0
		.amdhsa_system_sgpr_workgroup_id_x 1
		.amdhsa_system_sgpr_workgroup_id_y 1
		.amdhsa_system_sgpr_workgroup_id_z 1
		.amdhsa_system_sgpr_workgroup_info 0
		.amdhsa_system_vgpr_workitem_id 0
		.amdhsa_next_free_vgpr 40
		.amdhsa_next_free_sgpr 85
		.amdhsa_reserve_vcc 1
		.amdhsa_float_round_mode_32 0
		.amdhsa_float_round_mode_16_64 0
		.amdhsa_float_denorm_mode_32 3
		.amdhsa_float_denorm_mode_16_64 3
		.amdhsa_dx10_clamp 1
		.amdhsa_ieee_mode 1
		.amdhsa_fp16_overflow 0
		.amdhsa_workgroup_processor_mode 1
		.amdhsa_memory_ordered 1
		.amdhsa_forward_progress 0
		.amdhsa_shared_vgpr_count 0
		.amdhsa_exception_fp_ieee_invalid_op 0
		.amdhsa_exception_fp_denorm_src 0
		.amdhsa_exception_fp_ieee_div_zero 0
		.amdhsa_exception_fp_ieee_overflow 0
		.amdhsa_exception_fp_ieee_underflow 0
		.amdhsa_exception_fp_ieee_inexact 0
		.amdhsa_exception_int_div_zero 0
	.end_amdhsa_kernel
	.section	.text._ZN2at6native12_GLOBAL__N_112gatherMedianIfjLi2EEEvNS_4cuda6detail10TensorInfoIT_T0_EENS5_IlS7_EENS5_IKS6_S7_EES7_S7_S7_b,"axG",@progbits,_ZN2at6native12_GLOBAL__N_112gatherMedianIfjLi2EEEvNS_4cuda6detail10TensorInfoIT_T0_EENS5_IlS7_EENS5_IKS6_S7_EES7_S7_S7_b,comdat
.Lfunc_end121:
	.size	_ZN2at6native12_GLOBAL__N_112gatherMedianIfjLi2EEEvNS_4cuda6detail10TensorInfoIT_T0_EENS5_IlS7_EENS5_IKS6_S7_EES7_S7_S7_b, .Lfunc_end121-_ZN2at6native12_GLOBAL__N_112gatherMedianIfjLi2EEEvNS_4cuda6detail10TensorInfoIT_T0_EENS5_IlS7_EENS5_IKS6_S7_EES7_S7_S7_b
                                        ; -- End function
	.section	.AMDGPU.csdata,"",@progbits
; Kernel info:
; codeLenInByte = 10676
; NumSgprs: 87
; NumVgprs: 40
; ScratchSize: 0
; MemoryBound: 0
; FloatMode: 240
; IeeeMode: 1
; LDSByteSize: 4120 bytes/workgroup (compile time only)
; SGPRBlocks: 10
; VGPRBlocks: 4
; NumSGPRsForWavesPerEU: 87
; NumVGPRsForWavesPerEU: 40
; Occupancy: 16
; WaveLimiterHint : 1
; COMPUTE_PGM_RSRC2:SCRATCH_EN: 0
; COMPUTE_PGM_RSRC2:USER_SGPR: 13
; COMPUTE_PGM_RSRC2:TRAP_HANDLER: 0
; COMPUTE_PGM_RSRC2:TGID_X_EN: 1
; COMPUTE_PGM_RSRC2:TGID_Y_EN: 1
; COMPUTE_PGM_RSRC2:TGID_Z_EN: 1
; COMPUTE_PGM_RSRC2:TIDIG_COMP_CNT: 0
	.section	.text._ZN2at6native12_GLOBAL__N_112gatherMedianIfjLi3EEEvNS_4cuda6detail10TensorInfoIT_T0_EENS5_IlS7_EENS5_IKS6_S7_EES7_S7_S7_b,"axG",@progbits,_ZN2at6native12_GLOBAL__N_112gatherMedianIfjLi3EEEvNS_4cuda6detail10TensorInfoIT_T0_EENS5_IlS7_EENS5_IKS6_S7_EES7_S7_S7_b,comdat
	.globl	_ZN2at6native12_GLOBAL__N_112gatherMedianIfjLi3EEEvNS_4cuda6detail10TensorInfoIT_T0_EENS5_IlS7_EENS5_IKS6_S7_EES7_S7_S7_b ; -- Begin function _ZN2at6native12_GLOBAL__N_112gatherMedianIfjLi3EEEvNS_4cuda6detail10TensorInfoIT_T0_EENS5_IlS7_EENS5_IKS6_S7_EES7_S7_S7_b
	.p2align	8
	.type	_ZN2at6native12_GLOBAL__N_112gatherMedianIfjLi3EEEvNS_4cuda6detail10TensorInfoIT_T0_EENS5_IlS7_EENS5_IKS6_S7_EES7_S7_S7_b,@function
_ZN2at6native12_GLOBAL__N_112gatherMedianIfjLi3EEEvNS_4cuda6detail10TensorInfoIT_T0_EENS5_IlS7_EENS5_IKS6_S7_EES7_S7_S7_b: ; @_ZN2at6native12_GLOBAL__N_112gatherMedianIfjLi3EEEvNS_4cuda6detail10TensorInfoIT_T0_EENS5_IlS7_EENS5_IKS6_S7_EES7_S7_S7_b
; %bb.0:
	s_clause 0x1
	s_load_b64 s[8:9], s[0:1], 0x298
	s_load_b128 s[28:31], s[0:1], 0x288
	s_add_u32 s6, s0, 0x298
	s_addc_u32 s7, s1, 0
	s_waitcnt lgkmcnt(0)
	s_mul_i32 s2, s9, s15
	s_delay_alu instid0(SALU_CYCLE_1) | instskip(NEXT) | instid1(SALU_CYCLE_1)
	s_add_i32 s2, s2, s14
	s_mul_i32 s27, s2, s8
	s_delay_alu instid0(SALU_CYCLE_1) | instskip(NEXT) | instid1(SALU_CYCLE_1)
	s_add_i32 s27, s27, s13
	s_cmp_ge_u32 s27, s29
	s_cbranch_scc1 .LBB122_271
; %bb.1:
	s_clause 0x7
	s_load_b64 s[44:45], s[0:1], 0xc
	s_load_b64 s[34:35], s[0:1], 0xe4
	;; [unrolled: 1-line block ×5, first 2 shown]
	s_load_b128 s[36:39], s[0:1], 0x144
	s_load_b64 s[46:47], s[0:1], 0xd8
	s_load_b128 s[40:43], s[0:1], 0x6c
	s_waitcnt lgkmcnt(0)
	v_cvt_f32_u32_e32 v1, s45
	v_cvt_f32_u32_e32 v2, s44
	;; [unrolled: 1-line block ×4, first 2 shown]
	s_sub_i32 s10, 0, s45
	v_rcp_iflag_f32_e32 v1, v1
	v_rcp_iflag_f32_e32 v2, v2
	;; [unrolled: 1-line block ×4, first 2 shown]
	v_cvt_f32_u32_e32 v5, s5
	v_cvt_f32_u32_e32 v6, s4
	s_delay_alu instid0(VALU_DEP_2)
	v_rcp_iflag_f32_e32 v5, v5
	v_dual_mul_f32 v1, 0x4f7ffffe, v1 :: v_dual_mul_f32 v2, 0x4f7ffffe, v2
	s_waitcnt_depctr 0xfff
	v_dual_mul_f32 v3, 0x4f7ffffe, v3 :: v_dual_mul_f32 v4, 0x4f7ffffe, v4
	v_cvt_u32_f32_e32 v1, v1
	v_cvt_u32_f32_e32 v2, v2
	s_delay_alu instid0(VALU_DEP_3) | instskip(SKIP_1) | instid1(VALU_DEP_4)
	v_cvt_u32_f32_e32 v3, v3
	v_mul_f32_e32 v5, 0x4f7ffffe, v5
	v_readfirstlane_b32 s9, v1
	v_rcp_iflag_f32_e32 v1, v6
	s_delay_alu instid0(VALU_DEP_3) | instskip(SKIP_1) | instid1(VALU_DEP_3)
	v_readfirstlane_b32 s14, v3
	v_cvt_u32_f32_e32 v3, v4
	s_mul_i32 s10, s10, s9
	s_delay_alu instid0(SALU_CYCLE_1) | instskip(NEXT) | instid1(SALU_CYCLE_1)
	s_mul_hi_u32 s10, s9, s10
	s_add_i32 s9, s9, s10
	s_waitcnt_depctr 0xfff
	v_mul_f32_e32 v1, 0x4f7ffffe, v1
	s_mul_hi_u32 s9, s27, s9
	s_delay_alu instid0(SALU_CYCLE_1)
	s_mul_i32 s10, s9, s45
	s_add_i32 s11, s9, 1
	s_sub_i32 s10, s27, s10
	v_cvt_u32_f32_e32 v1, v1
	s_sub_i32 s12, s10, s45
	s_cmp_ge_u32 s10, s45
	s_cselect_b32 s9, s11, s9
	s_cselect_b32 s10, s12, s10
	s_add_i32 s11, s9, 1
	s_cmp_ge_u32 s10, s45
	v_readfirstlane_b32 s10, v2
	s_cselect_b32 s52, s11, s9
	s_sub_i32 s9, 0, s35
	s_sub_i32 s11, 0, s44
	s_mul_i32 s9, s9, s14
	s_mul_i32 s11, s11, s10
	s_mul_hi_u32 s9, s14, s9
	s_mul_hi_u32 s11, s10, s11
	s_add_i32 s14, s14, s9
	s_add_i32 s10, s10, s11
	s_mul_hi_u32 s9, s27, s14
	v_cvt_u32_f32_e32 v2, v5
	s_mul_i32 s12, s9, s35
	v_readfirstlane_b32 s16, v1
	s_sub_i32 s11, s27, s12
	s_add_i32 s12, s9, 1
	s_sub_i32 s14, s11, s35
	s_cmp_ge_u32 s11, s35
	v_readfirstlane_b32 s15, v2
	s_cselect_b32 s9, s12, s9
	s_cselect_b32 s11, s14, s11
	s_add_i32 s12, s9, 1
	s_cmp_ge_u32 s11, s35
	v_readfirstlane_b32 s11, v3
	s_cselect_b32 s29, s12, s9
	s_sub_i32 s9, 0, s5
	s_sub_i32 s12, 0, s34
	s_mul_i32 s9, s9, s15
	s_mul_i32 s12, s12, s11
	s_mul_hi_u32 s9, s15, s9
	s_mul_hi_u32 s12, s11, s12
	s_add_i32 s15, s15, s9
	s_add_i32 s12, s11, s12
	s_mul_hi_u32 s9, s27, s15
	v_mul_lo_u32 v5, v0, s30
	s_mul_i32 s14, s9, s5
	s_mul_hi_u32 s53, s52, s10
	s_sub_i32 s11, s27, s14
	s_add_i32 s14, s9, 1
	s_sub_i32 s15, s11, s5
	s_cmp_ge_u32 s11, s5
	v_mov_b32_e32 v3, 0
	s_cselect_b32 s9, s14, s9
	s_cselect_b32 s11, s15, s11
	s_add_i32 s14, s9, 1
	s_cmp_ge_u32 s11, s5
	s_mul_hi_u32 s33, s29, s12
	s_cselect_b32 s9, s14, s9
	s_sub_i32 s11, 0, s4
	s_mul_i32 s5, s9, s5
	s_mul_i32 s11, s11, s16
	s_sub_i32 s15, s27, s5
	s_mul_hi_u32 s11, s16, s11
	s_delay_alu instid0(SALU_CYCLE_1) | instskip(SKIP_2) | instid1(SALU_CYCLE_1)
	s_add_i32 s11, s16, s11
	s_load_b128 s[16:19], s[0:1], 0x21c
	s_mul_hi_u32 s11, s9, s11
	s_mul_i32 s14, s11, s4
	s_delay_alu instid0(SALU_CYCLE_1)
	s_sub_i32 s5, s9, s14
	s_add_i32 s14, s11, 1
	s_waitcnt lgkmcnt(0)
	s_sub_i32 s19, s5, s4
	s_cmp_ge_u32 s5, s4
	s_cselect_b32 s0, s14, s11
	s_cselect_b32 s1, s19, s5
	s_add_i32 s5, s0, 1
	s_cmp_ge_u32 s1, s4
	s_cselect_b32 s1, s5, s0
	s_mov_b32 s5, 0
	s_mul_i32 s4, s1, s4
	v_cmp_gt_u32_e64 s0, s28, v0
	s_sub_i32 s4, s9, s4
	s_mul_i32 s15, s15, s18
	s_mul_i32 s4, s4, s17
	;; [unrolled: 1-line block ×3, first 2 shown]
	s_add_i32 s4, s4, s15
	s_delay_alu instid0(SALU_CYCLE_1) | instskip(NEXT) | instid1(SALU_CYCLE_1)
	s_add_i32 s4, s4, s1
	s_lshl_b64 s[10:11], s[4:5], 2
	s_delay_alu instid0(SALU_CYCLE_1)
	s_add_u32 s39, s2, s10
	s_addc_u32 s43, s3, s11
	s_and_saveexec_b32 s2, s0
	s_cbranch_execz .LBB122_5
; %bb.2:
	s_load_b32 s1, s[6:7], 0xc
	v_mul_lo_u32 v1, v0, s30
	v_dual_mov_b32 v3, 0 :: v_dual_mov_b32 v2, 0
	v_mov_b32_e32 v4, v0
	s_waitcnt lgkmcnt(0)
	s_and_b32 s3, s1, 0xffff
	s_delay_alu instid0(SALU_CYCLE_1)
	s_mul_i32 s4, s30, s3
	.p2align	6
.LBB122_3:                              ; =>This Inner Loop Header: Depth=1
	s_delay_alu instid0(VALU_DEP_3) | instskip(SKIP_2) | instid1(VALU_DEP_3)
	v_lshlrev_b64 v[6:7], 2, v[1:2]
	v_add_nc_u32_e32 v4, s3, v4
	v_add_nc_u32_e32 v1, s4, v1
	v_add_co_u32 v6, vcc_lo, s39, v6
	s_delay_alu instid0(VALU_DEP_4) | instskip(NEXT) | instid1(VALU_DEP_4)
	v_add_co_ci_u32_e32 v7, vcc_lo, s43, v7, vcc_lo
	v_cmp_le_u32_e32 vcc_lo, s28, v4
	global_load_b32 v6, v[6:7], off
	s_or_b32 s5, vcc_lo, s5
	s_waitcnt vmcnt(0)
	v_cmp_u_f32_e64 s1, v6, v6
	s_delay_alu instid0(VALU_DEP_1)
	v_add_co_ci_u32_e64 v3, s1, 0, v3, s1
	s_and_not1_b32 exec_lo, exec_lo, s5
	s_cbranch_execnz .LBB122_3
; %bb.4:
	s_or_b32 exec_lo, exec_lo, s5
.LBB122_5:
	s_delay_alu instid0(SALU_CYCLE_1) | instskip(SKIP_1) | instid1(VALU_DEP_1)
	s_or_b32 exec_lo, exec_lo, s2
	v_cmp_eq_u32_e64 s1, 0, v0
	s_and_saveexec_b32 s2, s1
	s_cbranch_execz .LBB122_7
; %bb.6:
	v_mov_b32_e32 v1, 0
	s_delay_alu instid0(VALU_DEP_1)
	v_mov_b32_e32 v2, v1
	ds_store_b64 v1, v[1:2] offset:4096
.LBB122_7:
	s_or_b32 exec_lo, exec_lo, s2
	s_delay_alu instid0(SALU_CYCLE_1)
	s_mov_b32 s4, exec_lo
	s_waitcnt lgkmcnt(0)
	s_barrier
	buffer_gl0_inv
	v_cmpx_ne_u32_e32 0, v3
	s_cbranch_execz .LBB122_12
; %bb.8:
	v_mov_b32_e32 v1, 0
	s_mov_b32 s5, exec_lo
	s_mov_b64 s[2:3], 0
.LBB122_9:                              ; =>This Inner Loop Header: Depth=1
	s_ctz_i32_b32 s9, s5
	s_delay_alu instid0(SALU_CYCLE_1) | instskip(SKIP_1) | instid1(VALU_DEP_2)
	v_readlane_b32 s10, v3, s9
	v_readlane_b32 s11, v1, s9
	s_add_u32 s2, s2, s10
	s_delay_alu instid0(VALU_DEP_1) | instskip(SKIP_1) | instid1(SALU_CYCLE_1)
	s_addc_u32 s3, s3, s11
	s_lshl_b32 s9, 1, s9
	s_and_not1_b32 s5, s5, s9
	s_delay_alu instid0(SALU_CYCLE_1)
	s_cmp_lg_u32 s5, 0
	s_cbranch_scc1 .LBB122_9
; %bb.10:
	v_mbcnt_lo_u32_b32 v1, exec_lo, 0
	s_mov_b32 s5, exec_lo
	s_delay_alu instid0(VALU_DEP_1)
	v_cmpx_eq_u32_e32 0, v1
	s_xor_b32 s5, exec_lo, s5
	s_cbranch_execz .LBB122_12
; %bb.11:
	v_mov_b32_e32 v1, s2
	v_dual_mov_b32 v3, 0 :: v_dual_mov_b32 v2, s3
	ds_add_u64 v3, v[1:2] offset:4096
.LBB122_12:
	s_or_b32 exec_lo, exec_lo, s4
	v_mov_b32_e32 v1, 0
	s_waitcnt lgkmcnt(0)
	s_barrier
	buffer_gl0_inv
	s_bitcmp1_b32 s31, 0
	ds_load_b64 v[1:2], v1 offset:4096
	s_cselect_b32 s2, -1, 0
	s_mov_b32 s81, s28
	s_waitcnt lgkmcnt(0)
	v_cmp_gt_i64_e32 vcc_lo, 1, v[1:2]
	s_or_b32 s2, s2, vcc_lo
	s_delay_alu instid0(SALU_CYCLE_1)
	s_and_not1_b32 vcc_lo, exec_lo, s2
	s_cbranch_vccnz .LBB122_14
; %bb.13:
	v_not_b32_e32 v1, v1
	v_not_b32_e32 v2, v2
	s_delay_alu instid0(VALU_DEP_2) | instskip(NEXT) | instid1(VALU_DEP_2)
	v_add_co_u32 v1, vcc_lo, v1, s28
	v_add_co_ci_u32_e32 v2, vcc_lo, 0, v2, vcc_lo
	s_delay_alu instid0(VALU_DEP_1) | instskip(NEXT) | instid1(VALU_DEP_1)
	v_lshrrev_b32_e32 v3, 31, v2
	v_add_co_u32 v1, vcc_lo, v1, v3
	v_add_co_ci_u32_e32 v2, vcc_lo, 0, v2, vcc_lo
	s_delay_alu instid0(VALU_DEP_1) | instskip(NEXT) | instid1(VALU_DEP_1)
	v_alignbit_b32 v1, v2, v1, 1
	v_readfirstlane_b32 s2, v1
	s_delay_alu instid0(VALU_DEP_1)
	s_add_i32 s81, s2, 1
.LBB122_14:
	s_and_saveexec_b32 s2, s1
	s_cbranch_execz .LBB122_16
; %bb.15:
	v_dual_mov_b32 v1, 0 :: v_dual_mov_b32 v2, s28
	ds_store_b32 v1, v1 offset:4112
	ds_store_b64 v1, v[1:2] offset:4104
.LBB122_16:
	s_or_b32 exec_lo, exec_lo, s2
	s_waitcnt lgkmcnt(0)
	s_barrier
	buffer_gl0_inv
	s_load_b32 s5, s[6:7], 0xc
	v_mbcnt_lo_u32_b32 v16, -1, 0
	v_cmp_gt_u32_e32 vcc_lo, 32, v0
	v_lshrrev_b32_e32 v1, 3, v0
	v_mov_b32_e32 v7, 0
	v_lshlrev_b32_e32 v17, 2, v0
	v_cmp_gt_i32_e64 s4, 4, v16
	v_cmp_gt_u32_e64 s2, 2, v0
	s_delay_alu instid0(VALU_DEP_4) | instskip(NEXT) | instid1(VALU_DEP_4)
	v_dual_mov_b32 v6, v7 :: v_dual_and_b32 v19, 0x7c, v1
	v_add_nc_u32_e32 v18, 0xc00, v17
	s_delay_alu instid0(VALU_DEP_4)
	s_and_b32 s57, vcc_lo, s4
	v_or_b32_e32 v4, 2, v17
	v_or_b32_e32 v13, 3, v17
	v_cmp_eq_u32_e64 s3, 0, v16
	v_lshlrev_b32_e32 v26, 4, v0
	v_lshl_or_b32 v27, v16, 2, 0xc00
	v_mul_lo_u32 v20, s30, v4
	v_mul_lo_u32 v23, s30, v13
	v_mov_b32_e32 v13, 1.0
	s_waitcnt lgkmcnt(0)
	s_and_b32 s31, s5, 0xffff
	s_bfe_u32 s4, s5, 0xb0005
	s_lshl_b32 s56, s31, 2
	s_add_i32 s58, s31, -1
	v_cvt_f32_u32_e32 v2, s56
	s_add_i32 s9, s58, s28
	s_cmpk_gt_u32 s28, 0x300
	v_mad_u64_u32 v[8:9], null, s30, v17, s[30:31]
	s_delay_alu instid0(VALU_DEP_2)
	v_rcp_iflag_f32_e32 v2, v2
	s_cselect_b32 s59, -1, 0
	s_cmp_gt_u32 s31, 31
	v_mov_b32_e32 v15, 0
	s_cselect_b32 s60, -1, 0
	s_cmp_lt_u32 s13, s8
	s_mul_i32 s55, s30, s31
	s_cselect_b32 s5, 12, 18
	s_mov_b32 s54, 0
	s_add_u32 s50, s6, s5
	s_waitcnt_depctr 0xfff
	v_mul_f32_e32 v1, 0x4f7ffffe, v2
	s_addc_u32 s51, s7, 0
	s_add_i32 s5, s4, -1
	s_bfe_u32 s61, s31, 0x30005
	v_cvt_f32_u32_e32 v2, s31
	v_cvt_u32_f32_e32 v1, v1
	s_cmp_gt_u32 s5, 6
	s_mov_b32 s74, 30
	s_cselect_b32 s62, -1, 0
	s_and_b32 s63, s4, 0x7f8
	v_readfirstlane_b32 s4, v1
	s_cmp_lg_u32 s61, 0
	v_rcp_iflag_f32_e32 v3, v2
	s_cselect_b32 s64, -1, 0
	s_sub_i32 s5, 0, s56
	v_lshlrev_b64 v[1:2], v16, -1
	s_mul_i32 s5, s5, s4
	v_lshlrev_b32_e32 v24, 2, v5
	s_mul_hi_u32 s5, s4, s5
	s_mov_b32 s77, 0
	s_add_i32 s65, s4, s5
	v_not_b32_e32 v21, v1
	s_mul_hi_u32 s4, s28, s65
	s_waitcnt_depctr 0xfff
	v_mul_f32_e32 v9, 0x4f7ffffe, v3
	s_mul_i32 s4, s4, s56
	v_lshlrev_b64 v[2:3], 2, v[5:6]
	s_sub_i32 s4, s28, s4
	v_add3_u32 v1, s31, s28, v0
	v_cvt_u32_f32_e32 v6, v9
	s_sub_i32 s5, s4, s56
	s_cmp_ge_u32 s4, s56
	v_add_co_u32 v9, vcc_lo, s39, v2
	s_cselect_b32 s4, s5, s4
	v_readfirstlane_b32 s5, v6
	s_sub_i32 s6, s4, s56
	s_cmp_ge_u32 s4, s56
	v_add_co_ci_u32_e32 v10, vcc_lo, s43, v3, vcc_lo
	s_cselect_b32 s4, s6, s4
	s_sub_i32 s6, 0, s31
	s_sub_i32 s66, s28, s4
	s_mul_i32 s6, s6, s5
	v_add_nc_u32_e32 v22, s66, v0
	s_mul_hi_u32 s6, s5, s6
	v_subrev_nc_u32_e32 v3, s4, v1
	s_add_i32 s67, s5, s6
	v_cmp_gt_u32_e64 s4, s66, v17
	s_mul_hi_u32 s5, s9, s67
	v_mul_lo_u32 v6, v22, s30
	s_mul_i32 s5, s5, s31
	v_mul_lo_u32 v25, s30, v3
	s_sub_i32 s5, s9, s5
	s_mov_b32 s79, 0
	s_sub_i32 s6, s5, s31
	s_cmp_ge_u32 s5, s31
	s_mov_b32 s80, 0
	s_cselect_b32 s6, s6, s5
	v_lshlrev_b64 v[1:2], 2, v[6:7]
	s_sub_i32 s7, s6, s31
	s_cmp_ge_u32 s6, s31
	v_cmp_gt_u32_e64 s5, s28, v22
	s_cselect_b32 s6, s7, s6
	s_lshl_b32 s68, s55, 2
	s_sub_i32 s69, s9, s6
	v_add_co_u32 v11, vcc_lo, s39, v1
	v_add_co_ci_u32_e32 v12, vcc_lo, s43, v2, vcc_lo
	v_cmp_gt_u32_e64 s6, s69, v0
	s_lshl_b32 s70, s31, 4
                                        ; implicit-def: $sgpr71
                                        ; implicit-def: $sgpr73
                                        ; implicit-def: $sgpr72
                                        ; implicit-def: $sgpr76
                                        ; implicit-def: $sgpr78
                                        ; implicit-def: $sgpr75
	s_branch .LBB122_21
.LBB122_17:                             ;   in Loop: Header=BB122_21 Depth=1
	s_xor_b32 s77, s77, 1
	s_add_i32 s11, s74, -2
	s_cmp_eq_u32 s74, 0
	s_mov_b32 s7, 0
	s_cselect_b32 s9, -1, 0
	s_mov_b32 s74, s11
.LBB122_18:                             ;   in Loop: Header=BB122_21 Depth=1
	s_and_not1_b32 s11, s13, exec_lo
	s_and_b32 s7, s7, exec_lo
	s_and_not1_b32 s15, s15, exec_lo
	s_or_b32 s13, s11, s7
	s_and_not1_b32 s12, s12, exec_lo
	s_or_not1_b32 s11, s9, exec_lo
	s_mov_b32 s81, s20
.LBB122_19:                             ;   in Loop: Header=BB122_21 Depth=1
	s_or_b32 exec_lo, exec_lo, s8
	s_delay_alu instid0(SALU_CYCLE_1)
	s_and_not1_b32 s7, s75, exec_lo
	s_and_b32 s8, s13, exec_lo
	s_and_not1_b32 s9, s76, exec_lo
	s_or_b32 s75, s7, s8
	s_and_not1_b32 s7, s78, exec_lo
	s_and_b32 s8, s15, exec_lo
	s_and_b32 s12, s12, exec_lo
	s_or_b32 s78, s7, s8
	s_or_b32 s76, s9, s12
	s_or_not1_b32 s12, s11, exec_lo
.LBB122_20:                             ;   in Loop: Header=BB122_21 Depth=1
	s_or_b32 exec_lo, exec_lo, s10
	s_delay_alu instid0(SALU_CYCLE_1)
	s_and_b32 s7, exec_lo, s12
	v_mov_b32_e32 v1, s79
	s_or_b32 s54, s7, s54
	s_and_not1_b32 s7, s72, exec_lo
	s_and_b32 s8, s75, exec_lo
	s_and_not1_b32 s9, s71, exec_lo
	s_or_b32 s72, s7, s8
	s_and_not1_b32 s7, s73, exec_lo
	s_and_b32 s8, s78, exec_lo
	s_and_b32 s10, s76, exec_lo
	s_or_b32 s73, s7, s8
	s_or_b32 s71, s9, s10
	s_and_not1_b32 exec_lo, exec_lo, s54
	s_cbranch_execz .LBB122_254
.LBB122_21:                             ; =>This Loop Header: Depth=1
                                        ;     Child Loop BB122_29 Depth 2
                                        ;     Child Loop BB122_44 Depth 2
	;; [unrolled: 1-line block ×16, first 2 shown]
	ds_load_b64 v[1:2], v7 offset:4104
	s_waitcnt lgkmcnt(0)
	v_readfirstlane_b32 s82, v1
	s_delay_alu instid0(VALU_DEP_1)
	s_cmp_lg_u32 s82, 0
	s_cbranch_scc1 .LBB122_51
; %bb.22:                               ;   in Loop: Header=BB122_21 Depth=1
	s_and_b32 vcc_lo, exec_lo, s59
	s_cbranch_vccz .LBB122_37
; %bb.23:                               ;   in Loop: Header=BB122_21 Depth=1
	v_cmp_gt_u32_e32 vcc_lo, 0x301, v2
	s_mov_b32 s82, 0
	s_mov_b32 s7, 0
	s_cbranch_vccz .LBB122_38
; %bb.24:                               ;   in Loop: Header=BB122_21 Depth=1
	v_mov_b32_e32 v1, 0
	s_and_saveexec_b32 s7, s0
	s_cbranch_execz .LBB122_26
; %bb.25:                               ;   in Loop: Header=BB122_21 Depth=1
	global_load_b32 v1, v[9:10], off
.LBB122_26:                             ;   in Loop: Header=BB122_21 Depth=1
	s_or_b32 exec_lo, exec_lo, s7
	s_and_saveexec_b32 s9, s0
	s_cbranch_execz .LBB122_139
; %bb.27:                               ;   in Loop: Header=BB122_21 Depth=1
	global_load_u16 v2, v7, s[50:51]
	v_mov_b32_e32 v4, v0
	s_mov_b32 s10, 0
	s_waitcnt vmcnt(0)
	v_add_nc_u32_e32 v3, v0, v2
	s_delay_alu instid0(VALU_DEP_1)
	v_mul_lo_u32 v6, s30, v3
	v_mul_lo_u32 v3, s30, v2
	s_branch .LBB122_29
.LBB122_28:                             ;   in Loop: Header=BB122_29 Depth=2
	s_or_b32 exec_lo, exec_lo, s8
	v_add_nc_u32_e32 v6, v6, v3
	s_waitcnt vmcnt(0)
	v_mov_b32_e32 v1, v14
	s_and_not1_b32 exec_lo, exec_lo, s10
	s_cbranch_execz .LBB122_139
.LBB122_29:                             ;   Parent Loop BB122_21 Depth=1
                                        ; =>  This Inner Loop Header: Depth=2
	v_add_nc_u32_e32 v4, v4, v2
	s_waitcnt lgkmcnt(0)
	v_mov_b32_e32 v28, 0
	v_mov_b32_e32 v14, 0
	s_mov_b32 s8, exec_lo
	v_cmp_le_u32_e32 vcc_lo, s28, v4
	v_cmpx_gt_u32_e64 s28, v4
	s_cbranch_execz .LBB122_31
; %bb.30:                               ;   in Loop: Header=BB122_29 Depth=2
	v_lshlrev_b64 v[29:30], 2, v[6:7]
	s_delay_alu instid0(VALU_DEP_1) | instskip(NEXT) | instid1(VALU_DEP_1)
	v_add_co_u32 v29, s7, s39, v29
	v_add_co_ci_u32_e64 v30, s7, s43, v30, s7
	global_load_b32 v14, v[29:30], off
.LBB122_31:                             ;   in Loop: Header=BB122_29 Depth=2
	s_or_b32 exec_lo, exec_lo, s8
	v_cmp_lt_i32_e64 s7, -1, v1
	s_delay_alu instid0(VALU_DEP_1) | instskip(SKIP_1) | instid1(VALU_DEP_2)
	v_cndmask_b32_e64 v29, -1, 0x80000000, s7
	v_cmp_o_f32_e64 s7, v1, v1
	v_xor_b32_e32 v29, v29, v1
	s_delay_alu instid0(VALU_DEP_1) | instskip(NEXT) | instid1(VALU_DEP_1)
	v_cndmask_b32_e64 v29, -1, v29, s7
	v_and_b32_e32 v29, s80, v29
	s_delay_alu instid0(VALU_DEP_1) | instskip(NEXT) | instid1(VALU_DEP_1)
	v_cmp_eq_u32_e64 s7, s79, v29
	s_cmp_lg_u32 s7, 0
	s_cselect_b32 s8, -1, 0
	s_delay_alu instid0(SALU_CYCLE_1) | instskip(NEXT) | instid1(SALU_CYCLE_1)
	s_and_b32 s8, s3, s8
	s_and_saveexec_b32 s11, s8
	s_cbranch_execz .LBB122_35
; %bb.32:                               ;   in Loop: Header=BB122_29 Depth=2
	s_mov_b32 s14, exec_lo
	s_bcnt1_i32_b32 s12, s7
	v_mbcnt_lo_u32_b32 v28, s14, 0
	s_mov_b32 s13, exec_lo
                                        ; implicit-def: $vgpr29
	s_delay_alu instid0(VALU_DEP_1)
	v_cmpx_eq_u32_e32 0, v28
	s_cbranch_execz .LBB122_34
; %bb.33:                               ;   in Loop: Header=BB122_29 Depth=2
	s_bcnt1_i32_b32 s8, s14
	s_delay_alu instid0(SALU_CYCLE_1) | instskip(NEXT) | instid1(SALU_CYCLE_1)
	s_mul_i32 s8, s12, s8
	v_mov_b32_e32 v29, s8
	ds_add_rtn_u32 v29, v7, v29 offset:4112
.LBB122_34:                             ;   in Loop: Header=BB122_29 Depth=2
	s_or_b32 exec_lo, exec_lo, s13
	s_waitcnt lgkmcnt(0)
	v_readfirstlane_b32 s8, v29
	s_delay_alu instid0(VALU_DEP_1)
	v_mad_u32_u24 v28, s12, v28, s8
.LBB122_35:                             ;   in Loop: Header=BB122_29 Depth=2
	s_or_b32 exec_lo, exec_lo, s11
	ds_bpermute_b32 v28, v7, v28
	s_and_b32 s8, exec_lo, vcc_lo
	s_delay_alu instid0(SALU_CYCLE_1)
	s_or_b32 s10, s8, s10
	s_and_saveexec_b32 s8, s7
	s_cbranch_execz .LBB122_28
; %bb.36:                               ;   in Loop: Header=BB122_29 Depth=2
	v_and_b32_e32 v29, s7, v21
	s_delay_alu instid0(VALU_DEP_1) | instskip(NEXT) | instid1(VALU_DEP_1)
	v_bcnt_u32_b32 v29, v29, 0
	v_lshlrev_b32_e32 v29, 2, v29
	s_waitcnt lgkmcnt(0)
	s_delay_alu instid0(VALU_DEP_1)
	v_lshl_add_u32 v28, v28, 2, v29
	ds_store_b32 v28, v1
	s_branch .LBB122_28
.LBB122_37:                             ;   in Loop: Header=BB122_21 Depth=1
	s_mov_b32 s82, -1
	s_mov_b32 s7, 0
.LBB122_38:                             ;   in Loop: Header=BB122_21 Depth=1
	s_and_b32 vcc_lo, exec_lo, s82
	s_cbranch_vccz .LBB122_49
.LBB122_39:                             ;   in Loop: Header=BB122_21 Depth=1
	v_mov_b32_e32 v1, 0
	s_and_saveexec_b32 s7, s0
	s_cbranch_execz .LBB122_41
; %bb.40:                               ;   in Loop: Header=BB122_21 Depth=1
	global_load_b32 v1, v[9:10], off
.LBB122_41:                             ;   in Loop: Header=BB122_21 Depth=1
	s_or_b32 exec_lo, exec_lo, s7
	s_and_saveexec_b32 s8, s0
	s_cbranch_execz .LBB122_46
; %bb.42:                               ;   in Loop: Header=BB122_21 Depth=1
	global_load_u16 v2, v7, s[50:51]
	v_mov_b32_e32 v28, v0
	s_mov_b32 s9, 0
	s_waitcnt vmcnt(0)
	v_dual_mov_b32 v14, v17 :: v_dual_add_nc_u32 v3, v0, v2
	v_lshlrev_b32_e32 v4, 2, v2
	s_delay_alu instid0(VALU_DEP_2)
	v_mul_lo_u32 v6, s30, v3
	v_mul_lo_u32 v3, s30, v2
	s_set_inst_prefetch_distance 0x1
	s_branch .LBB122_44
	.p2align	6
.LBB122_43:                             ;   in Loop: Header=BB122_44 Depth=2
	s_or_b32 exec_lo, exec_lo, s10
	ds_store_b32 v14, v1
	s_waitcnt vmcnt(0)
	v_dual_mov_b32 v1, v29 :: v_dual_add_nc_u32 v14, v14, v4
	v_add_nc_u32_e32 v6, v6, v3
	s_and_b32 s7, exec_lo, vcc_lo
	s_delay_alu instid0(SALU_CYCLE_1) | instskip(NEXT) | instid1(SALU_CYCLE_1)
	s_or_b32 s9, s7, s9
	s_and_not1_b32 exec_lo, exec_lo, s9
	s_cbranch_execz .LBB122_46
.LBB122_44:                             ;   Parent Loop BB122_21 Depth=1
                                        ; =>  This Inner Loop Header: Depth=2
	v_dual_mov_b32 v29, 0 :: v_dual_add_nc_u32 v28, v28, v2
	s_mov_b32 s10, exec_lo
	s_delay_alu instid0(VALU_DEP_1)
	v_cmp_le_u32_e32 vcc_lo, s28, v28
	v_cmpx_gt_u32_e64 s28, v28
	s_cbranch_execz .LBB122_43
; %bb.45:                               ;   in Loop: Header=BB122_44 Depth=2
	v_lshlrev_b64 v[29:30], 2, v[6:7]
	s_delay_alu instid0(VALU_DEP_1) | instskip(NEXT) | instid1(VALU_DEP_1)
	v_add_co_u32 v29, s7, s39, v29
	v_add_co_ci_u32_e64 v30, s7, s43, v30, s7
	global_load_b32 v29, v[29:30], off
	s_branch .LBB122_43
.LBB122_46:                             ;   in Loop: Header=BB122_21 Depth=1
	s_set_inst_prefetch_distance 0x2
	s_or_b32 exec_lo, exec_lo, s8
	s_waitcnt vmcnt(0) lgkmcnt(0)
	s_barrier
	buffer_gl0_inv
	s_and_saveexec_b32 s7, s1
	s_cbranch_execz .LBB122_48
; %bb.47:                               ;   in Loop: Header=BB122_21 Depth=1
	v_mov_b32_e32 v1, s28
	ds_store_b32 v7, v1 offset:4104
.LBB122_48:                             ;   in Loop: Header=BB122_21 Depth=1
	s_or_b32 exec_lo, exec_lo, s7
	s_mov_b32 s7, -1
	s_waitcnt lgkmcnt(0)
	s_barrier
                                        ; implicit-def: $sgpr82
.LBB122_49:                             ;   in Loop: Header=BB122_21 Depth=1
	s_and_b32 vcc_lo, exec_lo, s7
	s_cbranch_vccz .LBB122_51
; %bb.50:                               ;   in Loop: Header=BB122_21 Depth=1
	buffer_gl0_inv
	ds_load_b32 v1, v7 offset:4104
	s_waitcnt lgkmcnt(0)
	v_readfirstlane_b32 s82, v1
.LBB122_51:                             ;   in Loop: Header=BB122_21 Depth=1
	s_delay_alu instid0(VALU_DEP_1)
	s_cmp_lt_i32 s82, 1
	s_cbranch_scc0 .LBB122_55
; %bb.52:                               ;   in Loop: Header=BB122_21 Depth=1
	v_dual_mov_b32 v1, 0 :: v_dual_mov_b32 v2, 0
	v_dual_mov_b32 v3, 0 :: v_dual_mov_b32 v4, 0
	s_mov_b32 s19, 0
	s_and_saveexec_b32 s18, s4
	s_cbranch_execnz .LBB122_56
; %bb.53:                               ;   in Loop: Header=BB122_21 Depth=1
	s_or_b32 exec_lo, exec_lo, s18
	v_mov_b32_e32 v28, 0
	s_and_saveexec_b32 s7, s5
	s_cbranch_execnz .LBB122_59
.LBB122_54:                             ;   in Loop: Header=BB122_21 Depth=1
	s_or_b32 exec_lo, exec_lo, s7
	s_and_saveexec_b32 s11, s5
	s_cbranch_execnz .LBB122_60
	s_branch .LBB122_65
.LBB122_55:                             ;   in Loop: Header=BB122_21 Depth=1
                                        ; implicit-def: $vgpr4
	s_cbranch_execnz .LBB122_66
	s_branch .LBB122_75
.LBB122_56:                             ;   in Loop: Header=BB122_21 Depth=1
	v_mov_b32_e32 v14, v17
	s_and_b32 s20, s74, 0xfe
	s_mov_b32 s21, 0
	s_mov_b32 s22, 0
	s_mov_b32 s23, 0
	s_mov_b32 s24, 0
	s_mov_b32 s25, 0
.LBB122_57:                             ;   Parent Loop BB122_21 Depth=1
                                        ; =>  This Inner Loop Header: Depth=2
	v_add_nc_u32_e32 v6, s21, v24
	v_add_nc_u32_e32 v14, s56, v14
	s_delay_alu instid0(VALU_DEP_2) | instskip(SKIP_1) | instid1(VALU_DEP_1)
	v_lshlrev_b64 v[1:2], 2, v[6:7]
	v_add_nc_u32_e32 v6, s21, v8
	v_lshlrev_b64 v[3:4], 2, v[6:7]
	v_add_nc_u32_e32 v6, s21, v20
	s_delay_alu instid0(VALU_DEP_4) | instskip(SKIP_1) | instid1(VALU_DEP_3)
	v_add_co_u32 v1, vcc_lo, s39, v1
	v_add_co_ci_u32_e32 v2, vcc_lo, s43, v2, vcc_lo
	v_lshlrev_b64 v[28:29], 2, v[6:7]
	v_add_nc_u32_e32 v6, s21, v23
	s_add_i32 s21, s21, s68
	global_load_b32 v30, v[1:2], off
	v_add_co_u32 v1, vcc_lo, s39, v3
	v_add_co_ci_u32_e32 v2, vcc_lo, s43, v4, vcc_lo
	v_add_co_u32 v28, vcc_lo, s39, v28
	v_add_co_ci_u32_e32 v29, vcc_lo, s43, v29, vcc_lo
	v_lshlrev_b64 v[3:4], 2, v[6:7]
	s_clause 0x1
	global_load_b32 v6, v[1:2], off
	global_load_b32 v28, v[28:29], off
	v_add_co_u32 v1, vcc_lo, s39, v3
	v_add_co_ci_u32_e32 v2, vcc_lo, s43, v4, vcc_lo
	v_cmp_le_u32_e32 vcc_lo, s66, v14
	global_load_b32 v1, v[1:2], off
	s_waitcnt vmcnt(3)
	v_cmp_lt_i32_e64 s7, -1, v30
	s_delay_alu instid0(VALU_DEP_1) | instskip(SKIP_2) | instid1(VALU_DEP_2)
	v_cndmask_b32_e64 v2, -1, 0x80000000, s7
	s_waitcnt vmcnt(2)
	v_cmp_lt_i32_e64 s7, -1, v6
	v_xor_b32_e32 v2, v2, v30
	s_waitcnt vmcnt(1)
	v_cmp_lt_i32_e64 s8, -1, v28
	s_delay_alu instid0(VALU_DEP_3) | instskip(SKIP_1) | instid1(VALU_DEP_3)
	v_cndmask_b32_e64 v3, -1, 0x80000000, s7
	v_cmp_o_f32_e64 s7, v30, v30
	v_cndmask_b32_e64 v4, -1, 0x80000000, s8
	s_delay_alu instid0(VALU_DEP_3) | instskip(NEXT) | instid1(VALU_DEP_3)
	v_xor_b32_e32 v3, v3, v6
	v_cndmask_b32_e64 v2, -1, v2, s7
	v_cmp_o_f32_e64 s7, v6, v6
	s_delay_alu instid0(VALU_DEP_4)
	v_xor_b32_e32 v4, v4, v28
	s_waitcnt vmcnt(0)
	v_cmp_o_f32_e64 s12, v1, v1
	v_and_b32_e32 v29, s80, v2
	v_cndmask_b32_e64 v3, -1, v3, s7
	v_cmp_lt_i32_e64 s7, -1, v1
	v_bfe_u32 v2, v2, s20, 2
	s_delay_alu instid0(VALU_DEP_2) | instskip(SKIP_1) | instid1(VALU_DEP_3)
	v_cndmask_b32_e64 v6, -1, 0x80000000, s7
	v_cmp_o_f32_e64 s7, v28, v28
	v_cmp_eq_u32_e64 s8, 0, v2
	v_and_b32_e32 v28, s80, v3
	v_bfe_u32 v3, v3, s20, 2
	v_xor_b32_e32 v6, v6, v1
	v_cndmask_b32_e64 v4, -1, v4, s7
	v_cmp_eq_u32_e64 s7, s79, v29
	v_cmp_eq_u32_e64 s9, 1, v2
	;; [unrolled: 1-line block ×4, first 2 shown]
	v_cndmask_b32_e64 v1, -1, v6, s12
	s_and_b32 s8, s7, s8
	v_cmp_eq_u32_e64 s12, s79, v28
	v_cmp_eq_u32_e64 s13, 0, v3
	v_cndmask_b32_e64 v6, 0, 1, s8
	v_cmp_eq_u32_e64 s8, 1, v3
	s_and_b32 s9, s7, s9
	v_and_b32_e32 v2, s80, v4
	v_bfe_u32 v4, v4, s20, 2
	v_cndmask_b32_e64 v28, 0, 1, s9
	v_cmp_eq_u32_e64 s9, 2, v3
	s_and_b32 s10, s7, s10
	s_and_b32 s7, s7, s11
	v_cndmask_b32_e64 v29, 0, 1, s10
	s_and_b32 s13, s12, s13
	s_and_b32 s8, s12, s8
	v_cmp_eq_u32_e64 s10, 3, v3
	v_cndmask_b32_e64 v3, 0, 1, s7
	v_cmp_eq_u32_e64 s7, s79, v2
	v_cmp_eq_u32_e64 s11, 0, v4
	v_cmp_ne_u32_e64 s14, 0, v6
	v_cndmask_b32_e64 v6, 0, 1, s13
	v_cmp_eq_u32_e64 s13, 1, v4
	v_cmp_ne_u32_e64 s15, 0, v28
	v_cndmask_b32_e64 v28, 0, 1, s8
	v_cmp_eq_u32_e64 s8, 2, v4
	s_and_b32 s9, s12, s9
	v_and_b32_e32 v2, s80, v1
	v_bfe_u32 v1, v1, s20, 2
	v_cmp_ne_u32_e64 s16, 0, v29
	v_cndmask_b32_e64 v29, 0, 1, s9
	v_cmp_eq_u32_e64 s9, 3, v4
	s_and_b32 s10, s12, s10
	s_and_b32 s11, s7, s11
	;; [unrolled: 1-line block ×4, first 2 shown]
	v_cmp_ne_u32_e64 s17, 0, v3
	v_cndmask_b32_e64 v3, 0, 1, s10
	v_cmp_eq_u32_e64 s10, s79, v2
	v_cmp_eq_u32_e64 s12, 0, v1
	s_bcnt1_i32_b32 s26, s14
	v_cmp_ne_u32_e64 s14, 0, v6
	v_cndmask_b32_e64 v2, 0, 1, s11
	v_cmp_eq_u32_e64 s11, 1, v1
	v_cndmask_b32_e64 v4, 0, 1, s13
	v_cmp_eq_u32_e64 s13, 2, v1
	;; [unrolled: 2-line block ×3, first 2 shown]
	s_and_b32 s7, s7, s9
	s_bcnt1_i32_b32 s85, s17
	v_cndmask_b32_e64 v1, 0, 1, s7
	v_cmp_ne_u32_e64 s17, 0, v3
	s_and_b32 s9, s10, s12
	s_and_b32 s11, s10, s11
	;; [unrolled: 1-line block ×4, first 2 shown]
	v_cmp_ne_u32_e64 s7, 0, v2
	v_cndmask_b32_e64 v2, 0, 1, s9
	v_cmp_ne_u32_e64 s9, 0, v4
	v_cndmask_b32_e64 v3, 0, 1, s11
	v_cndmask_b32_e64 v4, 0, 1, s12
	v_cmp_ne_u32_e64 s12, 0, v1
	v_cndmask_b32_e64 v1, 0, 1, s8
	s_bcnt1_i32_b32 s83, s15
	v_cmp_ne_u32_e64 s15, 0, v28
	s_bcnt1_i32_b32 s84, s16
	v_cmp_ne_u32_e64 s16, 0, v29
	s_add_i32 s22, s85, s22
	v_cmp_ne_u32_e64 s11, 0, v6
	s_bcnt1_i32_b32 s13, s17
	s_bcnt1_i32_b32 s17, s7
	s_add_i32 s13, s22, s13
	v_cmp_ne_u32_e64 s7, 0, v2
	s_bcnt1_i32_b32 s22, s9
	v_cmp_ne_u32_e64 s8, 0, v3
	v_cmp_ne_u32_e64 s9, 0, v4
	;; [unrolled: 1-line block ×3, first 2 shown]
	s_add_i32 s25, s26, s25
	s_add_i32 s24, s83, s24
	;; [unrolled: 1-line block ×3, first 2 shown]
	s_bcnt1_i32_b32 s14, s14
	s_bcnt1_i32_b32 s15, s15
	;; [unrolled: 1-line block ×3, first 2 shown]
	s_add_i32 s14, s25, s14
	s_add_i32 s15, s24, s15
	s_add_i32 s16, s23, s16
	s_bcnt1_i32_b32 s11, s11
	s_bcnt1_i32_b32 s12, s12
	s_add_i32 s14, s14, s17
	s_add_i32 s15, s15, s22
	s_add_i32 s11, s16, s11
	s_add_i32 s12, s13, s12
	s_bcnt1_i32_b32 s7, s7
	s_bcnt1_i32_b32 s8, s8
	;; [unrolled: 1-line block ×4, first 2 shown]
	s_add_i32 s25, s14, s7
	s_add_i32 s24, s15, s8
	;; [unrolled: 1-line block ×3, first 2 shown]
	v_mov_b32_e32 v2, s24
	s_add_i32 s22, s12, s10
	v_mov_b32_e32 v1, s25
	v_dual_mov_b32 v3, s23 :: v_dual_mov_b32 v4, s22
	s_or_b32 s19, vcc_lo, s19
	s_delay_alu instid0(SALU_CYCLE_1)
	s_and_not1_b32 exec_lo, exec_lo, s19
	s_cbranch_execnz .LBB122_57
; %bb.58:                               ;   in Loop: Header=BB122_21 Depth=1
	s_or_b32 exec_lo, exec_lo, s19
	s_delay_alu instid0(SALU_CYCLE_1)
	s_or_b32 exec_lo, exec_lo, s18
	v_mov_b32_e32 v28, 0
	s_and_saveexec_b32 s7, s5
	s_cbranch_execz .LBB122_54
.LBB122_59:                             ;   in Loop: Header=BB122_21 Depth=1
	global_load_b32 v28, v[11:12], off
	s_or_b32 exec_lo, exec_lo, s7
	s_and_saveexec_b32 s11, s5
	s_cbranch_execz .LBB122_65
.LBB122_60:                             ;   in Loop: Header=BB122_21 Depth=1
	v_mov_b32_e32 v6, v25
	v_mov_b32_e32 v14, v22
	s_and_b32 s13, s74, 0xfe
	s_mov_b32 s12, 0
	s_branch .LBB122_62
.LBB122_61:                             ;   in Loop: Header=BB122_62 Depth=2
	s_or_b32 exec_lo, exec_lo, s8
	s_waitcnt vmcnt(0)
	v_cmp_lt_i32_e64 s7, -1, v28
	s_and_b32 s8, exec_lo, vcc_lo
	v_add_nc_u32_e32 v6, s55, v6
	s_or_b32 s12, s8, s12
	s_delay_alu instid0(VALU_DEP_2) | instskip(SKIP_1) | instid1(VALU_DEP_2)
	v_cndmask_b32_e64 v30, -1, 0x80000000, s7
	v_cmp_o_f32_e64 s7, v28, v28
	v_xor_b32_e32 v30, v30, v28
	s_delay_alu instid0(VALU_DEP_1) | instskip(NEXT) | instid1(VALU_DEP_1)
	v_cndmask_b32_e64 v28, -1, v30, s7
	v_and_b32_e32 v30, s80, v28
	v_bfe_u32 v28, v28, s13, 2
	s_delay_alu instid0(VALU_DEP_2) | instskip(NEXT) | instid1(VALU_DEP_2)
	v_cmp_eq_u32_e32 vcc_lo, s79, v30
	v_cmp_eq_u32_e64 s7, 0, v28
	v_cmp_eq_u32_e64 s8, 1, v28
	;; [unrolled: 1-line block ×4, first 2 shown]
	s_delay_alu instid0(VALU_DEP_4) | instskip(NEXT) | instid1(SALU_CYCLE_1)
	s_and_b32 s7, vcc_lo, s7
	v_cndmask_b32_e64 v28, 0, 1, s7
	s_and_b32 s7, vcc_lo, s8
	s_delay_alu instid0(SALU_CYCLE_1) | instskip(SKIP_1) | instid1(SALU_CYCLE_1)
	v_cndmask_b32_e64 v30, 0, 1, s7
	s_and_b32 s7, vcc_lo, s9
	v_cndmask_b32_e64 v31, 0, 1, s7
	s_and_b32 s7, vcc_lo, s10
	v_cmp_ne_u32_e32 vcc_lo, 0, v28
	v_cndmask_b32_e64 v32, 0, 1, s7
	v_cmp_ne_u32_e64 s7, 0, v30
	v_cmp_ne_u32_e64 s8, 0, v31
	v_mov_b32_e32 v28, v29
	s_bcnt1_i32_b32 s10, vcc_lo
	v_cmp_ne_u32_e64 s9, 0, v32
	s_bcnt1_i32_b32 s7, s7
	s_bcnt1_i32_b32 s8, s8
	v_add_nc_u32_e32 v1, s10, v1
	v_add_nc_u32_e32 v2, s7, v2
	s_bcnt1_i32_b32 s9, s9
	v_add_nc_u32_e32 v3, s8, v3
	v_add_nc_u32_e32 v4, s9, v4
	s_and_not1_b32 exec_lo, exec_lo, s12
	s_cbranch_execz .LBB122_64
.LBB122_62:                             ;   Parent Loop BB122_21 Depth=1
                                        ; =>  This Inner Loop Header: Depth=2
	s_delay_alu instid0(VALU_DEP_1) | instskip(SKIP_1) | instid1(VALU_DEP_1)
	v_dual_mov_b32 v29, 0 :: v_dual_add_nc_u32 v14, s31, v14
	s_mov_b32 s8, exec_lo
	v_cmp_le_u32_e32 vcc_lo, s28, v14
	v_cmpx_gt_u32_e64 s28, v14
	s_cbranch_execz .LBB122_61
; %bb.63:                               ;   in Loop: Header=BB122_62 Depth=2
	v_lshlrev_b64 v[29:30], 2, v[6:7]
	s_delay_alu instid0(VALU_DEP_1) | instskip(NEXT) | instid1(VALU_DEP_1)
	v_add_co_u32 v29, s7, s39, v29
	v_add_co_ci_u32_e64 v30, s7, s43, v30, s7
	global_load_b32 v29, v[29:30], off
	s_branch .LBB122_61
.LBB122_64:                             ;   in Loop: Header=BB122_21 Depth=1
	s_or_b32 exec_lo, exec_lo, s12
.LBB122_65:                             ;   in Loop: Header=BB122_21 Depth=1
	s_delay_alu instid0(SALU_CYCLE_1)
	s_or_b32 exec_lo, exec_lo, s11
	s_branch .LBB122_75
.LBB122_66:                             ;   in Loop: Header=BB122_21 Depth=1
	s_mul_hi_u32 s7, s82, s65
	v_dual_mov_b32 v1, 0 :: v_dual_mov_b32 v2, 0
	s_mul_i32 s7, s7, s56
	v_dual_mov_b32 v3, 0 :: v_dual_mov_b32 v4, 0
	s_sub_i32 s7, s82, s7
	s_mov_b32 s85, 0
	s_sub_i32 s8, s7, s56
	s_cmp_ge_u32 s7, s56
	s_mov_b32 s84, exec_lo
	s_cselect_b32 s7, s8, s7
	s_delay_alu instid0(SALU_CYCLE_1) | instskip(SKIP_2) | instid1(SALU_CYCLE_1)
	s_sub_i32 s8, s7, s56
	s_cmp_ge_u32 s7, s56
	s_cselect_b32 s7, s8, s7
	s_sub_i32 s83, s82, s7
	s_delay_alu instid0(SALU_CYCLE_1)
	v_cmpx_gt_u32_e64 s83, v17
	s_cbranch_execz .LBB122_70
; %bb.67:                               ;   in Loop: Header=BB122_21 Depth=1
	v_mov_b32_e32 v6, v26
	v_mov_b32_e32 v14, v17
	s_and_b32 s86, s74, 0xfe
	s_mov_b32 s87, 0
	s_mov_b32 s88, 0
	s_mov_b32 s89, 0
	s_mov_b32 s90, 0
.LBB122_68:                             ;   Parent Loop BB122_21 Depth=1
                                        ; =>  This Inner Loop Header: Depth=2
	ds_load_b128 v[1:4], v6
	s_waitcnt lgkmcnt(0)
	v_cmp_lt_i32_e64 s7, -1, v1
	v_cmp_o_f32_e64 s10, v1, v1
	v_cmp_o_f32_e64 s8, v3, v3
	;; [unrolled: 1-line block ×3, first 2 shown]
	s_waitcnt vmcnt(0)
	v_cndmask_b32_e64 v28, -1, 0x80000000, s7
	v_cmp_lt_i32_e64 s7, -1, v2
	s_delay_alu instid0(VALU_DEP_2) | instskip(NEXT) | instid1(VALU_DEP_2)
	v_xor_b32_e32 v28, v28, v1
	v_cndmask_b32_e64 v29, -1, 0x80000000, s7
	v_cmp_lt_i32_e64 s7, -1, v3
	s_delay_alu instid0(VALU_DEP_3) | instskip(NEXT) | instid1(VALU_DEP_3)
	v_cndmask_b32_e64 v1, -1, v28, s10
	v_xor_b32_e32 v29, v29, v2
	s_delay_alu instid0(VALU_DEP_3) | instskip(SKIP_1) | instid1(VALU_DEP_4)
	v_cndmask_b32_e64 v30, -1, 0x80000000, s7
	v_cmp_lt_i32_e64 s7, -1, v4
	v_and_b32_e32 v28, s80, v1
	v_bfe_u32 v1, v1, s86, 2
	s_delay_alu instid0(VALU_DEP_3) | instskip(SKIP_2) | instid1(VALU_DEP_4)
	v_cndmask_b32_e64 v31, -1, 0x80000000, s7
	v_cmp_o_f32_e64 s7, v2, v2
	v_xor_b32_e32 v2, v30, v3
	v_cmp_eq_u32_e64 s11, 0, v1
	v_cmp_eq_u32_e64 s15, 1, v1
	v_xor_b32_e32 v3, v31, v4
	v_cndmask_b32_e64 v4, -1, v29, s7
	v_cndmask_b32_e64 v2, -1, v2, s8
	v_cmp_eq_u32_e64 s7, s79, v28
	v_cmp_eq_u32_e64 s19, 2, v1
	v_cndmask_b32_e64 v3, -1, v3, s9
	v_and_b32_e32 v29, s80, v4
	v_bfe_u32 v4, v4, s86, 2
	v_and_b32_e32 v30, s80, v2
	v_bfe_u32 v2, v2, s86, 2
	v_and_b32_e32 v31, s80, v3
	v_bfe_u32 v3, v3, s86, 2
	v_cmp_eq_u32_e64 s8, s79, v29
	v_cmp_eq_u32_e64 s12, 0, v4
	;; [unrolled: 1-line block ×4, first 2 shown]
	s_and_b32 s11, s7, s11
	v_cmp_eq_u32_e64 s10, s79, v31
	v_cmp_eq_u32_e64 s14, 0, v3
	;; [unrolled: 1-line block ×3, first 2 shown]
	v_cndmask_b32_e64 v1, 0, 1, s11
	s_and_b32 s11, s8, s12
	v_cmp_eq_u32_e64 s17, 1, v2
	v_cmp_eq_u32_e64 s21, 2, v2
	;; [unrolled: 1-line block ×3, first 2 shown]
	v_cndmask_b32_e64 v2, 0, 1, s11
	s_and_b32 s11, s9, s13
	v_cmp_eq_u32_e64 s16, 1, v4
	v_cmp_eq_u32_e64 s18, 1, v3
	;; [unrolled: 1-line block ×4, first 2 shown]
	v_cndmask_b32_e64 v3, 0, 1, s11
	s_and_b32 s11, s10, s14
	v_cmp_eq_u32_e64 s20, 2, v4
	v_cmp_eq_u32_e64 s24, 3, v4
	v_cndmask_b32_e64 v4, 0, 1, s11
	s_and_b32 s11, s7, s15
	s_delay_alu instid0(SALU_CYCLE_1) | instskip(SKIP_1) | instid1(SALU_CYCLE_1)
	v_cndmask_b32_e64 v28, 0, 1, s11
	s_and_b32 s11, s8, s16
	v_cndmask_b32_e64 v29, 0, 1, s11
	s_and_b32 s11, s9, s17
	s_delay_alu instid0(SALU_CYCLE_1) | instskip(SKIP_1) | instid1(VALU_DEP_2)
	v_cndmask_b32_e64 v30, 0, 1, s11
	s_and_b32 s11, s10, s18
	v_cmp_ne_u32_e64 s12, 0, v29
	v_cndmask_b32_e64 v31, 0, 1, s11
	s_and_b32 s11, s7, s19
	s_and_b32 s7, s7, s23
	v_cndmask_b32_e64 v32, 0, 1, s11
	v_cndmask_b32_e64 v36, 0, 1, s7
	s_and_b32 s7, s8, s24
	s_and_b32 s11, s8, s20
	v_cndmask_b32_e64 v37, 0, 1, s7
	s_and_b32 s7, s9, s25
	v_cndmask_b32_e64 v33, 0, 1, s11
	v_cndmask_b32_e64 v38, 0, 1, s7
	s_and_b32 s7, s10, s26
	s_and_b32 s11, s9, s21
	v_cndmask_b32_e64 v39, 0, 1, s7
	v_cmp_ne_u32_e64 s7, 0, v1
	v_cmp_ne_u32_e64 s8, 0, v2
	v_cndmask_b32_e64 v34, 0, 1, s11
	s_and_b32 s11, s10, s22
	v_cmp_ne_u32_e64 s9, 0, v3
	v_cndmask_b32_e64 v35, 0, 1, s11
	v_cmp_ne_u32_e64 s11, 0, v28
	v_cmp_ne_u32_e64 s15, 0, v32
	;; [unrolled: 1-line block ×3, first 2 shown]
	s_bcnt1_i32_b32 s7, s7
	v_cmp_ne_u32_e64 s10, 0, v4
	v_cmp_ne_u32_e64 s16, 0, v33
	;; [unrolled: 1-line block ×3, first 2 shown]
	s_bcnt1_i32_b32 s8, s8
	s_add_i32 s7, s7, s90
	v_cmp_ne_u32_e64 s13, 0, v30
	v_cmp_ne_u32_e64 s17, 0, v34
	;; [unrolled: 1-line block ×3, first 2 shown]
	s_bcnt1_i32_b32 s9, s9
	s_add_i32 s7, s7, s8
	s_bcnt1_i32_b32 s11, s11
	s_bcnt1_i32_b32 s15, s15
	;; [unrolled: 1-line block ×3, first 2 shown]
	v_cmp_ne_u32_e64 s14, 0, v31
	v_cmp_ne_u32_e64 s18, 0, v35
	;; [unrolled: 1-line block ×3, first 2 shown]
	s_bcnt1_i32_b32 s10, s10
	s_add_i32 s7, s7, s9
	s_bcnt1_i32_b32 s12, s12
	s_bcnt1_i32_b32 s16, s16
	;; [unrolled: 1-line block ×3, first 2 shown]
	s_add_i32 s11, s11, s89
	s_add_i32 s15, s15, s88
	;; [unrolled: 1-line block ×4, first 2 shown]
	s_delay_alu instid0(SALU_CYCLE_1)
	v_dual_mov_b32 v1, s90 :: v_dual_add_nc_u32 v14, s56, v14
	s_bcnt1_i32_b32 s13, s13
	s_bcnt1_i32_b32 s17, s17
	;; [unrolled: 1-line block ×3, first 2 shown]
	s_add_i32 s8, s11, s12
	s_add_i32 s11, s15, s16
	;; [unrolled: 1-line block ×3, first 2 shown]
	s_bcnt1_i32_b32 s14, s14
	s_bcnt1_i32_b32 s18, s18
	;; [unrolled: 1-line block ×3, first 2 shown]
	s_add_i32 s8, s8, s13
	s_add_i32 s9, s11, s17
	;; [unrolled: 1-line block ×3, first 2 shown]
	v_cmp_le_u32_e32 vcc_lo, s83, v14
	s_add_i32 s89, s8, s14
	s_add_i32 s88, s9, s18
	;; [unrolled: 1-line block ×3, first 2 shown]
	v_dual_mov_b32 v3, s88 :: v_dual_add_nc_u32 v6, s70, v6
	v_mov_b32_e32 v2, s89
	v_mov_b32_e32 v4, s87
	s_or_b32 s85, vcc_lo, s85
	s_delay_alu instid0(SALU_CYCLE_1)
	s_and_not1_b32 exec_lo, exec_lo, s85
	s_cbranch_execnz .LBB122_68
; %bb.69:                               ;   in Loop: Header=BB122_21 Depth=1
	s_or_b32 exec_lo, exec_lo, s85
.LBB122_70:                             ;   in Loop: Header=BB122_21 Depth=1
	s_delay_alu instid0(SALU_CYCLE_1) | instskip(SKIP_2) | instid1(VALU_DEP_1)
	s_or_b32 exec_lo, exec_lo, s84
	v_add_nc_u32_e32 v6, s83, v0
	s_mov_b32 s12, exec_lo
	v_cmpx_gt_u32_e64 s82, v6
	s_cbranch_execz .LBB122_74
; %bb.71:                               ;   in Loop: Header=BB122_21 Depth=1
	v_lshlrev_b32_e32 v14, 2, v6
	s_and_b32 s14, s74, 0xfe
	s_mov_b32 s13, 0
.LBB122_72:                             ;   Parent Loop BB122_21 Depth=1
                                        ; =>  This Inner Loop Header: Depth=2
	s_waitcnt vmcnt(0)
	ds_load_b32 v28, v14
	v_add_nc_u32_e32 v6, s31, v6
	v_add_nc_u32_e32 v14, s56, v14
	s_delay_alu instid0(VALU_DEP_2) | instskip(SKIP_2) | instid1(VALU_DEP_1)
	v_cmp_le_u32_e32 vcc_lo, s82, v6
	s_waitcnt lgkmcnt(0)
	v_cmp_lt_i32_e64 s7, -1, v28
	v_cndmask_b32_e64 v29, -1, 0x80000000, s7
	v_cmp_o_f32_e64 s7, v28, v28
	s_delay_alu instid0(VALU_DEP_2) | instskip(NEXT) | instid1(VALU_DEP_1)
	v_xor_b32_e32 v29, v29, v28
	v_cndmask_b32_e64 v28, -1, v29, s7
	s_delay_alu instid0(VALU_DEP_1) | instskip(SKIP_1) | instid1(VALU_DEP_2)
	v_and_b32_e32 v29, s80, v28
	v_bfe_u32 v28, v28, s14, 2
	v_cmp_eq_u32_e64 s7, s79, v29
	s_delay_alu instid0(VALU_DEP_2) | instskip(SKIP_3) | instid1(VALU_DEP_4)
	v_cmp_eq_u32_e64 s8, 0, v28
	v_cmp_eq_u32_e64 s9, 1, v28
	v_cmp_eq_u32_e64 s10, 2, v28
	v_cmp_eq_u32_e64 s11, 3, v28
	s_and_b32 s8, s7, s8
	s_delay_alu instid0(SALU_CYCLE_1) | instskip(SKIP_1) | instid1(SALU_CYCLE_1)
	v_cndmask_b32_e64 v28, 0, 1, s8
	s_and_b32 s8, s7, s9
	v_cndmask_b32_e64 v29, 0, 1, s8
	s_and_b32 s8, s7, s10
	s_and_b32 s7, s7, s11
	v_cndmask_b32_e64 v30, 0, 1, s8
	v_cndmask_b32_e64 v31, 0, 1, s7
	v_cmp_ne_u32_e64 s7, 0, v28
	v_cmp_ne_u32_e64 s8, 0, v29
	s_delay_alu instid0(VALU_DEP_4) | instskip(NEXT) | instid1(VALU_DEP_4)
	v_cmp_ne_u32_e64 s9, 0, v30
	v_cmp_ne_u32_e64 s10, 0, v31
	s_delay_alu instid0(VALU_DEP_4) | instskip(NEXT) | instid1(VALU_DEP_3)
	s_bcnt1_i32_b32 s7, s7
	s_bcnt1_i32_b32 s8, s8
	v_add_nc_u32_e32 v1, s7, v1
	s_bcnt1_i32_b32 s9, s9
	s_bcnt1_i32_b32 s10, s10
	v_add_nc_u32_e32 v2, s8, v2
	v_add_nc_u32_e32 v3, s9, v3
	;; [unrolled: 1-line block ×3, first 2 shown]
	s_or_b32 s13, vcc_lo, s13
	s_delay_alu instid0(SALU_CYCLE_1)
	s_and_not1_b32 exec_lo, exec_lo, s13
	s_cbranch_execnz .LBB122_72
; %bb.73:                               ;   in Loop: Header=BB122_21 Depth=1
	s_or_b32 exec_lo, exec_lo, s13
.LBB122_74:                             ;   in Loop: Header=BB122_21 Depth=1
	s_delay_alu instid0(SALU_CYCLE_1)
	s_or_b32 exec_lo, exec_lo, s12
.LBB122_75:                             ;   in Loop: Header=BB122_21 Depth=1
	s_lshl_b32 s7, s77, 7
	s_and_saveexec_b32 s8, s3
	s_cbranch_execz .LBB122_77
; %bb.76:                               ;   in Loop: Header=BB122_21 Depth=1
	v_or_b32_e32 v6, s7, v19
	s_delay_alu instid0(VALU_DEP_1)
	v_lshlrev_b32_e32 v6, 2, v6
	ds_store_b128 v6, v[1:4] offset:3072
.LBB122_77:                             ;   in Loop: Header=BB122_21 Depth=1
	s_or_b32 exec_lo, exec_lo, s8
	s_waitcnt vmcnt(0) lgkmcnt(0)
	s_barrier
	buffer_gl0_inv
	s_and_saveexec_b32 s8, s57
	s_cbranch_execz .LBB122_87
; %bb.78:                               ;   in Loop: Header=BB122_21 Depth=1
	v_mov_b32_e32 v1, 0
	s_and_not1_b32 vcc_lo, exec_lo, s60
	s_cbranch_vccnz .LBB122_86
; %bb.79:                               ;   in Loop: Header=BB122_21 Depth=1
	v_mov_b32_e32 v1, 0
	s_and_not1_b32 vcc_lo, exec_lo, s62
	s_mov_b32 s9, 0
	s_cbranch_vccnz .LBB122_83
; %bb.80:                               ;   in Loop: Header=BB122_21 Depth=1
	v_lshl_add_u32 v2, s77, 9, v27
	v_mov_b32_e32 v1, 0
	.p2align	6
.LBB122_81:                             ;   Parent Loop BB122_21 Depth=1
                                        ; =>  This Inner Loop Header: Depth=2
	ds_load_2addr_b32 v[3:4], v2 offset1:4
	ds_load_2addr_b32 v[28:29], v2 offset0:8 offset1:12
	ds_load_2addr_b32 v[30:31], v2 offset0:16 offset1:20
	ds_load_2addr_b32 v[32:33], v2 offset0:24 offset1:28
	v_add_nc_u32_e32 v2, 0x80, v2
	s_add_i32 s9, s9, 8
	s_delay_alu instid0(SALU_CYCLE_1) | instskip(SKIP_3) | instid1(VALU_DEP_1)
	s_cmp_eq_u32 s63, s9
	s_waitcnt lgkmcnt(3)
	v_add3_u32 v1, v3, v1, v4
	s_waitcnt lgkmcnt(2)
	v_add3_u32 v1, v28, v1, v29
	s_waitcnt lgkmcnt(1)
	s_delay_alu instid0(VALU_DEP_1) | instskip(SKIP_1) | instid1(VALU_DEP_1)
	v_add3_u32 v1, v30, v1, v31
	s_waitcnt lgkmcnt(0)
	v_add3_u32 v1, v32, v1, v33
	s_cbranch_scc0 .LBB122_81
; %bb.82:                               ;   in Loop: Header=BB122_21 Depth=1
	s_mov_b32 s9, s63
.LBB122_83:                             ;   in Loop: Header=BB122_21 Depth=1
	s_and_not1_b32 vcc_lo, exec_lo, s64
	s_cbranch_vccnz .LBB122_86
; %bb.84:                               ;   in Loop: Header=BB122_21 Depth=1
	s_lshl_b32 s10, s77, 9
	s_lshl_b32 s9, s9, 4
	s_delay_alu instid0(SALU_CYCLE_1)
	v_add3_u32 v2, s10, s9, v27
	s_mov_b32 s9, s61
.LBB122_85:                             ;   Parent Loop BB122_21 Depth=1
                                        ; =>  This Inner Loop Header: Depth=2
	ds_load_b32 v3, v2
	v_add_nc_u32_e32 v2, 16, v2
	s_add_i32 s9, s9, -1
	s_delay_alu instid0(SALU_CYCLE_1)
	s_cmp_lg_u32 s9, 0
	s_waitcnt lgkmcnt(0)
	v_add_nc_u32_e32 v1, v3, v1
	s_cbranch_scc1 .LBB122_85
.LBB122_86:                             ;   in Loop: Header=BB122_21 Depth=1
	v_add_lshl_u32 v2, s7, v16, 2
	ds_store_b32 v2, v1 offset:3072
.LBB122_87:                             ;   in Loop: Header=BB122_21 Depth=1
	s_or_b32 exec_lo, exec_lo, s8
	s_lshl_b32 s7, s7, 2
	s_waitcnt lgkmcnt(0)
	v_mov_b32_e32 v1, s7
	s_barrier
	buffer_gl0_inv
	s_and_b32 s16, s74, 0xfe
	s_mov_b32 s12, -1
	ds_load_b128 v[1:4], v1 offset:3072
	s_lshl_b32 s9, 3, s16
	s_delay_alu instid0(SALU_CYCLE_1) | instskip(SKIP_4) | instid1(VALU_DEP_3)
	s_not_b32 s17, s9
	s_waitcnt lgkmcnt(0)
	v_readfirstlane_b32 s11, v1
	v_readfirstlane_b32 s19, v2
	;; [unrolled: 1-line block ×3, first 2 shown]
	s_cmp_eq_u32 s11, 1
	s_cselect_b32 s7, -1, 0
	s_cmp_eq_u32 s81, 1
	s_cselect_b32 s8, -1, 0
	s_delay_alu instid0(SALU_CYCLE_1)
	s_and_b32 s13, s7, s8
	v_readfirstlane_b32 s8, v4
	s_and_b32 vcc_lo, exec_lo, s13
	s_cbranch_vccz .LBB122_99
; %bb.88:                               ;   in Loop: Header=BB122_21 Depth=1
	ds_load_b32 v1, v7 offset:4104
	s_waitcnt lgkmcnt(0)
	s_barrier
	buffer_gl0_inv
	v_readfirstlane_b32 s10, v1
	s_and_saveexec_b32 s7, s2
	s_cbranch_execz .LBB122_90
; %bb.89:                               ;   in Loop: Header=BB122_21 Depth=1
	ds_store_b32 v18, v7
.LBB122_90:                             ;   in Loop: Header=BB122_21 Depth=1
	s_or_b32 exec_lo, exec_lo, s7
	s_and_b32 s79, s79, s17
	s_or_b32 s80, s80, s9
	s_cmp_eq_u32 s10, 0
	s_waitcnt lgkmcnt(0)
	s_barrier
	buffer_gl0_inv
	s_cbranch_scc1 .LBB122_100
; %bb.91:                               ;   in Loop: Header=BB122_21 Depth=1
	s_add_i32 s7, s10, s58
                                        ; implicit-def: $vgpr15
	s_delay_alu instid0(SALU_CYCLE_1) | instskip(NEXT) | instid1(SALU_CYCLE_1)
	s_mul_hi_u32 s15, s7, s67
	s_mul_i32 s15, s15, s31
	s_delay_alu instid0(SALU_CYCLE_1) | instskip(NEXT) | instid1(SALU_CYCLE_1)
	s_sub_i32 s15, s7, s15
	s_sub_i32 s18, s15, s31
	s_cmp_ge_u32 s15, s31
	s_cselect_b32 s15, s18, s15
	s_delay_alu instid0(SALU_CYCLE_1) | instskip(SKIP_2) | instid1(SALU_CYCLE_1)
	s_sub_i32 s18, s15, s31
	s_cmp_ge_u32 s15, s31
	s_cselect_b32 s15, s18, s15
	s_sub_i32 s18, s7, s15
	s_mov_b32 s7, 0
	s_mov_b32 s15, exec_lo
	v_cmpx_gt_u32_e64 s18, v0
	s_cbranch_execz .LBB122_102
; %bb.92:                               ;   in Loop: Header=BB122_21 Depth=1
	v_dual_mov_b32 v1, v17 :: v_dual_mov_b32 v2, v0
	s_mov_b32 s20, 0
                                        ; implicit-def: $sgpr21
	s_set_inst_prefetch_distance 0x1
	s_branch .LBB122_94
	.p2align	6
.LBB122_93:                             ;   in Loop: Header=BB122_94 Depth=2
	s_or_b32 exec_lo, exec_lo, s7
	s_waitcnt lgkmcnt(0)
	s_barrier
	buffer_gl0_inv
	ds_load_b64 v[14:15], v7 offset:3072
	v_add_nc_u32_e32 v2, s31, v2
	v_add_nc_u32_e32 v1, s56, v1
	s_waitcnt lgkmcnt(0)
	s_barrier
	buffer_gl0_inv
	v_cmp_le_u32_e32 vcc_lo, s18, v2
	v_cmp_neq_f32_e64 s7, 0, v14
	s_delay_alu instid0(VALU_DEP_1) | instskip(NEXT) | instid1(SALU_CYCLE_1)
	s_or_b32 s22, vcc_lo, s7
	s_and_b32 s22, exec_lo, s22
	s_delay_alu instid0(SALU_CYCLE_1) | instskip(SKIP_2) | instid1(SALU_CYCLE_1)
	s_or_b32 s20, s22, s20
	s_and_not1_b32 s21, s21, exec_lo
	s_and_b32 s7, s7, exec_lo
	s_or_b32 s21, s21, s7
	s_and_not1_b32 exec_lo, exec_lo, s20
	s_cbranch_execz .LBB122_101
.LBB122_94:                             ;   Parent Loop BB122_21 Depth=1
                                        ; =>  This Inner Loop Header: Depth=2
	s_delay_alu instid0(VALU_DEP_1)
	v_cmp_gt_u32_e32 vcc_lo, s10, v2
	v_mov_b32_e32 v14, 0
	s_and_saveexec_b32 s7, vcc_lo
	s_cbranch_execz .LBB122_96
; %bb.95:                               ;   in Loop: Header=BB122_94 Depth=2
	ds_load_b32 v14, v1
.LBB122_96:                             ;   in Loop: Header=BB122_94 Depth=2
	s_or_b32 exec_lo, exec_lo, s7
	s_and_saveexec_b32 s7, vcc_lo
	s_cbranch_execz .LBB122_93
; %bb.97:                               ;   in Loop: Header=BB122_94 Depth=2
	s_waitcnt lgkmcnt(0)
	v_cmp_lt_i32_e32 vcc_lo, -1, v14
	v_cndmask_b32_e64 v3, -1, 0x80000000, vcc_lo
	v_cmp_o_f32_e32 vcc_lo, v14, v14
	s_delay_alu instid0(VALU_DEP_2) | instskip(NEXT) | instid1(VALU_DEP_1)
	v_xor_b32_e32 v3, v3, v14
	v_cndmask_b32_e32 v3, -1, v3, vcc_lo
	s_delay_alu instid0(VALU_DEP_1) | instskip(NEXT) | instid1(VALU_DEP_1)
	v_and_b32_e32 v3, s80, v3
	v_cmp_eq_u32_e32 vcc_lo, s79, v3
	s_and_b32 exec_lo, exec_lo, vcc_lo
	s_cbranch_execz .LBB122_93
; %bb.98:                               ;   in Loop: Header=BB122_94 Depth=2
	ds_store_b64 v7, v[13:14] offset:3072
	s_branch .LBB122_93
.LBB122_99:                             ;   in Loop: Header=BB122_21 Depth=1
	s_mov_b32 s7, -1
                                        ; implicit-def: $sgpr10
                                        ; implicit-def: $sgpr18
                                        ; implicit-def: $sgpr15
	s_branch .LBB122_113
.LBB122_100:                            ;   in Loop: Header=BB122_21 Depth=1
	s_mov_b32 s10, -1
	s_mov_b32 s7, 0
                                        ; implicit-def: $sgpr15
                                        ; implicit-def: $vgpr15
	s_mov_b32 s18, s10
	s_cbranch_execnz .LBB122_103
	s_branch .LBB122_113
.LBB122_101:                            ;   in Loop: Header=BB122_21 Depth=1
	s_set_inst_prefetch_distance 0x2
	s_or_b32 exec_lo, exec_lo, s20
	s_delay_alu instid0(SALU_CYCLE_1)
	s_and_b32 s7, s21, exec_lo
.LBB122_102:                            ;   in Loop: Header=BB122_21 Depth=1
	s_or_b32 exec_lo, exec_lo, s15
	s_mov_b32 s15, -1
	s_mov_b32 s10, 0
	s_delay_alu instid0(SALU_CYCLE_1)
	s_mov_b32 s18, s10
	s_branch .LBB122_113
.LBB122_103:                            ;   in Loop: Header=BB122_21 Depth=1
	s_mov_b32 s7, 0
                                        ; implicit-def: $vgpr15
	s_and_saveexec_b32 s10, s6
	s_cbranch_execz .LBB122_112
; %bb.104:                              ;   in Loop: Header=BB122_21 Depth=1
	v_dual_mov_b32 v6, v5 :: v_dual_mov_b32 v1, v0
	s_mov_b32 s15, 0
                                        ; implicit-def: $sgpr18
	s_set_inst_prefetch_distance 0x1
	s_branch .LBB122_106
	.p2align	6
.LBB122_105:                            ;   in Loop: Header=BB122_106 Depth=2
	s_or_b32 exec_lo, exec_lo, s7
	s_waitcnt vmcnt(0) lgkmcnt(0)
	s_barrier
	buffer_gl0_inv
	ds_load_b64 v[14:15], v7 offset:3072
	v_add_nc_u32_e32 v1, s31, v1
	v_add_nc_u32_e32 v6, s55, v6
	s_waitcnt lgkmcnt(0)
	s_barrier
	buffer_gl0_inv
	v_cmp_le_u32_e32 vcc_lo, s69, v1
	v_cmp_neq_f32_e64 s7, 0, v14
	s_delay_alu instid0(VALU_DEP_1) | instskip(NEXT) | instid1(SALU_CYCLE_1)
	s_or_b32 s20, vcc_lo, s7
	s_and_b32 s20, exec_lo, s20
	s_delay_alu instid0(SALU_CYCLE_1) | instskip(SKIP_2) | instid1(SALU_CYCLE_1)
	s_or_b32 s15, s20, s15
	s_and_not1_b32 s18, s18, exec_lo
	s_and_b32 s7, s7, exec_lo
	s_or_b32 s18, s18, s7
	s_and_not1_b32 exec_lo, exec_lo, s15
	s_cbranch_execz .LBB122_111
.LBB122_106:                            ;   Parent Loop BB122_21 Depth=1
                                        ; =>  This Inner Loop Header: Depth=2
	s_delay_alu instid0(VALU_DEP_1)
	v_cmp_gt_u32_e32 vcc_lo, s28, v1
	v_mov_b32_e32 v14, 0
	s_and_saveexec_b32 s20, vcc_lo
	s_cbranch_execz .LBB122_108
; %bb.107:                              ;   in Loop: Header=BB122_106 Depth=2
	v_lshlrev_b64 v[2:3], 2, v[6:7]
	s_delay_alu instid0(VALU_DEP_1) | instskip(NEXT) | instid1(VALU_DEP_1)
	v_add_co_u32 v2, s7, s39, v2
	v_add_co_ci_u32_e64 v3, s7, s43, v3, s7
	global_load_b32 v14, v[2:3], off
.LBB122_108:                            ;   in Loop: Header=BB122_106 Depth=2
	s_or_b32 exec_lo, exec_lo, s20
	s_and_saveexec_b32 s7, vcc_lo
	s_cbranch_execz .LBB122_105
; %bb.109:                              ;   in Loop: Header=BB122_106 Depth=2
	s_waitcnt vmcnt(0)
	v_cmp_lt_i32_e32 vcc_lo, -1, v14
	v_cndmask_b32_e64 v2, -1, 0x80000000, vcc_lo
	v_cmp_o_f32_e32 vcc_lo, v14, v14
	s_delay_alu instid0(VALU_DEP_2) | instskip(NEXT) | instid1(VALU_DEP_1)
	v_xor_b32_e32 v2, v2, v14
	v_cndmask_b32_e32 v2, -1, v2, vcc_lo
	s_delay_alu instid0(VALU_DEP_1) | instskip(NEXT) | instid1(VALU_DEP_1)
	v_and_b32_e32 v2, s80, v2
	v_cmp_eq_u32_e32 vcc_lo, s79, v2
	s_and_b32 exec_lo, exec_lo, vcc_lo
	s_cbranch_execz .LBB122_105
; %bb.110:                              ;   in Loop: Header=BB122_106 Depth=2
	ds_store_b64 v7, v[13:14] offset:3072
	s_branch .LBB122_105
.LBB122_111:                            ;   in Loop: Header=BB122_21 Depth=1
	s_set_inst_prefetch_distance 0x2
	s_or_b32 exec_lo, exec_lo, s15
	s_delay_alu instid0(SALU_CYCLE_1)
	s_and_b32 s7, s18, exec_lo
.LBB122_112:                            ;   in Loop: Header=BB122_21 Depth=1
	s_or_b32 exec_lo, exec_lo, s10
	s_mov_b32 s18, -1
	s_mov_b32 s10, 0
	s_mov_b32 s15, 0
.LBB122_113:                            ;   in Loop: Header=BB122_21 Depth=1
	s_and_not1_b32 s20, s75, exec_lo
	s_and_b32 s10, s10, exec_lo
	s_and_b32 s18, s18, exec_lo
	s_or_b32 s75, s20, s10
	s_and_not1_b32 s10, s78, exec_lo
	s_and_not1_b32 s20, s76, exec_lo
	s_and_b32 s15, s15, exec_lo
	s_or_b32 s78, s10, s18
	s_or_b32 s76, s20, s15
	s_and_saveexec_b32 s10, s7
	s_cbranch_execz .LBB122_20
; %bb.114:                              ;   in Loop: Header=BB122_21 Depth=1
	s_xor_b32 s7, s13, -1
	s_mov_b32 s12, 0
	s_and_not1_b32 vcc_lo, exec_lo, s7
	s_mov_b32 s20, 1
	s_cbranch_vccnz .LBB122_125
; %bb.115:                              ;   in Loop: Header=BB122_21 Depth=1
	s_cmp_gt_u32 s81, s11
	s_mov_b32 s12, -1
                                        ; implicit-def: $sgpr7
                                        ; implicit-def: $sgpr13
                                        ; implicit-def: $sgpr15
	s_cbranch_scc1 .LBB122_121
; %bb.116:                              ;   in Loop: Header=BB122_21 Depth=1
	ds_load_b32 v1, v7 offset:4104
	s_waitcnt lgkmcnt(0)
	v_cmp_ne_u32_e32 vcc_lo, 0, v1
	s_cbranch_vccnz .LBB122_120
; %bb.117:                              ;   in Loop: Header=BB122_21 Depth=1
	s_and_saveexec_b32 s7, s1
	s_cbranch_execz .LBB122_119
; %bb.118:                              ;   in Loop: Header=BB122_21 Depth=1
	v_mov_b32_e32 v1, s11
	ds_store_b32 v7, v1 offset:4108
.LBB122_119:                            ;   in Loop: Header=BB122_21 Depth=1
	s_or_b32 exec_lo, exec_lo, s7
	s_waitcnt lgkmcnt(0)
	s_barrier
	buffer_gl0_inv
.LBB122_120:                            ;   in Loop: Header=BB122_21 Depth=1
	s_and_b32 s13, s79, s17
	s_or_b32 s15, s80, s9
	s_mov_b32 s12, 0
	s_mov_b32 s7, 8
.LBB122_121:                            ;   in Loop: Header=BB122_21 Depth=1
	s_and_not1_b32 vcc_lo, exec_lo, s12
	s_cbranch_vccnz .LBB122_123
; %bb.122:                              ;   in Loop: Header=BB122_21 Depth=1
	s_sub_i32 s81, s81, s11
	s_mov_b32 s12, -1
	s_mov_b32 s7, 0
	s_mov_b32 s13, s79
	;; [unrolled: 1-line block ×3, first 2 shown]
.LBB122_123:                            ;   in Loop: Header=BB122_21 Depth=1
	s_delay_alu instid0(SALU_CYCLE_1)
	s_mov_b32 s80, s15
	s_mov_b32 s79, s13
	;; [unrolled: 1-line block ×3, first 2 shown]
	s_and_b32 vcc_lo, exec_lo, s12
	s_mov_b32 s11, -1
	s_cbranch_vccnz .LBB122_126
.LBB122_124:                            ;   in Loop: Header=BB122_21 Depth=1
	s_mov_b32 s23, -1
                                        ; implicit-def: $sgpr12
                                        ; implicit-def: $sgpr15
                                        ; implicit-def: $sgpr13
                                        ; implicit-def: $sgpr81
	s_delay_alu instid0(SALU_CYCLE_1) | instskip(NEXT) | instid1(SALU_CYCLE_1)
	s_and_saveexec_b32 s8, s23
	s_xor_b32 s8, exec_lo, s8
	s_cbranch_execz .LBB122_19
	s_branch .LBB122_252
.LBB122_125:                            ;   in Loop: Header=BB122_21 Depth=1
	s_mov_b32 s7, 1
	s_and_b32 vcc_lo, exec_lo, s12
	s_mov_b32 s11, -1
	s_cbranch_vccz .LBB122_124
.LBB122_126:                            ;   in Loop: Header=BB122_21 Depth=1
	s_cmp_eq_u32 s19, 1
	s_mov_b32 s22, -1
	s_cselect_b32 s7, -1, 0
	s_cmp_eq_u32 s20, 1
	s_cselect_b32 s12, -1, 0
	s_delay_alu instid0(SALU_CYCLE_1) | instskip(NEXT) | instid1(SALU_CYCLE_1)
	s_and_b32 s21, s7, s12
	s_and_b32 vcc_lo, exec_lo, s21
	s_cbranch_vccz .LBB122_138
; %bb.127:                              ;   in Loop: Header=BB122_21 Depth=1
	ds_load_b32 v1, v7 offset:4104
	s_waitcnt lgkmcnt(0)
	s_barrier
	buffer_gl0_inv
	v_readfirstlane_b32 s12, v1
	s_and_saveexec_b32 s7, s2
	s_cbranch_execz .LBB122_129
; %bb.128:                              ;   in Loop: Header=BB122_21 Depth=1
	ds_store_b32 v18, v7
.LBB122_129:                            ;   in Loop: Header=BB122_21 Depth=1
	s_or_b32 exec_lo, exec_lo, s7
	s_lshl_b32 s7, 1, s16
	s_and_b32 s13, s79, s17
	s_or_b32 s80, s80, s9
	s_or_b32 s79, s13, s7
	s_cmp_eq_u32 s12, 0
	s_waitcnt lgkmcnt(0)
	s_barrier
	buffer_gl0_inv
	s_cbranch_scc1 .LBB122_142
; %bb.130:                              ;   in Loop: Header=BB122_21 Depth=1
	s_add_i32 s7, s12, s58
	s_mov_b32 s22, 0
	s_mul_hi_u32 s13, s7, s67
                                        ; implicit-def: $vgpr15
	s_delay_alu instid0(SALU_CYCLE_1) | instskip(NEXT) | instid1(SALU_CYCLE_1)
	s_mul_i32 s13, s13, s31
	s_sub_i32 s13, s7, s13
	s_delay_alu instid0(SALU_CYCLE_1) | instskip(SKIP_2) | instid1(SALU_CYCLE_1)
	s_sub_i32 s15, s13, s31
	s_cmp_ge_u32 s13, s31
	s_cselect_b32 s13, s15, s13
	s_sub_i32 s15, s13, s31
	s_cmp_ge_u32 s13, s31
	s_cselect_b32 s13, s15, s13
	s_delay_alu instid0(SALU_CYCLE_1)
	s_sub_i32 s15, s7, s13
	s_mov_b32 s13, exec_lo
	v_cmpx_gt_u32_e64 s15, v0
	s_cbranch_execz .LBB122_144
; %bb.131:                              ;   in Loop: Header=BB122_21 Depth=1
	v_dual_mov_b32 v1, v17 :: v_dual_mov_b32 v2, v0
	s_mov_b32 s18, 0
                                        ; implicit-def: $sgpr22
	s_set_inst_prefetch_distance 0x1
	s_branch .LBB122_133
	.p2align	6
.LBB122_132:                            ;   in Loop: Header=BB122_133 Depth=2
	s_or_b32 exec_lo, exec_lo, s7
	s_waitcnt lgkmcnt(0)
	s_barrier
	buffer_gl0_inv
	ds_load_b64 v[14:15], v7 offset:3072
	v_add_nc_u32_e32 v2, s31, v2
	v_add_nc_u32_e32 v1, s56, v1
	s_waitcnt lgkmcnt(0)
	s_barrier
	buffer_gl0_inv
	v_cmp_le_u32_e32 vcc_lo, s15, v2
	v_cmp_neq_f32_e64 s7, 0, v14
	s_delay_alu instid0(VALU_DEP_1) | instskip(NEXT) | instid1(SALU_CYCLE_1)
	s_or_b32 s23, vcc_lo, s7
	s_and_b32 s23, exec_lo, s23
	s_delay_alu instid0(SALU_CYCLE_1) | instskip(SKIP_2) | instid1(SALU_CYCLE_1)
	s_or_b32 s18, s23, s18
	s_and_not1_b32 s22, s22, exec_lo
	s_and_b32 s7, s7, exec_lo
	s_or_b32 s22, s22, s7
	s_and_not1_b32 exec_lo, exec_lo, s18
	s_cbranch_execz .LBB122_143
.LBB122_133:                            ;   Parent Loop BB122_21 Depth=1
                                        ; =>  This Inner Loop Header: Depth=2
	s_delay_alu instid0(VALU_DEP_1)
	v_cmp_gt_u32_e32 vcc_lo, s12, v2
	v_mov_b32_e32 v14, 0
	s_and_saveexec_b32 s7, vcc_lo
	s_cbranch_execz .LBB122_135
; %bb.134:                              ;   in Loop: Header=BB122_133 Depth=2
	ds_load_b32 v14, v1
.LBB122_135:                            ;   in Loop: Header=BB122_133 Depth=2
	s_or_b32 exec_lo, exec_lo, s7
	s_and_saveexec_b32 s7, vcc_lo
	s_cbranch_execz .LBB122_132
; %bb.136:                              ;   in Loop: Header=BB122_133 Depth=2
	s_waitcnt lgkmcnt(0)
	v_cmp_lt_i32_e32 vcc_lo, -1, v14
	v_cndmask_b32_e64 v3, -1, 0x80000000, vcc_lo
	v_cmp_o_f32_e32 vcc_lo, v14, v14
	s_delay_alu instid0(VALU_DEP_2) | instskip(NEXT) | instid1(VALU_DEP_1)
	v_xor_b32_e32 v3, v3, v14
	v_cndmask_b32_e32 v3, -1, v3, vcc_lo
	s_delay_alu instid0(VALU_DEP_1) | instskip(NEXT) | instid1(VALU_DEP_1)
	v_and_b32_e32 v3, s80, v3
	v_cmp_eq_u32_e32 vcc_lo, s79, v3
	s_and_b32 exec_lo, exec_lo, vcc_lo
	s_cbranch_execz .LBB122_132
; %bb.137:                              ;   in Loop: Header=BB122_133 Depth=2
	ds_store_b64 v7, v[13:14] offset:3072
	s_branch .LBB122_132
.LBB122_138:                            ;   in Loop: Header=BB122_21 Depth=1
                                        ; implicit-def: $sgpr13
                                        ; implicit-def: $sgpr15
                                        ; implicit-def: $sgpr12
	s_branch .LBB122_155
.LBB122_139:                            ;   in Loop: Header=BB122_21 Depth=1
	s_or_b32 exec_lo, exec_lo, s9
	s_waitcnt vmcnt(0) lgkmcnt(0)
	s_barrier
	buffer_gl0_inv
	s_and_saveexec_b32 s7, s1
	s_cbranch_execz .LBB122_141
; %bb.140:                              ;   in Loop: Header=BB122_21 Depth=1
	ds_load_b32 v1, v7 offset:4112
	s_waitcnt lgkmcnt(0)
	ds_store_b32 v7, v1 offset:4104
.LBB122_141:                            ;   in Loop: Header=BB122_21 Depth=1
	s_or_b32 exec_lo, exec_lo, s7
	s_waitcnt lgkmcnt(0)
	s_mov_b32 s7, -1
	s_barrier
	s_and_b32 vcc_lo, exec_lo, s82
	s_cbranch_vccnz .LBB122_39
	s_branch .LBB122_49
.LBB122_142:                            ;   in Loop: Header=BB122_21 Depth=1
	s_mov_b32 s13, -1
	s_mov_b32 s22, 0
                                        ; implicit-def: $sgpr12
                                        ; implicit-def: $vgpr15
	s_mov_b32 s15, s13
	s_cbranch_execnz .LBB122_145
	s_branch .LBB122_155
.LBB122_143:                            ;   in Loop: Header=BB122_21 Depth=1
	s_set_inst_prefetch_distance 0x2
	s_or_b32 exec_lo, exec_lo, s18
	s_delay_alu instid0(SALU_CYCLE_1)
	s_and_b32 s22, s22, exec_lo
.LBB122_144:                            ;   in Loop: Header=BB122_21 Depth=1
	s_or_b32 exec_lo, exec_lo, s13
	s_mov_b32 s12, -1
	s_mov_b32 s13, 0
	s_delay_alu instid0(SALU_CYCLE_1)
	s_mov_b32 s15, s13
	s_branch .LBB122_155
.LBB122_145:                            ;   in Loop: Header=BB122_21 Depth=1
	s_mov_b32 s22, 0
                                        ; implicit-def: $vgpr15
	s_and_saveexec_b32 s12, s6
	s_cbranch_execz .LBB122_154
; %bb.146:                              ;   in Loop: Header=BB122_21 Depth=1
	v_dual_mov_b32 v6, v5 :: v_dual_mov_b32 v1, v0
	s_mov_b32 s13, 0
                                        ; implicit-def: $sgpr15
	s_set_inst_prefetch_distance 0x1
	s_branch .LBB122_148
	.p2align	6
.LBB122_147:                            ;   in Loop: Header=BB122_148 Depth=2
	s_or_b32 exec_lo, exec_lo, s7
	s_waitcnt vmcnt(0) lgkmcnt(0)
	s_barrier
	buffer_gl0_inv
	ds_load_b64 v[14:15], v7 offset:3072
	v_add_nc_u32_e32 v1, s31, v1
	v_add_nc_u32_e32 v6, s55, v6
	s_waitcnt lgkmcnt(0)
	s_barrier
	buffer_gl0_inv
	v_cmp_le_u32_e32 vcc_lo, s69, v1
	v_cmp_neq_f32_e64 s7, 0, v14
	s_delay_alu instid0(VALU_DEP_1) | instskip(NEXT) | instid1(SALU_CYCLE_1)
	s_or_b32 s18, vcc_lo, s7
	s_and_b32 s18, exec_lo, s18
	s_delay_alu instid0(SALU_CYCLE_1) | instskip(SKIP_2) | instid1(SALU_CYCLE_1)
	s_or_b32 s13, s18, s13
	s_and_not1_b32 s15, s15, exec_lo
	s_and_b32 s7, s7, exec_lo
	s_or_b32 s15, s15, s7
	s_and_not1_b32 exec_lo, exec_lo, s13
	s_cbranch_execz .LBB122_153
.LBB122_148:                            ;   Parent Loop BB122_21 Depth=1
                                        ; =>  This Inner Loop Header: Depth=2
	s_delay_alu instid0(VALU_DEP_1)
	v_cmp_gt_u32_e32 vcc_lo, s28, v1
	v_mov_b32_e32 v14, 0
	s_and_saveexec_b32 s18, vcc_lo
	s_cbranch_execz .LBB122_150
; %bb.149:                              ;   in Loop: Header=BB122_148 Depth=2
	v_lshlrev_b64 v[2:3], 2, v[6:7]
	s_delay_alu instid0(VALU_DEP_1) | instskip(NEXT) | instid1(VALU_DEP_1)
	v_add_co_u32 v2, s7, s39, v2
	v_add_co_ci_u32_e64 v3, s7, s43, v3, s7
	global_load_b32 v14, v[2:3], off
.LBB122_150:                            ;   in Loop: Header=BB122_148 Depth=2
	s_or_b32 exec_lo, exec_lo, s18
	s_and_saveexec_b32 s7, vcc_lo
	s_cbranch_execz .LBB122_147
; %bb.151:                              ;   in Loop: Header=BB122_148 Depth=2
	s_waitcnt vmcnt(0)
	v_cmp_lt_i32_e32 vcc_lo, -1, v14
	v_cndmask_b32_e64 v2, -1, 0x80000000, vcc_lo
	v_cmp_o_f32_e32 vcc_lo, v14, v14
	s_delay_alu instid0(VALU_DEP_2) | instskip(NEXT) | instid1(VALU_DEP_1)
	v_xor_b32_e32 v2, v2, v14
	v_cndmask_b32_e32 v2, -1, v2, vcc_lo
	s_delay_alu instid0(VALU_DEP_1) | instskip(NEXT) | instid1(VALU_DEP_1)
	v_and_b32_e32 v2, s80, v2
	v_cmp_eq_u32_e32 vcc_lo, s79, v2
	s_and_b32 exec_lo, exec_lo, vcc_lo
	s_cbranch_execz .LBB122_147
; %bb.152:                              ;   in Loop: Header=BB122_148 Depth=2
	ds_store_b64 v7, v[13:14] offset:3072
	s_branch .LBB122_147
.LBB122_153:                            ;   in Loop: Header=BB122_21 Depth=1
	s_set_inst_prefetch_distance 0x2
	s_or_b32 exec_lo, exec_lo, s13
	s_delay_alu instid0(SALU_CYCLE_1)
	s_and_b32 s22, s15, exec_lo
.LBB122_154:                            ;   in Loop: Header=BB122_21 Depth=1
	s_or_b32 exec_lo, exec_lo, s12
	s_mov_b32 s15, -1
	s_mov_b32 s13, 0
	s_mov_b32 s12, 0
.LBB122_155:                            ;   in Loop: Header=BB122_21 Depth=1
	s_mov_b32 s23, 0
                                        ; implicit-def: $sgpr7
	s_and_saveexec_b32 s18, s22
	s_cbranch_execz .LBB122_251
; %bb.156:                              ;   in Loop: Header=BB122_21 Depth=1
	s_xor_b32 s7, s21, -1
	s_mov_b32 s21, 0
	s_and_not1_b32 vcc_lo, exec_lo, s7
	s_mov_b32 s24, 1
	s_cbranch_vccnz .LBB122_167
; %bb.157:                              ;   in Loop: Header=BB122_21 Depth=1
	s_cmp_gt_u32 s20, s19
	s_mov_b32 s21, -1
                                        ; implicit-def: $sgpr7
                                        ; implicit-def: $sgpr22
                                        ; implicit-def: $sgpr23
	s_cbranch_scc1 .LBB122_163
; %bb.158:                              ;   in Loop: Header=BB122_21 Depth=1
	ds_load_b32 v1, v7 offset:4104
	s_waitcnt lgkmcnt(0)
	v_cmp_ne_u32_e32 vcc_lo, 0, v1
	s_cbranch_vccnz .LBB122_162
; %bb.159:                              ;   in Loop: Header=BB122_21 Depth=1
	s_and_saveexec_b32 s7, s1
	s_cbranch_execz .LBB122_161
; %bb.160:                              ;   in Loop: Header=BB122_21 Depth=1
	v_mov_b32_e32 v1, s19
	ds_store_b32 v7, v1 offset:4108
.LBB122_161:                            ;   in Loop: Header=BB122_21 Depth=1
	s_or_b32 exec_lo, exec_lo, s7
	s_waitcnt lgkmcnt(0)
	s_barrier
	buffer_gl0_inv
.LBB122_162:                            ;   in Loop: Header=BB122_21 Depth=1
	s_lshl_b32 s7, 1, s16
	s_and_b32 s21, s79, s17
	s_or_b32 s23, s80, s9
	s_or_b32 s22, s21, s7
	s_mov_b32 s21, 0
	s_mov_b32 s7, 8
.LBB122_163:                            ;   in Loop: Header=BB122_21 Depth=1
	s_and_not1_b32 vcc_lo, exec_lo, s21
	s_cbranch_vccnz .LBB122_165
; %bb.164:                              ;   in Loop: Header=BB122_21 Depth=1
	s_sub_i32 s20, s20, s19
	s_mov_b32 s21, -1
	s_mov_b32 s7, 0
	s_mov_b32 s22, s79
	;; [unrolled: 1-line block ×3, first 2 shown]
.LBB122_165:                            ;   in Loop: Header=BB122_21 Depth=1
	s_delay_alu instid0(SALU_CYCLE_1)
	s_mov_b32 s80, s23
	s_mov_b32 s79, s22
	;; [unrolled: 1-line block ×3, first 2 shown]
	s_and_not1_b32 vcc_lo, exec_lo, s21
	s_mov_b32 s26, -1
	s_cbranch_vccz .LBB122_168
.LBB122_166:                            ;   in Loop: Header=BB122_21 Depth=1
                                        ; implicit-def: $sgpr20
                                        ; implicit-def: $sgpr21
                                        ; implicit-def: $sgpr19
	s_branch .LBB122_250
.LBB122_167:                            ;   in Loop: Header=BB122_21 Depth=1
	s_mov_b32 s7, 1
	s_and_not1_b32 vcc_lo, exec_lo, s21
	s_mov_b32 s26, -1
	s_cbranch_vccnz .LBB122_166
.LBB122_168:                            ;   in Loop: Header=BB122_21 Depth=1
	s_cmp_eq_u32 s14, 1
	s_mov_b32 s25, -1
	s_cselect_b32 s7, -1, 0
	s_cmp_eq_u32 s24, 1
	s_cselect_b32 s19, -1, 0
	s_delay_alu instid0(SALU_CYCLE_1) | instskip(NEXT) | instid1(SALU_CYCLE_1)
	s_and_b32 s23, s7, s19
	s_and_b32 vcc_lo, exec_lo, s23
	s_cbranch_vccz .LBB122_180
; %bb.169:                              ;   in Loop: Header=BB122_21 Depth=1
	ds_load_b32 v1, v7 offset:4104
	s_waitcnt lgkmcnt(0)
	s_barrier
	buffer_gl0_inv
	v_readfirstlane_b32 s19, v1
	s_and_saveexec_b32 s7, s2
	s_cbranch_execz .LBB122_171
; %bb.170:                              ;   in Loop: Header=BB122_21 Depth=1
	ds_store_b32 v18, v7
.LBB122_171:                            ;   in Loop: Header=BB122_21 Depth=1
	s_or_b32 exec_lo, exec_lo, s7
	s_lshl_b32 s7, 2, s16
	s_and_b32 s20, s79, s17
	s_or_b32 s80, s80, s9
	s_or_b32 s79, s20, s7
	s_cmp_eq_u32 s19, 0
	s_waitcnt lgkmcnt(0)
	s_barrier
	buffer_gl0_inv
	s_cbranch_scc1 .LBB122_181
; %bb.172:                              ;   in Loop: Header=BB122_21 Depth=1
	s_add_i32 s7, s19, s58
	s_mov_b32 s25, 0
	s_mul_hi_u32 s20, s7, s67
                                        ; implicit-def: $vgpr15
	s_delay_alu instid0(SALU_CYCLE_1) | instskip(NEXT) | instid1(SALU_CYCLE_1)
	s_mul_i32 s20, s20, s31
	s_sub_i32 s20, s7, s20
	s_delay_alu instid0(SALU_CYCLE_1) | instskip(SKIP_2) | instid1(SALU_CYCLE_1)
	s_sub_i32 s21, s20, s31
	s_cmp_ge_u32 s20, s31
	s_cselect_b32 s20, s21, s20
	s_sub_i32 s21, s20, s31
	s_cmp_ge_u32 s20, s31
	s_cselect_b32 s20, s21, s20
	s_delay_alu instid0(SALU_CYCLE_1)
	s_sub_i32 s21, s7, s20
	s_mov_b32 s20, exec_lo
	v_cmpx_gt_u32_e64 s21, v0
	s_cbranch_execz .LBB122_183
; %bb.173:                              ;   in Loop: Header=BB122_21 Depth=1
	v_dual_mov_b32 v1, v17 :: v_dual_mov_b32 v2, v0
	s_mov_b32 s22, 0
                                        ; implicit-def: $sgpr25
	s_set_inst_prefetch_distance 0x1
	s_branch .LBB122_175
	.p2align	6
.LBB122_174:                            ;   in Loop: Header=BB122_175 Depth=2
	s_or_b32 exec_lo, exec_lo, s7
	s_waitcnt lgkmcnt(0)
	s_barrier
	buffer_gl0_inv
	ds_load_b64 v[14:15], v7 offset:3072
	v_add_nc_u32_e32 v2, s31, v2
	v_add_nc_u32_e32 v1, s56, v1
	s_waitcnt lgkmcnt(0)
	s_barrier
	buffer_gl0_inv
	v_cmp_le_u32_e32 vcc_lo, s21, v2
	v_cmp_neq_f32_e64 s7, 0, v14
	s_delay_alu instid0(VALU_DEP_1) | instskip(NEXT) | instid1(SALU_CYCLE_1)
	s_or_b32 s26, vcc_lo, s7
	s_and_b32 s26, exec_lo, s26
	s_delay_alu instid0(SALU_CYCLE_1) | instskip(SKIP_2) | instid1(SALU_CYCLE_1)
	s_or_b32 s22, s26, s22
	s_and_not1_b32 s25, s25, exec_lo
	s_and_b32 s7, s7, exec_lo
	s_or_b32 s25, s25, s7
	s_and_not1_b32 exec_lo, exec_lo, s22
	s_cbranch_execz .LBB122_182
.LBB122_175:                            ;   Parent Loop BB122_21 Depth=1
                                        ; =>  This Inner Loop Header: Depth=2
	s_delay_alu instid0(VALU_DEP_1)
	v_cmp_gt_u32_e32 vcc_lo, s19, v2
	v_mov_b32_e32 v14, 0
	s_and_saveexec_b32 s7, vcc_lo
	s_cbranch_execz .LBB122_177
; %bb.176:                              ;   in Loop: Header=BB122_175 Depth=2
	ds_load_b32 v14, v1
.LBB122_177:                            ;   in Loop: Header=BB122_175 Depth=2
	s_or_b32 exec_lo, exec_lo, s7
	s_and_saveexec_b32 s7, vcc_lo
	s_cbranch_execz .LBB122_174
; %bb.178:                              ;   in Loop: Header=BB122_175 Depth=2
	s_waitcnt lgkmcnt(0)
	v_cmp_lt_i32_e32 vcc_lo, -1, v14
	v_cndmask_b32_e64 v3, -1, 0x80000000, vcc_lo
	v_cmp_o_f32_e32 vcc_lo, v14, v14
	s_delay_alu instid0(VALU_DEP_2) | instskip(NEXT) | instid1(VALU_DEP_1)
	v_xor_b32_e32 v3, v3, v14
	v_cndmask_b32_e32 v3, -1, v3, vcc_lo
	s_delay_alu instid0(VALU_DEP_1) | instskip(NEXT) | instid1(VALU_DEP_1)
	v_and_b32_e32 v3, s80, v3
	v_cmp_eq_u32_e32 vcc_lo, s79, v3
	s_and_b32 exec_lo, exec_lo, vcc_lo
	s_cbranch_execz .LBB122_174
; %bb.179:                              ;   in Loop: Header=BB122_175 Depth=2
	ds_store_b64 v7, v[13:14] offset:3072
	s_branch .LBB122_174
.LBB122_180:                            ;   in Loop: Header=BB122_21 Depth=1
                                        ; implicit-def: $sgpr19
                                        ; implicit-def: $sgpr21
                                        ; implicit-def: $sgpr20
	s_branch .LBB122_194
.LBB122_181:                            ;   in Loop: Header=BB122_21 Depth=1
	s_mov_b32 s19, -1
	s_mov_b32 s25, 0
                                        ; implicit-def: $sgpr20
                                        ; implicit-def: $vgpr15
	s_mov_b32 s21, s19
	s_cbranch_execnz .LBB122_184
	s_branch .LBB122_194
.LBB122_182:                            ;   in Loop: Header=BB122_21 Depth=1
	s_set_inst_prefetch_distance 0x2
	s_or_b32 exec_lo, exec_lo, s22
	s_delay_alu instid0(SALU_CYCLE_1)
	s_and_b32 s25, s25, exec_lo
.LBB122_183:                            ;   in Loop: Header=BB122_21 Depth=1
	s_or_b32 exec_lo, exec_lo, s20
	s_mov_b32 s20, -1
	s_mov_b32 s19, 0
	s_delay_alu instid0(SALU_CYCLE_1)
	s_mov_b32 s21, s19
	s_branch .LBB122_194
.LBB122_184:                            ;   in Loop: Header=BB122_21 Depth=1
	s_mov_b32 s25, 0
                                        ; implicit-def: $vgpr15
	s_and_saveexec_b32 s19, s6
	s_cbranch_execz .LBB122_193
; %bb.185:                              ;   in Loop: Header=BB122_21 Depth=1
	v_dual_mov_b32 v6, v5 :: v_dual_mov_b32 v1, v0
	s_mov_b32 s20, 0
                                        ; implicit-def: $sgpr21
	s_set_inst_prefetch_distance 0x1
	s_branch .LBB122_187
	.p2align	6
.LBB122_186:                            ;   in Loop: Header=BB122_187 Depth=2
	s_or_b32 exec_lo, exec_lo, s7
	s_waitcnt vmcnt(0) lgkmcnt(0)
	s_barrier
	buffer_gl0_inv
	ds_load_b64 v[14:15], v7 offset:3072
	v_add_nc_u32_e32 v1, s31, v1
	v_add_nc_u32_e32 v6, s55, v6
	s_waitcnt lgkmcnt(0)
	s_barrier
	buffer_gl0_inv
	v_cmp_le_u32_e32 vcc_lo, s69, v1
	v_cmp_neq_f32_e64 s7, 0, v14
	s_delay_alu instid0(VALU_DEP_1) | instskip(NEXT) | instid1(SALU_CYCLE_1)
	s_or_b32 s22, vcc_lo, s7
	s_and_b32 s22, exec_lo, s22
	s_delay_alu instid0(SALU_CYCLE_1) | instskip(SKIP_2) | instid1(SALU_CYCLE_1)
	s_or_b32 s20, s22, s20
	s_and_not1_b32 s21, s21, exec_lo
	s_and_b32 s7, s7, exec_lo
	s_or_b32 s21, s21, s7
	s_and_not1_b32 exec_lo, exec_lo, s20
	s_cbranch_execz .LBB122_192
.LBB122_187:                            ;   Parent Loop BB122_21 Depth=1
                                        ; =>  This Inner Loop Header: Depth=2
	s_delay_alu instid0(VALU_DEP_1)
	v_cmp_gt_u32_e32 vcc_lo, s28, v1
	v_mov_b32_e32 v14, 0
	s_and_saveexec_b32 s22, vcc_lo
	s_cbranch_execz .LBB122_189
; %bb.188:                              ;   in Loop: Header=BB122_187 Depth=2
	v_lshlrev_b64 v[2:3], 2, v[6:7]
	s_delay_alu instid0(VALU_DEP_1) | instskip(NEXT) | instid1(VALU_DEP_1)
	v_add_co_u32 v2, s7, s39, v2
	v_add_co_ci_u32_e64 v3, s7, s43, v3, s7
	global_load_b32 v14, v[2:3], off
.LBB122_189:                            ;   in Loop: Header=BB122_187 Depth=2
	s_or_b32 exec_lo, exec_lo, s22
	s_and_saveexec_b32 s7, vcc_lo
	s_cbranch_execz .LBB122_186
; %bb.190:                              ;   in Loop: Header=BB122_187 Depth=2
	s_waitcnt vmcnt(0)
	v_cmp_lt_i32_e32 vcc_lo, -1, v14
	v_cndmask_b32_e64 v2, -1, 0x80000000, vcc_lo
	v_cmp_o_f32_e32 vcc_lo, v14, v14
	s_delay_alu instid0(VALU_DEP_2) | instskip(NEXT) | instid1(VALU_DEP_1)
	v_xor_b32_e32 v2, v2, v14
	v_cndmask_b32_e32 v2, -1, v2, vcc_lo
	s_delay_alu instid0(VALU_DEP_1) | instskip(NEXT) | instid1(VALU_DEP_1)
	v_and_b32_e32 v2, s80, v2
	v_cmp_eq_u32_e32 vcc_lo, s79, v2
	s_and_b32 exec_lo, exec_lo, vcc_lo
	s_cbranch_execz .LBB122_186
; %bb.191:                              ;   in Loop: Header=BB122_187 Depth=2
	ds_store_b64 v7, v[13:14] offset:3072
	s_branch .LBB122_186
.LBB122_192:                            ;   in Loop: Header=BB122_21 Depth=1
	s_set_inst_prefetch_distance 0x2
	s_or_b32 exec_lo, exec_lo, s20
	s_delay_alu instid0(SALU_CYCLE_1)
	s_and_b32 s25, s21, exec_lo
.LBB122_193:                            ;   in Loop: Header=BB122_21 Depth=1
	s_or_b32 exec_lo, exec_lo, s19
	s_mov_b32 s21, -1
	s_mov_b32 s19, 0
	s_mov_b32 s20, 0
.LBB122_194:                            ;   in Loop: Header=BB122_21 Depth=1
	s_mov_b32 s26, 0
                                        ; implicit-def: $sgpr7
	s_and_saveexec_b32 s22, s25
	s_cbranch_execz .LBB122_249
; %bb.195:                              ;   in Loop: Header=BB122_21 Depth=1
	s_xor_b32 s7, s23, -1
	s_mov_b32 s25, 0
	s_and_not1_b32 vcc_lo, exec_lo, s7
	s_mov_b32 s23, 1
	s_cbranch_vccnz .LBB122_206
; %bb.196:                              ;   in Loop: Header=BB122_21 Depth=1
	s_cmp_gt_u32 s24, s14
	s_mov_b32 s25, -1
                                        ; implicit-def: $sgpr7
                                        ; implicit-def: $sgpr23
                                        ; implicit-def: $sgpr26
	s_cbranch_scc1 .LBB122_202
; %bb.197:                              ;   in Loop: Header=BB122_21 Depth=1
	ds_load_b32 v1, v7 offset:4104
	s_waitcnt lgkmcnt(0)
	v_cmp_ne_u32_e32 vcc_lo, 0, v1
	s_cbranch_vccnz .LBB122_201
; %bb.198:                              ;   in Loop: Header=BB122_21 Depth=1
	s_and_saveexec_b32 s7, s1
	s_cbranch_execz .LBB122_200
; %bb.199:                              ;   in Loop: Header=BB122_21 Depth=1
	v_mov_b32_e32 v1, s14
	ds_store_b32 v7, v1 offset:4108
.LBB122_200:                            ;   in Loop: Header=BB122_21 Depth=1
	s_or_b32 exec_lo, exec_lo, s7
	s_waitcnt lgkmcnt(0)
	s_barrier
	buffer_gl0_inv
.LBB122_201:                            ;   in Loop: Header=BB122_21 Depth=1
	s_lshl_b32 s7, 2, s16
	s_and_b32 s16, s79, s17
	s_or_b32 s26, s80, s9
	s_or_b32 s23, s16, s7
	s_mov_b32 s25, 0
	s_mov_b32 s7, 8
.LBB122_202:                            ;   in Loop: Header=BB122_21 Depth=1
	s_and_not1_b32 vcc_lo, exec_lo, s25
	s_cbranch_vccnz .LBB122_204
; %bb.203:                              ;   in Loop: Header=BB122_21 Depth=1
	s_sub_i32 s24, s24, s14
	s_mov_b32 s25, -1
	s_mov_b32 s7, 0
	s_mov_b32 s23, s79
	;; [unrolled: 1-line block ×3, first 2 shown]
.LBB122_204:                            ;   in Loop: Header=BB122_21 Depth=1
	s_delay_alu instid0(SALU_CYCLE_1)
	s_mov_b32 s80, s26
	s_mov_b32 s79, s23
	;; [unrolled: 1-line block ×3, first 2 shown]
	s_and_not1_b32 vcc_lo, exec_lo, s25
	s_mov_b32 s81, -1
	s_cbranch_vccz .LBB122_207
.LBB122_205:                            ;   in Loop: Header=BB122_21 Depth=1
                                        ; implicit-def: $sgpr16
                                        ; implicit-def: $sgpr24
                                        ; implicit-def: $sgpr17
	s_branch .LBB122_248
.LBB122_206:                            ;   in Loop: Header=BB122_21 Depth=1
	s_mov_b32 s7, 1
	s_and_not1_b32 vcc_lo, exec_lo, s25
	s_mov_b32 s81, -1
	s_cbranch_vccnz .LBB122_205
.LBB122_207:                            ;   in Loop: Header=BB122_21 Depth=1
	s_cmp_eq_u32 s8, 1
	s_mov_b32 s25, -1
	s_cselect_b32 s7, -1, 0
	s_cmp_eq_u32 s23, 1
	s_cselect_b32 s14, -1, 0
	s_delay_alu instid0(SALU_CYCLE_1) | instskip(NEXT) | instid1(SALU_CYCLE_1)
	s_and_b32 s14, s7, s14
	s_and_b32 vcc_lo, exec_lo, s14
	s_cbranch_vccz .LBB122_219
; %bb.208:                              ;   in Loop: Header=BB122_21 Depth=1
	ds_load_b32 v1, v7 offset:4104
	s_waitcnt lgkmcnt(0)
	s_barrier
	buffer_gl0_inv
	v_readfirstlane_b32 s16, v1
	s_and_saveexec_b32 s7, s2
	s_cbranch_execz .LBB122_210
; %bb.209:                              ;   in Loop: Header=BB122_21 Depth=1
	ds_store_b32 v18, v7
.LBB122_210:                            ;   in Loop: Header=BB122_21 Depth=1
	s_or_b32 exec_lo, exec_lo, s7
	s_or_b32 s79, s79, s9
	s_or_b32 s80, s80, s9
	s_cmp_eq_u32 s16, 0
	s_waitcnt lgkmcnt(0)
	s_barrier
	buffer_gl0_inv
	s_cbranch_scc1 .LBB122_220
; %bb.211:                              ;   in Loop: Header=BB122_21 Depth=1
	s_add_i32 s7, s16, s58
	s_mov_b32 s25, 0
	s_mul_hi_u32 s17, s7, s67
                                        ; implicit-def: $vgpr15
	s_delay_alu instid0(SALU_CYCLE_1) | instskip(NEXT) | instid1(SALU_CYCLE_1)
	s_mul_i32 s17, s17, s31
	s_sub_i32 s17, s7, s17
	s_delay_alu instid0(SALU_CYCLE_1) | instskip(SKIP_2) | instid1(SALU_CYCLE_1)
	s_sub_i32 s24, s17, s31
	s_cmp_ge_u32 s17, s31
	s_cselect_b32 s17, s24, s17
	s_sub_i32 s24, s17, s31
	s_cmp_ge_u32 s17, s31
	s_cselect_b32 s17, s24, s17
	s_delay_alu instid0(SALU_CYCLE_1)
	s_sub_i32 s24, s7, s17
	s_mov_b32 s17, exec_lo
	v_cmpx_gt_u32_e64 s24, v0
	s_cbranch_execz .LBB122_222
; %bb.212:                              ;   in Loop: Header=BB122_21 Depth=1
	v_dual_mov_b32 v1, v17 :: v_dual_mov_b32 v2, v0
                                        ; implicit-def: $sgpr26
	s_set_inst_prefetch_distance 0x1
	s_branch .LBB122_214
	.p2align	6
.LBB122_213:                            ;   in Loop: Header=BB122_214 Depth=2
	s_or_b32 exec_lo, exec_lo, s7
	s_waitcnt lgkmcnt(0)
	s_barrier
	buffer_gl0_inv
	ds_load_b64 v[14:15], v7 offset:3072
	v_add_nc_u32_e32 v2, s31, v2
	v_add_nc_u32_e32 v1, s56, v1
	s_waitcnt lgkmcnt(0)
	s_barrier
	buffer_gl0_inv
	v_cmp_le_u32_e32 vcc_lo, s24, v2
	v_cmp_neq_f32_e64 s7, 0, v14
	s_delay_alu instid0(VALU_DEP_1) | instskip(NEXT) | instid1(SALU_CYCLE_1)
	s_or_b32 s81, vcc_lo, s7
	s_and_b32 s81, exec_lo, s81
	s_delay_alu instid0(SALU_CYCLE_1) | instskip(SKIP_2) | instid1(SALU_CYCLE_1)
	s_or_b32 s25, s81, s25
	s_and_not1_b32 s26, s26, exec_lo
	s_and_b32 s7, s7, exec_lo
	s_or_b32 s26, s26, s7
	s_and_not1_b32 exec_lo, exec_lo, s25
	s_cbranch_execz .LBB122_221
.LBB122_214:                            ;   Parent Loop BB122_21 Depth=1
                                        ; =>  This Inner Loop Header: Depth=2
	s_delay_alu instid0(VALU_DEP_1)
	v_cmp_gt_u32_e32 vcc_lo, s16, v2
	v_mov_b32_e32 v14, 0
	s_and_saveexec_b32 s7, vcc_lo
	s_cbranch_execz .LBB122_216
; %bb.215:                              ;   in Loop: Header=BB122_214 Depth=2
	ds_load_b32 v14, v1
.LBB122_216:                            ;   in Loop: Header=BB122_214 Depth=2
	s_or_b32 exec_lo, exec_lo, s7
	s_and_saveexec_b32 s7, vcc_lo
	s_cbranch_execz .LBB122_213
; %bb.217:                              ;   in Loop: Header=BB122_214 Depth=2
	s_waitcnt lgkmcnt(0)
	v_cmp_lt_i32_e32 vcc_lo, -1, v14
	v_cndmask_b32_e64 v3, -1, 0x80000000, vcc_lo
	v_cmp_o_f32_e32 vcc_lo, v14, v14
	s_delay_alu instid0(VALU_DEP_2) | instskip(NEXT) | instid1(VALU_DEP_1)
	v_xor_b32_e32 v3, v3, v14
	v_cndmask_b32_e32 v3, -1, v3, vcc_lo
	s_delay_alu instid0(VALU_DEP_1) | instskip(NEXT) | instid1(VALU_DEP_1)
	v_and_b32_e32 v3, s80, v3
	v_cmp_eq_u32_e32 vcc_lo, s79, v3
	s_and_b32 exec_lo, exec_lo, vcc_lo
	s_cbranch_execz .LBB122_213
; %bb.218:                              ;   in Loop: Header=BB122_214 Depth=2
	ds_store_b64 v7, v[13:14] offset:3072
	s_branch .LBB122_213
.LBB122_219:                            ;   in Loop: Header=BB122_21 Depth=1
                                        ; implicit-def: $sgpr16
                                        ; implicit-def: $sgpr24
                                        ; implicit-def: $sgpr17
	s_branch .LBB122_233
.LBB122_220:                            ;   in Loop: Header=BB122_21 Depth=1
	s_mov_b32 s16, -1
	s_mov_b32 s25, 0
                                        ; implicit-def: $sgpr17
                                        ; implicit-def: $vgpr15
	s_mov_b32 s24, s16
	s_cbranch_execnz .LBB122_223
	s_branch .LBB122_233
.LBB122_221:                            ;   in Loop: Header=BB122_21 Depth=1
	s_set_inst_prefetch_distance 0x2
	s_or_b32 exec_lo, exec_lo, s25
	s_delay_alu instid0(SALU_CYCLE_1)
	s_and_b32 s25, s26, exec_lo
.LBB122_222:                            ;   in Loop: Header=BB122_21 Depth=1
	s_or_b32 exec_lo, exec_lo, s17
	s_mov_b32 s17, -1
	s_mov_b32 s16, 0
	s_delay_alu instid0(SALU_CYCLE_1)
	s_mov_b32 s24, s16
	s_branch .LBB122_233
.LBB122_223:                            ;   in Loop: Header=BB122_21 Depth=1
	s_mov_b32 s25, 0
                                        ; implicit-def: $vgpr15
	s_and_saveexec_b32 s16, s6
	s_cbranch_execz .LBB122_232
; %bb.224:                              ;   in Loop: Header=BB122_21 Depth=1
	v_dual_mov_b32 v6, v5 :: v_dual_mov_b32 v1, v0
	s_mov_b32 s17, 0
                                        ; implicit-def: $sgpr24
	s_set_inst_prefetch_distance 0x1
	s_branch .LBB122_226
	.p2align	6
.LBB122_225:                            ;   in Loop: Header=BB122_226 Depth=2
	s_or_b32 exec_lo, exec_lo, s7
	s_waitcnt vmcnt(0) lgkmcnt(0)
	s_barrier
	buffer_gl0_inv
	ds_load_b64 v[14:15], v7 offset:3072
	v_add_nc_u32_e32 v1, s31, v1
	v_add_nc_u32_e32 v6, s55, v6
	s_waitcnt lgkmcnt(0)
	s_barrier
	buffer_gl0_inv
	v_cmp_le_u32_e32 vcc_lo, s69, v1
	v_cmp_neq_f32_e64 s7, 0, v14
	s_delay_alu instid0(VALU_DEP_1) | instskip(NEXT) | instid1(SALU_CYCLE_1)
	s_or_b32 s25, vcc_lo, s7
	s_and_b32 s25, exec_lo, s25
	s_delay_alu instid0(SALU_CYCLE_1) | instskip(SKIP_2) | instid1(SALU_CYCLE_1)
	s_or_b32 s17, s25, s17
	s_and_not1_b32 s24, s24, exec_lo
	s_and_b32 s7, s7, exec_lo
	s_or_b32 s24, s24, s7
	s_and_not1_b32 exec_lo, exec_lo, s17
	s_cbranch_execz .LBB122_231
.LBB122_226:                            ;   Parent Loop BB122_21 Depth=1
                                        ; =>  This Inner Loop Header: Depth=2
	s_delay_alu instid0(VALU_DEP_1)
	v_cmp_gt_u32_e32 vcc_lo, s28, v1
	v_mov_b32_e32 v14, 0
	s_and_saveexec_b32 s25, vcc_lo
	s_cbranch_execz .LBB122_228
; %bb.227:                              ;   in Loop: Header=BB122_226 Depth=2
	v_lshlrev_b64 v[2:3], 2, v[6:7]
	s_delay_alu instid0(VALU_DEP_1) | instskip(NEXT) | instid1(VALU_DEP_1)
	v_add_co_u32 v2, s7, s39, v2
	v_add_co_ci_u32_e64 v3, s7, s43, v3, s7
	global_load_b32 v14, v[2:3], off
.LBB122_228:                            ;   in Loop: Header=BB122_226 Depth=2
	s_or_b32 exec_lo, exec_lo, s25
	s_and_saveexec_b32 s7, vcc_lo
	s_cbranch_execz .LBB122_225
; %bb.229:                              ;   in Loop: Header=BB122_226 Depth=2
	s_waitcnt vmcnt(0)
	v_cmp_lt_i32_e32 vcc_lo, -1, v14
	v_cndmask_b32_e64 v2, -1, 0x80000000, vcc_lo
	v_cmp_o_f32_e32 vcc_lo, v14, v14
	s_delay_alu instid0(VALU_DEP_2) | instskip(NEXT) | instid1(VALU_DEP_1)
	v_xor_b32_e32 v2, v2, v14
	v_cndmask_b32_e32 v2, -1, v2, vcc_lo
	s_delay_alu instid0(VALU_DEP_1) | instskip(NEXT) | instid1(VALU_DEP_1)
	v_and_b32_e32 v2, s80, v2
	v_cmp_eq_u32_e32 vcc_lo, s79, v2
	s_and_b32 exec_lo, exec_lo, vcc_lo
	s_cbranch_execz .LBB122_225
; %bb.230:                              ;   in Loop: Header=BB122_226 Depth=2
	ds_store_b64 v7, v[13:14] offset:3072
	s_branch .LBB122_225
.LBB122_231:                            ;   in Loop: Header=BB122_21 Depth=1
	s_set_inst_prefetch_distance 0x2
	s_or_b32 exec_lo, exec_lo, s17
	s_delay_alu instid0(SALU_CYCLE_1)
	s_and_b32 s25, s24, exec_lo
.LBB122_232:                            ;   in Loop: Header=BB122_21 Depth=1
	s_or_b32 exec_lo, exec_lo, s16
	s_mov_b32 s24, -1
	s_mov_b32 s16, 0
	s_mov_b32 s17, 0
.LBB122_233:                            ;   in Loop: Header=BB122_21 Depth=1
	s_mov_b32 s81, 0
                                        ; implicit-def: $sgpr7
	s_and_saveexec_b32 s26, s25
	s_cbranch_execz .LBB122_247
; %bb.234:                              ;   in Loop: Header=BB122_21 Depth=1
	s_xor_b32 s7, s14, -1
	s_delay_alu instid0(SALU_CYCLE_1)
	s_and_not1_b32 vcc_lo, exec_lo, s7
	s_mov_b32 s7, 1
	s_cbranch_vccnz .LBB122_241
; %bb.235:                              ;   in Loop: Header=BB122_21 Depth=1
	s_cmp_gt_u32 s23, s8
	s_cbranch_scc1 .LBB122_242
; %bb.236:                              ;   in Loop: Header=BB122_21 Depth=1
	ds_load_b32 v1, v7 offset:4104
	s_waitcnt lgkmcnt(0)
	v_cmp_ne_u32_e32 vcc_lo, 0, v1
	s_cbranch_vccnz .LBB122_240
; %bb.237:                              ;   in Loop: Header=BB122_21 Depth=1
	s_and_saveexec_b32 s7, s1
	s_cbranch_execz .LBB122_239
; %bb.238:                              ;   in Loop: Header=BB122_21 Depth=1
	v_mov_b32_e32 v1, s8
	ds_store_b32 v7, v1 offset:4108
.LBB122_239:                            ;   in Loop: Header=BB122_21 Depth=1
	s_or_b32 exec_lo, exec_lo, s7
	s_waitcnt lgkmcnt(0)
	s_barrier
	buffer_gl0_inv
.LBB122_240:                            ;   in Loop: Header=BB122_21 Depth=1
	s_or_b32 s14, s79, s9
	s_or_b32 s9, s80, s9
	s_mov_b32 s25, 0
	s_mov_b32 s7, 8
	s_branch .LBB122_243
.LBB122_241:                            ;   in Loop: Header=BB122_21 Depth=1
	s_mov_b32 s23, 1
	s_branch .LBB122_246
.LBB122_242:                            ;   in Loop: Header=BB122_21 Depth=1
	s_mov_b32 s25, -1
                                        ; implicit-def: $sgpr7
                                        ; implicit-def: $sgpr14
                                        ; implicit-def: $sgpr9
.LBB122_243:                            ;   in Loop: Header=BB122_21 Depth=1
	s_delay_alu instid0(SALU_CYCLE_1)
	s_and_not1_b32 vcc_lo, exec_lo, s25
	s_cbranch_vccnz .LBB122_245
; %bb.244:                              ;   in Loop: Header=BB122_21 Depth=1
	s_sub_i32 s23, s23, s8
	s_mov_b32 s7, 8
	s_mov_b32 s14, s79
	;; [unrolled: 1-line block ×3, first 2 shown]
.LBB122_245:                            ;   in Loop: Header=BB122_21 Depth=1
	s_mov_b32 s79, s14
	s_mov_b32 s80, s9
.LBB122_246:                            ;   in Loop: Header=BB122_21 Depth=1
	s_mov_b32 s81, exec_lo
.LBB122_247:                            ;   in Loop: Header=BB122_21 Depth=1
	s_or_b32 exec_lo, exec_lo, s26
.LBB122_248:                            ;   in Loop: Header=BB122_21 Depth=1
	s_delay_alu instid0(SALU_CYCLE_1)
	s_and_not1_b32 s8, s19, exec_lo
	s_and_b32 s9, s16, exec_lo
	s_and_not1_b32 s14, s20, exec_lo
	s_or_b32 s19, s8, s9
	s_and_not1_b32 s8, s21, exec_lo
	s_and_b32 s9, s24, exec_lo
	s_and_b32 s16, s17, exec_lo
	s_or_b32 s21, s8, s9
	s_or_b32 s20, s14, s16
	s_and_b32 s26, s81, exec_lo
	s_mov_b32 s24, s23
.LBB122_249:                            ;   in Loop: Header=BB122_21 Depth=1
	s_or_b32 exec_lo, exec_lo, s22
.LBB122_250:                            ;   in Loop: Header=BB122_21 Depth=1
	s_delay_alu instid0(SALU_CYCLE_1)
	s_and_not1_b32 s8, s13, exec_lo
	s_and_b32 s9, s19, exec_lo
	s_and_not1_b32 s12, s12, exec_lo
	s_or_b32 s13, s8, s9
	s_and_not1_b32 s8, s15, exec_lo
	s_and_b32 s9, s21, exec_lo
	s_and_b32 s14, s20, exec_lo
	s_or_b32 s15, s8, s9
	s_or_b32 s12, s12, s14
	s_and_b32 s23, s26, exec_lo
	s_mov_b32 s20, s24
.LBB122_251:                            ;   in Loop: Header=BB122_21 Depth=1
	s_or_b32 exec_lo, exec_lo, s18
                                        ; implicit-def: $sgpr81
	s_and_saveexec_b32 s8, s23
	s_delay_alu instid0(SALU_CYCLE_1)
	s_xor_b32 s8, exec_lo, s8
	s_cbranch_execz .LBB122_19
.LBB122_252:                            ;   in Loop: Header=BB122_21 Depth=1
	s_and_b32 s7, s7, -9
	s_delay_alu instid0(SALU_CYCLE_1)
	s_cmp_eq_u32 s7, 0
	s_cbranch_scc1 .LBB122_17
; %bb.253:                              ;   in Loop: Header=BB122_21 Depth=1
	s_mov_b32 s7, -1
	s_mov_b32 s9, -1
                                        ; implicit-def: $sgpr80
                                        ; implicit-def: $sgpr20
                                        ; implicit-def: $sgpr74
                                        ; implicit-def: $sgpr77
	s_branch .LBB122_18
.LBB122_254:
	s_or_b32 exec_lo, exec_lo, s54
	s_xor_b32 s4, s73, -1
	s_xor_b32 s1, s71, -1
	;; [unrolled: 1-line block ×3, first 2 shown]
	s_mov_b32 s2, 0
	s_and_saveexec_b32 s5, s1
	s_delay_alu instid0(SALU_CYCLE_1)
	s_xor_b32 s1, exec_lo, s5
	s_cbranch_execz .LBB122_268
; %bb.255:
	s_and_saveexec_b32 s2, s4
	s_delay_alu instid0(SALU_CYCLE_1)
	s_xor_b32 s4, exec_lo, s2
	s_cbranch_execz .LBB122_266
; %bb.256:
	s_and_saveexec_b32 s2, s3
	s_delay_alu instid0(SALU_CYCLE_1)
	s_xor_b32 s2, exec_lo, s2
; %bb.257:
	v_cmp_lt_i32_e32 vcc_lo, -1, v1
	v_cndmask_b32_e64 v2, 0x80000000, -1, vcc_lo
	s_delay_alu instid0(VALU_DEP_1)
	v_xor_b32_e32 v15, v2, v1
; %bb.258:
	s_or_b32 exec_lo, exec_lo, s2
	s_mul_i32 s3, s53, s44
	s_mul_i32 s2, s52, s45
	s_sub_i32 s3, s52, s3
	s_sub_i32 s2, s27, s2
	s_add_i32 s5, s53, 1
	s_sub_i32 s6, s3, s44
	s_cmp_ge_u32 s3, s44
	s_mul_i32 s2, s2, s42
	s_cselect_b32 s5, s5, s53
	s_cselect_b32 s3, s6, s3
	s_add_i32 s6, s5, 1
	s_cmp_ge_u32 s3, s44
	v_mov_b32_e32 v6, 0
	s_cselect_b32 s3, s6, s5
	s_delay_alu instid0(SALU_CYCLE_1) | instskip(SKIP_4) | instid1(SALU_CYCLE_1)
	s_mul_i32 s5, s3, s44
	s_mul_i32 s6, s3, s40
	s_sub_i32 s5, s52, s5
	s_mov_b32 s3, 0
	s_mul_i32 s5, s5, s41
	s_add_i32 s2, s5, s2
	s_delay_alu instid0(SALU_CYCLE_1) | instskip(NEXT) | instid1(SALU_CYCLE_1)
	s_add_i32 s2, s2, s6
	s_lshl_b64 s[6:7], s[2:3], 2
	s_delay_alu instid0(SALU_CYCLE_1)
	s_add_u32 s6, s48, s6
	s_addc_u32 s7, s49, s7
	global_store_b32 v6, v15, s[6:7]
	s_and_saveexec_b32 s2, s0
	s_cbranch_execz .LBB122_265
; %bb.259:
	v_cmp_u_f32_e32 vcc_lo, v15, v15
                                        ; implicit-def: $sgpr5
                                        ; implicit-def: $sgpr8
                                        ; implicit-def: $sgpr7
	s_xor_b32 s6, vcc_lo, -1
	s_set_inst_prefetch_distance 0x1
	s_branch .LBB122_261
	.p2align	6
.LBB122_260:                            ;   in Loop: Header=BB122_261 Depth=1
	s_or_b32 exec_lo, exec_lo, s0
	s_delay_alu instid0(SALU_CYCLE_1) | instskip(NEXT) | instid1(SALU_CYCLE_1)
	s_and_b32 s0, exec_lo, s8
	s_or_b32 s3, s0, s3
	s_and_not1_b32 s0, s5, exec_lo
	s_and_b32 s5, s7, exec_lo
	s_delay_alu instid0(SALU_CYCLE_1)
	s_or_b32 s5, s0, s5
	s_and_not1_b32 exec_lo, exec_lo, s3
	s_cbranch_execz .LBB122_263
.LBB122_261:                            ; =>This Inner Loop Header: Depth=1
	v_lshlrev_b64 v[1:2], 2, v[5:6]
	s_or_b32 s7, s7, exec_lo
	s_or_b32 s8, s8, exec_lo
	s_delay_alu instid0(VALU_DEP_1) | instskip(NEXT) | instid1(VALU_DEP_2)
	v_add_co_u32 v1, vcc_lo, s39, v1
	v_add_co_ci_u32_e32 v2, vcc_lo, s43, v2, vcc_lo
	global_load_b32 v1, v[1:2], off
	s_waitcnt vmcnt(0)
	v_cmp_o_f32_e32 vcc_lo, v1, v1
	v_cmp_neq_f32_e64 s0, v1, v15
	v_mov_b32_e32 v1, v0
                                        ; implicit-def: $vgpr0
	s_or_b32 s9, vcc_lo, s6
	s_delay_alu instid0(VALU_DEP_2) | instid1(SALU_CYCLE_1)
	s_and_b32 s9, s0, s9
	s_delay_alu instid0(SALU_CYCLE_1)
	s_and_saveexec_b32 s0, s9
	s_cbranch_execz .LBB122_260
; %bb.262:                              ;   in Loop: Header=BB122_261 Depth=1
	v_add_nc_u32_e32 v0, s31, v1
	s_and_not1_b32 s8, s8, exec_lo
	v_add_nc_u32_e32 v5, s55, v5
	s_and_not1_b32 s7, s7, exec_lo
	s_delay_alu instid0(VALU_DEP_2) | instskip(SKIP_1) | instid1(SALU_CYCLE_1)
	v_cmp_le_u32_e32 vcc_lo, s28, v0
	s_and_b32 s9, vcc_lo, exec_lo
	s_or_b32 s8, s8, s9
	s_branch .LBB122_260
.LBB122_263:
	s_set_inst_prefetch_distance 0x2
	s_or_b32 exec_lo, exec_lo, s3
	s_and_saveexec_b32 s0, s5
	s_delay_alu instid0(SALU_CYCLE_1)
	s_xor_b32 s0, exec_lo, s0
	s_cbranch_execz .LBB122_265
; %bb.264:
	s_mul_i32 s3, s33, s34
	s_mul_i32 s0, s29, s35
	s_sub_i32 s3, s29, s3
	s_sub_i32 s0, s27, s0
	s_add_i32 s5, s33, 1
	s_sub_i32 s6, s3, s34
	s_cmp_ge_u32 s3, s34
	s_mul_i32 s0, s0, s38
	s_cselect_b32 s5, s5, s33
	s_cselect_b32 s3, s6, s3
	s_add_i32 s6, s5, 1
	s_cmp_ge_u32 s3, s34
	s_mov_b32 s7, 0
	s_cselect_b32 s3, s6, s5
	v_mov_b32_e32 v2, 0
	s_mul_i32 s5, s3, s34
	s_mul_i32 s3, s3, s36
	s_sub_i32 s5, s29, s5
	s_delay_alu instid0(SALU_CYCLE_1) | instskip(NEXT) | instid1(SALU_CYCLE_1)
	s_mul_i32 s5, s5, s37
	s_add_i32 s0, s5, s0
	s_delay_alu instid0(SALU_CYCLE_1) | instskip(NEXT) | instid1(SALU_CYCLE_1)
	s_add_i32 s6, s0, s3
	s_lshl_b64 s[6:7], s[6:7], 3
	s_delay_alu instid0(SALU_CYCLE_1)
	s_add_u32 s6, s46, s6
	s_addc_u32 s7, s47, s7
	global_store_b64 v2, v[1:2], s[6:7]
.LBB122_265:
	s_or_b32 exec_lo, exec_lo, s2
.LBB122_266:
	s_or_saveexec_b32 s0, s4
	s_mov_b32 s2, 0
	s_xor_b32 exec_lo, exec_lo, s0
	s_cbranch_execnz .LBB122_274
.LBB122_267:
	s_or_b32 exec_lo, exec_lo, s0
	s_delay_alu instid0(SALU_CYCLE_1)
	s_and_b32 s2, s2, exec_lo
.LBB122_268:
	s_and_not1_saveexec_b32 s0, s1
	s_cbranch_execnz .LBB122_272
; %bb.269:
	s_or_b32 exec_lo, exec_lo, s0
	s_and_saveexec_b32 s0, s2
.LBB122_270:
	; divergent unreachable
.LBB122_271:
	s_nop 0
	s_sendmsg sendmsg(MSG_DEALLOC_VGPRS)
	s_endpgm
.LBB122_272:
	s_cbranch_execnz .LBB122_276
; %bb.273:
	s_or_b32 s2, s2, exec_lo
	s_or_b32 exec_lo, exec_lo, s0
	s_and_saveexec_b32 s0, s2
	s_cbranch_execnz .LBB122_270
	s_branch .LBB122_271
.LBB122_274:
	s_cbranch_execnz .LBB122_278
; %bb.275:
	s_mov_b32 s2, exec_lo
	s_branch .LBB122_267
.LBB122_276:
	s_trap 2
	s_sendmsg_rtn_b32 s0, sendmsg(MSG_RTN_GET_DOORBELL)
	s_mov_b32 ttmp2, m0
	s_waitcnt lgkmcnt(0)
	s_and_b32 s0, s0, 0x3ff
	s_delay_alu instid0(SALU_CYCLE_1) | instskip(NEXT) | instid1(SALU_CYCLE_1)
	s_bitset1_b32 s0, 10
	s_mov_b32 m0, s0
	s_sendmsg sendmsg(MSG_INTERRUPT)
	s_mov_b32 m0, ttmp2
.LBB122_277:                            ; =>This Inner Loop Header: Depth=1
	s_sethalt 5
	s_branch .LBB122_277
.LBB122_278:
	s_trap 2
	s_sendmsg_rtn_b32 s0, sendmsg(MSG_RTN_GET_DOORBELL)
	s_mov_b32 ttmp2, m0
	s_waitcnt lgkmcnt(0)
	s_and_b32 s0, s0, 0x3ff
	s_delay_alu instid0(SALU_CYCLE_1) | instskip(NEXT) | instid1(SALU_CYCLE_1)
	s_bitset1_b32 s0, 10
	s_mov_b32 m0, s0
	s_sendmsg sendmsg(MSG_INTERRUPT)
	s_mov_b32 m0, ttmp2
.LBB122_279:                            ; =>This Inner Loop Header: Depth=1
	s_sethalt 5
	s_branch .LBB122_279
	.section	.rodata,"a",@progbits
	.p2align	6, 0x0
	.amdhsa_kernel _ZN2at6native12_GLOBAL__N_112gatherMedianIfjLi3EEEvNS_4cuda6detail10TensorInfoIT_T0_EENS5_IlS7_EENS5_IKS6_S7_EES7_S7_S7_b
		.amdhsa_group_segment_fixed_size 4120
		.amdhsa_private_segment_fixed_size 0
		.amdhsa_kernarg_size 920
		.amdhsa_user_sgpr_count 13
		.amdhsa_user_sgpr_dispatch_ptr 0
		.amdhsa_user_sgpr_queue_ptr 0
		.amdhsa_user_sgpr_kernarg_segment_ptr 1
		.amdhsa_user_sgpr_dispatch_id 0
		.amdhsa_user_sgpr_private_segment_size 0
		.amdhsa_wavefront_size32 1
		.amdhsa_uses_dynamic_stack 0
		.amdhsa_enable_private_segment 0
		.amdhsa_system_sgpr_workgroup_id_x 1
		.amdhsa_system_sgpr_workgroup_id_y 1
		.amdhsa_system_sgpr_workgroup_id_z 1
		.amdhsa_system_sgpr_workgroup_info 0
		.amdhsa_system_vgpr_workitem_id 0
		.amdhsa_next_free_vgpr 40
		.amdhsa_next_free_sgpr 91
		.amdhsa_reserve_vcc 1
		.amdhsa_float_round_mode_32 0
		.amdhsa_float_round_mode_16_64 0
		.amdhsa_float_denorm_mode_32 3
		.amdhsa_float_denorm_mode_16_64 3
		.amdhsa_dx10_clamp 1
		.amdhsa_ieee_mode 1
		.amdhsa_fp16_overflow 0
		.amdhsa_workgroup_processor_mode 1
		.amdhsa_memory_ordered 1
		.amdhsa_forward_progress 0
		.amdhsa_shared_vgpr_count 0
		.amdhsa_exception_fp_ieee_invalid_op 0
		.amdhsa_exception_fp_denorm_src 0
		.amdhsa_exception_fp_ieee_div_zero 0
		.amdhsa_exception_fp_ieee_overflow 0
		.amdhsa_exception_fp_ieee_underflow 0
		.amdhsa_exception_fp_ieee_inexact 0
		.amdhsa_exception_int_div_zero 0
	.end_amdhsa_kernel
	.section	.text._ZN2at6native12_GLOBAL__N_112gatherMedianIfjLi3EEEvNS_4cuda6detail10TensorInfoIT_T0_EENS5_IlS7_EENS5_IKS6_S7_EES7_S7_S7_b,"axG",@progbits,_ZN2at6native12_GLOBAL__N_112gatherMedianIfjLi3EEEvNS_4cuda6detail10TensorInfoIT_T0_EENS5_IlS7_EENS5_IKS6_S7_EES7_S7_S7_b,comdat
.Lfunc_end122:
	.size	_ZN2at6native12_GLOBAL__N_112gatherMedianIfjLi3EEEvNS_4cuda6detail10TensorInfoIT_T0_EENS5_IlS7_EENS5_IKS6_S7_EES7_S7_S7_b, .Lfunc_end122-_ZN2at6native12_GLOBAL__N_112gatherMedianIfjLi3EEEvNS_4cuda6detail10TensorInfoIT_T0_EENS5_IlS7_EENS5_IKS6_S7_EES7_S7_S7_b
                                        ; -- End function
	.section	.AMDGPU.csdata,"",@progbits
; Kernel info:
; codeLenInByte = 10996
; NumSgprs: 93
; NumVgprs: 40
; ScratchSize: 0
; MemoryBound: 0
; FloatMode: 240
; IeeeMode: 1
; LDSByteSize: 4120 bytes/workgroup (compile time only)
; SGPRBlocks: 11
; VGPRBlocks: 4
; NumSGPRsForWavesPerEU: 93
; NumVGPRsForWavesPerEU: 40
; Occupancy: 16
; WaveLimiterHint : 1
; COMPUTE_PGM_RSRC2:SCRATCH_EN: 0
; COMPUTE_PGM_RSRC2:USER_SGPR: 13
; COMPUTE_PGM_RSRC2:TRAP_HANDLER: 0
; COMPUTE_PGM_RSRC2:TGID_X_EN: 1
; COMPUTE_PGM_RSRC2:TGID_Y_EN: 1
; COMPUTE_PGM_RSRC2:TGID_Z_EN: 1
; COMPUTE_PGM_RSRC2:TIDIG_COMP_CNT: 0
	.section	.text._ZN2at6native12_GLOBAL__N_112gatherMedianIfjLin1EEEvNS_4cuda6detail10TensorInfoIT_T0_EENS5_IlS7_EENS5_IKS6_S7_EES7_S7_S7_b,"axG",@progbits,_ZN2at6native12_GLOBAL__N_112gatherMedianIfjLin1EEEvNS_4cuda6detail10TensorInfoIT_T0_EENS5_IlS7_EENS5_IKS6_S7_EES7_S7_S7_b,comdat
	.globl	_ZN2at6native12_GLOBAL__N_112gatherMedianIfjLin1EEEvNS_4cuda6detail10TensorInfoIT_T0_EENS5_IlS7_EENS5_IKS6_S7_EES7_S7_S7_b ; -- Begin function _ZN2at6native12_GLOBAL__N_112gatherMedianIfjLin1EEEvNS_4cuda6detail10TensorInfoIT_T0_EENS5_IlS7_EENS5_IKS6_S7_EES7_S7_S7_b
	.p2align	8
	.type	_ZN2at6native12_GLOBAL__N_112gatherMedianIfjLin1EEEvNS_4cuda6detail10TensorInfoIT_T0_EENS5_IlS7_EENS5_IKS6_S7_EES7_S7_S7_b,@function
_ZN2at6native12_GLOBAL__N_112gatherMedianIfjLin1EEEvNS_4cuda6detail10TensorInfoIT_T0_EENS5_IlS7_EENS5_IKS6_S7_EES7_S7_S7_b: ; @_ZN2at6native12_GLOBAL__N_112gatherMedianIfjLin1EEEvNS_4cuda6detail10TensorInfoIT_T0_EENS5_IlS7_EENS5_IKS6_S7_EES7_S7_S7_b
; %bb.0:
	s_clause 0x1
	s_load_b64 s[8:9], s[0:1], 0x298
	s_load_b128 s[28:31], s[0:1], 0x288
	s_add_u32 s6, s0, 0x298
	s_addc_u32 s7, s1, 0
	s_waitcnt lgkmcnt(0)
	s_mul_i32 s2, s9, s15
	s_delay_alu instid0(SALU_CYCLE_1) | instskip(NEXT) | instid1(SALU_CYCLE_1)
	s_add_i32 s2, s2, s14
	s_mul_i32 s2, s2, s8
	s_delay_alu instid0(SALU_CYCLE_1) | instskip(NEXT) | instid1(SALU_CYCLE_1)
	s_add_i32 s9, s2, s13
	s_cmp_ge_u32 s9, s29
	s_cbranch_scc1 .LBB123_280
; %bb.1:
	s_load_b32 s2, s[0:1], 0xd0
	s_mov_b32 s27, 0
	s_mov_b32 s29, s9
	s_waitcnt lgkmcnt(0)
	s_cmp_lt_i32 s2, 2
	s_cbranch_scc1 .LBB123_4
; %bb.2:
	s_add_i32 s26, s2, -1
	s_add_i32 s4, s2, 1
	s_lshl_b64 s[10:11], s[26:27], 2
	s_mov_b32 s29, s9
	s_add_u32 s2, s10, s0
	s_addc_u32 s3, s11, s1
	s_add_u32 s2, s2, 8
	s_addc_u32 s3, s3, 0
	s_set_inst_prefetch_distance 0x1
	.p2align	6
.LBB123_3:                              ; =>This Inner Loop Header: Depth=1
	s_clause 0x1
	s_load_b32 s5, s[2:3], 0x0
	s_load_b32 s10, s[2:3], 0x64
	s_mov_b32 s14, s29
	s_waitcnt lgkmcnt(0)
	v_cvt_f32_u32_e32 v1, s5
	s_sub_i32 s12, 0, s5
	s_waitcnt_depctr 0xfff
	v_rcp_iflag_f32_e32 v1, v1
	s_waitcnt_depctr 0xfff
	v_mul_f32_e32 v1, 0x4f7ffffe, v1
	s_delay_alu instid0(VALU_DEP_1) | instskip(NEXT) | instid1(VALU_DEP_1)
	v_cvt_u32_f32_e32 v1, v1
	v_readfirstlane_b32 s11, v1
	s_delay_alu instid0(VALU_DEP_1) | instskip(NEXT) | instid1(SALU_CYCLE_1)
	s_mul_i32 s12, s12, s11
	s_mul_hi_u32 s12, s11, s12
	s_delay_alu instid0(SALU_CYCLE_1) | instskip(NEXT) | instid1(SALU_CYCLE_1)
	s_add_i32 s11, s11, s12
	s_mul_hi_u32 s11, s29, s11
	s_delay_alu instid0(SALU_CYCLE_1) | instskip(SKIP_2) | instid1(SALU_CYCLE_1)
	s_mul_i32 s12, s11, s5
	s_add_i32 s15, s11, 1
	s_sub_i32 s12, s29, s12
	s_sub_i32 s16, s12, s5
	s_cmp_ge_u32 s12, s5
	s_cselect_b32 s11, s15, s11
	s_cselect_b32 s12, s16, s12
	s_add_i32 s15, s11, 1
	s_cmp_ge_u32 s12, s5
	s_cselect_b32 s29, s15, s11
	s_add_i32 s4, s4, -1
	s_mul_i32 s5, s29, s5
	s_delay_alu instid0(SALU_CYCLE_1) | instskip(NEXT) | instid1(SALU_CYCLE_1)
	s_sub_i32 s5, s14, s5
	s_mul_i32 s5, s10, s5
	s_delay_alu instid0(SALU_CYCLE_1)
	s_add_i32 s27, s5, s27
	s_add_u32 s2, s2, -4
	s_addc_u32 s3, s3, -1
	s_cmp_gt_u32 s4, 2
	s_cbranch_scc1 .LBB123_3
.LBB123_4:
	s_set_inst_prefetch_distance 0x2
	s_load_b32 s4, s[0:1], 0x1a8
	s_add_u32 s2, s0, 0xd8
	s_addc_u32 s3, s1, 0
	s_mov_b32 s35, 0
	s_mov_b32 s33, s9
	s_waitcnt lgkmcnt(0)
	s_cmp_lt_i32 s4, 2
	s_cbranch_scc1 .LBB123_7
; %bb.5:
	s_add_i32 s34, s4, -1
	s_add_i32 s10, s4, 1
	s_lshl_b64 s[14:15], s[34:35], 2
	s_mov_b32 s33, s9
	s_add_u32 s4, s14, s2
	s_addc_u32 s5, s15, s3
	s_add_u32 s4, s4, 8
	s_addc_u32 s5, s5, 0
	s_set_inst_prefetch_distance 0x1
	.p2align	6
.LBB123_6:                              ; =>This Inner Loop Header: Depth=1
	s_clause 0x1
	s_load_b32 s11, s[4:5], 0x0
	s_load_b32 s12, s[4:5], 0x64
	s_mov_b32 s16, s33
	s_waitcnt lgkmcnt(0)
	v_cvt_f32_u32_e32 v1, s11
	s_sub_i32 s15, 0, s11
	s_waitcnt_depctr 0xfff
	v_rcp_iflag_f32_e32 v1, v1
	s_waitcnt_depctr 0xfff
	v_mul_f32_e32 v1, 0x4f7ffffe, v1
	s_delay_alu instid0(VALU_DEP_1) | instskip(NEXT) | instid1(VALU_DEP_1)
	v_cvt_u32_f32_e32 v1, v1
	v_readfirstlane_b32 s14, v1
	s_delay_alu instid0(VALU_DEP_1) | instskip(NEXT) | instid1(SALU_CYCLE_1)
	s_mul_i32 s15, s15, s14
	s_mul_hi_u32 s15, s14, s15
	s_delay_alu instid0(SALU_CYCLE_1) | instskip(NEXT) | instid1(SALU_CYCLE_1)
	s_add_i32 s14, s14, s15
	s_mul_hi_u32 s14, s33, s14
	s_delay_alu instid0(SALU_CYCLE_1) | instskip(SKIP_2) | instid1(SALU_CYCLE_1)
	s_mul_i32 s15, s14, s11
	s_add_i32 s17, s14, 1
	s_sub_i32 s15, s33, s15
	s_sub_i32 s18, s15, s11
	s_cmp_ge_u32 s15, s11
	s_cselect_b32 s14, s17, s14
	s_cselect_b32 s15, s18, s15
	s_add_i32 s17, s14, 1
	s_cmp_ge_u32 s15, s11
	s_cselect_b32 s33, s17, s14
	s_add_i32 s10, s10, -1
	s_mul_i32 s11, s33, s11
	s_delay_alu instid0(SALU_CYCLE_1) | instskip(NEXT) | instid1(SALU_CYCLE_1)
	s_sub_i32 s11, s16, s11
	s_mul_i32 s11, s12, s11
	s_delay_alu instid0(SALU_CYCLE_1)
	s_add_i32 s35, s11, s35
	s_add_u32 s4, s4, -4
	s_addc_u32 s5, s5, -1
	s_cmp_gt_u32 s10, 2
	s_cbranch_scc1 .LBB123_6
.LBB123_7:
	s_set_inst_prefetch_distance 0x2
	s_clause 0x1
	s_load_b32 s34, s[0:1], 0x6c
	s_load_b32 s10, s[0:1], 0x280
	s_add_u32 s11, s0, 0x1b0
	s_addc_u32 s12, s1, 0
	s_mov_b32 s5, 0
	s_waitcnt lgkmcnt(0)
	s_cmp_lt_i32 s10, 2
	s_cbranch_scc1 .LBB123_10
; %bb.8:
	s_add_i32 s4, s10, -1
	s_delay_alu instid0(SALU_CYCLE_1)
	s_lshl_b64 s[14:15], s[4:5], 2
	s_add_i32 s4, s10, 1
	s_add_u32 s10, s14, s11
	s_addc_u32 s11, s15, s12
	s_add_u32 s10, s10, 8
	s_addc_u32 s11, s11, 0
	s_set_inst_prefetch_distance 0x1
	.p2align	6
.LBB123_9:                              ; =>This Inner Loop Header: Depth=1
	s_clause 0x1
	s_load_b32 s12, s[10:11], 0x0
	s_load_b32 s14, s[10:11], 0x64
	s_mov_b32 s17, s9
	s_waitcnt lgkmcnt(0)
	v_cvt_f32_u32_e32 v1, s12
	s_sub_i32 s16, 0, s12
	s_waitcnt_depctr 0xfff
	v_rcp_iflag_f32_e32 v1, v1
	s_waitcnt_depctr 0xfff
	v_mul_f32_e32 v1, 0x4f7ffffe, v1
	s_delay_alu instid0(VALU_DEP_1) | instskip(NEXT) | instid1(VALU_DEP_1)
	v_cvt_u32_f32_e32 v1, v1
	v_readfirstlane_b32 s15, v1
	s_delay_alu instid0(VALU_DEP_1) | instskip(NEXT) | instid1(SALU_CYCLE_1)
	s_mul_i32 s16, s16, s15
	s_mul_hi_u32 s16, s15, s16
	s_delay_alu instid0(SALU_CYCLE_1) | instskip(NEXT) | instid1(SALU_CYCLE_1)
	s_add_i32 s15, s15, s16
	s_mul_hi_u32 s9, s9, s15
	s_delay_alu instid0(SALU_CYCLE_1) | instskip(SKIP_2) | instid1(SALU_CYCLE_1)
	s_mul_i32 s15, s9, s12
	s_add_i32 s16, s9, 1
	s_sub_i32 s15, s17, s15
	s_sub_i32 s18, s15, s12
	s_cmp_ge_u32 s15, s12
	s_cselect_b32 s9, s16, s9
	s_cselect_b32 s15, s18, s15
	s_add_i32 s16, s9, 1
	s_cmp_ge_u32 s15, s12
	s_cselect_b32 s9, s16, s9
	s_add_i32 s4, s4, -1
	s_mul_i32 s12, s9, s12
	s_delay_alu instid0(SALU_CYCLE_1) | instskip(NEXT) | instid1(SALU_CYCLE_1)
	s_sub_i32 s12, s17, s12
	s_mul_i32 s12, s14, s12
	s_delay_alu instid0(SALU_CYCLE_1)
	s_add_i32 s5, s12, s5
	s_add_u32 s10, s10, -4
	s_addc_u32 s11, s11, -1
	s_cmp_gt_u32 s4, 2
	s_cbranch_scc1 .LBB123_9
.LBB123_10:
	s_set_inst_prefetch_distance 0x2
	s_clause 0x4
	s_load_b32 s42, s[2:3], 0x6c
	s_load_b32 s2, s[0:1], 0x21c
	s_load_b64 s[10:11], s[0:1], 0x1b0
	s_load_b64 s[38:39], s[0:1], 0x0
	;; [unrolled: 1-line block ×3, first 2 shown]
	v_mul_lo_u32 v5, v0, s30
	s_mov_b32 s3, 0
	v_mov_b32_e32 v3, 0
	s_waitcnt lgkmcnt(0)
	s_mul_i32 s0, s2, s9
	s_delay_alu instid0(SALU_CYCLE_1) | instskip(SKIP_2) | instid1(SALU_CYCLE_1)
	s_add_i32 s2, s0, s5
	v_cmp_gt_u32_e64 s0, s28, v0
	s_lshl_b64 s[4:5], s[2:3], 2
	s_add_u32 s43, s10, s4
	s_addc_u32 s44, s11, s5
	s_delay_alu instid0(VALU_DEP_1)
	s_and_saveexec_b32 s2, s0
	s_cbranch_execz .LBB123_14
; %bb.11:
	s_load_b32 s1, s[6:7], 0xc
	v_mul_lo_u32 v1, v0, s30
	v_dual_mov_b32 v3, 0 :: v_dual_mov_b32 v2, 0
	v_mov_b32_e32 v4, v0
	s_waitcnt lgkmcnt(0)
	s_and_b32 s4, s1, 0xffff
	s_delay_alu instid0(SALU_CYCLE_1)
	s_mul_i32 s5, s30, s4
	.p2align	6
.LBB123_12:                             ; =>This Inner Loop Header: Depth=1
	s_delay_alu instid0(VALU_DEP_3) | instskip(SKIP_2) | instid1(VALU_DEP_3)
	v_lshlrev_b64 v[6:7], 2, v[1:2]
	v_add_nc_u32_e32 v4, s4, v4
	v_add_nc_u32_e32 v1, s5, v1
	v_add_co_u32 v6, vcc_lo, s43, v6
	s_delay_alu instid0(VALU_DEP_4) | instskip(NEXT) | instid1(VALU_DEP_4)
	v_add_co_ci_u32_e32 v7, vcc_lo, s44, v7, vcc_lo
	v_cmp_le_u32_e32 vcc_lo, s28, v4
	global_load_b32 v6, v[6:7], off
	s_or_b32 s3, vcc_lo, s3
	s_waitcnt vmcnt(0)
	v_cmp_u_f32_e64 s1, v6, v6
	s_delay_alu instid0(VALU_DEP_1)
	v_add_co_ci_u32_e64 v3, s1, 0, v3, s1
	s_and_not1_b32 exec_lo, exec_lo, s3
	s_cbranch_execnz .LBB123_12
; %bb.13:
	s_or_b32 exec_lo, exec_lo, s3
.LBB123_14:
	s_delay_alu instid0(SALU_CYCLE_1) | instskip(SKIP_1) | instid1(VALU_DEP_1)
	s_or_b32 exec_lo, exec_lo, s2
	v_cmp_eq_u32_e64 s1, 0, v0
	s_and_saveexec_b32 s2, s1
	s_cbranch_execz .LBB123_16
; %bb.15:
	v_mov_b32_e32 v1, 0
	s_delay_alu instid0(VALU_DEP_1)
	v_mov_b32_e32 v2, v1
	ds_store_b64 v1, v[1:2] offset:4096
.LBB123_16:
	s_or_b32 exec_lo, exec_lo, s2
	s_delay_alu instid0(SALU_CYCLE_1)
	s_mov_b32 s4, exec_lo
	s_waitcnt lgkmcnt(0)
	s_barrier
	buffer_gl0_inv
	v_cmpx_ne_u32_e32 0, v3
	s_cbranch_execz .LBB123_21
; %bb.17:
	v_mov_b32_e32 v1, 0
	s_mov_b32 s5, exec_lo
	s_mov_b64 s[2:3], 0
.LBB123_18:                             ; =>This Inner Loop Header: Depth=1
	s_ctz_i32_b32 s9, s5
	s_delay_alu instid0(SALU_CYCLE_1) | instskip(SKIP_1) | instid1(VALU_DEP_2)
	v_readlane_b32 s10, v3, s9
	v_readlane_b32 s11, v1, s9
	s_add_u32 s2, s2, s10
	s_delay_alu instid0(VALU_DEP_1) | instskip(SKIP_1) | instid1(SALU_CYCLE_1)
	s_addc_u32 s3, s3, s11
	s_lshl_b32 s9, 1, s9
	s_and_not1_b32 s5, s5, s9
	s_delay_alu instid0(SALU_CYCLE_1)
	s_cmp_lg_u32 s5, 0
	s_cbranch_scc1 .LBB123_18
; %bb.19:
	v_mbcnt_lo_u32_b32 v1, exec_lo, 0
	s_mov_b32 s5, exec_lo
	s_delay_alu instid0(VALU_DEP_1)
	v_cmpx_eq_u32_e32 0, v1
	s_xor_b32 s5, exec_lo, s5
	s_cbranch_execz .LBB123_21
; %bb.20:
	v_mov_b32_e32 v1, s2
	v_dual_mov_b32 v3, 0 :: v_dual_mov_b32 v2, s3
	ds_add_u64 v3, v[1:2] offset:4096
.LBB123_21:
	s_or_b32 exec_lo, exec_lo, s4
	v_mov_b32_e32 v1, 0
	s_waitcnt lgkmcnt(0)
	s_barrier
	buffer_gl0_inv
	s_bitcmp1_b32 s31, 0
	ds_load_b64 v[1:2], v1 offset:4096
	s_cselect_b32 s2, -1, 0
	s_mov_b32 s72, s28
	s_waitcnt lgkmcnt(0)
	v_cmp_gt_i64_e32 vcc_lo, 1, v[1:2]
	s_or_b32 s2, s2, vcc_lo
	s_delay_alu instid0(SALU_CYCLE_1)
	s_and_not1_b32 vcc_lo, exec_lo, s2
	s_cbranch_vccnz .LBB123_23
; %bb.22:
	v_not_b32_e32 v1, v1
	v_not_b32_e32 v2, v2
	s_delay_alu instid0(VALU_DEP_2) | instskip(NEXT) | instid1(VALU_DEP_2)
	v_add_co_u32 v1, vcc_lo, v1, s28
	v_add_co_ci_u32_e32 v2, vcc_lo, 0, v2, vcc_lo
	s_delay_alu instid0(VALU_DEP_1) | instskip(NEXT) | instid1(VALU_DEP_1)
	v_lshrrev_b32_e32 v3, 31, v2
	v_add_co_u32 v1, vcc_lo, v1, v3
	v_add_co_ci_u32_e32 v2, vcc_lo, 0, v2, vcc_lo
	s_delay_alu instid0(VALU_DEP_1) | instskip(NEXT) | instid1(VALU_DEP_1)
	v_alignbit_b32 v1, v2, v1, 1
	v_readfirstlane_b32 s2, v1
	s_delay_alu instid0(VALU_DEP_1)
	s_add_i32 s72, s2, 1
.LBB123_23:
	s_and_saveexec_b32 s2, s1
	s_cbranch_execz .LBB123_25
; %bb.24:
	v_dual_mov_b32 v1, 0 :: v_dual_mov_b32 v2, s28
	ds_store_b32 v1, v1 offset:4112
	ds_store_b64 v1, v[1:2] offset:4104
.LBB123_25:
	s_or_b32 exec_lo, exec_lo, s2
	s_waitcnt lgkmcnt(0)
	s_barrier
	buffer_gl0_inv
	s_load_b32 s5, s[6:7], 0xc
	v_mbcnt_lo_u32_b32 v16, -1, 0
	v_cmp_gt_u32_e32 vcc_lo, 32, v0
	v_lshrrev_b32_e32 v1, 3, v0
	v_mov_b32_e32 v7, 0
	v_lshlrev_b32_e32 v17, 2, v0
	v_cmp_gt_i32_e64 s4, 4, v16
	v_cmp_gt_u32_e64 s2, 2, v0
	s_delay_alu instid0(VALU_DEP_4) | instskip(NEXT) | instid1(VALU_DEP_4)
	v_dual_mov_b32 v6, v7 :: v_dual_and_b32 v19, 0x7c, v1
	v_add_nc_u32_e32 v18, 0xc00, v17
	s_delay_alu instid0(VALU_DEP_4)
	s_and_b32 s48, vcc_lo, s4
	v_or_b32_e32 v4, 2, v17
	v_or_b32_e32 v13, 3, v17
	v_cmp_eq_u32_e64 s3, 0, v16
	v_lshlrev_b32_e32 v26, 4, v0
	v_lshl_or_b32 v27, v16, 2, 0xc00
	v_mul_lo_u32 v20, s30, v4
	v_mul_lo_u32 v23, s30, v13
	v_mov_b32_e32 v13, 1.0
	s_waitcnt lgkmcnt(0)
	s_and_b32 s31, s5, 0xffff
	s_bfe_u32 s4, s5, 0xb0005
	s_lshl_b32 s47, s31, 2
	s_add_i32 s49, s31, -1
	v_cvt_f32_u32_e32 v2, s47
	s_add_i32 s9, s49, s28
	s_cmpk_gt_u32 s28, 0x300
	v_mad_u64_u32 v[8:9], null, s30, v17, s[30:31]
	s_delay_alu instid0(VALU_DEP_2)
	v_rcp_iflag_f32_e32 v2, v2
	s_cselect_b32 s50, -1, 0
	s_cmp_gt_u32 s31, 31
	v_mov_b32_e32 v15, 0
	s_cselect_b32 s51, -1, 0
	s_cmp_lt_u32 s13, s8
	s_mul_i32 s46, s30, s31
	s_cselect_b32 s5, 12, 18
	s_mov_b32 s45, 0
	s_add_u32 s40, s6, s5
	s_waitcnt_depctr 0xfff
	v_mul_f32_e32 v1, 0x4f7ffffe, v2
	s_addc_u32 s41, s7, 0
	s_add_i32 s5, s4, -1
	s_bfe_u32 s52, s31, 0x30005
	v_cvt_f32_u32_e32 v2, s31
	v_cvt_u32_f32_e32 v1, v1
	s_cmp_gt_u32 s5, 6
	s_mov_b32 s65, 30
	s_cselect_b32 s53, -1, 0
	s_and_b32 s54, s4, 0x7f8
	v_readfirstlane_b32 s4, v1
	s_cmp_lg_u32 s52, 0
	v_rcp_iflag_f32_e32 v3, v2
	s_cselect_b32 s55, -1, 0
	s_sub_i32 s5, 0, s47
	v_lshlrev_b64 v[1:2], v16, -1
	s_mul_i32 s5, s5, s4
	v_lshlrev_b32_e32 v24, 2, v5
	s_mul_hi_u32 s5, s4, s5
	s_mov_b32 s68, 0
	s_add_i32 s56, s4, s5
	v_not_b32_e32 v21, v1
	s_mul_hi_u32 s4, s28, s56
	s_waitcnt_depctr 0xfff
	v_mul_f32_e32 v9, 0x4f7ffffe, v3
	s_mul_i32 s4, s4, s47
	v_lshlrev_b64 v[2:3], 2, v[5:6]
	s_sub_i32 s4, s28, s4
	v_add3_u32 v1, s31, s28, v0
	v_cvt_u32_f32_e32 v6, v9
	s_sub_i32 s5, s4, s47
	s_cmp_ge_u32 s4, s47
	v_add_co_u32 v9, vcc_lo, s43, v2
	s_cselect_b32 s4, s5, s4
	v_readfirstlane_b32 s5, v6
	s_sub_i32 s6, s4, s47
	s_cmp_ge_u32 s4, s47
	v_add_co_ci_u32_e32 v10, vcc_lo, s44, v3, vcc_lo
	s_cselect_b32 s4, s6, s4
	s_sub_i32 s6, 0, s31
	s_sub_i32 s57, s28, s4
	s_mul_i32 s6, s6, s5
	v_add_nc_u32_e32 v22, s57, v0
	s_mul_hi_u32 s6, s5, s6
	v_subrev_nc_u32_e32 v3, s4, v1
	s_add_i32 s58, s5, s6
	v_cmp_gt_u32_e64 s4, s57, v17
	s_mul_hi_u32 s5, s9, s58
	v_mul_lo_u32 v6, v22, s30
	s_mul_i32 s5, s5, s31
	v_mul_lo_u32 v25, s30, v3
	s_sub_i32 s5, s9, s5
	s_mov_b32 s70, 0
	s_sub_i32 s6, s5, s31
	s_cmp_ge_u32 s5, s31
	s_mov_b32 s71, 0
	s_cselect_b32 s6, s6, s5
	v_lshlrev_b64 v[1:2], 2, v[6:7]
	s_sub_i32 s7, s6, s31
	s_cmp_ge_u32 s6, s31
	v_cmp_gt_u32_e64 s5, s28, v22
	s_cselect_b32 s6, s7, s6
	s_lshl_b32 s59, s46, 2
	s_sub_i32 s60, s9, s6
	v_add_co_u32 v11, vcc_lo, s43, v1
	v_add_co_ci_u32_e32 v12, vcc_lo, s44, v2, vcc_lo
	v_cmp_gt_u32_e64 s6, s60, v0
	s_lshl_b32 s61, s31, 4
                                        ; implicit-def: $sgpr62
                                        ; implicit-def: $sgpr64
                                        ; implicit-def: $sgpr63
                                        ; implicit-def: $sgpr67
                                        ; implicit-def: $sgpr69
                                        ; implicit-def: $sgpr66
	s_branch .LBB123_30
.LBB123_26:                             ;   in Loop: Header=BB123_30 Depth=1
	s_xor_b32 s68, s68, 1
	s_add_i32 s11, s65, -2
	s_cmp_eq_u32 s65, 0
	s_mov_b32 s7, 0
	s_cselect_b32 s9, -1, 0
	s_mov_b32 s65, s11
.LBB123_27:                             ;   in Loop: Header=BB123_30 Depth=1
	s_and_not1_b32 s11, s13, exec_lo
	s_and_b32 s7, s7, exec_lo
	s_and_not1_b32 s15, s15, exec_lo
	s_or_b32 s13, s11, s7
	s_and_not1_b32 s12, s12, exec_lo
	s_or_not1_b32 s11, s9, exec_lo
	s_mov_b32 s72, s20
.LBB123_28:                             ;   in Loop: Header=BB123_30 Depth=1
	s_or_b32 exec_lo, exec_lo, s8
	s_delay_alu instid0(SALU_CYCLE_1)
	s_and_not1_b32 s7, s66, exec_lo
	s_and_b32 s8, s13, exec_lo
	s_and_not1_b32 s9, s67, exec_lo
	s_or_b32 s66, s7, s8
	s_and_not1_b32 s7, s69, exec_lo
	s_and_b32 s8, s15, exec_lo
	s_and_b32 s12, s12, exec_lo
	s_or_b32 s69, s7, s8
	s_or_b32 s67, s9, s12
	s_or_not1_b32 s12, s11, exec_lo
.LBB123_29:                             ;   in Loop: Header=BB123_30 Depth=1
	s_or_b32 exec_lo, exec_lo, s10
	s_delay_alu instid0(SALU_CYCLE_1)
	s_and_b32 s7, exec_lo, s12
	v_mov_b32_e32 v1, s70
	s_or_b32 s45, s7, s45
	s_and_not1_b32 s7, s63, exec_lo
	s_and_b32 s8, s66, exec_lo
	s_and_not1_b32 s9, s62, exec_lo
	s_or_b32 s63, s7, s8
	s_and_not1_b32 s7, s64, exec_lo
	s_and_b32 s8, s69, exec_lo
	s_and_b32 s10, s67, exec_lo
	s_or_b32 s64, s7, s8
	s_or_b32 s62, s9, s10
	s_and_not1_b32 exec_lo, exec_lo, s45
	s_cbranch_execz .LBB123_263
.LBB123_30:                             ; =>This Loop Header: Depth=1
                                        ;     Child Loop BB123_38 Depth 2
                                        ;     Child Loop BB123_53 Depth 2
                                        ;     Child Loop BB123_77 Depth 2
                                        ;     Child Loop BB123_81 Depth 2
                                        ;     Child Loop BB123_66 Depth 2
                                        ;     Child Loop BB123_71 Depth 2
                                        ;     Child Loop BB123_90 Depth 2
                                        ;     Child Loop BB123_94 Depth 2
                                        ;     Child Loop BB123_115 Depth 2
                                        ;     Child Loop BB123_103 Depth 2
                                        ;     Child Loop BB123_157 Depth 2
                                        ;     Child Loop BB123_142 Depth 2
                                        ;     Child Loop BB123_196 Depth 2
                                        ;     Child Loop BB123_184 Depth 2
                                        ;     Child Loop BB123_235 Depth 2
                                        ;     Child Loop BB123_223 Depth 2
	ds_load_b64 v[1:2], v7 offset:4104
	s_waitcnt lgkmcnt(0)
	v_readfirstlane_b32 s73, v1
	s_delay_alu instid0(VALU_DEP_1)
	s_cmp_lg_u32 s73, 0
	s_cbranch_scc1 .LBB123_60
; %bb.31:                               ;   in Loop: Header=BB123_30 Depth=1
	s_and_b32 vcc_lo, exec_lo, s50
	s_cbranch_vccz .LBB123_46
; %bb.32:                               ;   in Loop: Header=BB123_30 Depth=1
	v_cmp_gt_u32_e32 vcc_lo, 0x301, v2
	s_mov_b32 s73, 0
	s_mov_b32 s7, 0
	s_cbranch_vccz .LBB123_47
; %bb.33:                               ;   in Loop: Header=BB123_30 Depth=1
	v_mov_b32_e32 v1, 0
	s_and_saveexec_b32 s7, s0
	s_cbranch_execz .LBB123_35
; %bb.34:                               ;   in Loop: Header=BB123_30 Depth=1
	global_load_b32 v1, v[9:10], off
.LBB123_35:                             ;   in Loop: Header=BB123_30 Depth=1
	s_or_b32 exec_lo, exec_lo, s7
	s_and_saveexec_b32 s9, s0
	s_cbranch_execz .LBB123_148
; %bb.36:                               ;   in Loop: Header=BB123_30 Depth=1
	global_load_u16 v2, v7, s[40:41]
	v_mov_b32_e32 v4, v0
	s_mov_b32 s10, 0
	s_waitcnt vmcnt(0)
	v_add_nc_u32_e32 v3, v0, v2
	s_delay_alu instid0(VALU_DEP_1)
	v_mul_lo_u32 v6, s30, v3
	v_mul_lo_u32 v3, s30, v2
	s_branch .LBB123_38
.LBB123_37:                             ;   in Loop: Header=BB123_38 Depth=2
	s_or_b32 exec_lo, exec_lo, s8
	v_add_nc_u32_e32 v6, v6, v3
	s_waitcnt vmcnt(0)
	v_mov_b32_e32 v1, v14
	s_and_not1_b32 exec_lo, exec_lo, s10
	s_cbranch_execz .LBB123_148
.LBB123_38:                             ;   Parent Loop BB123_30 Depth=1
                                        ; =>  This Inner Loop Header: Depth=2
	v_add_nc_u32_e32 v4, v4, v2
	s_waitcnt lgkmcnt(0)
	v_mov_b32_e32 v28, 0
	v_mov_b32_e32 v14, 0
	s_mov_b32 s8, exec_lo
	v_cmp_le_u32_e32 vcc_lo, s28, v4
	v_cmpx_gt_u32_e64 s28, v4
	s_cbranch_execz .LBB123_40
; %bb.39:                               ;   in Loop: Header=BB123_38 Depth=2
	v_lshlrev_b64 v[29:30], 2, v[6:7]
	s_delay_alu instid0(VALU_DEP_1) | instskip(NEXT) | instid1(VALU_DEP_1)
	v_add_co_u32 v29, s7, s43, v29
	v_add_co_ci_u32_e64 v30, s7, s44, v30, s7
	global_load_b32 v14, v[29:30], off
.LBB123_40:                             ;   in Loop: Header=BB123_38 Depth=2
	s_or_b32 exec_lo, exec_lo, s8
	v_cmp_lt_i32_e64 s7, -1, v1
	s_delay_alu instid0(VALU_DEP_1) | instskip(SKIP_1) | instid1(VALU_DEP_2)
	v_cndmask_b32_e64 v29, -1, 0x80000000, s7
	v_cmp_o_f32_e64 s7, v1, v1
	v_xor_b32_e32 v29, v29, v1
	s_delay_alu instid0(VALU_DEP_1) | instskip(NEXT) | instid1(VALU_DEP_1)
	v_cndmask_b32_e64 v29, -1, v29, s7
	v_and_b32_e32 v29, s71, v29
	s_delay_alu instid0(VALU_DEP_1) | instskip(NEXT) | instid1(VALU_DEP_1)
	v_cmp_eq_u32_e64 s7, s70, v29
	s_cmp_lg_u32 s7, 0
	s_cselect_b32 s8, -1, 0
	s_delay_alu instid0(SALU_CYCLE_1) | instskip(NEXT) | instid1(SALU_CYCLE_1)
	s_and_b32 s8, s3, s8
	s_and_saveexec_b32 s11, s8
	s_cbranch_execz .LBB123_44
; %bb.41:                               ;   in Loop: Header=BB123_38 Depth=2
	s_mov_b32 s14, exec_lo
	s_bcnt1_i32_b32 s12, s7
	v_mbcnt_lo_u32_b32 v28, s14, 0
	s_mov_b32 s13, exec_lo
                                        ; implicit-def: $vgpr29
	s_delay_alu instid0(VALU_DEP_1)
	v_cmpx_eq_u32_e32 0, v28
	s_cbranch_execz .LBB123_43
; %bb.42:                               ;   in Loop: Header=BB123_38 Depth=2
	s_bcnt1_i32_b32 s8, s14
	s_delay_alu instid0(SALU_CYCLE_1) | instskip(NEXT) | instid1(SALU_CYCLE_1)
	s_mul_i32 s8, s12, s8
	v_mov_b32_e32 v29, s8
	ds_add_rtn_u32 v29, v7, v29 offset:4112
.LBB123_43:                             ;   in Loop: Header=BB123_38 Depth=2
	s_or_b32 exec_lo, exec_lo, s13
	s_waitcnt lgkmcnt(0)
	v_readfirstlane_b32 s8, v29
	s_delay_alu instid0(VALU_DEP_1)
	v_mad_u32_u24 v28, s12, v28, s8
.LBB123_44:                             ;   in Loop: Header=BB123_38 Depth=2
	s_or_b32 exec_lo, exec_lo, s11
	ds_bpermute_b32 v28, v7, v28
	s_and_b32 s8, exec_lo, vcc_lo
	s_delay_alu instid0(SALU_CYCLE_1)
	s_or_b32 s10, s8, s10
	s_and_saveexec_b32 s8, s7
	s_cbranch_execz .LBB123_37
; %bb.45:                               ;   in Loop: Header=BB123_38 Depth=2
	v_and_b32_e32 v29, s7, v21
	s_delay_alu instid0(VALU_DEP_1) | instskip(NEXT) | instid1(VALU_DEP_1)
	v_bcnt_u32_b32 v29, v29, 0
	v_lshlrev_b32_e32 v29, 2, v29
	s_waitcnt lgkmcnt(0)
	s_delay_alu instid0(VALU_DEP_1)
	v_lshl_add_u32 v28, v28, 2, v29
	ds_store_b32 v28, v1
	s_branch .LBB123_37
.LBB123_46:                             ;   in Loop: Header=BB123_30 Depth=1
	s_mov_b32 s73, -1
	s_mov_b32 s7, 0
.LBB123_47:                             ;   in Loop: Header=BB123_30 Depth=1
	s_and_b32 vcc_lo, exec_lo, s73
	s_cbranch_vccz .LBB123_58
.LBB123_48:                             ;   in Loop: Header=BB123_30 Depth=1
	v_mov_b32_e32 v1, 0
	s_and_saveexec_b32 s7, s0
	s_cbranch_execz .LBB123_50
; %bb.49:                               ;   in Loop: Header=BB123_30 Depth=1
	global_load_b32 v1, v[9:10], off
.LBB123_50:                             ;   in Loop: Header=BB123_30 Depth=1
	s_or_b32 exec_lo, exec_lo, s7
	s_and_saveexec_b32 s8, s0
	s_cbranch_execz .LBB123_55
; %bb.51:                               ;   in Loop: Header=BB123_30 Depth=1
	global_load_u16 v2, v7, s[40:41]
	v_mov_b32_e32 v28, v0
	s_mov_b32 s9, 0
	s_waitcnt vmcnt(0)
	v_dual_mov_b32 v14, v17 :: v_dual_add_nc_u32 v3, v0, v2
	v_lshlrev_b32_e32 v4, 2, v2
	s_delay_alu instid0(VALU_DEP_2)
	v_mul_lo_u32 v6, s30, v3
	v_mul_lo_u32 v3, s30, v2
	s_set_inst_prefetch_distance 0x1
	s_branch .LBB123_53
	.p2align	6
.LBB123_52:                             ;   in Loop: Header=BB123_53 Depth=2
	s_or_b32 exec_lo, exec_lo, s10
	ds_store_b32 v14, v1
	s_waitcnt vmcnt(0)
	v_dual_mov_b32 v1, v29 :: v_dual_add_nc_u32 v14, v14, v4
	v_add_nc_u32_e32 v6, v6, v3
	s_and_b32 s7, exec_lo, vcc_lo
	s_delay_alu instid0(SALU_CYCLE_1) | instskip(NEXT) | instid1(SALU_CYCLE_1)
	s_or_b32 s9, s7, s9
	s_and_not1_b32 exec_lo, exec_lo, s9
	s_cbranch_execz .LBB123_55
.LBB123_53:                             ;   Parent Loop BB123_30 Depth=1
                                        ; =>  This Inner Loop Header: Depth=2
	v_dual_mov_b32 v29, 0 :: v_dual_add_nc_u32 v28, v28, v2
	s_mov_b32 s10, exec_lo
	s_delay_alu instid0(VALU_DEP_1)
	v_cmp_le_u32_e32 vcc_lo, s28, v28
	v_cmpx_gt_u32_e64 s28, v28
	s_cbranch_execz .LBB123_52
; %bb.54:                               ;   in Loop: Header=BB123_53 Depth=2
	v_lshlrev_b64 v[29:30], 2, v[6:7]
	s_delay_alu instid0(VALU_DEP_1) | instskip(NEXT) | instid1(VALU_DEP_1)
	v_add_co_u32 v29, s7, s43, v29
	v_add_co_ci_u32_e64 v30, s7, s44, v30, s7
	global_load_b32 v29, v[29:30], off
	s_branch .LBB123_52
.LBB123_55:                             ;   in Loop: Header=BB123_30 Depth=1
	s_set_inst_prefetch_distance 0x2
	s_or_b32 exec_lo, exec_lo, s8
	s_waitcnt vmcnt(0) lgkmcnt(0)
	s_barrier
	buffer_gl0_inv
	s_and_saveexec_b32 s7, s1
	s_cbranch_execz .LBB123_57
; %bb.56:                               ;   in Loop: Header=BB123_30 Depth=1
	v_mov_b32_e32 v1, s28
	ds_store_b32 v7, v1 offset:4104
.LBB123_57:                             ;   in Loop: Header=BB123_30 Depth=1
	s_or_b32 exec_lo, exec_lo, s7
	s_mov_b32 s7, -1
	s_waitcnt lgkmcnt(0)
	s_barrier
                                        ; implicit-def: $sgpr73
.LBB123_58:                             ;   in Loop: Header=BB123_30 Depth=1
	s_and_b32 vcc_lo, exec_lo, s7
	s_cbranch_vccz .LBB123_60
; %bb.59:                               ;   in Loop: Header=BB123_30 Depth=1
	buffer_gl0_inv
	ds_load_b32 v1, v7 offset:4104
	s_waitcnt lgkmcnt(0)
	v_readfirstlane_b32 s73, v1
.LBB123_60:                             ;   in Loop: Header=BB123_30 Depth=1
	s_delay_alu instid0(VALU_DEP_1)
	s_cmp_lt_i32 s73, 1
	s_cbranch_scc0 .LBB123_64
; %bb.61:                               ;   in Loop: Header=BB123_30 Depth=1
	v_dual_mov_b32 v1, 0 :: v_dual_mov_b32 v2, 0
	v_dual_mov_b32 v3, 0 :: v_dual_mov_b32 v4, 0
	s_mov_b32 s19, 0
	s_and_saveexec_b32 s18, s4
	s_cbranch_execnz .LBB123_65
; %bb.62:                               ;   in Loop: Header=BB123_30 Depth=1
	s_or_b32 exec_lo, exec_lo, s18
	v_mov_b32_e32 v28, 0
	s_and_saveexec_b32 s7, s5
	s_cbranch_execnz .LBB123_68
.LBB123_63:                             ;   in Loop: Header=BB123_30 Depth=1
	s_or_b32 exec_lo, exec_lo, s7
	s_and_saveexec_b32 s11, s5
	s_cbranch_execnz .LBB123_69
	s_branch .LBB123_74
.LBB123_64:                             ;   in Loop: Header=BB123_30 Depth=1
                                        ; implicit-def: $vgpr4
	s_cbranch_execnz .LBB123_75
	s_branch .LBB123_84
.LBB123_65:                             ;   in Loop: Header=BB123_30 Depth=1
	v_mov_b32_e32 v14, v17
	s_and_b32 s20, s65, 0xfe
	s_mov_b32 s21, 0
	s_mov_b32 s22, 0
	;; [unrolled: 1-line block ×5, first 2 shown]
.LBB123_66:                             ;   Parent Loop BB123_30 Depth=1
                                        ; =>  This Inner Loop Header: Depth=2
	v_add_nc_u32_e32 v6, s21, v24
	v_add_nc_u32_e32 v14, s47, v14
	s_delay_alu instid0(VALU_DEP_2) | instskip(SKIP_1) | instid1(VALU_DEP_1)
	v_lshlrev_b64 v[1:2], 2, v[6:7]
	v_add_nc_u32_e32 v6, s21, v8
	v_lshlrev_b64 v[3:4], 2, v[6:7]
	v_add_nc_u32_e32 v6, s21, v20
	s_delay_alu instid0(VALU_DEP_4) | instskip(SKIP_1) | instid1(VALU_DEP_3)
	v_add_co_u32 v1, vcc_lo, s43, v1
	v_add_co_ci_u32_e32 v2, vcc_lo, s44, v2, vcc_lo
	v_lshlrev_b64 v[28:29], 2, v[6:7]
	v_add_nc_u32_e32 v6, s21, v23
	s_add_i32 s21, s21, s59
	global_load_b32 v30, v[1:2], off
	v_add_co_u32 v1, vcc_lo, s43, v3
	v_add_co_ci_u32_e32 v2, vcc_lo, s44, v4, vcc_lo
	v_add_co_u32 v28, vcc_lo, s43, v28
	v_add_co_ci_u32_e32 v29, vcc_lo, s44, v29, vcc_lo
	v_lshlrev_b64 v[3:4], 2, v[6:7]
	s_clause 0x1
	global_load_b32 v6, v[1:2], off
	global_load_b32 v28, v[28:29], off
	v_add_co_u32 v1, vcc_lo, s43, v3
	v_add_co_ci_u32_e32 v2, vcc_lo, s44, v4, vcc_lo
	v_cmp_le_u32_e32 vcc_lo, s57, v14
	global_load_b32 v1, v[1:2], off
	s_waitcnt vmcnt(3)
	v_cmp_lt_i32_e64 s7, -1, v30
	s_delay_alu instid0(VALU_DEP_1) | instskip(SKIP_2) | instid1(VALU_DEP_2)
	v_cndmask_b32_e64 v2, -1, 0x80000000, s7
	s_waitcnt vmcnt(2)
	v_cmp_lt_i32_e64 s7, -1, v6
	v_xor_b32_e32 v2, v2, v30
	s_waitcnt vmcnt(1)
	v_cmp_lt_i32_e64 s8, -1, v28
	s_delay_alu instid0(VALU_DEP_3) | instskip(SKIP_1) | instid1(VALU_DEP_3)
	v_cndmask_b32_e64 v3, -1, 0x80000000, s7
	v_cmp_o_f32_e64 s7, v30, v30
	v_cndmask_b32_e64 v4, -1, 0x80000000, s8
	s_delay_alu instid0(VALU_DEP_3) | instskip(NEXT) | instid1(VALU_DEP_3)
	v_xor_b32_e32 v3, v3, v6
	v_cndmask_b32_e64 v2, -1, v2, s7
	v_cmp_o_f32_e64 s7, v6, v6
	s_delay_alu instid0(VALU_DEP_4)
	v_xor_b32_e32 v4, v4, v28
	s_waitcnt vmcnt(0)
	v_cmp_o_f32_e64 s12, v1, v1
	v_and_b32_e32 v29, s71, v2
	v_cndmask_b32_e64 v3, -1, v3, s7
	v_cmp_lt_i32_e64 s7, -1, v1
	v_bfe_u32 v2, v2, s20, 2
	s_delay_alu instid0(VALU_DEP_2) | instskip(SKIP_1) | instid1(VALU_DEP_3)
	v_cndmask_b32_e64 v6, -1, 0x80000000, s7
	v_cmp_o_f32_e64 s7, v28, v28
	v_cmp_eq_u32_e64 s8, 0, v2
	v_and_b32_e32 v28, s71, v3
	v_bfe_u32 v3, v3, s20, 2
	v_xor_b32_e32 v6, v6, v1
	v_cndmask_b32_e64 v4, -1, v4, s7
	v_cmp_eq_u32_e64 s7, s70, v29
	v_cmp_eq_u32_e64 s9, 1, v2
	;; [unrolled: 1-line block ×4, first 2 shown]
	v_cndmask_b32_e64 v1, -1, v6, s12
	s_and_b32 s8, s7, s8
	v_cmp_eq_u32_e64 s12, s70, v28
	v_cmp_eq_u32_e64 s13, 0, v3
	v_cndmask_b32_e64 v6, 0, 1, s8
	v_cmp_eq_u32_e64 s8, 1, v3
	s_and_b32 s9, s7, s9
	v_and_b32_e32 v2, s71, v4
	v_bfe_u32 v4, v4, s20, 2
	v_cndmask_b32_e64 v28, 0, 1, s9
	v_cmp_eq_u32_e64 s9, 2, v3
	s_and_b32 s10, s7, s10
	s_and_b32 s7, s7, s11
	v_cndmask_b32_e64 v29, 0, 1, s10
	s_and_b32 s13, s12, s13
	s_and_b32 s8, s12, s8
	v_cmp_eq_u32_e64 s10, 3, v3
	v_cndmask_b32_e64 v3, 0, 1, s7
	v_cmp_eq_u32_e64 s7, s70, v2
	v_cmp_eq_u32_e64 s11, 0, v4
	v_cmp_ne_u32_e64 s14, 0, v6
	v_cndmask_b32_e64 v6, 0, 1, s13
	v_cmp_eq_u32_e64 s13, 1, v4
	v_cmp_ne_u32_e64 s15, 0, v28
	v_cndmask_b32_e64 v28, 0, 1, s8
	v_cmp_eq_u32_e64 s8, 2, v4
	s_and_b32 s9, s12, s9
	v_and_b32_e32 v2, s71, v1
	v_bfe_u32 v1, v1, s20, 2
	v_cmp_ne_u32_e64 s16, 0, v29
	v_cndmask_b32_e64 v29, 0, 1, s9
	v_cmp_eq_u32_e64 s9, 3, v4
	s_and_b32 s10, s12, s10
	s_and_b32 s11, s7, s11
	;; [unrolled: 1-line block ×4, first 2 shown]
	v_cmp_ne_u32_e64 s17, 0, v3
	v_cndmask_b32_e64 v3, 0, 1, s10
	v_cmp_eq_u32_e64 s10, s70, v2
	v_cmp_eq_u32_e64 s12, 0, v1
	s_bcnt1_i32_b32 s26, s14
	v_cmp_ne_u32_e64 s14, 0, v6
	v_cndmask_b32_e64 v2, 0, 1, s11
	v_cmp_eq_u32_e64 s11, 1, v1
	v_cndmask_b32_e64 v4, 0, 1, s13
	v_cmp_eq_u32_e64 s13, 2, v1
	;; [unrolled: 2-line block ×3, first 2 shown]
	s_and_b32 s7, s7, s9
	s_bcnt1_i32_b32 s76, s17
	v_cndmask_b32_e64 v1, 0, 1, s7
	v_cmp_ne_u32_e64 s17, 0, v3
	s_and_b32 s9, s10, s12
	s_and_b32 s11, s10, s11
	;; [unrolled: 1-line block ×4, first 2 shown]
	v_cmp_ne_u32_e64 s7, 0, v2
	v_cndmask_b32_e64 v2, 0, 1, s9
	v_cmp_ne_u32_e64 s9, 0, v4
	v_cndmask_b32_e64 v3, 0, 1, s11
	v_cndmask_b32_e64 v4, 0, 1, s12
	v_cmp_ne_u32_e64 s12, 0, v1
	v_cndmask_b32_e64 v1, 0, 1, s8
	s_bcnt1_i32_b32 s74, s15
	v_cmp_ne_u32_e64 s15, 0, v28
	s_bcnt1_i32_b32 s75, s16
	v_cmp_ne_u32_e64 s16, 0, v29
	s_add_i32 s22, s76, s22
	v_cmp_ne_u32_e64 s11, 0, v6
	s_bcnt1_i32_b32 s13, s17
	s_bcnt1_i32_b32 s17, s7
	s_add_i32 s13, s22, s13
	v_cmp_ne_u32_e64 s7, 0, v2
	s_bcnt1_i32_b32 s22, s9
	v_cmp_ne_u32_e64 s8, 0, v3
	v_cmp_ne_u32_e64 s9, 0, v4
	;; [unrolled: 1-line block ×3, first 2 shown]
	s_add_i32 s25, s26, s25
	s_add_i32 s24, s74, s24
	;; [unrolled: 1-line block ×3, first 2 shown]
	s_bcnt1_i32_b32 s14, s14
	s_bcnt1_i32_b32 s15, s15
	;; [unrolled: 1-line block ×3, first 2 shown]
	s_add_i32 s14, s25, s14
	s_add_i32 s15, s24, s15
	;; [unrolled: 1-line block ×3, first 2 shown]
	s_bcnt1_i32_b32 s11, s11
	s_bcnt1_i32_b32 s12, s12
	s_add_i32 s14, s14, s17
	s_add_i32 s15, s15, s22
	;; [unrolled: 1-line block ×4, first 2 shown]
	s_bcnt1_i32_b32 s7, s7
	s_bcnt1_i32_b32 s8, s8
	;; [unrolled: 1-line block ×4, first 2 shown]
	s_add_i32 s25, s14, s7
	s_add_i32 s24, s15, s8
	s_add_i32 s23, s11, s9
	v_mov_b32_e32 v2, s24
	s_add_i32 s22, s12, s10
	v_mov_b32_e32 v1, s25
	v_dual_mov_b32 v3, s23 :: v_dual_mov_b32 v4, s22
	s_or_b32 s19, vcc_lo, s19
	s_delay_alu instid0(SALU_CYCLE_1)
	s_and_not1_b32 exec_lo, exec_lo, s19
	s_cbranch_execnz .LBB123_66
; %bb.67:                               ;   in Loop: Header=BB123_30 Depth=1
	s_or_b32 exec_lo, exec_lo, s19
	s_delay_alu instid0(SALU_CYCLE_1)
	s_or_b32 exec_lo, exec_lo, s18
	v_mov_b32_e32 v28, 0
	s_and_saveexec_b32 s7, s5
	s_cbranch_execz .LBB123_63
.LBB123_68:                             ;   in Loop: Header=BB123_30 Depth=1
	global_load_b32 v28, v[11:12], off
	s_or_b32 exec_lo, exec_lo, s7
	s_and_saveexec_b32 s11, s5
	s_cbranch_execz .LBB123_74
.LBB123_69:                             ;   in Loop: Header=BB123_30 Depth=1
	v_mov_b32_e32 v6, v25
	v_mov_b32_e32 v14, v22
	s_and_b32 s13, s65, 0xfe
	s_mov_b32 s12, 0
	s_branch .LBB123_71
.LBB123_70:                             ;   in Loop: Header=BB123_71 Depth=2
	s_or_b32 exec_lo, exec_lo, s8
	s_waitcnt vmcnt(0)
	v_cmp_lt_i32_e64 s7, -1, v28
	s_and_b32 s8, exec_lo, vcc_lo
	v_add_nc_u32_e32 v6, s46, v6
	s_or_b32 s12, s8, s12
	s_delay_alu instid0(VALU_DEP_2) | instskip(SKIP_1) | instid1(VALU_DEP_2)
	v_cndmask_b32_e64 v30, -1, 0x80000000, s7
	v_cmp_o_f32_e64 s7, v28, v28
	v_xor_b32_e32 v30, v30, v28
	s_delay_alu instid0(VALU_DEP_1) | instskip(NEXT) | instid1(VALU_DEP_1)
	v_cndmask_b32_e64 v28, -1, v30, s7
	v_and_b32_e32 v30, s71, v28
	v_bfe_u32 v28, v28, s13, 2
	s_delay_alu instid0(VALU_DEP_2) | instskip(NEXT) | instid1(VALU_DEP_2)
	v_cmp_eq_u32_e32 vcc_lo, s70, v30
	v_cmp_eq_u32_e64 s7, 0, v28
	v_cmp_eq_u32_e64 s8, 1, v28
	v_cmp_eq_u32_e64 s9, 2, v28
	v_cmp_eq_u32_e64 s10, 3, v28
	s_delay_alu instid0(VALU_DEP_4) | instskip(NEXT) | instid1(SALU_CYCLE_1)
	s_and_b32 s7, vcc_lo, s7
	v_cndmask_b32_e64 v28, 0, 1, s7
	s_and_b32 s7, vcc_lo, s8
	s_delay_alu instid0(SALU_CYCLE_1) | instskip(SKIP_1) | instid1(SALU_CYCLE_1)
	v_cndmask_b32_e64 v30, 0, 1, s7
	s_and_b32 s7, vcc_lo, s9
	v_cndmask_b32_e64 v31, 0, 1, s7
	s_and_b32 s7, vcc_lo, s10
	v_cmp_ne_u32_e32 vcc_lo, 0, v28
	v_cndmask_b32_e64 v32, 0, 1, s7
	v_cmp_ne_u32_e64 s7, 0, v30
	v_cmp_ne_u32_e64 s8, 0, v31
	v_mov_b32_e32 v28, v29
	s_bcnt1_i32_b32 s10, vcc_lo
	v_cmp_ne_u32_e64 s9, 0, v32
	s_bcnt1_i32_b32 s7, s7
	s_bcnt1_i32_b32 s8, s8
	v_add_nc_u32_e32 v1, s10, v1
	v_add_nc_u32_e32 v2, s7, v2
	s_bcnt1_i32_b32 s9, s9
	v_add_nc_u32_e32 v3, s8, v3
	v_add_nc_u32_e32 v4, s9, v4
	s_and_not1_b32 exec_lo, exec_lo, s12
	s_cbranch_execz .LBB123_73
.LBB123_71:                             ;   Parent Loop BB123_30 Depth=1
                                        ; =>  This Inner Loop Header: Depth=2
	s_delay_alu instid0(VALU_DEP_1) | instskip(SKIP_1) | instid1(VALU_DEP_1)
	v_dual_mov_b32 v29, 0 :: v_dual_add_nc_u32 v14, s31, v14
	s_mov_b32 s8, exec_lo
	v_cmp_le_u32_e32 vcc_lo, s28, v14
	v_cmpx_gt_u32_e64 s28, v14
	s_cbranch_execz .LBB123_70
; %bb.72:                               ;   in Loop: Header=BB123_71 Depth=2
	v_lshlrev_b64 v[29:30], 2, v[6:7]
	s_delay_alu instid0(VALU_DEP_1) | instskip(NEXT) | instid1(VALU_DEP_1)
	v_add_co_u32 v29, s7, s43, v29
	v_add_co_ci_u32_e64 v30, s7, s44, v30, s7
	global_load_b32 v29, v[29:30], off
	s_branch .LBB123_70
.LBB123_73:                             ;   in Loop: Header=BB123_30 Depth=1
	s_or_b32 exec_lo, exec_lo, s12
.LBB123_74:                             ;   in Loop: Header=BB123_30 Depth=1
	s_delay_alu instid0(SALU_CYCLE_1)
	s_or_b32 exec_lo, exec_lo, s11
	s_branch .LBB123_84
.LBB123_75:                             ;   in Loop: Header=BB123_30 Depth=1
	s_mul_hi_u32 s7, s73, s56
	v_dual_mov_b32 v1, 0 :: v_dual_mov_b32 v2, 0
	s_mul_i32 s7, s7, s47
	v_dual_mov_b32 v3, 0 :: v_dual_mov_b32 v4, 0
	s_sub_i32 s7, s73, s7
	s_mov_b32 s76, 0
	s_sub_i32 s8, s7, s47
	s_cmp_ge_u32 s7, s47
	s_mov_b32 s75, exec_lo
	s_cselect_b32 s7, s8, s7
	s_delay_alu instid0(SALU_CYCLE_1) | instskip(SKIP_2) | instid1(SALU_CYCLE_1)
	s_sub_i32 s8, s7, s47
	s_cmp_ge_u32 s7, s47
	s_cselect_b32 s7, s8, s7
	s_sub_i32 s74, s73, s7
	s_delay_alu instid0(SALU_CYCLE_1)
	v_cmpx_gt_u32_e64 s74, v17
	s_cbranch_execz .LBB123_79
; %bb.76:                               ;   in Loop: Header=BB123_30 Depth=1
	v_mov_b32_e32 v6, v26
	v_mov_b32_e32 v14, v17
	s_and_b32 s77, s65, 0xfe
	s_mov_b32 s78, 0
	s_mov_b32 s79, 0
	;; [unrolled: 1-line block ×4, first 2 shown]
.LBB123_77:                             ;   Parent Loop BB123_30 Depth=1
                                        ; =>  This Inner Loop Header: Depth=2
	ds_load_b128 v[1:4], v6
	s_waitcnt lgkmcnt(0)
	v_cmp_lt_i32_e64 s7, -1, v1
	v_cmp_o_f32_e64 s10, v1, v1
	v_cmp_o_f32_e64 s8, v3, v3
	;; [unrolled: 1-line block ×3, first 2 shown]
	s_waitcnt vmcnt(0)
	v_cndmask_b32_e64 v28, -1, 0x80000000, s7
	v_cmp_lt_i32_e64 s7, -1, v2
	s_delay_alu instid0(VALU_DEP_2) | instskip(NEXT) | instid1(VALU_DEP_2)
	v_xor_b32_e32 v28, v28, v1
	v_cndmask_b32_e64 v29, -1, 0x80000000, s7
	v_cmp_lt_i32_e64 s7, -1, v3
	s_delay_alu instid0(VALU_DEP_3) | instskip(NEXT) | instid1(VALU_DEP_3)
	v_cndmask_b32_e64 v1, -1, v28, s10
	v_xor_b32_e32 v29, v29, v2
	s_delay_alu instid0(VALU_DEP_3) | instskip(SKIP_1) | instid1(VALU_DEP_4)
	v_cndmask_b32_e64 v30, -1, 0x80000000, s7
	v_cmp_lt_i32_e64 s7, -1, v4
	v_and_b32_e32 v28, s71, v1
	v_bfe_u32 v1, v1, s77, 2
	s_delay_alu instid0(VALU_DEP_3) | instskip(SKIP_2) | instid1(VALU_DEP_4)
	v_cndmask_b32_e64 v31, -1, 0x80000000, s7
	v_cmp_o_f32_e64 s7, v2, v2
	v_xor_b32_e32 v2, v30, v3
	v_cmp_eq_u32_e64 s11, 0, v1
	v_cmp_eq_u32_e64 s15, 1, v1
	v_xor_b32_e32 v3, v31, v4
	v_cndmask_b32_e64 v4, -1, v29, s7
	v_cndmask_b32_e64 v2, -1, v2, s8
	v_cmp_eq_u32_e64 s7, s70, v28
	v_cmp_eq_u32_e64 s19, 2, v1
	v_cndmask_b32_e64 v3, -1, v3, s9
	v_and_b32_e32 v29, s71, v4
	v_bfe_u32 v4, v4, s77, 2
	v_and_b32_e32 v30, s71, v2
	v_bfe_u32 v2, v2, s77, 2
	;; [unrolled: 2-line block ×3, first 2 shown]
	v_cmp_eq_u32_e64 s8, s70, v29
	v_cmp_eq_u32_e64 s12, 0, v4
	;; [unrolled: 1-line block ×4, first 2 shown]
	s_and_b32 s11, s7, s11
	v_cmp_eq_u32_e64 s10, s70, v31
	v_cmp_eq_u32_e64 s14, 0, v3
	;; [unrolled: 1-line block ×3, first 2 shown]
	v_cndmask_b32_e64 v1, 0, 1, s11
	s_and_b32 s11, s8, s12
	v_cmp_eq_u32_e64 s17, 1, v2
	v_cmp_eq_u32_e64 s21, 2, v2
	v_cmp_eq_u32_e64 s25, 3, v2
	v_cndmask_b32_e64 v2, 0, 1, s11
	s_and_b32 s11, s9, s13
	v_cmp_eq_u32_e64 s16, 1, v4
	v_cmp_eq_u32_e64 s18, 1, v3
	v_cmp_eq_u32_e64 s22, 2, v3
	v_cmp_eq_u32_e64 s26, 3, v3
	v_cndmask_b32_e64 v3, 0, 1, s11
	s_and_b32 s11, s10, s14
	v_cmp_eq_u32_e64 s20, 2, v4
	v_cmp_eq_u32_e64 s24, 3, v4
	v_cndmask_b32_e64 v4, 0, 1, s11
	s_and_b32 s11, s7, s15
	s_delay_alu instid0(SALU_CYCLE_1) | instskip(SKIP_1) | instid1(SALU_CYCLE_1)
	v_cndmask_b32_e64 v28, 0, 1, s11
	s_and_b32 s11, s8, s16
	v_cndmask_b32_e64 v29, 0, 1, s11
	s_and_b32 s11, s9, s17
	s_delay_alu instid0(SALU_CYCLE_1) | instskip(SKIP_1) | instid1(VALU_DEP_2)
	v_cndmask_b32_e64 v30, 0, 1, s11
	s_and_b32 s11, s10, s18
	v_cmp_ne_u32_e64 s12, 0, v29
	v_cndmask_b32_e64 v31, 0, 1, s11
	s_and_b32 s11, s7, s19
	s_and_b32 s7, s7, s23
	v_cndmask_b32_e64 v32, 0, 1, s11
	v_cndmask_b32_e64 v36, 0, 1, s7
	s_and_b32 s7, s8, s24
	s_and_b32 s11, s8, s20
	v_cndmask_b32_e64 v37, 0, 1, s7
	s_and_b32 s7, s9, s25
	v_cndmask_b32_e64 v33, 0, 1, s11
	v_cndmask_b32_e64 v38, 0, 1, s7
	s_and_b32 s7, s10, s26
	s_and_b32 s11, s9, s21
	v_cndmask_b32_e64 v39, 0, 1, s7
	v_cmp_ne_u32_e64 s7, 0, v1
	v_cmp_ne_u32_e64 s8, 0, v2
	v_cndmask_b32_e64 v34, 0, 1, s11
	s_and_b32 s11, s10, s22
	v_cmp_ne_u32_e64 s9, 0, v3
	v_cndmask_b32_e64 v35, 0, 1, s11
	v_cmp_ne_u32_e64 s11, 0, v28
	v_cmp_ne_u32_e64 s15, 0, v32
	;; [unrolled: 1-line block ×3, first 2 shown]
	s_bcnt1_i32_b32 s7, s7
	v_cmp_ne_u32_e64 s10, 0, v4
	v_cmp_ne_u32_e64 s16, 0, v33
	;; [unrolled: 1-line block ×3, first 2 shown]
	s_bcnt1_i32_b32 s8, s8
	s_add_i32 s7, s7, s81
	v_cmp_ne_u32_e64 s13, 0, v30
	v_cmp_ne_u32_e64 s17, 0, v34
	;; [unrolled: 1-line block ×3, first 2 shown]
	s_bcnt1_i32_b32 s9, s9
	s_add_i32 s7, s7, s8
	s_bcnt1_i32_b32 s11, s11
	s_bcnt1_i32_b32 s15, s15
	;; [unrolled: 1-line block ×3, first 2 shown]
	v_cmp_ne_u32_e64 s14, 0, v31
	v_cmp_ne_u32_e64 s18, 0, v35
	v_cmp_ne_u32_e64 s22, 0, v39
	s_bcnt1_i32_b32 s10, s10
	s_add_i32 s7, s7, s9
	s_bcnt1_i32_b32 s12, s12
	s_bcnt1_i32_b32 s16, s16
	;; [unrolled: 1-line block ×3, first 2 shown]
	s_add_i32 s11, s11, s80
	s_add_i32 s15, s15, s79
	;; [unrolled: 1-line block ×4, first 2 shown]
	s_delay_alu instid0(SALU_CYCLE_1)
	v_dual_mov_b32 v1, s81 :: v_dual_add_nc_u32 v14, s47, v14
	s_bcnt1_i32_b32 s13, s13
	s_bcnt1_i32_b32 s17, s17
	;; [unrolled: 1-line block ×3, first 2 shown]
	s_add_i32 s8, s11, s12
	s_add_i32 s11, s15, s16
	;; [unrolled: 1-line block ×3, first 2 shown]
	s_bcnt1_i32_b32 s14, s14
	s_bcnt1_i32_b32 s18, s18
	;; [unrolled: 1-line block ×3, first 2 shown]
	s_add_i32 s8, s8, s13
	s_add_i32 s9, s11, s17
	;; [unrolled: 1-line block ×3, first 2 shown]
	v_cmp_le_u32_e32 vcc_lo, s74, v14
	s_add_i32 s80, s8, s14
	s_add_i32 s79, s9, s18
	;; [unrolled: 1-line block ×3, first 2 shown]
	v_dual_mov_b32 v3, s79 :: v_dual_add_nc_u32 v6, s61, v6
	v_mov_b32_e32 v2, s80
	v_mov_b32_e32 v4, s78
	s_or_b32 s76, vcc_lo, s76
	s_delay_alu instid0(SALU_CYCLE_1)
	s_and_not1_b32 exec_lo, exec_lo, s76
	s_cbranch_execnz .LBB123_77
; %bb.78:                               ;   in Loop: Header=BB123_30 Depth=1
	s_or_b32 exec_lo, exec_lo, s76
.LBB123_79:                             ;   in Loop: Header=BB123_30 Depth=1
	s_delay_alu instid0(SALU_CYCLE_1) | instskip(SKIP_2) | instid1(VALU_DEP_1)
	s_or_b32 exec_lo, exec_lo, s75
	v_add_nc_u32_e32 v6, s74, v0
	s_mov_b32 s12, exec_lo
	v_cmpx_gt_u32_e64 s73, v6
	s_cbranch_execz .LBB123_83
; %bb.80:                               ;   in Loop: Header=BB123_30 Depth=1
	v_lshlrev_b32_e32 v14, 2, v6
	s_and_b32 s14, s65, 0xfe
	s_mov_b32 s13, 0
.LBB123_81:                             ;   Parent Loop BB123_30 Depth=1
                                        ; =>  This Inner Loop Header: Depth=2
	s_waitcnt vmcnt(0)
	ds_load_b32 v28, v14
	v_add_nc_u32_e32 v6, s31, v6
	v_add_nc_u32_e32 v14, s47, v14
	s_delay_alu instid0(VALU_DEP_2) | instskip(SKIP_2) | instid1(VALU_DEP_1)
	v_cmp_le_u32_e32 vcc_lo, s73, v6
	s_waitcnt lgkmcnt(0)
	v_cmp_lt_i32_e64 s7, -1, v28
	v_cndmask_b32_e64 v29, -1, 0x80000000, s7
	v_cmp_o_f32_e64 s7, v28, v28
	s_delay_alu instid0(VALU_DEP_2) | instskip(NEXT) | instid1(VALU_DEP_1)
	v_xor_b32_e32 v29, v29, v28
	v_cndmask_b32_e64 v28, -1, v29, s7
	s_delay_alu instid0(VALU_DEP_1) | instskip(SKIP_1) | instid1(VALU_DEP_2)
	v_and_b32_e32 v29, s71, v28
	v_bfe_u32 v28, v28, s14, 2
	v_cmp_eq_u32_e64 s7, s70, v29
	s_delay_alu instid0(VALU_DEP_2) | instskip(SKIP_3) | instid1(VALU_DEP_4)
	v_cmp_eq_u32_e64 s8, 0, v28
	v_cmp_eq_u32_e64 s9, 1, v28
	;; [unrolled: 1-line block ×4, first 2 shown]
	s_and_b32 s8, s7, s8
	s_delay_alu instid0(SALU_CYCLE_1) | instskip(SKIP_1) | instid1(SALU_CYCLE_1)
	v_cndmask_b32_e64 v28, 0, 1, s8
	s_and_b32 s8, s7, s9
	v_cndmask_b32_e64 v29, 0, 1, s8
	s_and_b32 s8, s7, s10
	s_and_b32 s7, s7, s11
	v_cndmask_b32_e64 v30, 0, 1, s8
	v_cndmask_b32_e64 v31, 0, 1, s7
	v_cmp_ne_u32_e64 s7, 0, v28
	v_cmp_ne_u32_e64 s8, 0, v29
	s_delay_alu instid0(VALU_DEP_4) | instskip(NEXT) | instid1(VALU_DEP_4)
	v_cmp_ne_u32_e64 s9, 0, v30
	v_cmp_ne_u32_e64 s10, 0, v31
	s_delay_alu instid0(VALU_DEP_4) | instskip(NEXT) | instid1(VALU_DEP_3)
	s_bcnt1_i32_b32 s7, s7
	s_bcnt1_i32_b32 s8, s8
	v_add_nc_u32_e32 v1, s7, v1
	s_bcnt1_i32_b32 s9, s9
	s_bcnt1_i32_b32 s10, s10
	v_add_nc_u32_e32 v2, s8, v2
	v_add_nc_u32_e32 v3, s9, v3
	;; [unrolled: 1-line block ×3, first 2 shown]
	s_or_b32 s13, vcc_lo, s13
	s_delay_alu instid0(SALU_CYCLE_1)
	s_and_not1_b32 exec_lo, exec_lo, s13
	s_cbranch_execnz .LBB123_81
; %bb.82:                               ;   in Loop: Header=BB123_30 Depth=1
	s_or_b32 exec_lo, exec_lo, s13
.LBB123_83:                             ;   in Loop: Header=BB123_30 Depth=1
	s_delay_alu instid0(SALU_CYCLE_1)
	s_or_b32 exec_lo, exec_lo, s12
.LBB123_84:                             ;   in Loop: Header=BB123_30 Depth=1
	s_lshl_b32 s7, s68, 7
	s_and_saveexec_b32 s8, s3
	s_cbranch_execz .LBB123_86
; %bb.85:                               ;   in Loop: Header=BB123_30 Depth=1
	v_or_b32_e32 v6, s7, v19
	s_delay_alu instid0(VALU_DEP_1)
	v_lshlrev_b32_e32 v6, 2, v6
	ds_store_b128 v6, v[1:4] offset:3072
.LBB123_86:                             ;   in Loop: Header=BB123_30 Depth=1
	s_or_b32 exec_lo, exec_lo, s8
	s_waitcnt vmcnt(0) lgkmcnt(0)
	s_barrier
	buffer_gl0_inv
	s_and_saveexec_b32 s8, s48
	s_cbranch_execz .LBB123_96
; %bb.87:                               ;   in Loop: Header=BB123_30 Depth=1
	v_mov_b32_e32 v1, 0
	s_and_not1_b32 vcc_lo, exec_lo, s51
	s_cbranch_vccnz .LBB123_95
; %bb.88:                               ;   in Loop: Header=BB123_30 Depth=1
	v_mov_b32_e32 v1, 0
	s_and_not1_b32 vcc_lo, exec_lo, s53
	s_mov_b32 s9, 0
	s_cbranch_vccnz .LBB123_92
; %bb.89:                               ;   in Loop: Header=BB123_30 Depth=1
	v_lshl_add_u32 v2, s68, 9, v27
	v_mov_b32_e32 v1, 0
	.p2align	6
.LBB123_90:                             ;   Parent Loop BB123_30 Depth=1
                                        ; =>  This Inner Loop Header: Depth=2
	ds_load_2addr_b32 v[3:4], v2 offset1:4
	ds_load_2addr_b32 v[28:29], v2 offset0:8 offset1:12
	ds_load_2addr_b32 v[30:31], v2 offset0:16 offset1:20
	;; [unrolled: 1-line block ×3, first 2 shown]
	v_add_nc_u32_e32 v2, 0x80, v2
	s_add_i32 s9, s9, 8
	s_delay_alu instid0(SALU_CYCLE_1) | instskip(SKIP_3) | instid1(VALU_DEP_1)
	s_cmp_eq_u32 s54, s9
	s_waitcnt lgkmcnt(3)
	v_add3_u32 v1, v3, v1, v4
	s_waitcnt lgkmcnt(2)
	v_add3_u32 v1, v28, v1, v29
	s_waitcnt lgkmcnt(1)
	s_delay_alu instid0(VALU_DEP_1) | instskip(SKIP_1) | instid1(VALU_DEP_1)
	v_add3_u32 v1, v30, v1, v31
	s_waitcnt lgkmcnt(0)
	v_add3_u32 v1, v32, v1, v33
	s_cbranch_scc0 .LBB123_90
; %bb.91:                               ;   in Loop: Header=BB123_30 Depth=1
	s_mov_b32 s9, s54
.LBB123_92:                             ;   in Loop: Header=BB123_30 Depth=1
	s_and_not1_b32 vcc_lo, exec_lo, s55
	s_cbranch_vccnz .LBB123_95
; %bb.93:                               ;   in Loop: Header=BB123_30 Depth=1
	s_lshl_b32 s10, s68, 9
	s_lshl_b32 s9, s9, 4
	s_delay_alu instid0(SALU_CYCLE_1)
	v_add3_u32 v2, s10, s9, v27
	s_mov_b32 s9, s52
.LBB123_94:                             ;   Parent Loop BB123_30 Depth=1
                                        ; =>  This Inner Loop Header: Depth=2
	ds_load_b32 v3, v2
	v_add_nc_u32_e32 v2, 16, v2
	s_add_i32 s9, s9, -1
	s_delay_alu instid0(SALU_CYCLE_1)
	s_cmp_lg_u32 s9, 0
	s_waitcnt lgkmcnt(0)
	v_add_nc_u32_e32 v1, v3, v1
	s_cbranch_scc1 .LBB123_94
.LBB123_95:                             ;   in Loop: Header=BB123_30 Depth=1
	v_add_lshl_u32 v2, s7, v16, 2
	ds_store_b32 v2, v1 offset:3072
.LBB123_96:                             ;   in Loop: Header=BB123_30 Depth=1
	s_or_b32 exec_lo, exec_lo, s8
	s_lshl_b32 s7, s7, 2
	s_waitcnt lgkmcnt(0)
	v_mov_b32_e32 v1, s7
	s_barrier
	buffer_gl0_inv
	s_and_b32 s16, s65, 0xfe
	s_mov_b32 s12, -1
	ds_load_b128 v[1:4], v1 offset:3072
	s_lshl_b32 s9, 3, s16
	s_delay_alu instid0(SALU_CYCLE_1) | instskip(SKIP_4) | instid1(VALU_DEP_3)
	s_not_b32 s17, s9
	s_waitcnt lgkmcnt(0)
	v_readfirstlane_b32 s11, v1
	v_readfirstlane_b32 s19, v2
	;; [unrolled: 1-line block ×3, first 2 shown]
	s_cmp_eq_u32 s11, 1
	s_cselect_b32 s7, -1, 0
	s_cmp_eq_u32 s72, 1
	s_cselect_b32 s8, -1, 0
	s_delay_alu instid0(SALU_CYCLE_1)
	s_and_b32 s13, s7, s8
	v_readfirstlane_b32 s8, v4
	s_and_b32 vcc_lo, exec_lo, s13
	s_cbranch_vccz .LBB123_108
; %bb.97:                               ;   in Loop: Header=BB123_30 Depth=1
	ds_load_b32 v1, v7 offset:4104
	s_waitcnt lgkmcnt(0)
	s_barrier
	buffer_gl0_inv
	v_readfirstlane_b32 s10, v1
	s_and_saveexec_b32 s7, s2
	s_cbranch_execz .LBB123_99
; %bb.98:                               ;   in Loop: Header=BB123_30 Depth=1
	ds_store_b32 v18, v7
.LBB123_99:                             ;   in Loop: Header=BB123_30 Depth=1
	s_or_b32 exec_lo, exec_lo, s7
	s_and_b32 s70, s70, s17
	s_or_b32 s71, s71, s9
	s_cmp_eq_u32 s10, 0
	s_waitcnt lgkmcnt(0)
	s_barrier
	buffer_gl0_inv
	s_cbranch_scc1 .LBB123_109
; %bb.100:                              ;   in Loop: Header=BB123_30 Depth=1
	s_add_i32 s7, s10, s49
                                        ; implicit-def: $vgpr15
	s_delay_alu instid0(SALU_CYCLE_1) | instskip(NEXT) | instid1(SALU_CYCLE_1)
	s_mul_hi_u32 s15, s7, s58
	s_mul_i32 s15, s15, s31
	s_delay_alu instid0(SALU_CYCLE_1) | instskip(NEXT) | instid1(SALU_CYCLE_1)
	s_sub_i32 s15, s7, s15
	s_sub_i32 s18, s15, s31
	s_cmp_ge_u32 s15, s31
	s_cselect_b32 s15, s18, s15
	s_delay_alu instid0(SALU_CYCLE_1) | instskip(SKIP_2) | instid1(SALU_CYCLE_1)
	s_sub_i32 s18, s15, s31
	s_cmp_ge_u32 s15, s31
	s_cselect_b32 s15, s18, s15
	s_sub_i32 s18, s7, s15
	s_mov_b32 s7, 0
	s_mov_b32 s15, exec_lo
	v_cmpx_gt_u32_e64 s18, v0
	s_cbranch_execz .LBB123_111
; %bb.101:                              ;   in Loop: Header=BB123_30 Depth=1
	v_dual_mov_b32 v1, v17 :: v_dual_mov_b32 v2, v0
	s_mov_b32 s20, 0
                                        ; implicit-def: $sgpr21
	s_set_inst_prefetch_distance 0x1
	s_branch .LBB123_103
	.p2align	6
.LBB123_102:                            ;   in Loop: Header=BB123_103 Depth=2
	s_or_b32 exec_lo, exec_lo, s7
	s_waitcnt lgkmcnt(0)
	s_barrier
	buffer_gl0_inv
	ds_load_b64 v[14:15], v7 offset:3072
	v_add_nc_u32_e32 v2, s31, v2
	v_add_nc_u32_e32 v1, s47, v1
	s_waitcnt lgkmcnt(0)
	s_barrier
	buffer_gl0_inv
	v_cmp_le_u32_e32 vcc_lo, s18, v2
	v_cmp_neq_f32_e64 s7, 0, v14
	s_delay_alu instid0(VALU_DEP_1) | instskip(NEXT) | instid1(SALU_CYCLE_1)
	s_or_b32 s22, vcc_lo, s7
	s_and_b32 s22, exec_lo, s22
	s_delay_alu instid0(SALU_CYCLE_1) | instskip(SKIP_2) | instid1(SALU_CYCLE_1)
	s_or_b32 s20, s22, s20
	s_and_not1_b32 s21, s21, exec_lo
	s_and_b32 s7, s7, exec_lo
	s_or_b32 s21, s21, s7
	s_and_not1_b32 exec_lo, exec_lo, s20
	s_cbranch_execz .LBB123_110
.LBB123_103:                            ;   Parent Loop BB123_30 Depth=1
                                        ; =>  This Inner Loop Header: Depth=2
	s_delay_alu instid0(VALU_DEP_1)
	v_cmp_gt_u32_e32 vcc_lo, s10, v2
	v_mov_b32_e32 v14, 0
	s_and_saveexec_b32 s7, vcc_lo
	s_cbranch_execz .LBB123_105
; %bb.104:                              ;   in Loop: Header=BB123_103 Depth=2
	ds_load_b32 v14, v1
.LBB123_105:                            ;   in Loop: Header=BB123_103 Depth=2
	s_or_b32 exec_lo, exec_lo, s7
	s_and_saveexec_b32 s7, vcc_lo
	s_cbranch_execz .LBB123_102
; %bb.106:                              ;   in Loop: Header=BB123_103 Depth=2
	s_waitcnt lgkmcnt(0)
	v_cmp_lt_i32_e32 vcc_lo, -1, v14
	v_cndmask_b32_e64 v3, -1, 0x80000000, vcc_lo
	v_cmp_o_f32_e32 vcc_lo, v14, v14
	s_delay_alu instid0(VALU_DEP_2) | instskip(NEXT) | instid1(VALU_DEP_1)
	v_xor_b32_e32 v3, v3, v14
	v_cndmask_b32_e32 v3, -1, v3, vcc_lo
	s_delay_alu instid0(VALU_DEP_1) | instskip(NEXT) | instid1(VALU_DEP_1)
	v_and_b32_e32 v3, s71, v3
	v_cmp_eq_u32_e32 vcc_lo, s70, v3
	s_and_b32 exec_lo, exec_lo, vcc_lo
	s_cbranch_execz .LBB123_102
; %bb.107:                              ;   in Loop: Header=BB123_103 Depth=2
	ds_store_b64 v7, v[13:14] offset:3072
	s_branch .LBB123_102
.LBB123_108:                            ;   in Loop: Header=BB123_30 Depth=1
	s_mov_b32 s7, -1
                                        ; implicit-def: $sgpr10
                                        ; implicit-def: $sgpr18
                                        ; implicit-def: $sgpr15
	s_branch .LBB123_122
.LBB123_109:                            ;   in Loop: Header=BB123_30 Depth=1
	s_mov_b32 s10, -1
	s_mov_b32 s7, 0
                                        ; implicit-def: $sgpr15
                                        ; implicit-def: $vgpr15
	s_mov_b32 s18, s10
	s_cbranch_execnz .LBB123_112
	s_branch .LBB123_122
.LBB123_110:                            ;   in Loop: Header=BB123_30 Depth=1
	s_set_inst_prefetch_distance 0x2
	s_or_b32 exec_lo, exec_lo, s20
	s_delay_alu instid0(SALU_CYCLE_1)
	s_and_b32 s7, s21, exec_lo
.LBB123_111:                            ;   in Loop: Header=BB123_30 Depth=1
	s_or_b32 exec_lo, exec_lo, s15
	s_mov_b32 s15, -1
	s_mov_b32 s10, 0
	s_delay_alu instid0(SALU_CYCLE_1)
	s_mov_b32 s18, s10
	s_branch .LBB123_122
.LBB123_112:                            ;   in Loop: Header=BB123_30 Depth=1
	s_mov_b32 s7, 0
                                        ; implicit-def: $vgpr15
	s_and_saveexec_b32 s10, s6
	s_cbranch_execz .LBB123_121
; %bb.113:                              ;   in Loop: Header=BB123_30 Depth=1
	v_dual_mov_b32 v6, v5 :: v_dual_mov_b32 v1, v0
	s_mov_b32 s15, 0
                                        ; implicit-def: $sgpr18
	s_set_inst_prefetch_distance 0x1
	s_branch .LBB123_115
	.p2align	6
.LBB123_114:                            ;   in Loop: Header=BB123_115 Depth=2
	s_or_b32 exec_lo, exec_lo, s7
	s_waitcnt vmcnt(0) lgkmcnt(0)
	s_barrier
	buffer_gl0_inv
	ds_load_b64 v[14:15], v7 offset:3072
	v_add_nc_u32_e32 v1, s31, v1
	v_add_nc_u32_e32 v6, s46, v6
	s_waitcnt lgkmcnt(0)
	s_barrier
	buffer_gl0_inv
	v_cmp_le_u32_e32 vcc_lo, s60, v1
	v_cmp_neq_f32_e64 s7, 0, v14
	s_delay_alu instid0(VALU_DEP_1) | instskip(NEXT) | instid1(SALU_CYCLE_1)
	s_or_b32 s20, vcc_lo, s7
	s_and_b32 s20, exec_lo, s20
	s_delay_alu instid0(SALU_CYCLE_1) | instskip(SKIP_2) | instid1(SALU_CYCLE_1)
	s_or_b32 s15, s20, s15
	s_and_not1_b32 s18, s18, exec_lo
	s_and_b32 s7, s7, exec_lo
	s_or_b32 s18, s18, s7
	s_and_not1_b32 exec_lo, exec_lo, s15
	s_cbranch_execz .LBB123_120
.LBB123_115:                            ;   Parent Loop BB123_30 Depth=1
                                        ; =>  This Inner Loop Header: Depth=2
	s_delay_alu instid0(VALU_DEP_1)
	v_cmp_gt_u32_e32 vcc_lo, s28, v1
	v_mov_b32_e32 v14, 0
	s_and_saveexec_b32 s20, vcc_lo
	s_cbranch_execz .LBB123_117
; %bb.116:                              ;   in Loop: Header=BB123_115 Depth=2
	v_lshlrev_b64 v[2:3], 2, v[6:7]
	s_delay_alu instid0(VALU_DEP_1) | instskip(NEXT) | instid1(VALU_DEP_1)
	v_add_co_u32 v2, s7, s43, v2
	v_add_co_ci_u32_e64 v3, s7, s44, v3, s7
	global_load_b32 v14, v[2:3], off
.LBB123_117:                            ;   in Loop: Header=BB123_115 Depth=2
	s_or_b32 exec_lo, exec_lo, s20
	s_and_saveexec_b32 s7, vcc_lo
	s_cbranch_execz .LBB123_114
; %bb.118:                              ;   in Loop: Header=BB123_115 Depth=2
	s_waitcnt vmcnt(0)
	v_cmp_lt_i32_e32 vcc_lo, -1, v14
	v_cndmask_b32_e64 v2, -1, 0x80000000, vcc_lo
	v_cmp_o_f32_e32 vcc_lo, v14, v14
	s_delay_alu instid0(VALU_DEP_2) | instskip(NEXT) | instid1(VALU_DEP_1)
	v_xor_b32_e32 v2, v2, v14
	v_cndmask_b32_e32 v2, -1, v2, vcc_lo
	s_delay_alu instid0(VALU_DEP_1) | instskip(NEXT) | instid1(VALU_DEP_1)
	v_and_b32_e32 v2, s71, v2
	v_cmp_eq_u32_e32 vcc_lo, s70, v2
	s_and_b32 exec_lo, exec_lo, vcc_lo
	s_cbranch_execz .LBB123_114
; %bb.119:                              ;   in Loop: Header=BB123_115 Depth=2
	ds_store_b64 v7, v[13:14] offset:3072
	s_branch .LBB123_114
.LBB123_120:                            ;   in Loop: Header=BB123_30 Depth=1
	s_set_inst_prefetch_distance 0x2
	s_or_b32 exec_lo, exec_lo, s15
	s_delay_alu instid0(SALU_CYCLE_1)
	s_and_b32 s7, s18, exec_lo
.LBB123_121:                            ;   in Loop: Header=BB123_30 Depth=1
	s_or_b32 exec_lo, exec_lo, s10
	s_mov_b32 s18, -1
	s_mov_b32 s10, 0
	s_mov_b32 s15, 0
.LBB123_122:                            ;   in Loop: Header=BB123_30 Depth=1
	s_and_not1_b32 s20, s66, exec_lo
	s_and_b32 s10, s10, exec_lo
	s_and_b32 s18, s18, exec_lo
	s_or_b32 s66, s20, s10
	s_and_not1_b32 s10, s69, exec_lo
	s_and_not1_b32 s20, s67, exec_lo
	s_and_b32 s15, s15, exec_lo
	s_or_b32 s69, s10, s18
	s_or_b32 s67, s20, s15
	s_and_saveexec_b32 s10, s7
	s_cbranch_execz .LBB123_29
; %bb.123:                              ;   in Loop: Header=BB123_30 Depth=1
	s_xor_b32 s7, s13, -1
	s_mov_b32 s12, 0
	s_and_not1_b32 vcc_lo, exec_lo, s7
	s_mov_b32 s20, 1
	s_cbranch_vccnz .LBB123_134
; %bb.124:                              ;   in Loop: Header=BB123_30 Depth=1
	s_cmp_gt_u32 s72, s11
	s_mov_b32 s12, -1
                                        ; implicit-def: $sgpr7
                                        ; implicit-def: $sgpr13
                                        ; implicit-def: $sgpr15
	s_cbranch_scc1 .LBB123_130
; %bb.125:                              ;   in Loop: Header=BB123_30 Depth=1
	ds_load_b32 v1, v7 offset:4104
	s_waitcnt lgkmcnt(0)
	v_cmp_ne_u32_e32 vcc_lo, 0, v1
	s_cbranch_vccnz .LBB123_129
; %bb.126:                              ;   in Loop: Header=BB123_30 Depth=1
	s_and_saveexec_b32 s7, s1
	s_cbranch_execz .LBB123_128
; %bb.127:                              ;   in Loop: Header=BB123_30 Depth=1
	v_mov_b32_e32 v1, s11
	ds_store_b32 v7, v1 offset:4108
.LBB123_128:                            ;   in Loop: Header=BB123_30 Depth=1
	s_or_b32 exec_lo, exec_lo, s7
	s_waitcnt lgkmcnt(0)
	s_barrier
	buffer_gl0_inv
.LBB123_129:                            ;   in Loop: Header=BB123_30 Depth=1
	s_and_b32 s13, s70, s17
	s_or_b32 s15, s71, s9
	s_mov_b32 s12, 0
	s_mov_b32 s7, 8
.LBB123_130:                            ;   in Loop: Header=BB123_30 Depth=1
	s_and_not1_b32 vcc_lo, exec_lo, s12
	s_cbranch_vccnz .LBB123_132
; %bb.131:                              ;   in Loop: Header=BB123_30 Depth=1
	s_sub_i32 s72, s72, s11
	s_mov_b32 s12, -1
	s_mov_b32 s7, 0
	s_mov_b32 s13, s70
	s_mov_b32 s15, s71
.LBB123_132:                            ;   in Loop: Header=BB123_30 Depth=1
	s_delay_alu instid0(SALU_CYCLE_1)
	s_mov_b32 s71, s15
	s_mov_b32 s70, s13
	;; [unrolled: 1-line block ×3, first 2 shown]
	s_and_b32 vcc_lo, exec_lo, s12
	s_mov_b32 s11, -1
	s_cbranch_vccnz .LBB123_135
.LBB123_133:                            ;   in Loop: Header=BB123_30 Depth=1
	s_mov_b32 s23, -1
                                        ; implicit-def: $sgpr12
                                        ; implicit-def: $sgpr15
                                        ; implicit-def: $sgpr13
                                        ; implicit-def: $sgpr72
	s_delay_alu instid0(SALU_CYCLE_1) | instskip(NEXT) | instid1(SALU_CYCLE_1)
	s_and_saveexec_b32 s8, s23
	s_xor_b32 s8, exec_lo, s8
	s_cbranch_execz .LBB123_28
	s_branch .LBB123_261
.LBB123_134:                            ;   in Loop: Header=BB123_30 Depth=1
	s_mov_b32 s7, 1
	s_and_b32 vcc_lo, exec_lo, s12
	s_mov_b32 s11, -1
	s_cbranch_vccz .LBB123_133
.LBB123_135:                            ;   in Loop: Header=BB123_30 Depth=1
	s_cmp_eq_u32 s19, 1
	s_mov_b32 s22, -1
	s_cselect_b32 s7, -1, 0
	s_cmp_eq_u32 s20, 1
	s_cselect_b32 s12, -1, 0
	s_delay_alu instid0(SALU_CYCLE_1) | instskip(NEXT) | instid1(SALU_CYCLE_1)
	s_and_b32 s21, s7, s12
	s_and_b32 vcc_lo, exec_lo, s21
	s_cbranch_vccz .LBB123_147
; %bb.136:                              ;   in Loop: Header=BB123_30 Depth=1
	ds_load_b32 v1, v7 offset:4104
	s_waitcnt lgkmcnt(0)
	s_barrier
	buffer_gl0_inv
	v_readfirstlane_b32 s12, v1
	s_and_saveexec_b32 s7, s2
	s_cbranch_execz .LBB123_138
; %bb.137:                              ;   in Loop: Header=BB123_30 Depth=1
	ds_store_b32 v18, v7
.LBB123_138:                            ;   in Loop: Header=BB123_30 Depth=1
	s_or_b32 exec_lo, exec_lo, s7
	s_lshl_b32 s7, 1, s16
	s_and_b32 s13, s70, s17
	s_or_b32 s71, s71, s9
	s_or_b32 s70, s13, s7
	s_cmp_eq_u32 s12, 0
	s_waitcnt lgkmcnt(0)
	s_barrier
	buffer_gl0_inv
	s_cbranch_scc1 .LBB123_151
; %bb.139:                              ;   in Loop: Header=BB123_30 Depth=1
	s_add_i32 s7, s12, s49
	s_mov_b32 s22, 0
	s_mul_hi_u32 s13, s7, s58
                                        ; implicit-def: $vgpr15
	s_delay_alu instid0(SALU_CYCLE_1) | instskip(NEXT) | instid1(SALU_CYCLE_1)
	s_mul_i32 s13, s13, s31
	s_sub_i32 s13, s7, s13
	s_delay_alu instid0(SALU_CYCLE_1) | instskip(SKIP_2) | instid1(SALU_CYCLE_1)
	s_sub_i32 s15, s13, s31
	s_cmp_ge_u32 s13, s31
	s_cselect_b32 s13, s15, s13
	s_sub_i32 s15, s13, s31
	s_cmp_ge_u32 s13, s31
	s_cselect_b32 s13, s15, s13
	s_delay_alu instid0(SALU_CYCLE_1)
	s_sub_i32 s15, s7, s13
	s_mov_b32 s13, exec_lo
	v_cmpx_gt_u32_e64 s15, v0
	s_cbranch_execz .LBB123_153
; %bb.140:                              ;   in Loop: Header=BB123_30 Depth=1
	v_dual_mov_b32 v1, v17 :: v_dual_mov_b32 v2, v0
	s_mov_b32 s18, 0
                                        ; implicit-def: $sgpr22
	s_set_inst_prefetch_distance 0x1
	s_branch .LBB123_142
	.p2align	6
.LBB123_141:                            ;   in Loop: Header=BB123_142 Depth=2
	s_or_b32 exec_lo, exec_lo, s7
	s_waitcnt lgkmcnt(0)
	s_barrier
	buffer_gl0_inv
	ds_load_b64 v[14:15], v7 offset:3072
	v_add_nc_u32_e32 v2, s31, v2
	v_add_nc_u32_e32 v1, s47, v1
	s_waitcnt lgkmcnt(0)
	s_barrier
	buffer_gl0_inv
	v_cmp_le_u32_e32 vcc_lo, s15, v2
	v_cmp_neq_f32_e64 s7, 0, v14
	s_delay_alu instid0(VALU_DEP_1) | instskip(NEXT) | instid1(SALU_CYCLE_1)
	s_or_b32 s23, vcc_lo, s7
	s_and_b32 s23, exec_lo, s23
	s_delay_alu instid0(SALU_CYCLE_1) | instskip(SKIP_2) | instid1(SALU_CYCLE_1)
	s_or_b32 s18, s23, s18
	s_and_not1_b32 s22, s22, exec_lo
	s_and_b32 s7, s7, exec_lo
	s_or_b32 s22, s22, s7
	s_and_not1_b32 exec_lo, exec_lo, s18
	s_cbranch_execz .LBB123_152
.LBB123_142:                            ;   Parent Loop BB123_30 Depth=1
                                        ; =>  This Inner Loop Header: Depth=2
	s_delay_alu instid0(VALU_DEP_1)
	v_cmp_gt_u32_e32 vcc_lo, s12, v2
	v_mov_b32_e32 v14, 0
	s_and_saveexec_b32 s7, vcc_lo
	s_cbranch_execz .LBB123_144
; %bb.143:                              ;   in Loop: Header=BB123_142 Depth=2
	ds_load_b32 v14, v1
.LBB123_144:                            ;   in Loop: Header=BB123_142 Depth=2
	s_or_b32 exec_lo, exec_lo, s7
	s_and_saveexec_b32 s7, vcc_lo
	s_cbranch_execz .LBB123_141
; %bb.145:                              ;   in Loop: Header=BB123_142 Depth=2
	s_waitcnt lgkmcnt(0)
	v_cmp_lt_i32_e32 vcc_lo, -1, v14
	v_cndmask_b32_e64 v3, -1, 0x80000000, vcc_lo
	v_cmp_o_f32_e32 vcc_lo, v14, v14
	s_delay_alu instid0(VALU_DEP_2) | instskip(NEXT) | instid1(VALU_DEP_1)
	v_xor_b32_e32 v3, v3, v14
	v_cndmask_b32_e32 v3, -1, v3, vcc_lo
	s_delay_alu instid0(VALU_DEP_1) | instskip(NEXT) | instid1(VALU_DEP_1)
	v_and_b32_e32 v3, s71, v3
	v_cmp_eq_u32_e32 vcc_lo, s70, v3
	s_and_b32 exec_lo, exec_lo, vcc_lo
	s_cbranch_execz .LBB123_141
; %bb.146:                              ;   in Loop: Header=BB123_142 Depth=2
	ds_store_b64 v7, v[13:14] offset:3072
	s_branch .LBB123_141
.LBB123_147:                            ;   in Loop: Header=BB123_30 Depth=1
                                        ; implicit-def: $sgpr13
                                        ; implicit-def: $sgpr15
                                        ; implicit-def: $sgpr12
	s_branch .LBB123_164
.LBB123_148:                            ;   in Loop: Header=BB123_30 Depth=1
	s_or_b32 exec_lo, exec_lo, s9
	s_waitcnt vmcnt(0) lgkmcnt(0)
	s_barrier
	buffer_gl0_inv
	s_and_saveexec_b32 s7, s1
	s_cbranch_execz .LBB123_150
; %bb.149:                              ;   in Loop: Header=BB123_30 Depth=1
	ds_load_b32 v1, v7 offset:4112
	s_waitcnt lgkmcnt(0)
	ds_store_b32 v7, v1 offset:4104
.LBB123_150:                            ;   in Loop: Header=BB123_30 Depth=1
	s_or_b32 exec_lo, exec_lo, s7
	s_waitcnt lgkmcnt(0)
	s_mov_b32 s7, -1
	s_barrier
	s_and_b32 vcc_lo, exec_lo, s73
	s_cbranch_vccnz .LBB123_48
	s_branch .LBB123_58
.LBB123_151:                            ;   in Loop: Header=BB123_30 Depth=1
	s_mov_b32 s13, -1
	s_mov_b32 s22, 0
                                        ; implicit-def: $sgpr12
                                        ; implicit-def: $vgpr15
	s_mov_b32 s15, s13
	s_cbranch_execnz .LBB123_154
	s_branch .LBB123_164
.LBB123_152:                            ;   in Loop: Header=BB123_30 Depth=1
	s_set_inst_prefetch_distance 0x2
	s_or_b32 exec_lo, exec_lo, s18
	s_delay_alu instid0(SALU_CYCLE_1)
	s_and_b32 s22, s22, exec_lo
.LBB123_153:                            ;   in Loop: Header=BB123_30 Depth=1
	s_or_b32 exec_lo, exec_lo, s13
	s_mov_b32 s12, -1
	s_mov_b32 s13, 0
	s_delay_alu instid0(SALU_CYCLE_1)
	s_mov_b32 s15, s13
	s_branch .LBB123_164
.LBB123_154:                            ;   in Loop: Header=BB123_30 Depth=1
	s_mov_b32 s22, 0
                                        ; implicit-def: $vgpr15
	s_and_saveexec_b32 s12, s6
	s_cbranch_execz .LBB123_163
; %bb.155:                              ;   in Loop: Header=BB123_30 Depth=1
	v_dual_mov_b32 v6, v5 :: v_dual_mov_b32 v1, v0
	s_mov_b32 s13, 0
                                        ; implicit-def: $sgpr15
	s_set_inst_prefetch_distance 0x1
	s_branch .LBB123_157
	.p2align	6
.LBB123_156:                            ;   in Loop: Header=BB123_157 Depth=2
	s_or_b32 exec_lo, exec_lo, s7
	s_waitcnt vmcnt(0) lgkmcnt(0)
	s_barrier
	buffer_gl0_inv
	ds_load_b64 v[14:15], v7 offset:3072
	v_add_nc_u32_e32 v1, s31, v1
	v_add_nc_u32_e32 v6, s46, v6
	s_waitcnt lgkmcnt(0)
	s_barrier
	buffer_gl0_inv
	v_cmp_le_u32_e32 vcc_lo, s60, v1
	v_cmp_neq_f32_e64 s7, 0, v14
	s_delay_alu instid0(VALU_DEP_1) | instskip(NEXT) | instid1(SALU_CYCLE_1)
	s_or_b32 s18, vcc_lo, s7
	s_and_b32 s18, exec_lo, s18
	s_delay_alu instid0(SALU_CYCLE_1) | instskip(SKIP_2) | instid1(SALU_CYCLE_1)
	s_or_b32 s13, s18, s13
	s_and_not1_b32 s15, s15, exec_lo
	s_and_b32 s7, s7, exec_lo
	s_or_b32 s15, s15, s7
	s_and_not1_b32 exec_lo, exec_lo, s13
	s_cbranch_execz .LBB123_162
.LBB123_157:                            ;   Parent Loop BB123_30 Depth=1
                                        ; =>  This Inner Loop Header: Depth=2
	s_delay_alu instid0(VALU_DEP_1)
	v_cmp_gt_u32_e32 vcc_lo, s28, v1
	v_mov_b32_e32 v14, 0
	s_and_saveexec_b32 s18, vcc_lo
	s_cbranch_execz .LBB123_159
; %bb.158:                              ;   in Loop: Header=BB123_157 Depth=2
	v_lshlrev_b64 v[2:3], 2, v[6:7]
	s_delay_alu instid0(VALU_DEP_1) | instskip(NEXT) | instid1(VALU_DEP_1)
	v_add_co_u32 v2, s7, s43, v2
	v_add_co_ci_u32_e64 v3, s7, s44, v3, s7
	global_load_b32 v14, v[2:3], off
.LBB123_159:                            ;   in Loop: Header=BB123_157 Depth=2
	s_or_b32 exec_lo, exec_lo, s18
	s_and_saveexec_b32 s7, vcc_lo
	s_cbranch_execz .LBB123_156
; %bb.160:                              ;   in Loop: Header=BB123_157 Depth=2
	s_waitcnt vmcnt(0)
	v_cmp_lt_i32_e32 vcc_lo, -1, v14
	v_cndmask_b32_e64 v2, -1, 0x80000000, vcc_lo
	v_cmp_o_f32_e32 vcc_lo, v14, v14
	s_delay_alu instid0(VALU_DEP_2) | instskip(NEXT) | instid1(VALU_DEP_1)
	v_xor_b32_e32 v2, v2, v14
	v_cndmask_b32_e32 v2, -1, v2, vcc_lo
	s_delay_alu instid0(VALU_DEP_1) | instskip(NEXT) | instid1(VALU_DEP_1)
	v_and_b32_e32 v2, s71, v2
	v_cmp_eq_u32_e32 vcc_lo, s70, v2
	s_and_b32 exec_lo, exec_lo, vcc_lo
	s_cbranch_execz .LBB123_156
; %bb.161:                              ;   in Loop: Header=BB123_157 Depth=2
	ds_store_b64 v7, v[13:14] offset:3072
	s_branch .LBB123_156
.LBB123_162:                            ;   in Loop: Header=BB123_30 Depth=1
	s_set_inst_prefetch_distance 0x2
	s_or_b32 exec_lo, exec_lo, s13
	s_delay_alu instid0(SALU_CYCLE_1)
	s_and_b32 s22, s15, exec_lo
.LBB123_163:                            ;   in Loop: Header=BB123_30 Depth=1
	s_or_b32 exec_lo, exec_lo, s12
	s_mov_b32 s15, -1
	s_mov_b32 s13, 0
	s_mov_b32 s12, 0
.LBB123_164:                            ;   in Loop: Header=BB123_30 Depth=1
	s_mov_b32 s23, 0
                                        ; implicit-def: $sgpr7
	s_and_saveexec_b32 s18, s22
	s_cbranch_execz .LBB123_260
; %bb.165:                              ;   in Loop: Header=BB123_30 Depth=1
	s_xor_b32 s7, s21, -1
	s_mov_b32 s21, 0
	s_and_not1_b32 vcc_lo, exec_lo, s7
	s_mov_b32 s24, 1
	s_cbranch_vccnz .LBB123_176
; %bb.166:                              ;   in Loop: Header=BB123_30 Depth=1
	s_cmp_gt_u32 s20, s19
	s_mov_b32 s21, -1
                                        ; implicit-def: $sgpr7
                                        ; implicit-def: $sgpr22
                                        ; implicit-def: $sgpr23
	s_cbranch_scc1 .LBB123_172
; %bb.167:                              ;   in Loop: Header=BB123_30 Depth=1
	ds_load_b32 v1, v7 offset:4104
	s_waitcnt lgkmcnt(0)
	v_cmp_ne_u32_e32 vcc_lo, 0, v1
	s_cbranch_vccnz .LBB123_171
; %bb.168:                              ;   in Loop: Header=BB123_30 Depth=1
	s_and_saveexec_b32 s7, s1
	s_cbranch_execz .LBB123_170
; %bb.169:                              ;   in Loop: Header=BB123_30 Depth=1
	v_mov_b32_e32 v1, s19
	ds_store_b32 v7, v1 offset:4108
.LBB123_170:                            ;   in Loop: Header=BB123_30 Depth=1
	s_or_b32 exec_lo, exec_lo, s7
	s_waitcnt lgkmcnt(0)
	s_barrier
	buffer_gl0_inv
.LBB123_171:                            ;   in Loop: Header=BB123_30 Depth=1
	s_lshl_b32 s7, 1, s16
	s_and_b32 s21, s70, s17
	s_or_b32 s23, s71, s9
	s_or_b32 s22, s21, s7
	s_mov_b32 s21, 0
	s_mov_b32 s7, 8
.LBB123_172:                            ;   in Loop: Header=BB123_30 Depth=1
	s_and_not1_b32 vcc_lo, exec_lo, s21
	s_cbranch_vccnz .LBB123_174
; %bb.173:                              ;   in Loop: Header=BB123_30 Depth=1
	s_sub_i32 s20, s20, s19
	s_mov_b32 s21, -1
	s_mov_b32 s7, 0
	s_mov_b32 s22, s70
	;; [unrolled: 1-line block ×3, first 2 shown]
.LBB123_174:                            ;   in Loop: Header=BB123_30 Depth=1
	s_delay_alu instid0(SALU_CYCLE_1)
	s_mov_b32 s71, s23
	s_mov_b32 s70, s22
	;; [unrolled: 1-line block ×3, first 2 shown]
	s_and_not1_b32 vcc_lo, exec_lo, s21
	s_mov_b32 s26, -1
	s_cbranch_vccz .LBB123_177
.LBB123_175:                            ;   in Loop: Header=BB123_30 Depth=1
                                        ; implicit-def: $sgpr20
                                        ; implicit-def: $sgpr21
                                        ; implicit-def: $sgpr19
	s_branch .LBB123_259
.LBB123_176:                            ;   in Loop: Header=BB123_30 Depth=1
	s_mov_b32 s7, 1
	s_and_not1_b32 vcc_lo, exec_lo, s21
	s_mov_b32 s26, -1
	s_cbranch_vccnz .LBB123_175
.LBB123_177:                            ;   in Loop: Header=BB123_30 Depth=1
	s_cmp_eq_u32 s14, 1
	s_mov_b32 s25, -1
	s_cselect_b32 s7, -1, 0
	s_cmp_eq_u32 s24, 1
	s_cselect_b32 s19, -1, 0
	s_delay_alu instid0(SALU_CYCLE_1) | instskip(NEXT) | instid1(SALU_CYCLE_1)
	s_and_b32 s23, s7, s19
	s_and_b32 vcc_lo, exec_lo, s23
	s_cbranch_vccz .LBB123_189
; %bb.178:                              ;   in Loop: Header=BB123_30 Depth=1
	ds_load_b32 v1, v7 offset:4104
	s_waitcnt lgkmcnt(0)
	s_barrier
	buffer_gl0_inv
	v_readfirstlane_b32 s19, v1
	s_and_saveexec_b32 s7, s2
	s_cbranch_execz .LBB123_180
; %bb.179:                              ;   in Loop: Header=BB123_30 Depth=1
	ds_store_b32 v18, v7
.LBB123_180:                            ;   in Loop: Header=BB123_30 Depth=1
	s_or_b32 exec_lo, exec_lo, s7
	s_lshl_b32 s7, 2, s16
	s_and_b32 s20, s70, s17
	s_or_b32 s71, s71, s9
	s_or_b32 s70, s20, s7
	s_cmp_eq_u32 s19, 0
	s_waitcnt lgkmcnt(0)
	s_barrier
	buffer_gl0_inv
	s_cbranch_scc1 .LBB123_190
; %bb.181:                              ;   in Loop: Header=BB123_30 Depth=1
	s_add_i32 s7, s19, s49
	s_mov_b32 s25, 0
	s_mul_hi_u32 s20, s7, s58
                                        ; implicit-def: $vgpr15
	s_delay_alu instid0(SALU_CYCLE_1) | instskip(NEXT) | instid1(SALU_CYCLE_1)
	s_mul_i32 s20, s20, s31
	s_sub_i32 s20, s7, s20
	s_delay_alu instid0(SALU_CYCLE_1) | instskip(SKIP_2) | instid1(SALU_CYCLE_1)
	s_sub_i32 s21, s20, s31
	s_cmp_ge_u32 s20, s31
	s_cselect_b32 s20, s21, s20
	s_sub_i32 s21, s20, s31
	s_cmp_ge_u32 s20, s31
	s_cselect_b32 s20, s21, s20
	s_delay_alu instid0(SALU_CYCLE_1)
	s_sub_i32 s21, s7, s20
	s_mov_b32 s20, exec_lo
	v_cmpx_gt_u32_e64 s21, v0
	s_cbranch_execz .LBB123_192
; %bb.182:                              ;   in Loop: Header=BB123_30 Depth=1
	v_dual_mov_b32 v1, v17 :: v_dual_mov_b32 v2, v0
	s_mov_b32 s22, 0
                                        ; implicit-def: $sgpr25
	s_set_inst_prefetch_distance 0x1
	s_branch .LBB123_184
	.p2align	6
.LBB123_183:                            ;   in Loop: Header=BB123_184 Depth=2
	s_or_b32 exec_lo, exec_lo, s7
	s_waitcnt lgkmcnt(0)
	s_barrier
	buffer_gl0_inv
	ds_load_b64 v[14:15], v7 offset:3072
	v_add_nc_u32_e32 v2, s31, v2
	v_add_nc_u32_e32 v1, s47, v1
	s_waitcnt lgkmcnt(0)
	s_barrier
	buffer_gl0_inv
	v_cmp_le_u32_e32 vcc_lo, s21, v2
	v_cmp_neq_f32_e64 s7, 0, v14
	s_delay_alu instid0(VALU_DEP_1) | instskip(NEXT) | instid1(SALU_CYCLE_1)
	s_or_b32 s26, vcc_lo, s7
	s_and_b32 s26, exec_lo, s26
	s_delay_alu instid0(SALU_CYCLE_1) | instskip(SKIP_2) | instid1(SALU_CYCLE_1)
	s_or_b32 s22, s26, s22
	s_and_not1_b32 s25, s25, exec_lo
	s_and_b32 s7, s7, exec_lo
	s_or_b32 s25, s25, s7
	s_and_not1_b32 exec_lo, exec_lo, s22
	s_cbranch_execz .LBB123_191
.LBB123_184:                            ;   Parent Loop BB123_30 Depth=1
                                        ; =>  This Inner Loop Header: Depth=2
	s_delay_alu instid0(VALU_DEP_1)
	v_cmp_gt_u32_e32 vcc_lo, s19, v2
	v_mov_b32_e32 v14, 0
	s_and_saveexec_b32 s7, vcc_lo
	s_cbranch_execz .LBB123_186
; %bb.185:                              ;   in Loop: Header=BB123_184 Depth=2
	ds_load_b32 v14, v1
.LBB123_186:                            ;   in Loop: Header=BB123_184 Depth=2
	s_or_b32 exec_lo, exec_lo, s7
	s_and_saveexec_b32 s7, vcc_lo
	s_cbranch_execz .LBB123_183
; %bb.187:                              ;   in Loop: Header=BB123_184 Depth=2
	s_waitcnt lgkmcnt(0)
	v_cmp_lt_i32_e32 vcc_lo, -1, v14
	v_cndmask_b32_e64 v3, -1, 0x80000000, vcc_lo
	v_cmp_o_f32_e32 vcc_lo, v14, v14
	s_delay_alu instid0(VALU_DEP_2) | instskip(NEXT) | instid1(VALU_DEP_1)
	v_xor_b32_e32 v3, v3, v14
	v_cndmask_b32_e32 v3, -1, v3, vcc_lo
	s_delay_alu instid0(VALU_DEP_1) | instskip(NEXT) | instid1(VALU_DEP_1)
	v_and_b32_e32 v3, s71, v3
	v_cmp_eq_u32_e32 vcc_lo, s70, v3
	s_and_b32 exec_lo, exec_lo, vcc_lo
	s_cbranch_execz .LBB123_183
; %bb.188:                              ;   in Loop: Header=BB123_184 Depth=2
	ds_store_b64 v7, v[13:14] offset:3072
	s_branch .LBB123_183
.LBB123_189:                            ;   in Loop: Header=BB123_30 Depth=1
                                        ; implicit-def: $sgpr19
                                        ; implicit-def: $sgpr21
                                        ; implicit-def: $sgpr20
	s_branch .LBB123_203
.LBB123_190:                            ;   in Loop: Header=BB123_30 Depth=1
	s_mov_b32 s19, -1
	s_mov_b32 s25, 0
                                        ; implicit-def: $sgpr20
                                        ; implicit-def: $vgpr15
	s_mov_b32 s21, s19
	s_cbranch_execnz .LBB123_193
	s_branch .LBB123_203
.LBB123_191:                            ;   in Loop: Header=BB123_30 Depth=1
	s_set_inst_prefetch_distance 0x2
	s_or_b32 exec_lo, exec_lo, s22
	s_delay_alu instid0(SALU_CYCLE_1)
	s_and_b32 s25, s25, exec_lo
.LBB123_192:                            ;   in Loop: Header=BB123_30 Depth=1
	s_or_b32 exec_lo, exec_lo, s20
	s_mov_b32 s20, -1
	s_mov_b32 s19, 0
	s_delay_alu instid0(SALU_CYCLE_1)
	s_mov_b32 s21, s19
	s_branch .LBB123_203
.LBB123_193:                            ;   in Loop: Header=BB123_30 Depth=1
	s_mov_b32 s25, 0
                                        ; implicit-def: $vgpr15
	s_and_saveexec_b32 s19, s6
	s_cbranch_execz .LBB123_202
; %bb.194:                              ;   in Loop: Header=BB123_30 Depth=1
	v_dual_mov_b32 v6, v5 :: v_dual_mov_b32 v1, v0
	s_mov_b32 s20, 0
                                        ; implicit-def: $sgpr21
	s_set_inst_prefetch_distance 0x1
	s_branch .LBB123_196
	.p2align	6
.LBB123_195:                            ;   in Loop: Header=BB123_196 Depth=2
	s_or_b32 exec_lo, exec_lo, s7
	s_waitcnt vmcnt(0) lgkmcnt(0)
	s_barrier
	buffer_gl0_inv
	ds_load_b64 v[14:15], v7 offset:3072
	v_add_nc_u32_e32 v1, s31, v1
	v_add_nc_u32_e32 v6, s46, v6
	s_waitcnt lgkmcnt(0)
	s_barrier
	buffer_gl0_inv
	v_cmp_le_u32_e32 vcc_lo, s60, v1
	v_cmp_neq_f32_e64 s7, 0, v14
	s_delay_alu instid0(VALU_DEP_1) | instskip(NEXT) | instid1(SALU_CYCLE_1)
	s_or_b32 s22, vcc_lo, s7
	s_and_b32 s22, exec_lo, s22
	s_delay_alu instid0(SALU_CYCLE_1) | instskip(SKIP_2) | instid1(SALU_CYCLE_1)
	s_or_b32 s20, s22, s20
	s_and_not1_b32 s21, s21, exec_lo
	s_and_b32 s7, s7, exec_lo
	s_or_b32 s21, s21, s7
	s_and_not1_b32 exec_lo, exec_lo, s20
	s_cbranch_execz .LBB123_201
.LBB123_196:                            ;   Parent Loop BB123_30 Depth=1
                                        ; =>  This Inner Loop Header: Depth=2
	s_delay_alu instid0(VALU_DEP_1)
	v_cmp_gt_u32_e32 vcc_lo, s28, v1
	v_mov_b32_e32 v14, 0
	s_and_saveexec_b32 s22, vcc_lo
	s_cbranch_execz .LBB123_198
; %bb.197:                              ;   in Loop: Header=BB123_196 Depth=2
	v_lshlrev_b64 v[2:3], 2, v[6:7]
	s_delay_alu instid0(VALU_DEP_1) | instskip(NEXT) | instid1(VALU_DEP_1)
	v_add_co_u32 v2, s7, s43, v2
	v_add_co_ci_u32_e64 v3, s7, s44, v3, s7
	global_load_b32 v14, v[2:3], off
.LBB123_198:                            ;   in Loop: Header=BB123_196 Depth=2
	s_or_b32 exec_lo, exec_lo, s22
	s_and_saveexec_b32 s7, vcc_lo
	s_cbranch_execz .LBB123_195
; %bb.199:                              ;   in Loop: Header=BB123_196 Depth=2
	s_waitcnt vmcnt(0)
	v_cmp_lt_i32_e32 vcc_lo, -1, v14
	v_cndmask_b32_e64 v2, -1, 0x80000000, vcc_lo
	v_cmp_o_f32_e32 vcc_lo, v14, v14
	s_delay_alu instid0(VALU_DEP_2) | instskip(NEXT) | instid1(VALU_DEP_1)
	v_xor_b32_e32 v2, v2, v14
	v_cndmask_b32_e32 v2, -1, v2, vcc_lo
	s_delay_alu instid0(VALU_DEP_1) | instskip(NEXT) | instid1(VALU_DEP_1)
	v_and_b32_e32 v2, s71, v2
	v_cmp_eq_u32_e32 vcc_lo, s70, v2
	s_and_b32 exec_lo, exec_lo, vcc_lo
	s_cbranch_execz .LBB123_195
; %bb.200:                              ;   in Loop: Header=BB123_196 Depth=2
	ds_store_b64 v7, v[13:14] offset:3072
	s_branch .LBB123_195
.LBB123_201:                            ;   in Loop: Header=BB123_30 Depth=1
	s_set_inst_prefetch_distance 0x2
	s_or_b32 exec_lo, exec_lo, s20
	s_delay_alu instid0(SALU_CYCLE_1)
	s_and_b32 s25, s21, exec_lo
.LBB123_202:                            ;   in Loop: Header=BB123_30 Depth=1
	s_or_b32 exec_lo, exec_lo, s19
	s_mov_b32 s21, -1
	s_mov_b32 s19, 0
	s_mov_b32 s20, 0
.LBB123_203:                            ;   in Loop: Header=BB123_30 Depth=1
	s_mov_b32 s26, 0
                                        ; implicit-def: $sgpr7
	s_and_saveexec_b32 s22, s25
	s_cbranch_execz .LBB123_258
; %bb.204:                              ;   in Loop: Header=BB123_30 Depth=1
	s_xor_b32 s7, s23, -1
	s_mov_b32 s25, 0
	s_and_not1_b32 vcc_lo, exec_lo, s7
	s_mov_b32 s23, 1
	s_cbranch_vccnz .LBB123_215
; %bb.205:                              ;   in Loop: Header=BB123_30 Depth=1
	s_cmp_gt_u32 s24, s14
	s_mov_b32 s25, -1
                                        ; implicit-def: $sgpr7
                                        ; implicit-def: $sgpr23
                                        ; implicit-def: $sgpr26
	s_cbranch_scc1 .LBB123_211
; %bb.206:                              ;   in Loop: Header=BB123_30 Depth=1
	ds_load_b32 v1, v7 offset:4104
	s_waitcnt lgkmcnt(0)
	v_cmp_ne_u32_e32 vcc_lo, 0, v1
	s_cbranch_vccnz .LBB123_210
; %bb.207:                              ;   in Loop: Header=BB123_30 Depth=1
	s_and_saveexec_b32 s7, s1
	s_cbranch_execz .LBB123_209
; %bb.208:                              ;   in Loop: Header=BB123_30 Depth=1
	v_mov_b32_e32 v1, s14
	ds_store_b32 v7, v1 offset:4108
.LBB123_209:                            ;   in Loop: Header=BB123_30 Depth=1
	s_or_b32 exec_lo, exec_lo, s7
	s_waitcnt lgkmcnt(0)
	s_barrier
	buffer_gl0_inv
.LBB123_210:                            ;   in Loop: Header=BB123_30 Depth=1
	s_lshl_b32 s7, 2, s16
	s_and_b32 s16, s70, s17
	s_or_b32 s26, s71, s9
	s_or_b32 s23, s16, s7
	s_mov_b32 s25, 0
	s_mov_b32 s7, 8
.LBB123_211:                            ;   in Loop: Header=BB123_30 Depth=1
	s_and_not1_b32 vcc_lo, exec_lo, s25
	s_cbranch_vccnz .LBB123_213
; %bb.212:                              ;   in Loop: Header=BB123_30 Depth=1
	s_sub_i32 s24, s24, s14
	s_mov_b32 s25, -1
	s_mov_b32 s7, 0
	s_mov_b32 s23, s70
	;; [unrolled: 1-line block ×3, first 2 shown]
.LBB123_213:                            ;   in Loop: Header=BB123_30 Depth=1
	s_delay_alu instid0(SALU_CYCLE_1)
	s_mov_b32 s71, s26
	s_mov_b32 s70, s23
	;; [unrolled: 1-line block ×3, first 2 shown]
	s_and_not1_b32 vcc_lo, exec_lo, s25
	s_mov_b32 s72, -1
	s_cbranch_vccz .LBB123_216
.LBB123_214:                            ;   in Loop: Header=BB123_30 Depth=1
                                        ; implicit-def: $sgpr16
                                        ; implicit-def: $sgpr24
                                        ; implicit-def: $sgpr17
	s_branch .LBB123_257
.LBB123_215:                            ;   in Loop: Header=BB123_30 Depth=1
	s_mov_b32 s7, 1
	s_and_not1_b32 vcc_lo, exec_lo, s25
	s_mov_b32 s72, -1
	s_cbranch_vccnz .LBB123_214
.LBB123_216:                            ;   in Loop: Header=BB123_30 Depth=1
	s_cmp_eq_u32 s8, 1
	s_mov_b32 s25, -1
	s_cselect_b32 s7, -1, 0
	s_cmp_eq_u32 s23, 1
	s_cselect_b32 s14, -1, 0
	s_delay_alu instid0(SALU_CYCLE_1) | instskip(NEXT) | instid1(SALU_CYCLE_1)
	s_and_b32 s14, s7, s14
	s_and_b32 vcc_lo, exec_lo, s14
	s_cbranch_vccz .LBB123_228
; %bb.217:                              ;   in Loop: Header=BB123_30 Depth=1
	ds_load_b32 v1, v7 offset:4104
	s_waitcnt lgkmcnt(0)
	s_barrier
	buffer_gl0_inv
	v_readfirstlane_b32 s16, v1
	s_and_saveexec_b32 s7, s2
	s_cbranch_execz .LBB123_219
; %bb.218:                              ;   in Loop: Header=BB123_30 Depth=1
	ds_store_b32 v18, v7
.LBB123_219:                            ;   in Loop: Header=BB123_30 Depth=1
	s_or_b32 exec_lo, exec_lo, s7
	s_or_b32 s70, s70, s9
	s_or_b32 s71, s71, s9
	s_cmp_eq_u32 s16, 0
	s_waitcnt lgkmcnt(0)
	s_barrier
	buffer_gl0_inv
	s_cbranch_scc1 .LBB123_229
; %bb.220:                              ;   in Loop: Header=BB123_30 Depth=1
	s_add_i32 s7, s16, s49
	s_mov_b32 s25, 0
	s_mul_hi_u32 s17, s7, s58
                                        ; implicit-def: $vgpr15
	s_delay_alu instid0(SALU_CYCLE_1) | instskip(NEXT) | instid1(SALU_CYCLE_1)
	s_mul_i32 s17, s17, s31
	s_sub_i32 s17, s7, s17
	s_delay_alu instid0(SALU_CYCLE_1) | instskip(SKIP_2) | instid1(SALU_CYCLE_1)
	s_sub_i32 s24, s17, s31
	s_cmp_ge_u32 s17, s31
	s_cselect_b32 s17, s24, s17
	s_sub_i32 s24, s17, s31
	s_cmp_ge_u32 s17, s31
	s_cselect_b32 s17, s24, s17
	s_delay_alu instid0(SALU_CYCLE_1)
	s_sub_i32 s24, s7, s17
	s_mov_b32 s17, exec_lo
	v_cmpx_gt_u32_e64 s24, v0
	s_cbranch_execz .LBB123_231
; %bb.221:                              ;   in Loop: Header=BB123_30 Depth=1
	v_dual_mov_b32 v1, v17 :: v_dual_mov_b32 v2, v0
                                        ; implicit-def: $sgpr26
	s_set_inst_prefetch_distance 0x1
	s_branch .LBB123_223
	.p2align	6
.LBB123_222:                            ;   in Loop: Header=BB123_223 Depth=2
	s_or_b32 exec_lo, exec_lo, s7
	s_waitcnt lgkmcnt(0)
	s_barrier
	buffer_gl0_inv
	ds_load_b64 v[14:15], v7 offset:3072
	v_add_nc_u32_e32 v2, s31, v2
	v_add_nc_u32_e32 v1, s47, v1
	s_waitcnt lgkmcnt(0)
	s_barrier
	buffer_gl0_inv
	v_cmp_le_u32_e32 vcc_lo, s24, v2
	v_cmp_neq_f32_e64 s7, 0, v14
	s_delay_alu instid0(VALU_DEP_1) | instskip(NEXT) | instid1(SALU_CYCLE_1)
	s_or_b32 s72, vcc_lo, s7
	s_and_b32 s72, exec_lo, s72
	s_delay_alu instid0(SALU_CYCLE_1) | instskip(SKIP_2) | instid1(SALU_CYCLE_1)
	s_or_b32 s25, s72, s25
	s_and_not1_b32 s26, s26, exec_lo
	s_and_b32 s7, s7, exec_lo
	s_or_b32 s26, s26, s7
	s_and_not1_b32 exec_lo, exec_lo, s25
	s_cbranch_execz .LBB123_230
.LBB123_223:                            ;   Parent Loop BB123_30 Depth=1
                                        ; =>  This Inner Loop Header: Depth=2
	s_delay_alu instid0(VALU_DEP_1)
	v_cmp_gt_u32_e32 vcc_lo, s16, v2
	v_mov_b32_e32 v14, 0
	s_and_saveexec_b32 s7, vcc_lo
	s_cbranch_execz .LBB123_225
; %bb.224:                              ;   in Loop: Header=BB123_223 Depth=2
	ds_load_b32 v14, v1
.LBB123_225:                            ;   in Loop: Header=BB123_223 Depth=2
	s_or_b32 exec_lo, exec_lo, s7
	s_and_saveexec_b32 s7, vcc_lo
	s_cbranch_execz .LBB123_222
; %bb.226:                              ;   in Loop: Header=BB123_223 Depth=2
	s_waitcnt lgkmcnt(0)
	v_cmp_lt_i32_e32 vcc_lo, -1, v14
	v_cndmask_b32_e64 v3, -1, 0x80000000, vcc_lo
	v_cmp_o_f32_e32 vcc_lo, v14, v14
	s_delay_alu instid0(VALU_DEP_2) | instskip(NEXT) | instid1(VALU_DEP_1)
	v_xor_b32_e32 v3, v3, v14
	v_cndmask_b32_e32 v3, -1, v3, vcc_lo
	s_delay_alu instid0(VALU_DEP_1) | instskip(NEXT) | instid1(VALU_DEP_1)
	v_and_b32_e32 v3, s71, v3
	v_cmp_eq_u32_e32 vcc_lo, s70, v3
	s_and_b32 exec_lo, exec_lo, vcc_lo
	s_cbranch_execz .LBB123_222
; %bb.227:                              ;   in Loop: Header=BB123_223 Depth=2
	ds_store_b64 v7, v[13:14] offset:3072
	s_branch .LBB123_222
.LBB123_228:                            ;   in Loop: Header=BB123_30 Depth=1
                                        ; implicit-def: $sgpr16
                                        ; implicit-def: $sgpr24
                                        ; implicit-def: $sgpr17
	s_branch .LBB123_242
.LBB123_229:                            ;   in Loop: Header=BB123_30 Depth=1
	s_mov_b32 s16, -1
	s_mov_b32 s25, 0
                                        ; implicit-def: $sgpr17
                                        ; implicit-def: $vgpr15
	s_mov_b32 s24, s16
	s_cbranch_execnz .LBB123_232
	s_branch .LBB123_242
.LBB123_230:                            ;   in Loop: Header=BB123_30 Depth=1
	s_set_inst_prefetch_distance 0x2
	s_or_b32 exec_lo, exec_lo, s25
	s_delay_alu instid0(SALU_CYCLE_1)
	s_and_b32 s25, s26, exec_lo
.LBB123_231:                            ;   in Loop: Header=BB123_30 Depth=1
	s_or_b32 exec_lo, exec_lo, s17
	s_mov_b32 s17, -1
	s_mov_b32 s16, 0
	s_delay_alu instid0(SALU_CYCLE_1)
	s_mov_b32 s24, s16
	s_branch .LBB123_242
.LBB123_232:                            ;   in Loop: Header=BB123_30 Depth=1
	s_mov_b32 s25, 0
                                        ; implicit-def: $vgpr15
	s_and_saveexec_b32 s16, s6
	s_cbranch_execz .LBB123_241
; %bb.233:                              ;   in Loop: Header=BB123_30 Depth=1
	v_dual_mov_b32 v6, v5 :: v_dual_mov_b32 v1, v0
	s_mov_b32 s17, 0
                                        ; implicit-def: $sgpr24
	s_set_inst_prefetch_distance 0x1
	s_branch .LBB123_235
	.p2align	6
.LBB123_234:                            ;   in Loop: Header=BB123_235 Depth=2
	s_or_b32 exec_lo, exec_lo, s7
	s_waitcnt vmcnt(0) lgkmcnt(0)
	s_barrier
	buffer_gl0_inv
	ds_load_b64 v[14:15], v7 offset:3072
	v_add_nc_u32_e32 v1, s31, v1
	v_add_nc_u32_e32 v6, s46, v6
	s_waitcnt lgkmcnt(0)
	s_barrier
	buffer_gl0_inv
	v_cmp_le_u32_e32 vcc_lo, s60, v1
	v_cmp_neq_f32_e64 s7, 0, v14
	s_delay_alu instid0(VALU_DEP_1) | instskip(NEXT) | instid1(SALU_CYCLE_1)
	s_or_b32 s25, vcc_lo, s7
	s_and_b32 s25, exec_lo, s25
	s_delay_alu instid0(SALU_CYCLE_1) | instskip(SKIP_2) | instid1(SALU_CYCLE_1)
	s_or_b32 s17, s25, s17
	s_and_not1_b32 s24, s24, exec_lo
	s_and_b32 s7, s7, exec_lo
	s_or_b32 s24, s24, s7
	s_and_not1_b32 exec_lo, exec_lo, s17
	s_cbranch_execz .LBB123_240
.LBB123_235:                            ;   Parent Loop BB123_30 Depth=1
                                        ; =>  This Inner Loop Header: Depth=2
	s_delay_alu instid0(VALU_DEP_1)
	v_cmp_gt_u32_e32 vcc_lo, s28, v1
	v_mov_b32_e32 v14, 0
	s_and_saveexec_b32 s25, vcc_lo
	s_cbranch_execz .LBB123_237
; %bb.236:                              ;   in Loop: Header=BB123_235 Depth=2
	v_lshlrev_b64 v[2:3], 2, v[6:7]
	s_delay_alu instid0(VALU_DEP_1) | instskip(NEXT) | instid1(VALU_DEP_1)
	v_add_co_u32 v2, s7, s43, v2
	v_add_co_ci_u32_e64 v3, s7, s44, v3, s7
	global_load_b32 v14, v[2:3], off
.LBB123_237:                            ;   in Loop: Header=BB123_235 Depth=2
	s_or_b32 exec_lo, exec_lo, s25
	s_and_saveexec_b32 s7, vcc_lo
	s_cbranch_execz .LBB123_234
; %bb.238:                              ;   in Loop: Header=BB123_235 Depth=2
	s_waitcnt vmcnt(0)
	v_cmp_lt_i32_e32 vcc_lo, -1, v14
	v_cndmask_b32_e64 v2, -1, 0x80000000, vcc_lo
	v_cmp_o_f32_e32 vcc_lo, v14, v14
	s_delay_alu instid0(VALU_DEP_2) | instskip(NEXT) | instid1(VALU_DEP_1)
	v_xor_b32_e32 v2, v2, v14
	v_cndmask_b32_e32 v2, -1, v2, vcc_lo
	s_delay_alu instid0(VALU_DEP_1) | instskip(NEXT) | instid1(VALU_DEP_1)
	v_and_b32_e32 v2, s71, v2
	v_cmp_eq_u32_e32 vcc_lo, s70, v2
	s_and_b32 exec_lo, exec_lo, vcc_lo
	s_cbranch_execz .LBB123_234
; %bb.239:                              ;   in Loop: Header=BB123_235 Depth=2
	ds_store_b64 v7, v[13:14] offset:3072
	s_branch .LBB123_234
.LBB123_240:                            ;   in Loop: Header=BB123_30 Depth=1
	s_set_inst_prefetch_distance 0x2
	s_or_b32 exec_lo, exec_lo, s17
	s_delay_alu instid0(SALU_CYCLE_1)
	s_and_b32 s25, s24, exec_lo
.LBB123_241:                            ;   in Loop: Header=BB123_30 Depth=1
	s_or_b32 exec_lo, exec_lo, s16
	s_mov_b32 s24, -1
	s_mov_b32 s16, 0
	s_mov_b32 s17, 0
.LBB123_242:                            ;   in Loop: Header=BB123_30 Depth=1
	s_mov_b32 s72, 0
                                        ; implicit-def: $sgpr7
	s_and_saveexec_b32 s26, s25
	s_cbranch_execz .LBB123_256
; %bb.243:                              ;   in Loop: Header=BB123_30 Depth=1
	s_xor_b32 s7, s14, -1
	s_delay_alu instid0(SALU_CYCLE_1)
	s_and_not1_b32 vcc_lo, exec_lo, s7
	s_mov_b32 s7, 1
	s_cbranch_vccnz .LBB123_250
; %bb.244:                              ;   in Loop: Header=BB123_30 Depth=1
	s_cmp_gt_u32 s23, s8
	s_cbranch_scc1 .LBB123_251
; %bb.245:                              ;   in Loop: Header=BB123_30 Depth=1
	ds_load_b32 v1, v7 offset:4104
	s_waitcnt lgkmcnt(0)
	v_cmp_ne_u32_e32 vcc_lo, 0, v1
	s_cbranch_vccnz .LBB123_249
; %bb.246:                              ;   in Loop: Header=BB123_30 Depth=1
	s_and_saveexec_b32 s7, s1
	s_cbranch_execz .LBB123_248
; %bb.247:                              ;   in Loop: Header=BB123_30 Depth=1
	v_mov_b32_e32 v1, s8
	ds_store_b32 v7, v1 offset:4108
.LBB123_248:                            ;   in Loop: Header=BB123_30 Depth=1
	s_or_b32 exec_lo, exec_lo, s7
	s_waitcnt lgkmcnt(0)
	s_barrier
	buffer_gl0_inv
.LBB123_249:                            ;   in Loop: Header=BB123_30 Depth=1
	s_or_b32 s14, s70, s9
	s_or_b32 s9, s71, s9
	s_mov_b32 s25, 0
	s_mov_b32 s7, 8
	s_branch .LBB123_252
.LBB123_250:                            ;   in Loop: Header=BB123_30 Depth=1
	s_mov_b32 s23, 1
	s_branch .LBB123_255
.LBB123_251:                            ;   in Loop: Header=BB123_30 Depth=1
	s_mov_b32 s25, -1
                                        ; implicit-def: $sgpr7
                                        ; implicit-def: $sgpr14
                                        ; implicit-def: $sgpr9
.LBB123_252:                            ;   in Loop: Header=BB123_30 Depth=1
	s_delay_alu instid0(SALU_CYCLE_1)
	s_and_not1_b32 vcc_lo, exec_lo, s25
	s_cbranch_vccnz .LBB123_254
; %bb.253:                              ;   in Loop: Header=BB123_30 Depth=1
	s_sub_i32 s23, s23, s8
	s_mov_b32 s7, 8
	s_mov_b32 s14, s70
	;; [unrolled: 1-line block ×3, first 2 shown]
.LBB123_254:                            ;   in Loop: Header=BB123_30 Depth=1
	s_mov_b32 s70, s14
	s_mov_b32 s71, s9
.LBB123_255:                            ;   in Loop: Header=BB123_30 Depth=1
	s_mov_b32 s72, exec_lo
.LBB123_256:                            ;   in Loop: Header=BB123_30 Depth=1
	s_or_b32 exec_lo, exec_lo, s26
.LBB123_257:                            ;   in Loop: Header=BB123_30 Depth=1
	s_delay_alu instid0(SALU_CYCLE_1)
	s_and_not1_b32 s8, s19, exec_lo
	s_and_b32 s9, s16, exec_lo
	s_and_not1_b32 s14, s20, exec_lo
	s_or_b32 s19, s8, s9
	s_and_not1_b32 s8, s21, exec_lo
	s_and_b32 s9, s24, exec_lo
	s_and_b32 s16, s17, exec_lo
	s_or_b32 s21, s8, s9
	s_or_b32 s20, s14, s16
	s_and_b32 s26, s72, exec_lo
	s_mov_b32 s24, s23
.LBB123_258:                            ;   in Loop: Header=BB123_30 Depth=1
	s_or_b32 exec_lo, exec_lo, s22
.LBB123_259:                            ;   in Loop: Header=BB123_30 Depth=1
	s_delay_alu instid0(SALU_CYCLE_1)
	s_and_not1_b32 s8, s13, exec_lo
	s_and_b32 s9, s19, exec_lo
	s_and_not1_b32 s12, s12, exec_lo
	s_or_b32 s13, s8, s9
	s_and_not1_b32 s8, s15, exec_lo
	s_and_b32 s9, s21, exec_lo
	s_and_b32 s14, s20, exec_lo
	s_or_b32 s15, s8, s9
	s_or_b32 s12, s12, s14
	s_and_b32 s23, s26, exec_lo
	s_mov_b32 s20, s24
.LBB123_260:                            ;   in Loop: Header=BB123_30 Depth=1
	s_or_b32 exec_lo, exec_lo, s18
                                        ; implicit-def: $sgpr72
	s_and_saveexec_b32 s8, s23
	s_delay_alu instid0(SALU_CYCLE_1)
	s_xor_b32 s8, exec_lo, s8
	s_cbranch_execz .LBB123_28
.LBB123_261:                            ;   in Loop: Header=BB123_30 Depth=1
	s_and_b32 s7, s7, -9
	s_delay_alu instid0(SALU_CYCLE_1)
	s_cmp_eq_u32 s7, 0
	s_cbranch_scc1 .LBB123_26
; %bb.262:                              ;   in Loop: Header=BB123_30 Depth=1
	s_mov_b32 s7, -1
	s_mov_b32 s9, -1
                                        ; implicit-def: $sgpr71
                                        ; implicit-def: $sgpr20
                                        ; implicit-def: $sgpr65
                                        ; implicit-def: $sgpr68
	s_branch .LBB123_27
.LBB123_263:
	s_or_b32 exec_lo, exec_lo, s45
	s_xor_b32 s4, s64, -1
	s_xor_b32 s1, s62, -1
	;; [unrolled: 1-line block ×3, first 2 shown]
	s_mov_b32 s2, 0
	s_and_saveexec_b32 s5, s1
	s_delay_alu instid0(SALU_CYCLE_1)
	s_xor_b32 s1, exec_lo, s5
	s_cbranch_execz .LBB123_277
; %bb.264:
	s_and_saveexec_b32 s2, s4
	s_delay_alu instid0(SALU_CYCLE_1)
	s_xor_b32 s4, exec_lo, s2
	s_cbranch_execz .LBB123_275
; %bb.265:
	s_and_saveexec_b32 s2, s3
	s_delay_alu instid0(SALU_CYCLE_1)
	s_xor_b32 s2, exec_lo, s2
; %bb.266:
	v_cmp_lt_i32_e32 vcc_lo, -1, v1
	v_cndmask_b32_e64 v2, 0x80000000, -1, vcc_lo
	s_delay_alu instid0(VALU_DEP_1)
	v_xor_b32_e32 v15, v2, v1
; %bb.267:
	s_or_b32 exec_lo, exec_lo, s2
	s_mul_i32 s2, s34, s29
	s_mov_b32 s3, 0
	s_add_i32 s2, s2, s27
	v_mov_b32_e32 v6, 0
	s_lshl_b64 s[6:7], s[2:3], 2
	s_delay_alu instid0(SALU_CYCLE_1)
	s_add_u32 s6, s38, s6
	s_addc_u32 s7, s39, s7
	global_store_b32 v6, v15, s[6:7]
	s_and_saveexec_b32 s2, s0
	s_cbranch_execz .LBB123_274
; %bb.268:
	v_cmp_u_f32_e32 vcc_lo, v15, v15
                                        ; implicit-def: $sgpr5
                                        ; implicit-def: $sgpr8
                                        ; implicit-def: $sgpr7
	s_xor_b32 s6, vcc_lo, -1
	s_set_inst_prefetch_distance 0x1
	s_branch .LBB123_270
	.p2align	6
.LBB123_269:                            ;   in Loop: Header=BB123_270 Depth=1
	s_or_b32 exec_lo, exec_lo, s0
	s_delay_alu instid0(SALU_CYCLE_1) | instskip(NEXT) | instid1(SALU_CYCLE_1)
	s_and_b32 s0, exec_lo, s8
	s_or_b32 s3, s0, s3
	s_and_not1_b32 s0, s5, exec_lo
	s_and_b32 s5, s7, exec_lo
	s_delay_alu instid0(SALU_CYCLE_1)
	s_or_b32 s5, s0, s5
	s_and_not1_b32 exec_lo, exec_lo, s3
	s_cbranch_execz .LBB123_272
.LBB123_270:                            ; =>This Inner Loop Header: Depth=1
	v_lshlrev_b64 v[1:2], 2, v[5:6]
	s_or_b32 s7, s7, exec_lo
	s_or_b32 s8, s8, exec_lo
	s_delay_alu instid0(VALU_DEP_1) | instskip(NEXT) | instid1(VALU_DEP_2)
	v_add_co_u32 v1, vcc_lo, s43, v1
	v_add_co_ci_u32_e32 v2, vcc_lo, s44, v2, vcc_lo
	global_load_b32 v1, v[1:2], off
	s_waitcnt vmcnt(0)
	v_cmp_o_f32_e32 vcc_lo, v1, v1
	v_cmp_neq_f32_e64 s0, v1, v15
	v_mov_b32_e32 v1, v0
                                        ; implicit-def: $vgpr0
	s_or_b32 s9, vcc_lo, s6
	s_delay_alu instid0(VALU_DEP_2) | instid1(SALU_CYCLE_1)
	s_and_b32 s9, s0, s9
	s_delay_alu instid0(SALU_CYCLE_1)
	s_and_saveexec_b32 s0, s9
	s_cbranch_execz .LBB123_269
; %bb.271:                              ;   in Loop: Header=BB123_270 Depth=1
	v_add_nc_u32_e32 v0, s31, v1
	s_and_not1_b32 s8, s8, exec_lo
	v_add_nc_u32_e32 v5, s46, v5
	s_and_not1_b32 s7, s7, exec_lo
	s_delay_alu instid0(VALU_DEP_2) | instskip(SKIP_1) | instid1(SALU_CYCLE_1)
	v_cmp_le_u32_e32 vcc_lo, s28, v0
	s_and_b32 s9, vcc_lo, exec_lo
	s_or_b32 s8, s8, s9
	s_branch .LBB123_269
.LBB123_272:
	s_set_inst_prefetch_distance 0x2
	s_or_b32 exec_lo, exec_lo, s3
	s_and_saveexec_b32 s0, s5
	s_delay_alu instid0(SALU_CYCLE_1)
	s_xor_b32 s0, exec_lo, s0
	s_cbranch_execz .LBB123_274
; %bb.273:
	s_mul_i32 s0, s42, s33
	s_mov_b32 s7, 0
	s_add_i32 s6, s0, s35
	v_mov_b32_e32 v2, 0
	s_lshl_b64 s[6:7], s[6:7], 3
	s_delay_alu instid0(SALU_CYCLE_1)
	s_add_u32 s6, s36, s6
	s_addc_u32 s7, s37, s7
	global_store_b64 v2, v[1:2], s[6:7]
.LBB123_274:
	s_or_b32 exec_lo, exec_lo, s2
.LBB123_275:
	s_or_saveexec_b32 s0, s4
	s_mov_b32 s2, 0
	s_xor_b32 exec_lo, exec_lo, s0
	s_cbranch_execnz .LBB123_283
.LBB123_276:
	s_or_b32 exec_lo, exec_lo, s0
	s_delay_alu instid0(SALU_CYCLE_1)
	s_and_b32 s2, s2, exec_lo
.LBB123_277:
	s_and_not1_saveexec_b32 s0, s1
	s_cbranch_execnz .LBB123_281
; %bb.278:
	s_or_b32 exec_lo, exec_lo, s0
	s_and_saveexec_b32 s0, s2
.LBB123_279:
	; divergent unreachable
.LBB123_280:
	s_nop 0
	s_sendmsg sendmsg(MSG_DEALLOC_VGPRS)
	s_endpgm
.LBB123_281:
	s_cbranch_execnz .LBB123_285
; %bb.282:
	s_or_b32 s2, s2, exec_lo
	s_or_b32 exec_lo, exec_lo, s0
	s_and_saveexec_b32 s0, s2
	s_cbranch_execnz .LBB123_279
	s_branch .LBB123_280
.LBB123_283:
	s_cbranch_execnz .LBB123_287
; %bb.284:
	s_mov_b32 s2, exec_lo
	s_branch .LBB123_276
.LBB123_285:
	s_trap 2
	s_sendmsg_rtn_b32 s0, sendmsg(MSG_RTN_GET_DOORBELL)
	s_mov_b32 ttmp2, m0
	s_waitcnt lgkmcnt(0)
	s_and_b32 s0, s0, 0x3ff
	s_delay_alu instid0(SALU_CYCLE_1) | instskip(NEXT) | instid1(SALU_CYCLE_1)
	s_bitset1_b32 s0, 10
	s_mov_b32 m0, s0
	s_sendmsg sendmsg(MSG_INTERRUPT)
	s_mov_b32 m0, ttmp2
.LBB123_286:                            ; =>This Inner Loop Header: Depth=1
	s_sethalt 5
	s_branch .LBB123_286
.LBB123_287:
	s_trap 2
	s_sendmsg_rtn_b32 s0, sendmsg(MSG_RTN_GET_DOORBELL)
	s_mov_b32 ttmp2, m0
	s_waitcnt lgkmcnt(0)
	s_and_b32 s0, s0, 0x3ff
	s_delay_alu instid0(SALU_CYCLE_1) | instskip(NEXT) | instid1(SALU_CYCLE_1)
	s_bitset1_b32 s0, 10
	s_mov_b32 m0, s0
	s_sendmsg sendmsg(MSG_INTERRUPT)
	s_mov_b32 m0, ttmp2
.LBB123_288:                            ; =>This Inner Loop Header: Depth=1
	s_sethalt 5
	s_branch .LBB123_288
	.section	.rodata,"a",@progbits
	.p2align	6, 0x0
	.amdhsa_kernel _ZN2at6native12_GLOBAL__N_112gatherMedianIfjLin1EEEvNS_4cuda6detail10TensorInfoIT_T0_EENS5_IlS7_EENS5_IKS6_S7_EES7_S7_S7_b
		.amdhsa_group_segment_fixed_size 4120
		.amdhsa_private_segment_fixed_size 0
		.amdhsa_kernarg_size 920
		.amdhsa_user_sgpr_count 13
		.amdhsa_user_sgpr_dispatch_ptr 0
		.amdhsa_user_sgpr_queue_ptr 0
		.amdhsa_user_sgpr_kernarg_segment_ptr 1
		.amdhsa_user_sgpr_dispatch_id 0
		.amdhsa_user_sgpr_private_segment_size 0
		.amdhsa_wavefront_size32 1
		.amdhsa_uses_dynamic_stack 0
		.amdhsa_enable_private_segment 0
		.amdhsa_system_sgpr_workgroup_id_x 1
		.amdhsa_system_sgpr_workgroup_id_y 1
		.amdhsa_system_sgpr_workgroup_id_z 1
		.amdhsa_system_sgpr_workgroup_info 0
		.amdhsa_system_vgpr_workitem_id 0
		.amdhsa_next_free_vgpr 40
		.amdhsa_next_free_sgpr 82
		.amdhsa_reserve_vcc 1
		.amdhsa_float_round_mode_32 0
		.amdhsa_float_round_mode_16_64 0
		.amdhsa_float_denorm_mode_32 3
		.amdhsa_float_denorm_mode_16_64 3
		.amdhsa_dx10_clamp 1
		.amdhsa_ieee_mode 1
		.amdhsa_fp16_overflow 0
		.amdhsa_workgroup_processor_mode 1
		.amdhsa_memory_ordered 1
		.amdhsa_forward_progress 0
		.amdhsa_shared_vgpr_count 0
		.amdhsa_exception_fp_ieee_invalid_op 0
		.amdhsa_exception_fp_denorm_src 0
		.amdhsa_exception_fp_ieee_div_zero 0
		.amdhsa_exception_fp_ieee_overflow 0
		.amdhsa_exception_fp_ieee_underflow 0
		.amdhsa_exception_fp_ieee_inexact 0
		.amdhsa_exception_int_div_zero 0
	.end_amdhsa_kernel
	.section	.text._ZN2at6native12_GLOBAL__N_112gatherMedianIfjLin1EEEvNS_4cuda6detail10TensorInfoIT_T0_EENS5_IlS7_EENS5_IKS6_S7_EES7_S7_S7_b,"axG",@progbits,_ZN2at6native12_GLOBAL__N_112gatherMedianIfjLin1EEEvNS_4cuda6detail10TensorInfoIT_T0_EENS5_IlS7_EENS5_IKS6_S7_EES7_S7_S7_b,comdat
.Lfunc_end123:
	.size	_ZN2at6native12_GLOBAL__N_112gatherMedianIfjLin1EEEvNS_4cuda6detail10TensorInfoIT_T0_EENS5_IlS7_EENS5_IKS6_S7_EES7_S7_S7_b, .Lfunc_end123-_ZN2at6native12_GLOBAL__N_112gatherMedianIfjLin1EEEvNS_4cuda6detail10TensorInfoIT_T0_EENS5_IlS7_EENS5_IKS6_S7_EES7_S7_S7_b
                                        ; -- End function
	.section	.AMDGPU.csdata,"",@progbits
; Kernel info:
; codeLenInByte = 11104
; NumSgprs: 84
; NumVgprs: 40
; ScratchSize: 0
; MemoryBound: 0
; FloatMode: 240
; IeeeMode: 1
; LDSByteSize: 4120 bytes/workgroup (compile time only)
; SGPRBlocks: 10
; VGPRBlocks: 4
; NumSGPRsForWavesPerEU: 84
; NumVGPRsForWavesPerEU: 40
; Occupancy: 16
; WaveLimiterHint : 1
; COMPUTE_PGM_RSRC2:SCRATCH_EN: 0
; COMPUTE_PGM_RSRC2:USER_SGPR: 13
; COMPUTE_PGM_RSRC2:TRAP_HANDLER: 0
; COMPUTE_PGM_RSRC2:TGID_X_EN: 1
; COMPUTE_PGM_RSRC2:TGID_Y_EN: 1
; COMPUTE_PGM_RSRC2:TGID_Z_EN: 1
; COMPUTE_PGM_RSRC2:TIDIG_COMP_CNT: 0
	.section	.text._ZN2at6native12_GLOBAL__N_112gatherMedianIfmLi1EEEvNS_4cuda6detail10TensorInfoIT_T0_EENS5_IlS7_EENS5_IKS6_S7_EES7_S7_S7_b,"axG",@progbits,_ZN2at6native12_GLOBAL__N_112gatherMedianIfmLi1EEEvNS_4cuda6detail10TensorInfoIT_T0_EENS5_IlS7_EENS5_IKS6_S7_EES7_S7_S7_b,comdat
	.globl	_ZN2at6native12_GLOBAL__N_112gatherMedianIfmLi1EEEvNS_4cuda6detail10TensorInfoIT_T0_EENS5_IlS7_EENS5_IKS6_S7_EES7_S7_S7_b ; -- Begin function _ZN2at6native12_GLOBAL__N_112gatherMedianIfmLi1EEEvNS_4cuda6detail10TensorInfoIT_T0_EENS5_IlS7_EENS5_IKS6_S7_EES7_S7_S7_b
	.p2align	8
	.type	_ZN2at6native12_GLOBAL__N_112gatherMedianIfmLi1EEEvNS_4cuda6detail10TensorInfoIT_T0_EENS5_IlS7_EENS5_IKS6_S7_EES7_S7_S7_b,@function
_ZN2at6native12_GLOBAL__N_112gatherMedianIfmLi1EEEvNS_4cuda6detail10TensorInfoIT_T0_EENS5_IlS7_EENS5_IKS6_S7_EES7_S7_S7_b: ; @_ZN2at6native12_GLOBAL__N_112gatherMedianIfmLi1EEEvNS_4cuda6detail10TensorInfoIT_T0_EENS5_IlS7_EENS5_IKS6_S7_EES7_S7_S7_b
; %bb.0:
	s_clause 0x1
	s_load_b64 s[8:9], s[0:1], 0x500
	s_load_b128 s[24:27], s[0:1], 0x4e0
	s_add_u32 s6, s0, 0x500
	s_addc_u32 s7, s1, 0
	s_mov_b32 s29, 0
	s_waitcnt lgkmcnt(0)
	s_mul_i32 s2, s9, s15
	s_delay_alu instid0(SALU_CYCLE_1) | instskip(NEXT) | instid1(SALU_CYCLE_1)
	s_add_i32 s2, s2, s14
	s_mul_i32 s2, s2, s8
	s_delay_alu instid0(SALU_CYCLE_1) | instskip(NEXT) | instid1(SALU_CYCLE_1)
	s_add_i32 s28, s2, s13
	v_cmp_ge_u64_e64 s2, s[28:29], s[26:27]
	s_delay_alu instid0(VALU_DEP_1)
	s_and_b32 vcc_lo, exec_lo, s2
	s_cbranch_vccnz .LBB124_306
; %bb.1:
	s_clause 0x6
	s_load_b64 s[10:11], s[0:1], 0x410
	s_load_b64 s[38:39], s[0:1], 0x4f0
	;; [unrolled: 1-line block ×7, first 2 shown]
	v_dual_mov_b32 v1, 0 :: v_dual_mov_b32 v2, 0
	v_mov_b32_e32 v3, 0
	s_delay_alu instid0(VALU_DEP_2)
	v_cmp_gt_u64_e64 s2, s[24:25], v[0:1]
	s_waitcnt lgkmcnt(0)
	s_mul_i32 s3, s11, s28
	s_mul_hi_u32 s9, s10, s28
	s_mul_i32 s10, s10, s28
	s_add_i32 s11, s9, s3
	s_and_saveexec_b32 s9, s2
	s_cbranch_execz .LBB124_5
; %bb.2:
	v_mad_u64_u32 v[4:5], null, s38, v0, 0
	s_load_b32 s3, s[6:7], 0xc
	s_lshl_b64 s[14:15], s[10:11], 2
	s_delay_alu instid0(VALU_DEP_1) | instskip(NEXT) | instid1(VALU_DEP_1)
	v_mov_b32_e32 v2, v5
	v_mad_u64_u32 v[5:6], null, s39, v0, v[2:3]
	v_dual_mov_b32 v2, 0 :: v_dual_mov_b32 v7, v1
	v_dual_mov_b32 v3, 0 :: v_dual_mov_b32 v6, v0
	s_delay_alu instid0(VALU_DEP_3)
	v_lshlrev_b64 v[4:5], 2, v[4:5]
	s_waitcnt lgkmcnt(0)
	s_and_b32 s12, s3, 0xffff
	s_add_u32 s3, s4, s14
	s_addc_u32 s17, s5, s15
	s_mul_i32 s14, s39, s12
	s_mul_hi_u32 s16, s38, s12
	v_add_co_u32 v4, vcc_lo, s3, v4
	v_add_co_ci_u32_e32 v5, vcc_lo, s17, v5, vcc_lo
	s_add_i32 s15, s16, s14
	s_mul_i32 s14, s38, s12
	s_mov_b32 s16, 0
	s_lshl_b64 s[14:15], s[14:15], 2
	.p2align	6
.LBB124_3:                              ; =>This Inner Loop Header: Depth=1
	global_load_b32 v8, v[4:5], off
	v_add_co_u32 v6, vcc_lo, v6, s12
	v_add_co_ci_u32_e32 v7, vcc_lo, 0, v7, vcc_lo
	v_add_co_u32 v4, vcc_lo, v4, s14
	v_add_co_ci_u32_e32 v5, vcc_lo, s15, v5, vcc_lo
	s_waitcnt vmcnt(0)
	v_cmp_u_f32_e32 vcc_lo, v8, v8
	v_cndmask_b32_e64 v8, 0, 1, vcc_lo
	v_cmp_le_u64_e32 vcc_lo, s[24:25], v[6:7]
	s_delay_alu instid0(VALU_DEP_2) | instskip(NEXT) | instid1(VALU_DEP_1)
	v_add_co_u32 v2, s3, v2, v8
	v_add_co_ci_u32_e64 v3, s3, 0, v3, s3
	s_or_b32 s16, vcc_lo, s16
	s_delay_alu instid0(SALU_CYCLE_1)
	s_and_not1_b32 exec_lo, exec_lo, s16
	s_cbranch_execnz .LBB124_3
; %bb.4:
	s_or_b32 exec_lo, exec_lo, s16
.LBB124_5:
	s_delay_alu instid0(SALU_CYCLE_1) | instskip(SKIP_1) | instid1(VALU_DEP_1)
	s_or_b32 exec_lo, exec_lo, s9
	v_cmp_eq_u32_e64 s3, 0, v0
	s_and_saveexec_b32 s9, s3
	s_cbranch_execz .LBB124_7
; %bb.6:
	v_mov_b32_e32 v4, 0
	s_delay_alu instid0(VALU_DEP_1)
	v_mov_b32_e32 v5, v4
	ds_store_b64 v4, v[4:5] offset:5136
.LBB124_7:
	s_or_b32 exec_lo, exec_lo, s9
	s_mov_b64 s[14:15], 0
	s_mov_b32 s9, exec_lo
	s_waitcnt lgkmcnt(0)
	s_barrier
	buffer_gl0_inv
	v_cmpx_ne_u64_e32 0, v[2:3]
	s_cbranch_execz .LBB124_12
; %bb.8:
	s_mov_b32 s12, exec_lo
.LBB124_9:                              ; =>This Inner Loop Header: Depth=1
	s_delay_alu instid0(SALU_CYCLE_1) | instskip(NEXT) | instid1(SALU_CYCLE_1)
	s_ctz_i32_b32 s16, s12
	v_readlane_b32 s17, v2, s16
	v_readlane_b32 s18, v3, s16
	s_delay_alu instid0(VALU_DEP_2) | instskip(NEXT) | instid1(VALU_DEP_1)
	s_add_u32 s14, s14, s17
	s_addc_u32 s15, s15, s18
	s_lshl_b32 s16, 1, s16
	s_delay_alu instid0(SALU_CYCLE_1) | instskip(NEXT) | instid1(SALU_CYCLE_1)
	s_and_not1_b32 s12, s12, s16
	s_cmp_lg_u32 s12, 0
	s_cbranch_scc1 .LBB124_9
; %bb.10:
	v_mbcnt_lo_u32_b32 v2, exec_lo, 0
	s_mov_b32 s12, exec_lo
	s_delay_alu instid0(VALU_DEP_1)
	v_cmpx_eq_u32_e32 0, v2
	s_xor_b32 s12, exec_lo, s12
	s_cbranch_execz .LBB124_12
; %bb.11:
	v_mov_b32_e32 v2, s14
	v_dual_mov_b32 v4, 0 :: v_dual_mov_b32 v3, s15
	ds_add_u64 v4, v[2:3] offset:5136
.LBB124_12:
	s_or_b32 exec_lo, exec_lo, s9
	v_mov_b32_e32 v2, 0
	s_waitcnt lgkmcnt(0)
	s_barrier
	buffer_gl0_inv
	s_load_b32 s9, s[0:1], 0x4f8
	ds_load_b64 v[2:3], v2 offset:5136
	s_mov_b64 s[44:45], s[24:25]
	s_waitcnt lgkmcnt(0)
	s_bitcmp1_b32 s9, 0
	v_readfirstlane_b32 s0, v2
	v_readfirstlane_b32 s1, v3
	s_cselect_b32 s9, -1, 0
	s_delay_alu instid0(VALU_DEP_1) | instskip(NEXT) | instid1(VALU_DEP_1)
	v_cmp_lt_i64_e64 s12, s[0:1], 1
	s_or_b32 s9, s9, s12
	s_delay_alu instid0(SALU_CYCLE_1)
	s_and_not1_b32 vcc_lo, exec_lo, s9
	s_cbranch_vccnz .LBB124_14
; %bb.13:
	s_not_b64 s[0:1], s[0:1]
	s_delay_alu instid0(SALU_CYCLE_1) | instskip(SKIP_1) | instid1(SALU_CYCLE_1)
	s_add_u32 s0, s0, s24
	s_addc_u32 s1, s1, s25
	s_lshr_b64 s[0:1], s[0:1], 1
	s_delay_alu instid0(SALU_CYCLE_1)
	s_add_u32 s44, s0, 1
	s_addc_u32 s45, s1, 0
.LBB124_14:
	s_and_saveexec_b32 s0, s3
	s_cbranch_execz .LBB124_16
; %bb.15:
	v_dual_mov_b32 v2, 0 :: v_dual_mov_b32 v5, s25
	s_delay_alu instid0(VALU_DEP_1)
	v_dual_mov_b32 v4, s24 :: v_dual_mov_b32 v3, v2
	ds_store_b32 v2, v2 offset:5144
	ds_store_b128 v2, v[2:5] offset:5120
.LBB124_16:
	s_or_b32 exec_lo, exec_lo, s0
	v_mad_u64_u32 v[2:3], null, v0, s38, 0
	v_lshrrev_b32_e32 v6, 3, v0
	v_mbcnt_lo_u32_b32 v30, -1, 0
	v_lshlrev_b32_e32 v33, 4, v0
	s_waitcnt lgkmcnt(0)
	s_barrier
	buffer_gl0_inv
	v_mad_u64_u32 v[4:5], null, v0, s39, v[3:4]
	s_load_b32 s9, s[6:7], 0xc
	s_lshl_b64 s[10:11], s[10:11], 2
	v_cmp_gt_u32_e32 vcc_lo, 32, v0
	s_add_u32 s46, s4, s10
	v_cmp_gt_i32_e64 s4, 4, v30
	v_or_b32_e32 v9, 12, v33
	s_delay_alu instid0(VALU_DEP_4) | instskip(SKIP_3) | instid1(VALU_DEP_2)
	v_dual_mov_b32 v3, v4 :: v_dual_and_b32 v32, 0x7c, v6
	v_or_b32_e32 v14, 8, v33
	s_addc_u32 s47, s5, s11
	s_and_b32 s68, vcc_lo, s4
	v_lshlrev_b64 v[4:5], 2, v[2:3]
	v_mad_u64_u32 v[16:17], null, s38, v9, 0
	v_mad_u64_u32 v[18:19], null, s38, v14, 0
	v_dual_mov_b32 v15, 0 :: v_dual_lshlrev_b32 v12, 2, v0
	s_delay_alu instid0(VALU_DEP_4)
	v_add_co_u32 v10, vcc_lo, s46, v4
	v_add_co_ci_u32_e32 v11, vcc_lo, s47, v5, vcc_lo
	v_lshlrev_b64 v[4:5], v30, -1
	v_or_b32_e32 v22, 4, v33
	v_add_nc_u32_e32 v31, 0xc00, v12
	v_mov_b32_e32 v5, v19
	s_waitcnt lgkmcnt(0)
	s_and_b32 s29, s9, 0xffff
	s_bfe_u32 s4, s9, 0xb0005
	v_mad_u64_u32 v[20:21], null, s38, v22, 0
	v_not_b32_e32 v34, v4
	v_mov_b32_e32 v4, v17
	s_add_u32 s69, s29, -1
	s_addc_u32 s70, 0, -1
	v_mov_b32_e32 v13, v15
	s_add_u32 s71, s69, s24
	s_delay_alu instid0(VALU_DEP_4) | instskip(SKIP_3) | instid1(VALU_DEP_2)
	v_mov_b32_e32 v6, v21
	v_mad_u64_u32 v[7:8], null, s39, v9, v[4:5]
	s_addc_u32 s49, s70, s25
	s_cmp_lt_u32 s13, s8
	v_mad_u64_u32 v[8:9], null, s39, v14, v[5:6]
	s_cselect_b32 s5, 12, 18
	v_cmp_lt_u64_e64 s33, 0x300, s[24:25]
	s_delay_alu instid0(VALU_DEP_3)
	v_mad_u64_u32 v[4:5], null, s39, v22, v[6:7]
	s_add_u32 s50, s6, s5
	s_addc_u32 s51, s7, 0
	s_add_i32 s5, s4, -1
	s_bfe_u32 s72, s29, 0x30005
	s_cmp_gt_u32 s5, 6
	v_lshlrev_b64 v[21:22], 4, v[2:3]
	s_cselect_b32 s73, -1, 0
	s_and_b32 s74, s4, 0x7f8
	s_cmp_lg_u32 s72, 0
	s_mul_i32 s4, s39, s29
	s_mul_hi_u32 s5, s38, s29
	v_cmp_gt_u32_e64 s0, 2, v0
	v_cmp_eq_u32_e64 s1, 0, v30
	v_cmp_gt_u16_e64 s75, s9, 31
	v_mov_b32_e32 v17, v7
	v_mov_b32_e32 v19, v8
	;; [unrolled: 1-line block ×3, first 2 shown]
	v_lshl_or_b32 v36, v30, 3, 0xc00
	v_mov_b32_e32 v23, 1.0
	v_mov_b32_e32 v25, 0
	s_cselect_b32 s76, -1, 0
	s_add_i32 s5, s5, s4
	s_mul_i32 s4, s38, s29
	s_mov_b32 s43, 0
	s_lshl_b64 s[52:53], s[38:39], 2
	s_lshl_b64 s[54:55], s[38:39], 4
	s_lshl_b32 s77, s29, 2
	s_lshl_b64 s[40:41], s[4:5], 2
	s_mov_b32 s82, 30
	s_mov_b32 s78, 0
	;; [unrolled: 1-line block ×5, first 2 shown]
                                        ; implicit-def: $sgpr79
                                        ; implicit-def: $sgpr81
                                        ; implicit-def: $sgpr80
                                        ; implicit-def: $sgpr84
                                        ; implicit-def: $sgpr86
                                        ; implicit-def: $sgpr83
	s_branch .LBB124_21
.LBB124_17:                             ;   in Loop: Header=BB124_21 Depth=1
	s_xor_b32 s85, s85, 1
	s_add_i32 s7, s82, -2
	s_cmp_eq_u32 s82, 0
	s_mov_b32 s5, 0
	s_cselect_b32 s6, -1, 0
	s_mov_b32 s82, s7
.LBB124_18:                             ;   in Loop: Header=BB124_21 Depth=1
	s_and_not1_b32 s7, s13, exec_lo
	s_and_b32 s5, s5, exec_lo
	s_and_not1_b32 s19, s19, exec_lo
	s_or_b32 s13, s7, s5
	s_and_not1_b32 s12, s12, exec_lo
	s_or_not1_b32 s15, s6, exec_lo
.LBB124_19:                             ;   in Loop: Header=BB124_21 Depth=1
	s_or_b32 exec_lo, exec_lo, s4
	s_delay_alu instid0(SALU_CYCLE_1)
	s_and_not1_b32 s4, s83, exec_lo
	s_and_b32 s5, s13, exec_lo
	s_and_not1_b32 s6, s84, exec_lo
	s_or_b32 s83, s4, s5
	s_and_not1_b32 s4, s86, exec_lo
	s_and_b32 s5, s19, exec_lo
	s_and_b32 s7, s12, exec_lo
	s_or_b32 s86, s4, s5
	s_or_b32 s84, s6, s7
	s_or_not1_b32 s19, s15, exec_lo
.LBB124_20:                             ;   in Loop: Header=BB124_21 Depth=1
	s_or_b32 exec_lo, exec_lo, s14
	s_delay_alu instid0(SALU_CYCLE_1)
	s_and_b32 s4, exec_lo, s19
	v_mov_b32_e32 v2, s87
	s_or_b32 s78, s4, s78
	s_and_not1_b32 s4, s80, exec_lo
	s_and_b32 s5, s83, exec_lo
	s_and_not1_b32 s6, s79, exec_lo
	s_or_b32 s80, s4, s5
	s_and_not1_b32 s4, s81, exec_lo
	s_and_b32 s5, s86, exec_lo
	s_and_b32 s7, s84, exec_lo
	s_or_b32 s81, s4, s5
	s_or_b32 s79, s6, s7
	s_and_not1_b32 exec_lo, exec_lo, s78
	s_cbranch_execz .LBB124_289
.LBB124_21:                             ; =>This Loop Header: Depth=1
                                        ;     Child Loop BB124_29 Depth 2
                                        ;     Child Loop BB124_47 Depth 2
	;; [unrolled: 1-line block ×16, first 2 shown]
	ds_load_b128 v[2:5], v15 offset:5120
	s_waitcnt lgkmcnt(0)
	v_readfirstlane_b32 s57, v3
	v_readfirstlane_b32 s56, v2
	s_delay_alu instid0(VALU_DEP_1)
	s_cmp_lg_u64 s[56:57], 0
	s_cbranch_scc1 .LBB124_54
; %bb.22:                               ;   in Loop: Header=BB124_21 Depth=1
	s_and_b32 vcc_lo, exec_lo, s33
	s_cbranch_vccz .LBB124_37
; %bb.23:                               ;   in Loop: Header=BB124_21 Depth=1
	v_cmp_gt_u64_e32 vcc_lo, 0x301, v[4:5]
	s_mov_b32 s6, 0
	s_mov_b32 s4, 0
	s_cbranch_vccz .LBB124_38
; %bb.24:                               ;   in Loop: Header=BB124_21 Depth=1
	v_mov_b32_e32 v6, 0
	s_and_saveexec_b32 s4, s2
	s_cbranch_execz .LBB124_26
; %bb.25:                               ;   in Loop: Header=BB124_21 Depth=1
	global_load_b32 v6, v[10:11], off
.LBB124_26:                             ;   in Loop: Header=BB124_21 Depth=1
	s_or_b32 exec_lo, exec_lo, s4
	s_and_saveexec_b32 s7, s2
	s_cbranch_execz .LBB124_39
; %bb.27:                               ;   in Loop: Header=BB124_21 Depth=1
	global_load_u16 v7, v15, s[50:51]
	s_mov_b32 s10, 0
	s_waitcnt vmcnt(0)
	v_readfirstlane_b32 s4, v7
	v_and_b32_e32 v7, 0xffff, v7
	s_delay_alu instid0(VALU_DEP_2) | instskip(NEXT) | instid1(SALU_CYCLE_1)
	s_and_b32 s4, 0xffff, s4
	v_add_nc_u32_e32 v8, s4, v0
	s_mul_i32 s5, s53, s4
	s_mul_hi_u32 s8, s52, s4
	s_mul_i32 s9, s52, s4
	s_add_i32 s8, s8, s5
	v_mad_u64_u32 v[2:3], null, s52, v8, s[46:47]
	s_delay_alu instid0(VALU_DEP_1) | instskip(NEXT) | instid1(VALU_DEP_1)
	v_mad_u64_u32 v[4:5], null, s53, v8, v[3:4]
	v_mov_b32_e32 v3, v4
	v_dual_mov_b32 v5, v1 :: v_dual_mov_b32 v4, v0
	s_branch .LBB124_29
.LBB124_28:                             ;   in Loop: Header=BB124_29 Depth=2
	s_or_b32 exec_lo, exec_lo, s5
	v_add_co_u32 v2, vcc_lo, v2, s9
	v_add_co_ci_u32_e32 v3, vcc_lo, s8, v3, vcc_lo
	s_waitcnt vmcnt(0)
	v_mov_b32_e32 v6, v8
	s_and_not1_b32 exec_lo, exec_lo, s10
	s_cbranch_execz .LBB124_39
.LBB124_29:                             ;   Parent Loop BB124_21 Depth=1
                                        ; =>  This Inner Loop Header: Depth=2
	s_delay_alu instid0(VALU_DEP_1) | instskip(NEXT) | instid1(VALU_DEP_2)
	v_add_co_u32 v4, vcc_lo, v4, v7
	v_add_co_ci_u32_e32 v5, vcc_lo, 0, v5, vcc_lo
	s_waitcnt lgkmcnt(0)
	v_dual_mov_b32 v9, 0 :: v_dual_mov_b32 v8, 0
	s_mov_b32 s5, exec_lo
	s_delay_alu instid0(VALU_DEP_2)
	v_cmp_le_u64_e32 vcc_lo, s[24:25], v[4:5]
	v_cmpx_gt_u64_e64 s[24:25], v[4:5]
	s_cbranch_execz .LBB124_31
; %bb.30:                               ;   in Loop: Header=BB124_29 Depth=2
	global_load_b32 v8, v[2:3], off
.LBB124_31:                             ;   in Loop: Header=BB124_29 Depth=2
	s_or_b32 exec_lo, exec_lo, s5
	v_cmp_lt_i32_e64 s4, -1, v6
	s_delay_alu instid0(VALU_DEP_1) | instskip(SKIP_1) | instid1(VALU_DEP_2)
	v_cndmask_b32_e64 v14, -1, 0x80000000, s4
	v_cmp_o_f32_e64 s4, v6, v6
	v_xor_b32_e32 v14, v14, v6
	s_delay_alu instid0(VALU_DEP_1) | instskip(NEXT) | instid1(VALU_DEP_1)
	v_cndmask_b32_e64 v14, -1, v14, s4
	v_and_b32_e32 v14, s88, v14
	s_delay_alu instid0(VALU_DEP_1) | instskip(NEXT) | instid1(VALU_DEP_1)
	v_cmp_eq_u32_e64 s4, s87, v14
	s_cmp_lg_u32 s4, 0
	s_cselect_b32 s5, -1, 0
	s_delay_alu instid0(SALU_CYCLE_1) | instskip(NEXT) | instid1(SALU_CYCLE_1)
	s_and_b32 s5, s1, s5
	s_and_saveexec_b32 s11, s5
	s_cbranch_execz .LBB124_35
; %bb.32:                               ;   in Loop: Header=BB124_29 Depth=2
	s_mov_b32 s14, exec_lo
	s_bcnt1_i32_b32 s12, s4
	v_mbcnt_lo_u32_b32 v9, s14, 0
	s_mov_b32 s13, exec_lo
                                        ; implicit-def: $vgpr14
	s_delay_alu instid0(VALU_DEP_1)
	v_cmpx_eq_u32_e32 0, v9
	s_cbranch_execz .LBB124_34
; %bb.33:                               ;   in Loop: Header=BB124_29 Depth=2
	s_bcnt1_i32_b32 s5, s14
	s_delay_alu instid0(SALU_CYCLE_1) | instskip(NEXT) | instid1(SALU_CYCLE_1)
	s_mul_i32 s5, s12, s5
	v_mov_b32_e32 v14, s5
	ds_add_rtn_u32 v14, v15, v14 offset:5144
.LBB124_34:                             ;   in Loop: Header=BB124_29 Depth=2
	s_or_b32 exec_lo, exec_lo, s13
	s_waitcnt lgkmcnt(0)
	v_readfirstlane_b32 s5, v14
	s_delay_alu instid0(VALU_DEP_1)
	v_mad_u32_u24 v9, s12, v9, s5
.LBB124_35:                             ;   in Loop: Header=BB124_29 Depth=2
	s_or_b32 exec_lo, exec_lo, s11
	ds_bpermute_b32 v9, v15, v9
	s_and_b32 s5, exec_lo, vcc_lo
	s_delay_alu instid0(SALU_CYCLE_1)
	s_or_b32 s10, s5, s10
	s_and_saveexec_b32 s5, s4
	s_cbranch_execz .LBB124_28
; %bb.36:                               ;   in Loop: Header=BB124_29 Depth=2
	v_and_b32_e32 v14, s4, v34
	s_delay_alu instid0(VALU_DEP_1) | instskip(NEXT) | instid1(VALU_DEP_1)
	v_bcnt_u32_b32 v14, v14, 0
	v_lshlrev_b32_e32 v14, 2, v14
	s_waitcnt lgkmcnt(0)
	s_delay_alu instid0(VALU_DEP_1)
	v_lshl_add_u32 v9, v9, 2, v14
	ds_store_b32 v9, v6
	s_branch .LBB124_28
.LBB124_37:                             ;   in Loop: Header=BB124_21 Depth=1
	s_mov_b32 s4, 0
                                        ; implicit-def: $sgpr56_sgpr57
	s_cbranch_execnz .LBB124_42
	s_branch .LBB124_52
.LBB124_38:                             ;   in Loop: Header=BB124_21 Depth=1
	s_mov_b64 s[56:57], 0
	s_and_b32 vcc_lo, exec_lo, s6
	s_cbranch_vccnz .LBB124_42
	s_branch .LBB124_52
.LBB124_39:                             ;   in Loop: Header=BB124_21 Depth=1
	s_or_b32 exec_lo, exec_lo, s7
	s_waitcnt vmcnt(0) lgkmcnt(0)
	s_barrier
	buffer_gl0_inv
	s_and_saveexec_b32 s4, s3
	s_cbranch_execz .LBB124_41
; %bb.40:                               ;   in Loop: Header=BB124_21 Depth=1
	ds_load_b32 v2, v15 offset:5144
	s_waitcnt lgkmcnt(0)
	v_ashrrev_i32_e32 v3, 31, v2
	ds_store_b64 v15, v[2:3] offset:5120
.LBB124_41:                             ;   in Loop: Header=BB124_21 Depth=1
	s_or_b32 exec_lo, exec_lo, s4
	s_waitcnt lgkmcnt(0)
	s_mov_b32 s4, -1
	s_barrier
	s_mov_b64 s[56:57], 0
	s_and_b32 vcc_lo, exec_lo, s6
	s_cbranch_vccz .LBB124_52
.LBB124_42:                             ;   in Loop: Header=BB124_21 Depth=1
	v_mov_b32_e32 v6, 0
	s_and_saveexec_b32 s4, s2
	s_cbranch_execz .LBB124_44
; %bb.43:                               ;   in Loop: Header=BB124_21 Depth=1
	global_load_b32 v6, v[10:11], off
.LBB124_44:                             ;   in Loop: Header=BB124_21 Depth=1
	s_or_b32 exec_lo, exec_lo, s4
	s_and_saveexec_b32 s5, s2
	s_cbranch_execz .LBB124_49
; %bb.45:                               ;   in Loop: Header=BB124_21 Depth=1
	global_load_u16 v8, v15, s[50:51]
	s_mov_b32 s9, 0
	s_waitcnt vmcnt(0)
	v_readfirstlane_b32 s4, v8
	v_and_b32_e32 v8, 0xffff, v8
	s_delay_alu instid0(VALU_DEP_2) | instskip(NEXT) | instid1(SALU_CYCLE_1)
	s_and_b32 s4, 0xffff, s4
	v_add_nc_u32_e32 v7, s4, v0
	s_mul_i32 s7, s53, s4
	s_mul_hi_u32 s8, s52, s4
	s_lshl_b32 s6, s4, 2
	s_add_i32 s7, s8, s7
	v_mad_u64_u32 v[2:3], null, s52, v7, s[46:47]
	s_mul_i32 s8, s52, s4
	s_delay_alu instid0(VALU_DEP_1) | instskip(SKIP_1) | instid1(VALU_DEP_2)
	v_mad_u64_u32 v[4:5], null, s53, v7, v[3:4]
	v_mov_b32_e32 v7, v12
	v_mov_b32_e32 v3, v4
	v_dual_mov_b32 v5, v1 :: v_dual_mov_b32 v4, v0
	s_branch .LBB124_47
	.p2align	6
.LBB124_46:                             ;   in Loop: Header=BB124_47 Depth=2
	s_or_b32 exec_lo, exec_lo, s10
	s_delay_alu instid0(SALU_CYCLE_1)
	s_and_b32 s4, exec_lo, vcc_lo
	v_add_co_u32 v2, vcc_lo, v2, s8
	ds_store_b32 v7, v6
	s_waitcnt vmcnt(0)
	v_dual_mov_b32 v6, v9 :: v_dual_add_nc_u32 v7, s6, v7
	v_add_co_ci_u32_e32 v3, vcc_lo, s7, v3, vcc_lo
	s_or_b32 s9, s4, s9
	s_delay_alu instid0(SALU_CYCLE_1)
	s_and_not1_b32 exec_lo, exec_lo, s9
	s_cbranch_execz .LBB124_49
.LBB124_47:                             ;   Parent Loop BB124_21 Depth=1
                                        ; =>  This Inner Loop Header: Depth=2
	s_delay_alu instid0(VALU_DEP_1) | instskip(NEXT) | instid1(VALU_DEP_2)
	v_add_co_u32 v4, vcc_lo, v4, v8
	v_add_co_ci_u32_e32 v5, vcc_lo, 0, v5, vcc_lo
	v_mov_b32_e32 v9, 0
	s_mov_b32 s10, exec_lo
	s_delay_alu instid0(VALU_DEP_2)
	v_cmp_le_u64_e32 vcc_lo, s[24:25], v[4:5]
	v_cmpx_gt_u64_e64 s[24:25], v[4:5]
	s_cbranch_execz .LBB124_46
; %bb.48:                               ;   in Loop: Header=BB124_47 Depth=2
	global_load_b32 v9, v[2:3], off
	s_branch .LBB124_46
.LBB124_49:                             ;   in Loop: Header=BB124_21 Depth=1
	s_or_b32 exec_lo, exec_lo, s5
	s_waitcnt vmcnt(0) lgkmcnt(0)
	s_barrier
	buffer_gl0_inv
	s_and_saveexec_b32 s4, s3
	s_cbranch_execz .LBB124_51
; %bb.50:                               ;   in Loop: Header=BB124_21 Depth=1
	v_dual_mov_b32 v2, s24 :: v_dual_mov_b32 v3, s25
	ds_store_b64 v15, v[2:3] offset:5120
.LBB124_51:                             ;   in Loop: Header=BB124_21 Depth=1
	s_or_b32 exec_lo, exec_lo, s4
	s_mov_b32 s4, -1
	s_waitcnt lgkmcnt(0)
	s_barrier
                                        ; implicit-def: $sgpr56_sgpr57
.LBB124_52:                             ;   in Loop: Header=BB124_21 Depth=1
	s_and_b32 vcc_lo, exec_lo, s4
	s_cbranch_vccz .LBB124_54
; %bb.53:                               ;   in Loop: Header=BB124_21 Depth=1
	buffer_gl0_inv
	ds_load_b64 v[2:3], v15 offset:5120
	s_waitcnt lgkmcnt(0)
	v_readfirstlane_b32 s56, v2
.LBB124_54:                             ;   in Loop: Header=BB124_21 Depth=1
	s_delay_alu instid0(VALU_DEP_1)
	s_cmp_lt_i32 s56, 1
	s_cbranch_scc0 .LBB124_69
; %bb.55:                               ;   in Loop: Header=BB124_21 Depth=1
	global_load_u16 v2, v15, s[50:51]
	s_mov_b32 s5, s25
	s_waitcnt vmcnt(0)
	v_readfirstlane_b32 s4, v2
	s_delay_alu instid0(VALU_DEP_1)
	s_and_b32 s42, s4, 0xffff
	s_mov_b32 s4, s43
	s_lshl_b32 s48, s42, 2
	s_cmp_lg_u64 s[4:5], 0
	s_cbranch_scc0 .LBB124_89
; %bb.56:                               ;   in Loop: Header=BB124_21 Depth=1
	v_cvt_f32_u32_e32 v2, s48
	s_sub_u32 s6, 0, s48
	s_subb_u32 s7, 0, 0
	s_delay_alu instid0(VALU_DEP_1) | instskip(NEXT) | instid1(VALU_DEP_1)
	v_fmac_f32_e64 v2, 0, 0x4f800000
	v_rcp_f32_e32 v2, v2
	s_waitcnt_depctr 0xfff
	v_mul_f32_e32 v2, 0x5f7ffffc, v2
	s_delay_alu instid0(VALU_DEP_1) | instskip(NEXT) | instid1(VALU_DEP_1)
	v_mul_f32_e32 v3, 0x2f800000, v2
	v_trunc_f32_e32 v3, v3
	s_delay_alu instid0(VALU_DEP_1) | instskip(SKIP_1) | instid1(VALU_DEP_2)
	v_fmac_f32_e32 v2, 0xcf800000, v3
	v_cvt_u32_f32_e32 v3, v3
	v_cvt_u32_f32_e32 v2, v2
	s_delay_alu instid0(VALU_DEP_2) | instskip(NEXT) | instid1(VALU_DEP_2)
	v_readfirstlane_b32 s4, v3
	v_readfirstlane_b32 s5, v2
	s_delay_alu instid0(VALU_DEP_2) | instskip(NEXT) | instid1(VALU_DEP_1)
	s_mul_i32 s8, s6, s4
	s_mul_hi_u32 s10, s6, s5
	s_mul_i32 s9, s7, s5
	s_add_i32 s8, s10, s8
	s_mul_i32 s11, s6, s5
	s_add_i32 s8, s8, s9
	s_mul_hi_u32 s10, s5, s11
	s_mul_hi_u32 s12, s4, s11
	s_mul_i32 s9, s4, s11
	s_mul_hi_u32 s11, s5, s8
	s_mul_i32 s5, s5, s8
	s_mul_hi_u32 s13, s4, s8
	s_add_u32 s5, s10, s5
	s_addc_u32 s10, 0, s11
	s_add_u32 s5, s5, s9
	s_mul_i32 s8, s4, s8
	s_addc_u32 s5, s10, s12
	s_addc_u32 s9, s13, 0
	s_add_u32 s5, s5, s8
	s_addc_u32 s8, 0, s9
	v_add_co_u32 v2, s5, v2, s5
	s_delay_alu instid0(VALU_DEP_1) | instskip(SKIP_1) | instid1(VALU_DEP_1)
	s_cmp_lg_u32 s5, 0
	s_addc_u32 s4, s4, s8
	v_readfirstlane_b32 s5, v2
	s_mul_i32 s8, s6, s4
	s_delay_alu instid0(VALU_DEP_1)
	s_mul_hi_u32 s9, s6, s5
	s_mul_i32 s7, s7, s5
	s_add_i32 s8, s9, s8
	s_mul_i32 s6, s6, s5
	s_add_i32 s8, s8, s7
	s_mul_hi_u32 s9, s4, s6
	s_mul_i32 s10, s4, s6
	s_mul_hi_u32 s6, s5, s6
	s_mul_hi_u32 s11, s5, s8
	s_mul_i32 s5, s5, s8
	s_mul_hi_u32 s7, s4, s8
	s_add_u32 s5, s6, s5
	s_addc_u32 s6, 0, s11
	s_add_u32 s5, s5, s10
	s_mul_i32 s8, s4, s8
	s_addc_u32 s5, s6, s9
	s_addc_u32 s6, s7, 0
	s_add_u32 s5, s5, s8
	s_addc_u32 s6, 0, s6
	v_add_co_u32 v2, s5, v2, s5
	s_delay_alu instid0(VALU_DEP_1) | instskip(SKIP_1) | instid1(VALU_DEP_1)
	s_cmp_lg_u32 s5, 0
	s_addc_u32 s4, s4, s6
	v_readfirstlane_b32 s5, v2
	s_mul_i32 s7, s24, s4
	s_mul_hi_u32 s6, s24, s4
	s_mul_hi_u32 s8, s25, s4
	s_mul_i32 s4, s25, s4
	s_mul_hi_u32 s9, s24, s5
	s_mul_hi_u32 s10, s25, s5
	s_mul_i32 s5, s25, s5
	s_add_u32 s7, s9, s7
	s_addc_u32 s6, 0, s6
	s_add_u32 s5, s7, s5
	s_addc_u32 s5, s6, s10
	s_addc_u32 s6, s8, 0
	s_add_u32 s4, s5, s4
	s_addc_u32 s5, 0, s6
	s_mul_hi_u32 s6, s48, s4
	s_mul_i32 s4, s48, s4
	s_mul_i32 s5, s48, s5
	v_sub_co_u32 v2, s4, s24, s4
	s_add_i32 s6, s6, s5
	s_cmp_lg_u32 s4, 0
	s_delay_alu instid0(VALU_DEP_1) | instskip(SKIP_2) | instid1(VALU_DEP_1)
	v_sub_co_u32 v3, s4, v2, s48
	s_subb_u32 s5, s25, s6
	s_cmp_lg_u32 s4, 0
	v_cmp_le_u32_e32 vcc_lo, s48, v3
	v_sub_co_u32 v4, s4, v3, s48
	s_subb_u32 s6, s5, 0
	s_cmp_lg_u32 s4, 0
	v_cndmask_b32_e64 v5, 0, -1, vcc_lo
	s_subb_u32 s4, s6, 0
	s_cmp_eq_u32 s6, 0
	v_mov_b32_e32 v7, s4
	s_cselect_b32 vcc_lo, -1, 0
	s_cmp_eq_u32 s5, 0
	v_cndmask_b32_e32 v5, -1, v5, vcc_lo
	v_cmp_le_u32_e32 vcc_lo, s48, v2
	s_cselect_b32 s4, -1, 0
	v_cndmask_b32_e64 v6, 0, -1, vcc_lo
	s_delay_alu instid0(VALU_DEP_3) | instskip(NEXT) | instid1(VALU_DEP_2)
	v_cmp_ne_u32_e32 vcc_lo, 0, v5
	v_cndmask_b32_e64 v5, -1, v6, s4
	v_cndmask_b32_e32 v6, s6, v7, vcc_lo
	v_cndmask_b32_e32 v4, v3, v4, vcc_lo
	s_delay_alu instid0(VALU_DEP_3) | instskip(NEXT) | instid1(VALU_DEP_3)
	v_cmp_ne_u32_e32 vcc_lo, 0, v5
	v_cndmask_b32_e32 v3, s5, v6, vcc_lo
	s_delay_alu instid0(VALU_DEP_3)
	v_cndmask_b32_e32 v2, v2, v4, vcc_lo
	s_cbranch_execnz .LBB124_58
.LBB124_57:                             ;   in Loop: Header=BB124_21 Depth=1
	v_cvt_f32_u32_e32 v2, s48
	s_sub_i32 s4, 0, s48
	s_delay_alu instid0(VALU_DEP_1) | instskip(SKIP_2) | instid1(VALU_DEP_1)
	v_rcp_iflag_f32_e32 v2, v2
	s_waitcnt_depctr 0xfff
	v_mul_f32_e32 v2, 0x4f7ffffe, v2
	v_cvt_u32_f32_e32 v2, v2
	s_delay_alu instid0(VALU_DEP_1) | instskip(NEXT) | instid1(VALU_DEP_1)
	v_mul_lo_u32 v3, s4, v2
	v_mul_hi_u32 v3, v2, v3
	s_delay_alu instid0(VALU_DEP_1) | instskip(NEXT) | instid1(VALU_DEP_1)
	v_add_nc_u32_e32 v2, v2, v3
	v_mul_hi_u32 v2, s24, v2
	s_delay_alu instid0(VALU_DEP_1) | instskip(NEXT) | instid1(VALU_DEP_1)
	v_mul_lo_u32 v2, v2, s48
	v_sub_nc_u32_e32 v2, s24, v2
	s_delay_alu instid0(VALU_DEP_1) | instskip(SKIP_1) | instid1(VALU_DEP_2)
	v_subrev_nc_u32_e32 v3, s48, v2
	v_cmp_le_u32_e32 vcc_lo, s48, v2
	v_cndmask_b32_e32 v2, v2, v3, vcc_lo
	s_delay_alu instid0(VALU_DEP_1) | instskip(SKIP_1) | instid1(VALU_DEP_2)
	v_subrev_nc_u32_e32 v3, s48, v2
	v_cmp_le_u32_e32 vcc_lo, s48, v2
	v_cndmask_b32_e32 v14, v2, v3, vcc_lo
	s_delay_alu instid0(VALU_DEP_1)
	v_dual_mov_b32 v2, v14 :: v_dual_mov_b32 v3, v15
.LBB124_58:                             ;   in Loop: Header=BB124_21 Depth=1
	s_delay_alu instid0(VALU_DEP_1) | instskip(NEXT) | instid1(VALU_DEP_2)
	v_sub_co_u32 v26, vcc_lo, s24, v2
	v_sub_co_ci_u32_e32 v27, vcc_lo, s25, v3, vcc_lo
	v_mov_b32_e32 v2, 0
	v_mov_b32_e32 v3, 0
	s_mov_b64 s[58:59], 0
	s_mov_b32 s57, exec_lo
	s_delay_alu instid0(VALU_DEP_1)
	v_dual_mov_b32 v5, v3 :: v_dual_mov_b32 v4, v2
	v_dual_mov_b32 v7, v3 :: v_dual_mov_b32 v6, v2
	;; [unrolled: 1-line block ×3, first 2 shown]
	v_cmpx_gt_u64_e64 v[26:27], v[12:13]
	s_cbranch_execz .LBB124_62
; %bb.59:                               ;   in Loop: Header=BB124_21 Depth=1
	v_dual_mov_b32 v29, v13 :: v_dual_mov_b32 v28, v12
	s_mul_i32 s4, s55, s42
	s_mul_hi_u32 s5, s54, s42
	s_and_b32 s89, s82, 0xfe
	s_add_i32 s90, s5, s4
	s_mul_i32 s91, s54, s42
	s_mov_b32 s92, 0
	s_mov_b64 s[60:61], s[46:47]
	s_mov_b64 s[62:63], 0
	;; [unrolled: 1-line block ×4, first 2 shown]
.LBB124_60:                             ;   Parent Loop BB124_21 Depth=1
                                        ; =>  This Inner Loop Header: Depth=2
	v_add_co_u32 v2, vcc_lo, s60, v21
	v_add_co_ci_u32_e32 v3, vcc_lo, s61, v22, vcc_lo
	v_add_co_u32 v4, vcc_lo, s60, v20
	v_add_co_ci_u32_e32 v5, vcc_lo, s61, v35, vcc_lo
	;; [unrolled: 2-line block ×4, first 2 shown]
	s_clause 0x3
	global_load_b32 v2, v[2:3], off
	global_load_b32 v3, v[4:5], off
	;; [unrolled: 1-line block ×4, first 2 shown]
	v_add_co_u32 v28, vcc_lo, v28, s48
	v_add_co_ci_u32_e32 v29, vcc_lo, 0, v29, vcc_lo
	s_delay_alu instid0(VALU_DEP_1)
	v_cmp_ge_u64_e32 vcc_lo, v[28:29], v[26:27]
	s_waitcnt vmcnt(3)
	v_cmp_lt_i32_e64 s4, -1, v2
	v_cmp_o_f32_e64 s7, v2, v2
	s_waitcnt vmcnt(1)
	v_cmp_o_f32_e64 s5, v4, v4
	s_waitcnt vmcnt(0)
	v_cmp_o_f32_e64 s6, v5, v5
	v_cndmask_b32_e64 v6, -1, 0x80000000, s4
	v_cmp_lt_i32_e64 s4, -1, v3
	s_delay_alu instid0(VALU_DEP_2) | instskip(NEXT) | instid1(VALU_DEP_2)
	v_xor_b32_e32 v6, v6, v2
	v_cndmask_b32_e64 v7, -1, 0x80000000, s4
	v_cmp_lt_i32_e64 s4, -1, v4
	s_delay_alu instid0(VALU_DEP_3) | instskip(NEXT) | instid1(VALU_DEP_3)
	v_cndmask_b32_e64 v2, -1, v6, s7
	v_xor_b32_e32 v7, v7, v3
	s_delay_alu instid0(VALU_DEP_3) | instskip(SKIP_1) | instid1(VALU_DEP_4)
	v_cndmask_b32_e64 v8, -1, 0x80000000, s4
	v_cmp_lt_i32_e64 s4, -1, v5
	v_and_b32_e32 v6, s88, v2
	v_bfe_u32 v2, v2, s89, 2
	s_delay_alu instid0(VALU_DEP_3) | instskip(SKIP_2) | instid1(VALU_DEP_4)
	v_cndmask_b32_e64 v9, -1, 0x80000000, s4
	v_cmp_o_f32_e64 s4, v3, v3
	v_xor_b32_e32 v3, v8, v4
	v_cmp_eq_u32_e64 s8, 0, v2
	v_cmp_eq_u32_e64 s12, 1, v2
	v_xor_b32_e32 v4, v9, v5
	v_cndmask_b32_e64 v5, -1, v7, s4
	v_cndmask_b32_e64 v3, -1, v3, s5
	v_cmp_eq_u32_e64 s4, s87, v6
	v_cmp_eq_u32_e64 s16, 2, v2
	v_cndmask_b32_e64 v4, -1, v4, s6
	v_and_b32_e32 v7, s88, v5
	v_bfe_u32 v5, v5, s89, 2
	v_and_b32_e32 v8, s88, v3
	v_bfe_u32 v3, v3, s89, 2
	;; [unrolled: 2-line block ×3, first 2 shown]
	v_cmp_eq_u32_e64 s5, s87, v7
	v_cmp_eq_u32_e64 s9, 0, v5
	;; [unrolled: 1-line block ×4, first 2 shown]
	s_and_b32 s8, s4, s8
	v_cmp_eq_u32_e64 s7, s87, v9
	v_cmp_eq_u32_e64 s11, 0, v4
	v_cmp_eq_u32_e64 s20, 3, v2
	v_cndmask_b32_e64 v2, 0, 1, s8
	s_and_b32 s8, s5, s9
	v_cmp_eq_u32_e64 s14, 1, v3
	v_cmp_eq_u32_e64 s18, 2, v3
	v_cmp_eq_u32_e64 s22, 3, v3
	v_cndmask_b32_e64 v3, 0, 1, s8
	;; [unrolled: 5-line block ×4, first 2 shown]
	v_cmp_ne_u32_e64 s8, 0, v2
	v_cmp_ne_u32_e64 s9, 0, v3
	;; [unrolled: 1-line block ×3, first 2 shown]
	s_delay_alu instid0(VALU_DEP_4) | instskip(NEXT) | instid1(VALU_DEP_4)
	v_cmp_ne_u32_e64 s11, 0, v5
	s_bcnt1_i32_b32 s8, s8
	s_delay_alu instid0(VALU_DEP_3) | instskip(NEXT) | instid1(VALU_DEP_2)
	s_bcnt1_i32_b32 s9, s9
	s_bcnt1_i32_b32 s10, s10
	s_add_i32 s8, s9, s8
	s_bcnt1_i32_b32 s11, s11
	s_add_i32 s8, s8, s10
	s_delay_alu instid0(SALU_CYCLE_1) | instskip(NEXT) | instid1(SALU_CYCLE_1)
	s_add_i32 s8, s8, s11
	s_add_u32 s66, s66, s8
	s_addc_u32 s67, s67, 0
	s_and_b32 s8, s4, s12
	v_mov_b32_e32 v2, s66
	v_cndmask_b32_e64 v4, 0, 1, s8
	s_and_b32 s8, s5, s13
	v_mov_b32_e32 v3, s67
	v_cndmask_b32_e64 v5, 0, 1, s8
	s_and_b32 s8, s6, s14
	s_delay_alu instid0(SALU_CYCLE_1) | instskip(SKIP_1) | instid1(VALU_DEP_2)
	v_cndmask_b32_e64 v6, 0, 1, s8
	s_and_b32 s8, s7, s15
	v_cmp_ne_u32_e64 s9, 0, v5
	v_cndmask_b32_e64 v7, 0, 1, s8
	v_cmp_ne_u32_e64 s8, 0, v4
	v_cmp_ne_u32_e64 s10, 0, v6
	s_delay_alu instid0(VALU_DEP_4) | instskip(NEXT) | instid1(VALU_DEP_3)
	s_bcnt1_i32_b32 s9, s9
	v_cmp_ne_u32_e64 s11, 0, v7
	s_delay_alu instid0(VALU_DEP_3) | instskip(NEXT) | instid1(VALU_DEP_2)
	s_bcnt1_i32_b32 s8, s8
	s_bcnt1_i32_b32 s10, s10
	s_add_i32 s8, s9, s8
	s_delay_alu instid0(VALU_DEP_1) | instskip(SKIP_1) | instid1(SALU_CYCLE_1)
	s_bcnt1_i32_b32 s11, s11
	s_add_i32 s8, s8, s10
	s_add_i32 s8, s8, s11
	s_delay_alu instid0(SALU_CYCLE_1) | instskip(SKIP_2) | instid1(SALU_CYCLE_1)
	s_add_u32 s64, s64, s8
	s_addc_u32 s65, s65, 0
	s_and_b32 s8, s4, s16
	v_cndmask_b32_e64 v4, 0, 1, s8
	s_and_b32 s8, s5, s17
	s_delay_alu instid0(SALU_CYCLE_1) | instskip(SKIP_1) | instid1(SALU_CYCLE_1)
	v_cndmask_b32_e64 v5, 0, 1, s8
	s_and_b32 s8, s6, s18
	v_cndmask_b32_e64 v6, 0, 1, s8
	s_and_b32 s8, s7, s19
	s_delay_alu instid0(VALU_DEP_2) | instskip(SKIP_3) | instid1(VALU_DEP_4)
	v_cmp_ne_u32_e64 s9, 0, v5
	v_cndmask_b32_e64 v7, 0, 1, s8
	v_cmp_ne_u32_e64 s8, 0, v4
	v_cmp_ne_u32_e64 s10, 0, v6
	s_bcnt1_i32_b32 s9, s9
	s_delay_alu instid0(VALU_DEP_3) | instskip(NEXT) | instid1(VALU_DEP_3)
	v_cmp_ne_u32_e64 s11, 0, v7
	s_bcnt1_i32_b32 s8, s8
	s_delay_alu instid0(VALU_DEP_2) | instskip(SKIP_1) | instid1(VALU_DEP_1)
	s_bcnt1_i32_b32 s10, s10
	s_add_i32 s8, s9, s8
	s_bcnt1_i32_b32 s11, s11
	s_add_i32 s8, s8, s10
	s_delay_alu instid0(SALU_CYCLE_1) | instskip(NEXT) | instid1(SALU_CYCLE_1)
	s_add_i32 s8, s8, s11
	s_add_u32 s62, s62, s8
	s_addc_u32 s63, s63, 0
	s_and_b32 s4, s4, s20
	s_delay_alu instid0(SALU_CYCLE_1) | instskip(SKIP_1) | instid1(SALU_CYCLE_1)
	v_cndmask_b32_e64 v4, 0, 1, s4
	s_and_b32 s4, s5, s21
	v_cndmask_b32_e64 v5, 0, 1, s4
	s_and_b32 s4, s6, s22
	s_delay_alu instid0(SALU_CYCLE_1) | instskip(SKIP_1) | instid1(VALU_DEP_2)
	v_cndmask_b32_e64 v6, 0, 1, s4
	s_and_b32 s4, s7, s23
	v_cmp_ne_u32_e64 s5, 0, v5
	v_cndmask_b32_e64 v7, 0, 1, s4
	v_cmp_ne_u32_e64 s4, 0, v4
	v_mov_b32_e32 v4, s64
	v_cmp_ne_u32_e64 s6, 0, v6
	s_bcnt1_i32_b32 s5, s5
	v_cmp_ne_u32_e64 s7, 0, v7
	s_bcnt1_i32_b32 s4, s4
	v_mov_b32_e32 v5, s65
	s_bcnt1_i32_b32 s6, s6
	s_add_i32 s4, s5, s4
	s_bcnt1_i32_b32 s5, s7
	s_add_i32 s4, s4, s6
	v_dual_mov_b32 v6, s62 :: v_dual_mov_b32 v7, s63
	s_add_i32 s4, s4, s5
	s_delay_alu instid0(SALU_CYCLE_1) | instskip(SKIP_1) | instid1(SALU_CYCLE_1)
	s_add_u32 s58, s58, s4
	s_addc_u32 s59, s59, 0
	v_dual_mov_b32 v8, s58 :: v_dual_mov_b32 v9, s59
	s_add_u32 s60, s60, s91
	s_addc_u32 s61, s61, s90
	s_or_b32 s92, vcc_lo, s92
	s_delay_alu instid0(SALU_CYCLE_1)
	s_and_not1_b32 exec_lo, exec_lo, s92
	s_cbranch_execnz .LBB124_60
; %bb.61:                               ;   in Loop: Header=BB124_21 Depth=1
	s_or_b32 exec_lo, exec_lo, s92
.LBB124_62:                             ;   in Loop: Header=BB124_21 Depth=1
	s_delay_alu instid0(SALU_CYCLE_1) | instskip(SKIP_3) | instid1(VALU_DEP_2)
	s_or_b32 exec_lo, exec_lo, s57
	v_add_co_u32 v26, vcc_lo, v26, v0
	v_add_co_ci_u32_e32 v27, vcc_lo, 0, v27, vcc_lo
	v_mov_b32_e32 v24, 0
	v_cmp_gt_u64_e32 vcc_lo, s[24:25], v[26:27]
	s_and_saveexec_b32 s5, vcc_lo
	s_cbranch_execz .LBB124_64
; %bb.63:                               ;   in Loop: Header=BB124_21 Depth=1
	v_mul_lo_u32 v14, v27, s38
	v_mul_lo_u32 v24, v26, s39
	v_mad_u64_u32 v[28:29], null, v26, s38, 0
	s_delay_alu instid0(VALU_DEP_1) | instskip(NEXT) | instid1(VALU_DEP_1)
	v_add3_u32 v29, v29, v24, v14
	v_lshlrev_b64 v[28:29], 2, v[28:29]
	s_delay_alu instid0(VALU_DEP_1) | instskip(NEXT) | instid1(VALU_DEP_1)
	v_add_co_u32 v28, s4, s46, v28
	v_add_co_ci_u32_e64 v29, s4, s47, v29, s4
	global_load_b32 v24, v[28:29], off
.LBB124_64:                             ;   in Loop: Header=BB124_21 Depth=1
	s_or_b32 exec_lo, exec_lo, s5
	s_and_saveexec_b32 s8, vcc_lo
	s_cbranch_execz .LBB124_71
; %bb.65:                               ;   in Loop: Header=BB124_21 Depth=1
	s_and_b32 s10, s82, 0xfe
	s_mov_b32 s9, 0
	s_branch .LBB124_67
.LBB124_66:                             ;   in Loop: Header=BB124_67 Depth=2
	s_or_b32 exec_lo, exec_lo, s5
	s_waitcnt vmcnt(0)
	v_cmp_lt_i32_e64 s4, -1, v24
	s_and_b32 s5, exec_lo, vcc_lo
	s_delay_alu instid0(SALU_CYCLE_1) | instskip(NEXT) | instid1(VALU_DEP_1)
	s_or_b32 s9, s5, s9
	v_cndmask_b32_e64 v28, -1, 0x80000000, s4
	v_cmp_o_f32_e64 s4, v24, v24
	s_delay_alu instid0(VALU_DEP_2) | instskip(NEXT) | instid1(VALU_DEP_1)
	v_xor_b32_e32 v28, v28, v24
	v_cndmask_b32_e64 v24, -1, v28, s4
	s_delay_alu instid0(VALU_DEP_1) | instskip(SKIP_1) | instid1(VALU_DEP_2)
	v_and_b32_e32 v28, s88, v24
	v_bfe_u32 v24, v24, s10, 2
	v_cmp_eq_u32_e32 vcc_lo, s87, v28
	s_delay_alu instid0(VALU_DEP_2) | instskip(SKIP_3) | instid1(VALU_DEP_4)
	v_cmp_eq_u32_e64 s4, 0, v24
	v_cmp_eq_u32_e64 s5, 1, v24
	;; [unrolled: 1-line block ×4, first 2 shown]
	s_and_b32 s4, vcc_lo, s4
	s_delay_alu instid0(SALU_CYCLE_1) | instskip(SKIP_1) | instid1(SALU_CYCLE_1)
	v_cndmask_b32_e64 v24, 0, 1, s4
	s_and_b32 s4, vcc_lo, s5
	v_cndmask_b32_e64 v28, 0, 1, s4
	s_and_b32 s4, vcc_lo, s6
	s_delay_alu instid0(SALU_CYCLE_1)
	v_cndmask_b32_e64 v29, 0, 1, s4
	s_and_b32 s4, vcc_lo, s7
	v_cmp_ne_u32_e32 vcc_lo, 0, v24
	v_cndmask_b32_e64 v37, 0, 1, s4
	v_cmp_ne_u32_e64 s4, 0, v28
	v_cmp_ne_u32_e64 s5, 0, v29
	v_mov_b32_e32 v24, v14
	s_bcnt1_i32_b32 s7, vcc_lo
	v_cmp_ne_u32_e64 s6, 0, v37
	v_add_co_u32 v2, vcc_lo, v2, s7
	s_bcnt1_i32_b32 s4, s4
	v_add_co_ci_u32_e32 v3, vcc_lo, 0, v3, vcc_lo
	v_add_co_u32 v4, vcc_lo, v4, s4
	s_bcnt1_i32_b32 s5, s5
	v_add_co_ci_u32_e32 v5, vcc_lo, 0, v5, vcc_lo
	;; [unrolled: 3-line block ×3, first 2 shown]
	v_add_co_u32 v8, vcc_lo, v8, s4
	v_add_co_ci_u32_e32 v9, vcc_lo, 0, v9, vcc_lo
	s_and_not1_b32 exec_lo, exec_lo, s9
	s_cbranch_execz .LBB124_70
.LBB124_67:                             ;   Parent Loop BB124_21 Depth=1
                                        ; =>  This Inner Loop Header: Depth=2
	v_add_co_u32 v26, vcc_lo, v26, s42
	v_add_co_ci_u32_e32 v27, vcc_lo, 0, v27, vcc_lo
	v_mov_b32_e32 v14, 0
	s_mov_b32 s5, exec_lo
	s_delay_alu instid0(VALU_DEP_2)
	v_cmp_le_u64_e32 vcc_lo, s[24:25], v[26:27]
	v_cmpx_gt_u64_e64 s[24:25], v[26:27]
	s_cbranch_execz .LBB124_66
; %bb.68:                               ;   in Loop: Header=BB124_67 Depth=2
	v_mul_lo_u32 v14, v27, s38
	v_mul_lo_u32 v37, v26, s39
	v_mad_u64_u32 v[28:29], null, v26, s38, 0
	s_delay_alu instid0(VALU_DEP_1) | instskip(NEXT) | instid1(VALU_DEP_1)
	v_add3_u32 v29, v29, v37, v14
	v_lshlrev_b64 v[28:29], 2, v[28:29]
	s_delay_alu instid0(VALU_DEP_1) | instskip(NEXT) | instid1(VALU_DEP_1)
	v_add_co_u32 v28, s4, s46, v28
	v_add_co_ci_u32_e64 v29, s4, s47, v29, s4
	global_load_b32 v14, v[28:29], off
	s_branch .LBB124_66
.LBB124_69:                             ;   in Loop: Header=BB124_21 Depth=1
                                        ; implicit-def: $vgpr8_vgpr9
                                        ; implicit-def: $vgpr4_vgpr5
	s_cbranch_execnz .LBB124_72
	s_branch .LBB124_81
.LBB124_70:                             ;   in Loop: Header=BB124_21 Depth=1
	s_or_b32 exec_lo, exec_lo, s9
.LBB124_71:                             ;   in Loop: Header=BB124_21 Depth=1
	s_delay_alu instid0(SALU_CYCLE_1)
	s_or_b32 exec_lo, exec_lo, s8
	s_branch .LBB124_81
.LBB124_72:                             ;   in Loop: Header=BB124_21 Depth=1
	global_load_u16 v8, v15, s[50:51]
	s_mov_b64 s[58:59], 0
	s_mov_b32 s57, exec_lo
	s_waitcnt vmcnt(0)
	v_readfirstlane_b32 s4, v8
	v_and_b32_e32 v24, 0xffff, v8
	s_delay_alu instid0(VALU_DEP_2) | instskip(NEXT) | instid1(SALU_CYCLE_1)
	s_and_b32 s4, 0xffff, s4
	s_lshl_b32 s48, s4, 2
	s_delay_alu instid0(SALU_CYCLE_1) | instskip(SKIP_1) | instid1(VALU_DEP_1)
	v_cvt_f32_u32_e32 v2, s48
	s_sub_i32 s5, 0, s48
	v_rcp_iflag_f32_e32 v2, v2
	s_waitcnt_depctr 0xfff
	v_mul_f32_e32 v2, 0x4f7ffffe, v2
	s_delay_alu instid0(VALU_DEP_1) | instskip(NEXT) | instid1(VALU_DEP_1)
	v_cvt_u32_f32_e32 v2, v2
	v_readfirstlane_b32 s4, v2
	v_mov_b32_e32 v2, 0
	v_mov_b32_e32 v3, 0
	s_delay_alu instid0(VALU_DEP_3) | instskip(NEXT) | instid1(VALU_DEP_1)
	s_mul_i32 s5, s5, s4
	v_dual_mov_b32 v5, v3 :: v_dual_mov_b32 v4, v2
	s_mul_hi_u32 s5, s4, s5
	v_dual_mov_b32 v7, v3 :: v_dual_mov_b32 v6, v2
	s_add_i32 s4, s4, s5
	v_dual_mov_b32 v9, v3 :: v_dual_mov_b32 v8, v2
	s_mul_hi_u32 s4, s56, s4
	s_delay_alu instid0(SALU_CYCLE_1) | instskip(NEXT) | instid1(SALU_CYCLE_1)
	s_mul_i32 s4, s4, s48
	s_sub_i32 s4, s56, s4
	s_delay_alu instid0(SALU_CYCLE_1) | instskip(SKIP_2) | instid1(SALU_CYCLE_1)
	s_sub_i32 s5, s4, s48
	s_cmp_ge_u32 s4, s48
	s_cselect_b32 s4, s5, s4
	s_sub_i32 s5, s4, s48
	s_cmp_ge_u32 s4, s48
	s_cselect_b32 s4, s5, s4
	s_delay_alu instid0(SALU_CYCLE_1) | instskip(NEXT) | instid1(SALU_CYCLE_1)
	s_sub_i32 s42, s56, s4
	v_cmpx_gt_u32_e64 s42, v12
	s_cbranch_execz .LBB124_76
; %bb.73:                               ;   in Loop: Header=BB124_21 Depth=1
	v_dual_mov_b32 v27, v13 :: v_dual_lshlrev_b32 v14, 4, v24
	v_mov_b32_e32 v28, v33
	v_mov_b32_e32 v26, v12
	s_and_b32 s66, s82, 0xfe
	s_mov_b32 s67, 0
	s_mov_b64 s[60:61], 0
	s_mov_b64 s[62:63], 0
	;; [unrolled: 1-line block ×3, first 2 shown]
.LBB124_74:                             ;   Parent Loop BB124_21 Depth=1
                                        ; =>  This Inner Loop Header: Depth=2
	ds_load_b128 v[2:5], v28
	v_add_co_u32 v26, vcc_lo, v26, s48
	v_add_co_ci_u32_e32 v27, vcc_lo, 0, v27, vcc_lo
	s_delay_alu instid0(VALU_DEP_1)
	v_cmp_le_u64_e32 vcc_lo, s[42:43], v[26:27]
	s_waitcnt lgkmcnt(0)
	v_cmp_lt_i32_e64 s4, -1, v2
	v_cmp_o_f32_e64 s7, v2, v2
	v_cmp_o_f32_e64 s5, v4, v4
	;; [unrolled: 1-line block ×3, first 2 shown]
	s_delay_alu instid0(VALU_DEP_4) | instskip(SKIP_1) | instid1(VALU_DEP_2)
	v_cndmask_b32_e64 v6, -1, 0x80000000, s4
	v_cmp_lt_i32_e64 s4, -1, v3
	v_xor_b32_e32 v6, v6, v2
	s_delay_alu instid0(VALU_DEP_2) | instskip(SKIP_1) | instid1(VALU_DEP_3)
	v_cndmask_b32_e64 v7, -1, 0x80000000, s4
	v_cmp_lt_i32_e64 s4, -1, v4
	v_cndmask_b32_e64 v2, -1, v6, s7
	s_delay_alu instid0(VALU_DEP_3) | instskip(NEXT) | instid1(VALU_DEP_3)
	v_xor_b32_e32 v7, v7, v3
	v_cndmask_b32_e64 v8, -1, 0x80000000, s4
	v_cmp_lt_i32_e64 s4, -1, v5
	s_delay_alu instid0(VALU_DEP_4) | instskip(SKIP_1) | instid1(VALU_DEP_3)
	v_and_b32_e32 v6, s88, v2
	v_bfe_u32 v2, v2, s66, 2
	v_cndmask_b32_e64 v9, -1, 0x80000000, s4
	v_cmp_o_f32_e64 s4, v3, v3
	v_xor_b32_e32 v3, v8, v4
	s_delay_alu instid0(VALU_DEP_4)
	v_cmp_eq_u32_e64 s8, 0, v2
	v_cmp_eq_u32_e64 s12, 1, v2
	v_xor_b32_e32 v4, v9, v5
	v_cndmask_b32_e64 v5, -1, v7, s4
	v_cndmask_b32_e64 v3, -1, v3, s5
	v_cmp_eq_u32_e64 s4, s87, v6
	v_cmp_eq_u32_e64 s16, 2, v2
	v_cndmask_b32_e64 v4, -1, v4, s6
	v_and_b32_e32 v7, s88, v5
	v_bfe_u32 v5, v5, s66, 2
	v_and_b32_e32 v8, s88, v3
	v_bfe_u32 v3, v3, s66, 2
	;; [unrolled: 2-line block ×3, first 2 shown]
	v_cmp_eq_u32_e64 s5, s87, v7
	v_cmp_eq_u32_e64 s9, 0, v5
	;; [unrolled: 1-line block ×4, first 2 shown]
	s_and_b32 s8, s4, s8
	v_cmp_eq_u32_e64 s7, s87, v9
	v_cmp_eq_u32_e64 s11, 0, v4
	v_cmp_eq_u32_e64 s20, 3, v2
	v_cndmask_b32_e64 v2, 0, 1, s8
	s_and_b32 s8, s5, s9
	v_cmp_eq_u32_e64 s14, 1, v3
	v_cmp_eq_u32_e64 s18, 2, v3
	v_cmp_eq_u32_e64 s22, 3, v3
	v_cndmask_b32_e64 v3, 0, 1, s8
	;; [unrolled: 5-line block ×4, first 2 shown]
	v_cmp_ne_u32_e64 s8, 0, v2
	v_cmp_ne_u32_e64 s9, 0, v3
	;; [unrolled: 1-line block ×3, first 2 shown]
	s_delay_alu instid0(VALU_DEP_4) | instskip(NEXT) | instid1(VALU_DEP_4)
	v_cmp_ne_u32_e64 s11, 0, v5
	s_bcnt1_i32_b32 s8, s8
	s_delay_alu instid0(VALU_DEP_3) | instskip(NEXT) | instid1(VALU_DEP_2)
	s_bcnt1_i32_b32 s9, s9
	s_bcnt1_i32_b32 s10, s10
	s_add_i32 s8, s9, s8
	s_bcnt1_i32_b32 s11, s11
	s_add_i32 s8, s8, s10
	s_delay_alu instid0(SALU_CYCLE_1) | instskip(NEXT) | instid1(SALU_CYCLE_1)
	s_add_i32 s8, s8, s11
	s_add_u32 s64, s64, s8
	s_addc_u32 s65, s65, 0
	s_and_b32 s8, s4, s12
	v_add_nc_u32_e32 v28, v28, v14
	v_cndmask_b32_e64 v2, 0, 1, s8
	s_and_b32 s8, s5, s13
	s_delay_alu instid0(SALU_CYCLE_1) | instskip(SKIP_1) | instid1(SALU_CYCLE_1)
	v_cndmask_b32_e64 v3, 0, 1, s8
	s_and_b32 s8, s6, s14
	v_cndmask_b32_e64 v4, 0, 1, s8
	s_and_b32 s8, s7, s15
	s_delay_alu instid0(VALU_DEP_2) | instskip(SKIP_3) | instid1(VALU_DEP_4)
	v_cmp_ne_u32_e64 s9, 0, v3
	v_cndmask_b32_e64 v5, 0, 1, s8
	v_cmp_ne_u32_e64 s8, 0, v2
	v_cmp_ne_u32_e64 s10, 0, v4
	s_bcnt1_i32_b32 s9, s9
	s_delay_alu instid0(VALU_DEP_3) | instskip(NEXT) | instid1(VALU_DEP_3)
	v_cmp_ne_u32_e64 s11, 0, v5
	s_bcnt1_i32_b32 s8, s8
	s_delay_alu instid0(VALU_DEP_2) | instskip(SKIP_1) | instid1(VALU_DEP_1)
	s_bcnt1_i32_b32 s10, s10
	s_add_i32 s8, s9, s8
	s_bcnt1_i32_b32 s11, s11
	s_add_i32 s8, s8, s10
	s_delay_alu instid0(SALU_CYCLE_1) | instskip(NEXT) | instid1(SALU_CYCLE_1)
	s_add_i32 s8, s8, s11
	s_add_u32 s62, s62, s8
	s_addc_u32 s63, s63, 0
	s_and_b32 s8, s4, s16
	s_delay_alu instid0(SALU_CYCLE_1) | instskip(SKIP_1) | instid1(SALU_CYCLE_1)
	v_cndmask_b32_e64 v2, 0, 1, s8
	s_and_b32 s8, s5, s17
	v_cndmask_b32_e64 v3, 0, 1, s8
	s_and_b32 s8, s6, s18
	s_delay_alu instid0(SALU_CYCLE_1) | instskip(SKIP_1) | instid1(VALU_DEP_2)
	v_cndmask_b32_e64 v4, 0, 1, s8
	s_and_b32 s8, s7, s19
	v_cmp_ne_u32_e64 s9, 0, v3
	v_cndmask_b32_e64 v5, 0, 1, s8
	v_cmp_ne_u32_e64 s8, 0, v2
	v_cmp_ne_u32_e64 s10, 0, v4
	s_delay_alu instid0(VALU_DEP_4) | instskip(NEXT) | instid1(VALU_DEP_3)
	s_bcnt1_i32_b32 s9, s9
	v_cmp_ne_u32_e64 s11, 0, v5
	s_delay_alu instid0(VALU_DEP_3) | instskip(NEXT) | instid1(VALU_DEP_2)
	s_bcnt1_i32_b32 s8, s8
	s_bcnt1_i32_b32 s10, s10
	s_add_i32 s8, s9, s8
	s_delay_alu instid0(VALU_DEP_1) | instskip(SKIP_1) | instid1(SALU_CYCLE_1)
	s_bcnt1_i32_b32 s11, s11
	s_add_i32 s8, s8, s10
	s_add_i32 s8, s8, s11
	s_delay_alu instid0(SALU_CYCLE_1) | instskip(SKIP_2) | instid1(SALU_CYCLE_1)
	s_add_u32 s60, s60, s8
	s_addc_u32 s61, s61, 0
	s_and_b32 s4, s4, s20
	v_cndmask_b32_e64 v2, 0, 1, s4
	s_and_b32 s4, s5, s21
	s_delay_alu instid0(SALU_CYCLE_1) | instskip(SKIP_1) | instid1(SALU_CYCLE_1)
	v_cndmask_b32_e64 v3, 0, 1, s4
	s_and_b32 s4, s6, s22
	v_cndmask_b32_e64 v4, 0, 1, s4
	s_and_b32 s4, s7, s23
	s_delay_alu instid0(VALU_DEP_2) | instskip(SKIP_4) | instid1(VALU_DEP_4)
	v_cmp_ne_u32_e64 s5, 0, v3
	v_cndmask_b32_e64 v5, 0, 1, s4
	v_cmp_ne_u32_e64 s4, 0, v2
	v_cmp_ne_u32_e64 s6, 0, v4
	v_dual_mov_b32 v2, s64 :: v_dual_mov_b32 v3, s65
	v_cmp_ne_u32_e64 s7, 0, v5
	s_delay_alu instid0(VALU_DEP_4)
	s_bcnt1_i32_b32 s4, s4
	s_bcnt1_i32_b32 s5, s5
	;; [unrolled: 1-line block ×3, first 2 shown]
	s_add_i32 s4, s5, s4
	s_bcnt1_i32_b32 s5, s7
	s_add_i32 s4, s4, s6
	v_mov_b32_e32 v4, s62
	s_add_i32 s4, s4, s5
	v_mov_b32_e32 v5, s63
	s_add_u32 s58, s58, s4
	s_addc_u32 s59, s59, 0
	v_mov_b32_e32 v6, s60
	v_dual_mov_b32 v8, s58 :: v_dual_mov_b32 v9, s59
	v_mov_b32_e32 v7, s61
	s_or_b32 s67, vcc_lo, s67
	s_delay_alu instid0(SALU_CYCLE_1)
	s_and_not1_b32 exec_lo, exec_lo, s67
	s_cbranch_execnz .LBB124_74
; %bb.75:                               ;   in Loop: Header=BB124_21 Depth=1
	s_or_b32 exec_lo, exec_lo, s67
.LBB124_76:                             ;   in Loop: Header=BB124_21 Depth=1
	s_delay_alu instid0(SALU_CYCLE_1) | instskip(SKIP_2) | instid1(VALU_DEP_1)
	s_or_b32 exec_lo, exec_lo, s57
	v_add_nc_u32_e32 v14, s42, v0
	s_mov_b32 s9, exec_lo
	v_cmpx_gt_u32_e64 s56, v14
	s_cbranch_execz .LBB124_80
; %bb.77:                               ;   in Loop: Header=BB124_21 Depth=1
	v_dual_mov_b32 v27, v15 :: v_dual_lshlrev_b32 v28, 2, v14
	v_mov_b32_e32 v26, v14
	s_mov_b32 s11, 0
	s_and_b32 s10, s56, 0x7fffffff
	s_and_b32 s13, s82, 0xfe
	s_mov_b32 s12, s11
.LBB124_78:                             ;   Parent Loop BB124_21 Depth=1
                                        ; =>  This Inner Loop Header: Depth=2
	ds_load_b32 v14, v28
	v_add_co_u32 v26, vcc_lo, v26, v24
	v_add_co_ci_u32_e32 v27, vcc_lo, 0, v27, vcc_lo
	v_add_nc_u32_e32 v28, s48, v28
	s_delay_alu instid0(VALU_DEP_2) | instskip(SKIP_2) | instid1(VALU_DEP_1)
	v_cmp_le_u64_e32 vcc_lo, s[10:11], v[26:27]
	s_waitcnt lgkmcnt(0)
	v_cmp_lt_i32_e64 s4, -1, v14
	v_cndmask_b32_e64 v29, -1, 0x80000000, s4
	v_cmp_o_f32_e64 s4, v14, v14
	s_delay_alu instid0(VALU_DEP_2) | instskip(NEXT) | instid1(VALU_DEP_1)
	v_xor_b32_e32 v29, v29, v14
	v_cndmask_b32_e64 v14, -1, v29, s4
	s_delay_alu instid0(VALU_DEP_1) | instskip(SKIP_1) | instid1(VALU_DEP_2)
	v_and_b32_e32 v29, s88, v14
	v_bfe_u32 v14, v14, s13, 2
	v_cmp_eq_u32_e64 s4, s87, v29
	s_delay_alu instid0(VALU_DEP_2) | instskip(SKIP_3) | instid1(VALU_DEP_4)
	v_cmp_eq_u32_e64 s5, 0, v14
	v_cmp_eq_u32_e64 s6, 1, v14
	;; [unrolled: 1-line block ×4, first 2 shown]
	s_and_b32 s5, s4, s5
	s_delay_alu instid0(SALU_CYCLE_1) | instskip(SKIP_1) | instid1(SALU_CYCLE_1)
	v_cndmask_b32_e64 v14, 0, 1, s5
	s_and_b32 s5, s4, s6
	v_cndmask_b32_e64 v29, 0, 1, s5
	s_and_b32 s5, s4, s7
	s_and_b32 s4, s4, s8
	v_cndmask_b32_e64 v37, 0, 1, s5
	v_cndmask_b32_e64 v38, 0, 1, s4
	v_cmp_ne_u32_e64 s4, 0, v14
	v_cmp_ne_u32_e64 s5, 0, v29
	s_delay_alu instid0(VALU_DEP_4) | instskip(NEXT) | instid1(VALU_DEP_4)
	v_cmp_ne_u32_e64 s6, 0, v37
	v_cmp_ne_u32_e64 s7, 0, v38
	s_delay_alu instid0(VALU_DEP_4) | instskip(NEXT) | instid1(VALU_DEP_3)
	s_bcnt1_i32_b32 s4, s4
	s_bcnt1_i32_b32 s5, s5
	v_add_co_u32 v2, s4, v2, s4
	s_delay_alu instid0(VALU_DEP_1)
	v_add_co_ci_u32_e64 v3, s4, 0, v3, s4
	v_add_co_u32 v4, s4, v4, s5
	s_bcnt1_i32_b32 s6, s6
	v_add_co_ci_u32_e64 v5, s4, 0, v5, s4
	v_add_co_u32 v6, s4, v6, s6
	s_bcnt1_i32_b32 s7, s7
	v_add_co_ci_u32_e64 v7, s4, 0, v7, s4
	v_add_co_u32 v8, s4, v8, s7
	s_delay_alu instid0(VALU_DEP_1) | instskip(SKIP_1) | instid1(SALU_CYCLE_1)
	v_add_co_ci_u32_e64 v9, s4, 0, v9, s4
	s_or_b32 s12, vcc_lo, s12
	s_and_not1_b32 exec_lo, exec_lo, s12
	s_cbranch_execnz .LBB124_78
; %bb.79:                               ;   in Loop: Header=BB124_21 Depth=1
	s_or_b32 exec_lo, exec_lo, s12
.LBB124_80:                             ;   in Loop: Header=BB124_21 Depth=1
	s_delay_alu instid0(SALU_CYCLE_1)
	s_or_b32 exec_lo, exec_lo, s9
.LBB124_81:                             ;   in Loop: Header=BB124_21 Depth=1
	s_lshl_b32 s4, s85, 7
	s_and_saveexec_b32 s5, s1
	s_cbranch_execz .LBB124_83
; %bb.82:                               ;   in Loop: Header=BB124_21 Depth=1
	v_or_b32_e32 v14, s4, v32
	s_delay_alu instid0(VALU_DEP_1)
	v_lshlrev_b32_e32 v14, 3, v14
	ds_store_b128 v14, v[2:5] offset:3072
	ds_store_b128 v14, v[6:9] offset:3088
.LBB124_83:                             ;   in Loop: Header=BB124_21 Depth=1
	s_or_b32 exec_lo, exec_lo, s5
	s_waitcnt vmcnt(0) lgkmcnt(0)
	s_barrier
	buffer_gl0_inv
	s_and_saveexec_b32 s5, s68
	s_cbranch_execz .LBB124_94
; %bb.84:                               ;   in Loop: Header=BB124_21 Depth=1
	v_mov_b32_e32 v2, 0
	v_mov_b32_e32 v3, 0
	s_and_not1_b32 vcc_lo, exec_lo, s75
	s_cbranch_vccnz .LBB124_93
; %bb.85:                               ;   in Loop: Header=BB124_21 Depth=1
	v_mov_b32_e32 v2, 0
	v_mov_b32_e32 v3, 0
	s_and_not1_b32 vcc_lo, exec_lo, s73
	s_cbranch_vccnz .LBB124_90
; %bb.86:                               ;   in Loop: Header=BB124_21 Depth=1
	v_lshl_add_u32 v4, s85, 10, v36
	s_mov_b32 s6, 0
	s_set_inst_prefetch_distance 0x1
	.p2align	6
.LBB124_87:                             ;   Parent Loop BB124_21 Depth=1
                                        ; =>  This Inner Loop Header: Depth=2
	ds_load_2addr_b64 v[5:8], v4 offset1:4
	ds_load_2addr_b64 v[26:29], v4 offset0:8 offset1:12
	ds_load_2addr_b64 v[37:40], v4 offset0:16 offset1:20
	s_add_i32 s6, s6, 8
	s_delay_alu instid0(SALU_CYCLE_1) | instskip(SKIP_3) | instid1(VALU_DEP_2)
	s_cmp_eq_u32 s74, s6
	s_waitcnt lgkmcnt(2)
	v_add_co_u32 v2, vcc_lo, v5, v2
	v_add_co_ci_u32_e32 v3, vcc_lo, v6, v3, vcc_lo
	v_add_co_u32 v2, vcc_lo, v7, v2
	s_delay_alu instid0(VALU_DEP_2)
	v_add_co_ci_u32_e32 v3, vcc_lo, v8, v3, vcc_lo
	ds_load_2addr_b64 v[5:8], v4 offset0:24 offset1:28
	s_waitcnt lgkmcnt(2)
	v_add_co_u32 v2, vcc_lo, v26, v2
	v_add_co_ci_u32_e32 v3, vcc_lo, v27, v3, vcc_lo
	v_add_nc_u32_e32 v4, 0x100, v4
	s_delay_alu instid0(VALU_DEP_3) | instskip(NEXT) | instid1(VALU_DEP_3)
	v_add_co_u32 v2, vcc_lo, v28, v2
	v_add_co_ci_u32_e32 v3, vcc_lo, v29, v3, vcc_lo
	s_waitcnt lgkmcnt(1)
	s_delay_alu instid0(VALU_DEP_2) | instskip(NEXT) | instid1(VALU_DEP_2)
	v_add_co_u32 v2, vcc_lo, v37, v2
	v_add_co_ci_u32_e32 v3, vcc_lo, v38, v3, vcc_lo
	s_delay_alu instid0(VALU_DEP_2) | instskip(NEXT) | instid1(VALU_DEP_2)
	v_add_co_u32 v2, vcc_lo, v39, v2
	v_add_co_ci_u32_e32 v3, vcc_lo, v40, v3, vcc_lo
	s_waitcnt lgkmcnt(0)
	s_delay_alu instid0(VALU_DEP_2) | instskip(NEXT) | instid1(VALU_DEP_2)
	v_add_co_u32 v2, vcc_lo, v5, v2
	v_add_co_ci_u32_e32 v3, vcc_lo, v6, v3, vcc_lo
	s_delay_alu instid0(VALU_DEP_2) | instskip(NEXT) | instid1(VALU_DEP_2)
	v_add_co_u32 v2, vcc_lo, v7, v2
	v_add_co_ci_u32_e32 v3, vcc_lo, v8, v3, vcc_lo
	s_cbranch_scc0 .LBB124_87
; %bb.88:                               ;   in Loop: Header=BB124_21 Depth=1
	s_set_inst_prefetch_distance 0x2
	s_mov_b32 s6, s74
	s_and_not1_b32 vcc_lo, exec_lo, s76
	s_cbranch_vccz .LBB124_91
	s_branch .LBB124_93
.LBB124_89:                             ;   in Loop: Header=BB124_21 Depth=1
                                        ; implicit-def: $vgpr2_vgpr3
	s_branch .LBB124_57
.LBB124_90:                             ;   in Loop: Header=BB124_21 Depth=1
	s_mov_b32 s6, 0
	s_and_not1_b32 vcc_lo, exec_lo, s76
	s_cbranch_vccnz .LBB124_93
.LBB124_91:                             ;   in Loop: Header=BB124_21 Depth=1
	s_lshl_b32 s7, s85, 10
	s_lshl_b32 s6, s6, 5
	s_delay_alu instid0(SALU_CYCLE_1)
	v_add3_u32 v4, s7, s6, v36
	s_mov_b32 s6, s72
.LBB124_92:                             ;   Parent Loop BB124_21 Depth=1
                                        ; =>  This Inner Loop Header: Depth=2
	ds_load_b64 v[5:6], v4
	v_add_nc_u32_e32 v4, 32, v4
	s_add_i32 s6, s6, -1
	s_delay_alu instid0(SALU_CYCLE_1)
	s_cmp_lg_u32 s6, 0
	s_waitcnt lgkmcnt(0)
	v_add_co_u32 v2, vcc_lo, v5, v2
	v_add_co_ci_u32_e32 v3, vcc_lo, v6, v3, vcc_lo
	s_cbranch_scc1 .LBB124_92
.LBB124_93:                             ;   in Loop: Header=BB124_21 Depth=1
	v_add_lshl_u32 v4, s4, v30, 3
	ds_store_b64 v4, v[2:3] offset:3072
.LBB124_94:                             ;   in Loop: Header=BB124_21 Depth=1
	s_or_b32 exec_lo, exec_lo, s5
	s_lshl_b32 s4, s4, 3
	s_waitcnt lgkmcnt(0)
	v_mov_b32_e32 v6, s4
	s_barrier
	buffer_gl0_inv
	s_and_b32 s17, s82, 0xfe
	s_mov_b32 s19, -1
	ds_load_b128 v[2:5], v6 offset:3072
	ds_load_b128 v[6:9], v6 offset:3088
	s_lshl_b32 s16, 3, s17
	s_delay_alu instid0(SALU_CYCLE_1)
	s_not_b32 s18, s16
	s_waitcnt lgkmcnt(1)
	v_readfirstlane_b32 s13, v3
	v_readfirstlane_b32 s12, v2
	;; [unrolled: 1-line block ×4, first 2 shown]
	s_waitcnt lgkmcnt(0)
	v_readfirstlane_b32 s8, v6
	v_readfirstlane_b32 s9, v7
	s_cmp_eq_u64 s[12:13], 1
	v_readfirstlane_b32 s6, v8
	s_cselect_b32 s4, -1, 0
	s_cmp_eq_u64 s[44:45], 1
	v_readfirstlane_b32 s7, v9
	s_cselect_b32 s5, -1, 0
	s_delay_alu instid0(SALU_CYCLE_1) | instskip(NEXT) | instid1(SALU_CYCLE_1)
	s_and_b32 s20, s4, s5
	s_and_b32 vcc_lo, exec_lo, s20
	s_cbranch_vccz .LBB124_109
; %bb.95:                               ;   in Loop: Header=BB124_21 Depth=1
	ds_load_b64 v[2:3], v15 offset:5120
	s_waitcnt lgkmcnt(0)
	s_barrier
	buffer_gl0_inv
	v_readfirstlane_b32 s14, v2
	v_readfirstlane_b32 s15, v3
	s_and_saveexec_b32 s4, s0
	s_cbranch_execz .LBB124_97
; %bb.96:                               ;   in Loop: Header=BB124_21 Depth=1
	ds_store_b32 v31, v15
.LBB124_97:                             ;   in Loop: Header=BB124_21 Depth=1
	s_or_b32 exec_lo, exec_lo, s4
	s_and_b32 s87, s87, s18
	s_or_b32 s88, s88, s16
	s_cmp_eq_u64 s[14:15], 0
	s_waitcnt lgkmcnt(0)
	s_barrier
	buffer_gl0_inv
	s_cbranch_scc1 .LBB124_110
; %bb.98:                               ;   in Loop: Header=BB124_21 Depth=1
	s_add_u32 s21, s69, s14
	s_addc_u32 s5, s70, s15
	s_mov_b32 s4, s43
	s_delay_alu instid0(SALU_CYCLE_1)
	s_cmp_lg_u64 s[4:5], 0
	s_cbranch_scc0 .LBB124_155
; %bb.99:                               ;   in Loop: Header=BB124_21 Depth=1
	v_cvt_f32_u32_e32 v2, s29
	s_sub_u32 s23, 0, s29
	s_subb_u32 s42, 0, 0
	s_delay_alu instid0(VALU_DEP_1) | instskip(NEXT) | instid1(VALU_DEP_1)
	v_fmac_f32_e64 v2, 0, 0x4f800000
	v_rcp_f32_e32 v2, v2
	s_waitcnt_depctr 0xfff
	v_mul_f32_e32 v2, 0x5f7ffffc, v2
	s_delay_alu instid0(VALU_DEP_1) | instskip(NEXT) | instid1(VALU_DEP_1)
	v_mul_f32_e32 v3, 0x2f800000, v2
	v_trunc_f32_e32 v3, v3
	s_delay_alu instid0(VALU_DEP_1) | instskip(SKIP_1) | instid1(VALU_DEP_2)
	v_fmac_f32_e32 v2, 0xcf800000, v3
	v_cvt_u32_f32_e32 v3, v3
	v_cvt_u32_f32_e32 v2, v2
	s_delay_alu instid0(VALU_DEP_2) | instskip(NEXT) | instid1(VALU_DEP_2)
	v_readfirstlane_b32 s4, v3
	v_readfirstlane_b32 s22, v2
	s_delay_alu instid0(VALU_DEP_2) | instskip(NEXT) | instid1(VALU_DEP_1)
	s_mul_i32 s48, s23, s4
	s_mul_hi_u32 s57, s23, s22
	s_mul_i32 s56, s42, s22
	s_add_i32 s48, s57, s48
	s_mul_i32 s58, s23, s22
	s_add_i32 s48, s48, s56
	s_mul_hi_u32 s57, s22, s58
	s_mul_hi_u32 s59, s4, s58
	s_mul_i32 s56, s4, s58
	s_mul_hi_u32 s58, s22, s48
	s_mul_i32 s22, s22, s48
	s_mul_hi_u32 s60, s4, s48
	s_add_u32 s22, s57, s22
	s_addc_u32 s57, 0, s58
	s_add_u32 s22, s22, s56
	s_mul_i32 s48, s4, s48
	s_addc_u32 s22, s57, s59
	s_addc_u32 s56, s60, 0
	s_add_u32 s22, s22, s48
	s_addc_u32 s48, 0, s56
	v_add_co_u32 v2, s22, v2, s22
	s_delay_alu instid0(VALU_DEP_1) | instskip(SKIP_1) | instid1(VALU_DEP_1)
	s_cmp_lg_u32 s22, 0
	s_addc_u32 s4, s4, s48
	v_readfirstlane_b32 s22, v2
	s_mul_i32 s48, s23, s4
	s_delay_alu instid0(VALU_DEP_1)
	s_mul_hi_u32 s56, s23, s22
	s_mul_i32 s42, s42, s22
	s_add_i32 s48, s56, s48
	s_mul_i32 s23, s23, s22
	s_add_i32 s48, s48, s42
	s_mul_hi_u32 s56, s4, s23
	s_mul_i32 s57, s4, s23
	s_mul_hi_u32 s23, s22, s23
	s_mul_hi_u32 s58, s22, s48
	s_mul_i32 s22, s22, s48
	s_mul_hi_u32 s42, s4, s48
	s_add_u32 s22, s23, s22
	s_addc_u32 s23, 0, s58
	s_add_u32 s22, s22, s57
	s_mul_i32 s48, s4, s48
	s_addc_u32 s22, s23, s56
	s_addc_u32 s23, s42, 0
	s_add_u32 s22, s22, s48
	s_addc_u32 s23, 0, s23
	v_add_co_u32 v2, s22, v2, s22
	s_delay_alu instid0(VALU_DEP_1) | instskip(SKIP_1) | instid1(VALU_DEP_1)
	s_cmp_lg_u32 s22, 0
	s_addc_u32 s4, s4, s23
	v_readfirstlane_b32 s22, v2
	s_mul_i32 s42, s21, s4
	s_mul_hi_u32 s23, s21, s4
	s_mul_hi_u32 s48, s5, s4
	s_mul_i32 s4, s5, s4
	s_mul_hi_u32 s56, s21, s22
	s_mul_hi_u32 s57, s5, s22
	s_mul_i32 s22, s5, s22
	s_add_u32 s42, s56, s42
	s_addc_u32 s23, 0, s23
	s_add_u32 s22, s42, s22
	s_addc_u32 s22, s23, s57
	s_addc_u32 s23, s48, 0
	s_add_u32 s4, s22, s4
	s_addc_u32 s22, 0, s23
	s_mul_hi_u32 s23, s29, s4
	s_mul_i32 s4, s29, s4
	s_mul_i32 s22, s29, s22
	v_sub_co_u32 v2, s4, s21, s4
	s_add_i32 s23, s23, s22
	s_cmp_lg_u32 s4, 0
	s_delay_alu instid0(VALU_DEP_1) | instskip(SKIP_2) | instid1(VALU_DEP_1)
	v_sub_co_u32 v3, s4, v2, s29
	s_subb_u32 s22, s5, s23
	s_cmp_lg_u32 s4, 0
	v_cmp_le_u32_e32 vcc_lo, s29, v3
	v_sub_co_u32 v4, s4, v3, s29
	s_subb_u32 s23, s22, 0
	s_cmp_lg_u32 s4, 0
	v_cndmask_b32_e64 v5, 0, -1, vcc_lo
	s_subb_u32 s4, s23, 0
	s_cmp_eq_u32 s23, 0
	v_mov_b32_e32 v7, s4
	s_cselect_b32 vcc_lo, -1, 0
	s_cmp_eq_u32 s22, 0
	v_cndmask_b32_e32 v5, -1, v5, vcc_lo
	v_cmp_le_u32_e32 vcc_lo, s29, v2
	s_cselect_b32 s4, -1, 0
	v_cndmask_b32_e64 v6, 0, -1, vcc_lo
	s_delay_alu instid0(VALU_DEP_3) | instskip(NEXT) | instid1(VALU_DEP_2)
	v_cmp_ne_u32_e32 vcc_lo, 0, v5
	v_cndmask_b32_e64 v5, -1, v6, s4
	v_cndmask_b32_e32 v6, s23, v7, vcc_lo
	v_cndmask_b32_e32 v4, v3, v4, vcc_lo
	s_delay_alu instid0(VALU_DEP_3) | instskip(NEXT) | instid1(VALU_DEP_3)
	v_cmp_ne_u32_e32 vcc_lo, 0, v5
	v_cndmask_b32_e32 v3, s22, v6, vcc_lo
	s_delay_alu instid0(VALU_DEP_3)
	v_cndmask_b32_e32 v2, v2, v4, vcc_lo
	s_cbranch_execnz .LBB124_101
.LBB124_100:                            ;   in Loop: Header=BB124_21 Depth=1
	v_cvt_f32_u32_e32 v2, s29
	s_sub_i32 s4, 0, s29
	s_delay_alu instid0(VALU_DEP_1) | instskip(SKIP_2) | instid1(VALU_DEP_1)
	v_rcp_iflag_f32_e32 v2, v2
	s_waitcnt_depctr 0xfff
	v_mul_f32_e32 v2, 0x4f7ffffe, v2
	v_cvt_u32_f32_e32 v2, v2
	s_delay_alu instid0(VALU_DEP_1) | instskip(NEXT) | instid1(VALU_DEP_1)
	v_mul_lo_u32 v3, s4, v2
	v_mul_hi_u32 v3, v2, v3
	s_delay_alu instid0(VALU_DEP_1) | instskip(NEXT) | instid1(VALU_DEP_1)
	v_add_nc_u32_e32 v2, v2, v3
	v_mul_hi_u32 v2, s21, v2
	s_delay_alu instid0(VALU_DEP_1) | instskip(NEXT) | instid1(VALU_DEP_1)
	v_mul_lo_u32 v2, v2, s29
	v_sub_nc_u32_e32 v2, s21, v2
	s_delay_alu instid0(VALU_DEP_1) | instskip(SKIP_1) | instid1(VALU_DEP_2)
	v_subrev_nc_u32_e32 v3, s29, v2
	v_cmp_le_u32_e32 vcc_lo, s29, v2
	v_cndmask_b32_e32 v2, v2, v3, vcc_lo
	s_delay_alu instid0(VALU_DEP_1) | instskip(SKIP_1) | instid1(VALU_DEP_2)
	v_subrev_nc_u32_e32 v3, s29, v2
	v_cmp_le_u32_e32 vcc_lo, s29, v2
	v_cndmask_b32_e32 v14, v2, v3, vcc_lo
	s_delay_alu instid0(VALU_DEP_1)
	v_dual_mov_b32 v2, v14 :: v_dual_mov_b32 v3, v15
.LBB124_101:                            ;   in Loop: Header=BB124_21 Depth=1
	s_delay_alu instid0(VALU_DEP_1) | instskip(NEXT) | instid1(VALU_DEP_2)
	v_sub_co_u32 v2, vcc_lo, s21, v2
	v_sub_co_ci_u32_e32 v3, vcc_lo, s5, v3, vcc_lo
	s_mov_b32 s4, 0
	s_mov_b32 s5, exec_lo
                                        ; implicit-def: $vgpr25
	s_delay_alu instid0(VALU_DEP_1)
	v_cmpx_gt_u64_e64 v[2:3], v[0:1]
	s_cbranch_execz .LBB124_112
; %bb.102:                              ;   in Loop: Header=BB124_21 Depth=1
	v_dual_mov_b32 v6, v12 :: v_dual_mov_b32 v5, v1
	v_mov_b32_e32 v4, v0
	s_mov_b32 s21, 0
                                        ; implicit-def: $sgpr22
	s_set_inst_prefetch_distance 0x1
	s_branch .LBB124_104
	.p2align	6
.LBB124_103:                            ;   in Loop: Header=BB124_104 Depth=2
	s_or_b32 exec_lo, exec_lo, s4
	s_waitcnt lgkmcnt(0)
	s_barrier
	buffer_gl0_inv
	ds_load_b64 v[24:25], v15 offset:3072
	v_add_co_u32 v4, vcc_lo, v4, s29
	v_add_co_ci_u32_e32 v5, vcc_lo, 0, v5, vcc_lo
	v_add_nc_u32_e32 v6, s77, v6
	s_waitcnt lgkmcnt(0)
	s_barrier
	s_delay_alu instid0(VALU_DEP_2) | instskip(SKIP_2) | instid1(VALU_DEP_1)
	v_cmp_ge_u64_e32 vcc_lo, v[4:5], v[2:3]
	buffer_gl0_inv
	v_cmp_neq_f32_e64 s4, 0, v24
	s_or_b32 s23, vcc_lo, s4
	s_delay_alu instid0(SALU_CYCLE_1) | instskip(NEXT) | instid1(SALU_CYCLE_1)
	s_and_b32 s23, exec_lo, s23
	s_or_b32 s21, s23, s21
	s_and_not1_b32 s22, s22, exec_lo
	s_and_b32 s4, s4, exec_lo
	s_delay_alu instid0(SALU_CYCLE_1)
	s_or_b32 s22, s22, s4
	s_and_not1_b32 exec_lo, exec_lo, s21
	s_cbranch_execz .LBB124_111
.LBB124_104:                            ;   Parent Loop BB124_21 Depth=1
                                        ; =>  This Inner Loop Header: Depth=2
	s_delay_alu instid0(VALU_DEP_1)
	v_cmp_gt_u64_e32 vcc_lo, s[14:15], v[4:5]
	v_mov_b32_e32 v24, 0
	s_and_saveexec_b32 s4, vcc_lo
	s_cbranch_execz .LBB124_106
; %bb.105:                              ;   in Loop: Header=BB124_104 Depth=2
	ds_load_b32 v24, v6
.LBB124_106:                            ;   in Loop: Header=BB124_104 Depth=2
	s_or_b32 exec_lo, exec_lo, s4
	s_and_saveexec_b32 s4, vcc_lo
	s_cbranch_execz .LBB124_103
; %bb.107:                              ;   in Loop: Header=BB124_104 Depth=2
	s_waitcnt lgkmcnt(0)
	v_cmp_lt_i32_e32 vcc_lo, -1, v24
	v_cndmask_b32_e64 v7, -1, 0x80000000, vcc_lo
	v_cmp_o_f32_e32 vcc_lo, v24, v24
	s_delay_alu instid0(VALU_DEP_2) | instskip(NEXT) | instid1(VALU_DEP_1)
	v_xor_b32_e32 v7, v7, v24
	v_cndmask_b32_e32 v7, -1, v7, vcc_lo
	s_delay_alu instid0(VALU_DEP_1) | instskip(NEXT) | instid1(VALU_DEP_1)
	v_and_b32_e32 v7, s88, v7
	v_cmp_eq_u32_e32 vcc_lo, s87, v7
	s_and_b32 exec_lo, exec_lo, vcc_lo
	s_cbranch_execz .LBB124_103
; %bb.108:                              ;   in Loop: Header=BB124_104 Depth=2
	ds_store_b64 v15, v[23:24] offset:3072
	s_branch .LBB124_103
.LBB124_109:                            ;   in Loop: Header=BB124_21 Depth=1
	s_mov_b32 s4, -1
                                        ; implicit-def: $sgpr5
                                        ; implicit-def: $sgpr15
                                        ; implicit-def: $sgpr14
	s_branch .LBB124_126
.LBB124_110:                            ;   in Loop: Header=BB124_21 Depth=1
	s_mov_b32 s5, -1
	s_mov_b32 s4, 0
                                        ; implicit-def: $sgpr14
                                        ; implicit-def: $vgpr25
	s_mov_b32 s15, s5
	s_cbranch_execnz .LBB124_113
	s_branch .LBB124_126
.LBB124_111:                            ;   in Loop: Header=BB124_21 Depth=1
	s_set_inst_prefetch_distance 0x2
	s_or_b32 exec_lo, exec_lo, s21
	s_delay_alu instid0(SALU_CYCLE_1)
	s_and_b32 s4, s22, exec_lo
.LBB124_112:                            ;   in Loop: Header=BB124_21 Depth=1
	s_or_b32 exec_lo, exec_lo, s5
	s_mov_b32 s14, -1
	s_mov_b32 s5, 0
	s_delay_alu instid0(SALU_CYCLE_1)
	s_mov_b32 s15, s5
	s_branch .LBB124_126
.LBB124_113:                            ;   in Loop: Header=BB124_21 Depth=1
	s_mov_b32 s48, s43
	s_delay_alu instid0(SALU_CYCLE_1)
	s_cmp_lg_u64 s[48:49], 0
	s_cbranch_scc0 .LBB124_156
; %bb.114:                              ;   in Loop: Header=BB124_21 Depth=1
	v_cvt_f32_u32_e32 v2, s29
	s_sub_u32 s14, 0, s29
	s_subb_u32 s15, 0, 0
	s_delay_alu instid0(VALU_DEP_1) | instskip(NEXT) | instid1(VALU_DEP_1)
	v_fmac_f32_e64 v2, 0, 0x4f800000
	v_rcp_f32_e32 v2, v2
	s_waitcnt_depctr 0xfff
	v_mul_f32_e32 v2, 0x5f7ffffc, v2
	s_delay_alu instid0(VALU_DEP_1) | instskip(NEXT) | instid1(VALU_DEP_1)
	v_mul_f32_e32 v3, 0x2f800000, v2
	v_trunc_f32_e32 v3, v3
	s_delay_alu instid0(VALU_DEP_1) | instskip(SKIP_1) | instid1(VALU_DEP_2)
	v_fmac_f32_e32 v2, 0xcf800000, v3
	v_cvt_u32_f32_e32 v3, v3
	v_cvt_u32_f32_e32 v2, v2
	s_delay_alu instid0(VALU_DEP_2) | instskip(NEXT) | instid1(VALU_DEP_2)
	v_readfirstlane_b32 s4, v3
	v_readfirstlane_b32 s5, v2
	s_delay_alu instid0(VALU_DEP_2) | instskip(NEXT) | instid1(VALU_DEP_1)
	s_mul_i32 s21, s14, s4
	s_mul_hi_u32 s23, s14, s5
	s_mul_i32 s22, s15, s5
	s_add_i32 s21, s23, s21
	s_mul_i32 s42, s14, s5
	s_add_i32 s21, s21, s22
	s_mul_hi_u32 s23, s5, s42
	s_mul_hi_u32 s48, s4, s42
	s_mul_i32 s22, s4, s42
	s_mul_hi_u32 s42, s5, s21
	s_mul_i32 s5, s5, s21
	s_mul_hi_u32 s56, s4, s21
	s_add_u32 s5, s23, s5
	s_addc_u32 s23, 0, s42
	s_add_u32 s5, s5, s22
	s_mul_i32 s21, s4, s21
	s_addc_u32 s5, s23, s48
	s_addc_u32 s22, s56, 0
	s_add_u32 s5, s5, s21
	s_addc_u32 s21, 0, s22
	v_add_co_u32 v2, s5, v2, s5
	s_delay_alu instid0(VALU_DEP_1) | instskip(SKIP_1) | instid1(VALU_DEP_1)
	s_cmp_lg_u32 s5, 0
	s_addc_u32 s4, s4, s21
	v_readfirstlane_b32 s5, v2
	s_mul_i32 s21, s14, s4
	s_delay_alu instid0(VALU_DEP_1)
	s_mul_hi_u32 s22, s14, s5
	s_mul_i32 s15, s15, s5
	s_add_i32 s21, s22, s21
	s_mul_i32 s14, s14, s5
	s_add_i32 s21, s21, s15
	s_mul_hi_u32 s22, s4, s14
	s_mul_i32 s23, s4, s14
	s_mul_hi_u32 s14, s5, s14
	s_mul_hi_u32 s42, s5, s21
	s_mul_i32 s5, s5, s21
	s_mul_hi_u32 s15, s4, s21
	s_add_u32 s5, s14, s5
	s_addc_u32 s14, 0, s42
	s_add_u32 s5, s5, s23
	s_mul_i32 s21, s4, s21
	s_addc_u32 s5, s14, s22
	s_addc_u32 s14, s15, 0
	s_add_u32 s5, s5, s21
	s_addc_u32 s14, 0, s14
	v_add_co_u32 v2, s5, v2, s5
	s_delay_alu instid0(VALU_DEP_1) | instskip(SKIP_1) | instid1(VALU_DEP_1)
	s_cmp_lg_u32 s5, 0
	s_addc_u32 s4, s4, s14
	v_readfirstlane_b32 s5, v2
	s_mul_i32 s15, s71, s4
	s_mul_hi_u32 s14, s71, s4
	s_mul_hi_u32 s21, s49, s4
	s_mul_i32 s4, s49, s4
	s_mul_hi_u32 s22, s71, s5
	s_mul_hi_u32 s23, s49, s5
	s_mul_i32 s5, s49, s5
	s_add_u32 s15, s22, s15
	s_addc_u32 s14, 0, s14
	s_add_u32 s5, s15, s5
	s_addc_u32 s5, s14, s23
	s_addc_u32 s14, s21, 0
	s_add_u32 s4, s5, s4
	s_addc_u32 s5, 0, s14
	s_mul_hi_u32 s14, s29, s4
	s_mul_i32 s4, s29, s4
	s_mul_i32 s5, s29, s5
	v_sub_co_u32 v2, s4, s71, s4
	s_add_i32 s14, s14, s5
	s_cmp_lg_u32 s4, 0
	s_delay_alu instid0(VALU_DEP_1) | instskip(SKIP_2) | instid1(VALU_DEP_1)
	v_sub_co_u32 v3, s4, v2, s29
	s_subb_u32 s5, s49, s14
	s_cmp_lg_u32 s4, 0
	v_cmp_le_u32_e32 vcc_lo, s29, v3
	v_sub_co_u32 v4, s4, v3, s29
	s_subb_u32 s14, s5, 0
	s_cmp_lg_u32 s4, 0
	v_cndmask_b32_e64 v5, 0, -1, vcc_lo
	s_subb_u32 s4, s14, 0
	s_cmp_eq_u32 s14, 0
	v_mov_b32_e32 v7, s4
	s_cselect_b32 vcc_lo, -1, 0
	s_cmp_eq_u32 s5, 0
	v_cndmask_b32_e32 v5, -1, v5, vcc_lo
	v_cmp_le_u32_e32 vcc_lo, s29, v2
	s_cselect_b32 s4, -1, 0
	v_cndmask_b32_e64 v6, 0, -1, vcc_lo
	s_delay_alu instid0(VALU_DEP_3) | instskip(NEXT) | instid1(VALU_DEP_2)
	v_cmp_ne_u32_e32 vcc_lo, 0, v5
	v_cndmask_b32_e64 v5, -1, v6, s4
	v_cndmask_b32_e32 v6, s14, v7, vcc_lo
	v_cndmask_b32_e32 v4, v3, v4, vcc_lo
	s_delay_alu instid0(VALU_DEP_3) | instskip(NEXT) | instid1(VALU_DEP_3)
	v_cmp_ne_u32_e32 vcc_lo, 0, v5
	v_cndmask_b32_e32 v3, s5, v6, vcc_lo
	s_delay_alu instid0(VALU_DEP_3)
	v_cndmask_b32_e32 v2, v2, v4, vcc_lo
	s_cbranch_execnz .LBB124_116
.LBB124_115:                            ;   in Loop: Header=BB124_21 Depth=1
	v_cvt_f32_u32_e32 v2, s29
	s_sub_i32 s4, 0, s29
	s_delay_alu instid0(VALU_DEP_1) | instskip(SKIP_2) | instid1(VALU_DEP_1)
	v_rcp_iflag_f32_e32 v2, v2
	s_waitcnt_depctr 0xfff
	v_mul_f32_e32 v2, 0x4f7ffffe, v2
	v_cvt_u32_f32_e32 v2, v2
	s_delay_alu instid0(VALU_DEP_1) | instskip(NEXT) | instid1(VALU_DEP_1)
	v_mul_lo_u32 v3, s4, v2
	v_mul_hi_u32 v3, v2, v3
	s_delay_alu instid0(VALU_DEP_1) | instskip(NEXT) | instid1(VALU_DEP_1)
	v_add_nc_u32_e32 v2, v2, v3
	v_mul_hi_u32 v2, s71, v2
	s_delay_alu instid0(VALU_DEP_1) | instskip(NEXT) | instid1(VALU_DEP_1)
	v_mul_lo_u32 v2, v2, s29
	v_sub_nc_u32_e32 v2, s71, v2
	s_delay_alu instid0(VALU_DEP_1) | instskip(SKIP_1) | instid1(VALU_DEP_2)
	v_subrev_nc_u32_e32 v3, s29, v2
	v_cmp_le_u32_e32 vcc_lo, s29, v2
	v_cndmask_b32_e32 v2, v2, v3, vcc_lo
	s_delay_alu instid0(VALU_DEP_1) | instskip(SKIP_1) | instid1(VALU_DEP_2)
	v_subrev_nc_u32_e32 v3, s29, v2
	v_cmp_le_u32_e32 vcc_lo, s29, v2
	v_cndmask_b32_e32 v14, v2, v3, vcc_lo
	s_delay_alu instid0(VALU_DEP_1)
	v_dual_mov_b32 v2, v14 :: v_dual_mov_b32 v3, v15
.LBB124_116:                            ;   in Loop: Header=BB124_21 Depth=1
	s_delay_alu instid0(VALU_DEP_1) | instskip(NEXT) | instid1(VALU_DEP_2)
	v_sub_co_u32 v2, vcc_lo, s71, v2
	v_sub_co_ci_u32_e32 v3, vcc_lo, s49, v3, vcc_lo
	s_mov_b32 s4, 0
	s_mov_b32 s5, exec_lo
                                        ; implicit-def: $vgpr25
	s_delay_alu instid0(VALU_DEP_1)
	v_cmpx_gt_u64_e64 v[2:3], v[0:1]
	s_cbranch_execz .LBB124_125
; %bb.117:                              ;   in Loop: Header=BB124_21 Depth=1
	v_dual_mov_b32 v4, v10 :: v_dual_mov_b32 v5, v11
	v_dual_mov_b32 v7, v1 :: v_dual_mov_b32 v6, v0
	s_mov_b32 s14, 0
                                        ; implicit-def: $sgpr15
	s_set_inst_prefetch_distance 0x1
	s_branch .LBB124_119
	.p2align	6
.LBB124_118:                            ;   in Loop: Header=BB124_119 Depth=2
	s_or_b32 exec_lo, exec_lo, s4
	s_waitcnt vmcnt(0) lgkmcnt(0)
	s_barrier
	buffer_gl0_inv
	ds_load_b64 v[24:25], v15 offset:3072
	v_add_co_u32 v6, vcc_lo, v6, s29
	v_add_co_ci_u32_e32 v7, vcc_lo, 0, v7, vcc_lo
	s_waitcnt lgkmcnt(0)
	s_barrier
	buffer_gl0_inv
	v_cmp_ge_u64_e32 vcc_lo, v[6:7], v[2:3]
	v_cmp_neq_f32_e64 s4, 0, v24
	s_delay_alu instid0(VALU_DEP_1)
	s_or_b32 s21, vcc_lo, s4
	v_add_co_u32 v4, vcc_lo, v4, s40
	s_and_b32 s21, exec_lo, s21
	v_add_co_ci_u32_e32 v5, vcc_lo, s41, v5, vcc_lo
	s_or_b32 s14, s21, s14
	s_and_not1_b32 s15, s15, exec_lo
	s_and_b32 s4, s4, exec_lo
	s_delay_alu instid0(SALU_CYCLE_1)
	s_or_b32 s15, s15, s4
	s_and_not1_b32 exec_lo, exec_lo, s14
	s_cbranch_execz .LBB124_124
.LBB124_119:                            ;   Parent Loop BB124_21 Depth=1
                                        ; =>  This Inner Loop Header: Depth=2
	s_delay_alu instid0(VALU_DEP_1)
	v_cmp_gt_u64_e32 vcc_lo, s[24:25], v[6:7]
	v_mov_b32_e32 v24, 0
	s_and_saveexec_b32 s4, vcc_lo
	s_cbranch_execz .LBB124_121
; %bb.120:                              ;   in Loop: Header=BB124_119 Depth=2
	global_load_b32 v24, v[4:5], off
.LBB124_121:                            ;   in Loop: Header=BB124_119 Depth=2
	s_or_b32 exec_lo, exec_lo, s4
	s_and_saveexec_b32 s4, vcc_lo
	s_cbranch_execz .LBB124_118
; %bb.122:                              ;   in Loop: Header=BB124_119 Depth=2
	s_waitcnt vmcnt(0)
	v_cmp_lt_i32_e32 vcc_lo, -1, v24
	v_cndmask_b32_e64 v8, -1, 0x80000000, vcc_lo
	v_cmp_o_f32_e32 vcc_lo, v24, v24
	s_delay_alu instid0(VALU_DEP_2) | instskip(NEXT) | instid1(VALU_DEP_1)
	v_xor_b32_e32 v8, v8, v24
	v_cndmask_b32_e32 v8, -1, v8, vcc_lo
	s_delay_alu instid0(VALU_DEP_1) | instskip(NEXT) | instid1(VALU_DEP_1)
	v_and_b32_e32 v8, s88, v8
	v_cmp_eq_u32_e32 vcc_lo, s87, v8
	s_and_b32 exec_lo, exec_lo, vcc_lo
	s_cbranch_execz .LBB124_118
; %bb.123:                              ;   in Loop: Header=BB124_119 Depth=2
	ds_store_b64 v15, v[23:24] offset:3072
	s_branch .LBB124_118
.LBB124_124:                            ;   in Loop: Header=BB124_21 Depth=1
	s_set_inst_prefetch_distance 0x2
	s_or_b32 exec_lo, exec_lo, s14
	s_delay_alu instid0(SALU_CYCLE_1)
	s_and_b32 s4, s15, exec_lo
.LBB124_125:                            ;   in Loop: Header=BB124_21 Depth=1
	s_or_b32 exec_lo, exec_lo, s5
	s_mov_b32 s15, -1
	s_mov_b32 s5, 0
	s_mov_b32 s14, 0
.LBB124_126:                            ;   in Loop: Header=BB124_21 Depth=1
	s_and_not1_b32 s21, s83, exec_lo
	s_and_b32 s5, s5, exec_lo
	s_and_b32 s15, s15, exec_lo
	s_or_b32 s83, s21, s5
	s_and_not1_b32 s5, s86, exec_lo
	s_and_not1_b32 s21, s84, exec_lo
	s_and_b32 s14, s14, exec_lo
	s_or_b32 s86, s5, s15
	s_or_b32 s84, s21, s14
	s_and_saveexec_b32 s14, s4
	s_cbranch_execz .LBB124_20
; %bb.127:                              ;   in Loop: Header=BB124_21 Depth=1
	s_xor_b32 s4, s20, -1
	s_mov_b32 s42, 1
	s_and_not1_b32 vcc_lo, exec_lo, s4
	s_cbranch_vccnz .LBB124_138
; %bb.128:                              ;   in Loop: Header=BB124_21 Depth=1
	v_cmp_gt_u64_e64 s4, s[44:45], s[12:13]
                                        ; implicit-def: $sgpr42
                                        ; implicit-def: $sgpr5
                                        ; implicit-def: $sgpr15
	s_delay_alu instid0(VALU_DEP_1)
	s_and_b32 vcc_lo, exec_lo, s4
	s_mov_b32 s4, -1
	s_cbranch_vccnz .LBB124_134
; %bb.129:                              ;   in Loop: Header=BB124_21 Depth=1
	ds_load_b64 v[2:3], v15 offset:5120
	s_waitcnt lgkmcnt(0)
	v_cmp_ne_u64_e32 vcc_lo, 0, v[2:3]
	s_cbranch_vccnz .LBB124_133
; %bb.130:                              ;   in Loop: Header=BB124_21 Depth=1
	s_and_saveexec_b32 s4, s3
	s_cbranch_execz .LBB124_132
; %bb.131:                              ;   in Loop: Header=BB124_21 Depth=1
	v_dual_mov_b32 v2, s12 :: v_dual_mov_b32 v3, s13
	ds_store_b64 v15, v[2:3] offset:5128
.LBB124_132:                            ;   in Loop: Header=BB124_21 Depth=1
	s_or_b32 exec_lo, exec_lo, s4
	s_waitcnt lgkmcnt(0)
	s_barrier
	buffer_gl0_inv
.LBB124_133:                            ;   in Loop: Header=BB124_21 Depth=1
	s_and_b32 s5, s87, s18
	s_or_b32 s15, s88, s16
	s_mov_b32 s4, 0
	s_mov_b32 s42, 8
.LBB124_134:                            ;   in Loop: Header=BB124_21 Depth=1
	s_and_not1_b32 vcc_lo, exec_lo, s4
	s_cbranch_vccnz .LBB124_136
; %bb.135:                              ;   in Loop: Header=BB124_21 Depth=1
	s_sub_u32 s44, s44, s12
	s_subb_u32 s45, s45, s13
	s_mov_b32 s4, -1
	s_mov_b32 s42, 0
	s_mov_b32 s5, s87
	;; [unrolled: 1-line block ×3, first 2 shown]
.LBB124_136:                            ;   in Loop: Header=BB124_21 Depth=1
	s_delay_alu instid0(SALU_CYCLE_1)
	s_mov_b32 s88, s15
	s_mov_b32 s87, s5
	s_and_b32 vcc_lo, exec_lo, s4
	s_mov_b32 s15, -1
	s_cbranch_vccnz .LBB124_139
.LBB124_137:                            ;   in Loop: Header=BB124_21 Depth=1
	s_mov_b32 s5, -1
                                        ; implicit-def: $sgpr12
                                        ; implicit-def: $sgpr19
                                        ; implicit-def: $sgpr13
	s_delay_alu instid0(SALU_CYCLE_1) | instskip(NEXT) | instid1(SALU_CYCLE_1)
	s_and_saveexec_b32 s4, s5
	s_xor_b32 s4, exec_lo, s4
	s_cbranch_execz .LBB124_19
	s_branch .LBB124_285
.LBB124_138:                            ;   in Loop: Header=BB124_21 Depth=1
	s_mov_b64 s[44:45], 1
	s_mov_b32 s15, -1
	s_branch .LBB124_137
.LBB124_139:                            ;   in Loop: Header=BB124_21 Depth=1
	s_cmp_eq_u64 s[10:11], 1
	s_cselect_b32 s4, -1, 0
	s_cmp_eq_u64 s[44:45], 1
	s_cselect_b32 s5, -1, 0
	s_delay_alu instid0(SALU_CYCLE_1)
	s_and_b32 s21, s4, s5
	s_mov_b32 s4, -1
	s_and_b32 vcc_lo, exec_lo, s21
	s_cbranch_vccz .LBB124_154
; %bb.140:                              ;   in Loop: Header=BB124_21 Depth=1
	ds_load_b64 v[2:3], v15 offset:5120
	s_waitcnt lgkmcnt(0)
	s_barrier
	buffer_gl0_inv
	v_readfirstlane_b32 s12, v2
	v_readfirstlane_b32 s13, v3
	s_and_saveexec_b32 s4, s0
	s_cbranch_execz .LBB124_142
; %bb.141:                              ;   in Loop: Header=BB124_21 Depth=1
	ds_store_b32 v31, v15
.LBB124_142:                            ;   in Loop: Header=BB124_21 Depth=1
	s_or_b32 exec_lo, exec_lo, s4
	s_lshl_b32 s4, 1, s17
	s_and_b32 s5, s87, s18
	s_or_b32 s88, s88, s16
	s_or_b32 s87, s5, s4
	s_cmp_eq_u64 s[12:13], 0
	s_waitcnt lgkmcnt(0)
	s_barrier
	buffer_gl0_inv
	s_cbranch_scc1 .LBB124_157
; %bb.143:                              ;   in Loop: Header=BB124_21 Depth=1
	s_add_u32 s19, s69, s12
	s_addc_u32 s5, s70, s13
	s_mov_b32 s4, s43
	s_delay_alu instid0(SALU_CYCLE_1)
	s_cmp_lg_u64 s[4:5], 0
	s_cbranch_scc0 .LBB124_202
; %bb.144:                              ;   in Loop: Header=BB124_21 Depth=1
	v_cvt_f32_u32_e32 v2, s29
	s_sub_u32 s22, 0, s29
	s_subb_u32 s23, 0, 0
	s_delay_alu instid0(VALU_DEP_1) | instskip(NEXT) | instid1(VALU_DEP_1)
	v_fmac_f32_e64 v2, 0, 0x4f800000
	v_rcp_f32_e32 v2, v2
	s_waitcnt_depctr 0xfff
	v_mul_f32_e32 v2, 0x5f7ffffc, v2
	s_delay_alu instid0(VALU_DEP_1) | instskip(NEXT) | instid1(VALU_DEP_1)
	v_mul_f32_e32 v3, 0x2f800000, v2
	v_trunc_f32_e32 v3, v3
	s_delay_alu instid0(VALU_DEP_1) | instskip(SKIP_1) | instid1(VALU_DEP_2)
	v_fmac_f32_e32 v2, 0xcf800000, v3
	v_cvt_u32_f32_e32 v3, v3
	v_cvt_u32_f32_e32 v2, v2
	s_delay_alu instid0(VALU_DEP_2) | instskip(NEXT) | instid1(VALU_DEP_2)
	v_readfirstlane_b32 s4, v3
	v_readfirstlane_b32 s20, v2
	s_delay_alu instid0(VALU_DEP_2) | instskip(NEXT) | instid1(VALU_DEP_1)
	s_mul_i32 s42, s22, s4
	s_mul_hi_u32 s56, s22, s20
	s_mul_i32 s48, s23, s20
	s_add_i32 s42, s56, s42
	s_mul_i32 s57, s22, s20
	s_add_i32 s42, s42, s48
	s_mul_hi_u32 s56, s20, s57
	s_mul_hi_u32 s58, s4, s57
	s_mul_i32 s48, s4, s57
	s_mul_hi_u32 s57, s20, s42
	s_mul_i32 s20, s20, s42
	s_mul_hi_u32 s59, s4, s42
	s_add_u32 s20, s56, s20
	s_addc_u32 s56, 0, s57
	s_add_u32 s20, s20, s48
	s_mul_i32 s42, s4, s42
	s_addc_u32 s20, s56, s58
	s_addc_u32 s48, s59, 0
	s_add_u32 s20, s20, s42
	s_addc_u32 s42, 0, s48
	v_add_co_u32 v2, s20, v2, s20
	s_delay_alu instid0(VALU_DEP_1) | instskip(SKIP_1) | instid1(VALU_DEP_1)
	s_cmp_lg_u32 s20, 0
	s_addc_u32 s4, s4, s42
	v_readfirstlane_b32 s20, v2
	s_mul_i32 s42, s22, s4
	s_delay_alu instid0(VALU_DEP_1)
	s_mul_hi_u32 s48, s22, s20
	s_mul_i32 s23, s23, s20
	s_add_i32 s42, s48, s42
	s_mul_i32 s22, s22, s20
	s_add_i32 s42, s42, s23
	s_mul_hi_u32 s48, s4, s22
	s_mul_i32 s56, s4, s22
	s_mul_hi_u32 s22, s20, s22
	s_mul_hi_u32 s57, s20, s42
	s_mul_i32 s20, s20, s42
	s_mul_hi_u32 s23, s4, s42
	s_add_u32 s20, s22, s20
	s_addc_u32 s22, 0, s57
	s_add_u32 s20, s20, s56
	s_mul_i32 s42, s4, s42
	s_addc_u32 s20, s22, s48
	s_addc_u32 s22, s23, 0
	s_add_u32 s20, s20, s42
	s_addc_u32 s22, 0, s22
	v_add_co_u32 v2, s20, v2, s20
	s_delay_alu instid0(VALU_DEP_1) | instskip(SKIP_1) | instid1(VALU_DEP_1)
	s_cmp_lg_u32 s20, 0
	s_addc_u32 s4, s4, s22
	v_readfirstlane_b32 s20, v2
	s_mul_i32 s23, s19, s4
	s_mul_hi_u32 s22, s19, s4
	s_mul_hi_u32 s42, s5, s4
	s_mul_i32 s4, s5, s4
	s_mul_hi_u32 s48, s19, s20
	s_mul_hi_u32 s56, s5, s20
	s_mul_i32 s20, s5, s20
	s_add_u32 s23, s48, s23
	s_addc_u32 s22, 0, s22
	s_add_u32 s20, s23, s20
	s_addc_u32 s20, s22, s56
	s_addc_u32 s22, s42, 0
	s_add_u32 s4, s20, s4
	s_addc_u32 s20, 0, s22
	s_mul_hi_u32 s22, s29, s4
	s_mul_i32 s4, s29, s4
	s_mul_i32 s20, s29, s20
	v_sub_co_u32 v2, s4, s19, s4
	s_add_i32 s22, s22, s20
	s_cmp_lg_u32 s4, 0
	s_delay_alu instid0(VALU_DEP_1) | instskip(SKIP_2) | instid1(VALU_DEP_1)
	v_sub_co_u32 v3, s4, v2, s29
	s_subb_u32 s20, s5, s22
	s_cmp_lg_u32 s4, 0
	v_cmp_le_u32_e32 vcc_lo, s29, v3
	v_sub_co_u32 v4, s4, v3, s29
	s_subb_u32 s22, s20, 0
	s_cmp_lg_u32 s4, 0
	v_cndmask_b32_e64 v5, 0, -1, vcc_lo
	s_subb_u32 s4, s22, 0
	s_cmp_eq_u32 s22, 0
	v_mov_b32_e32 v7, s4
	s_cselect_b32 vcc_lo, -1, 0
	s_cmp_eq_u32 s20, 0
	v_cndmask_b32_e32 v5, -1, v5, vcc_lo
	v_cmp_le_u32_e32 vcc_lo, s29, v2
	s_cselect_b32 s4, -1, 0
	v_cndmask_b32_e64 v6, 0, -1, vcc_lo
	s_delay_alu instid0(VALU_DEP_3) | instskip(NEXT) | instid1(VALU_DEP_2)
	v_cmp_ne_u32_e32 vcc_lo, 0, v5
	v_cndmask_b32_e64 v5, -1, v6, s4
	v_cndmask_b32_e32 v6, s22, v7, vcc_lo
	v_cndmask_b32_e32 v4, v3, v4, vcc_lo
	s_delay_alu instid0(VALU_DEP_3) | instskip(NEXT) | instid1(VALU_DEP_3)
	v_cmp_ne_u32_e32 vcc_lo, 0, v5
	v_cndmask_b32_e32 v3, s20, v6, vcc_lo
	s_delay_alu instid0(VALU_DEP_3)
	v_cndmask_b32_e32 v2, v2, v4, vcc_lo
	s_cbranch_execnz .LBB124_146
.LBB124_145:                            ;   in Loop: Header=BB124_21 Depth=1
	v_cvt_f32_u32_e32 v2, s29
	s_sub_i32 s4, 0, s29
	s_delay_alu instid0(VALU_DEP_1) | instskip(SKIP_2) | instid1(VALU_DEP_1)
	v_rcp_iflag_f32_e32 v2, v2
	s_waitcnt_depctr 0xfff
	v_mul_f32_e32 v2, 0x4f7ffffe, v2
	v_cvt_u32_f32_e32 v2, v2
	s_delay_alu instid0(VALU_DEP_1) | instskip(NEXT) | instid1(VALU_DEP_1)
	v_mul_lo_u32 v3, s4, v2
	v_mul_hi_u32 v3, v2, v3
	s_delay_alu instid0(VALU_DEP_1) | instskip(NEXT) | instid1(VALU_DEP_1)
	v_add_nc_u32_e32 v2, v2, v3
	v_mul_hi_u32 v2, s19, v2
	s_delay_alu instid0(VALU_DEP_1) | instskip(NEXT) | instid1(VALU_DEP_1)
	v_mul_lo_u32 v2, v2, s29
	v_sub_nc_u32_e32 v2, s19, v2
	s_delay_alu instid0(VALU_DEP_1) | instskip(SKIP_1) | instid1(VALU_DEP_2)
	v_subrev_nc_u32_e32 v3, s29, v2
	v_cmp_le_u32_e32 vcc_lo, s29, v2
	v_cndmask_b32_e32 v2, v2, v3, vcc_lo
	s_delay_alu instid0(VALU_DEP_1) | instskip(SKIP_1) | instid1(VALU_DEP_2)
	v_subrev_nc_u32_e32 v3, s29, v2
	v_cmp_le_u32_e32 vcc_lo, s29, v2
	v_cndmask_b32_e32 v14, v2, v3, vcc_lo
	s_delay_alu instid0(VALU_DEP_1)
	v_dual_mov_b32 v2, v14 :: v_dual_mov_b32 v3, v15
.LBB124_146:                            ;   in Loop: Header=BB124_21 Depth=1
	s_delay_alu instid0(VALU_DEP_1) | instskip(NEXT) | instid1(VALU_DEP_2)
	v_sub_co_u32 v2, vcc_lo, s19, v2
	v_sub_co_ci_u32_e32 v3, vcc_lo, s5, v3, vcc_lo
	s_mov_b32 s4, 0
	s_mov_b32 s5, exec_lo
                                        ; implicit-def: $vgpr25
	s_delay_alu instid0(VALU_DEP_1)
	v_cmpx_gt_u64_e64 v[2:3], v[0:1]
	s_cbranch_execz .LBB124_159
; %bb.147:                              ;   in Loop: Header=BB124_21 Depth=1
	v_dual_mov_b32 v6, v12 :: v_dual_mov_b32 v5, v1
	v_mov_b32_e32 v4, v0
	s_mov_b32 s19, 0
                                        ; implicit-def: $sgpr20
	s_set_inst_prefetch_distance 0x1
	s_branch .LBB124_149
	.p2align	6
.LBB124_148:                            ;   in Loop: Header=BB124_149 Depth=2
	s_or_b32 exec_lo, exec_lo, s4
	s_waitcnt lgkmcnt(0)
	s_barrier
	buffer_gl0_inv
	ds_load_b64 v[24:25], v15 offset:3072
	v_add_co_u32 v4, vcc_lo, v4, s29
	v_add_co_ci_u32_e32 v5, vcc_lo, 0, v5, vcc_lo
	v_add_nc_u32_e32 v6, s77, v6
	s_waitcnt lgkmcnt(0)
	s_barrier
	s_delay_alu instid0(VALU_DEP_2) | instskip(SKIP_2) | instid1(VALU_DEP_1)
	v_cmp_ge_u64_e32 vcc_lo, v[4:5], v[2:3]
	buffer_gl0_inv
	v_cmp_neq_f32_e64 s4, 0, v24
	s_or_b32 s22, vcc_lo, s4
	s_delay_alu instid0(SALU_CYCLE_1) | instskip(NEXT) | instid1(SALU_CYCLE_1)
	s_and_b32 s22, exec_lo, s22
	s_or_b32 s19, s22, s19
	s_and_not1_b32 s20, s20, exec_lo
	s_and_b32 s4, s4, exec_lo
	s_delay_alu instid0(SALU_CYCLE_1)
	s_or_b32 s20, s20, s4
	s_and_not1_b32 exec_lo, exec_lo, s19
	s_cbranch_execz .LBB124_158
.LBB124_149:                            ;   Parent Loop BB124_21 Depth=1
                                        ; =>  This Inner Loop Header: Depth=2
	s_delay_alu instid0(VALU_DEP_1)
	v_cmp_gt_u64_e32 vcc_lo, s[12:13], v[4:5]
	v_mov_b32_e32 v24, 0
	s_and_saveexec_b32 s4, vcc_lo
	s_cbranch_execz .LBB124_151
; %bb.150:                              ;   in Loop: Header=BB124_149 Depth=2
	ds_load_b32 v24, v6
.LBB124_151:                            ;   in Loop: Header=BB124_149 Depth=2
	s_or_b32 exec_lo, exec_lo, s4
	s_and_saveexec_b32 s4, vcc_lo
	s_cbranch_execz .LBB124_148
; %bb.152:                              ;   in Loop: Header=BB124_149 Depth=2
	s_waitcnt lgkmcnt(0)
	v_cmp_lt_i32_e32 vcc_lo, -1, v24
	v_cndmask_b32_e64 v7, -1, 0x80000000, vcc_lo
	v_cmp_o_f32_e32 vcc_lo, v24, v24
	s_delay_alu instid0(VALU_DEP_2) | instskip(NEXT) | instid1(VALU_DEP_1)
	v_xor_b32_e32 v7, v7, v24
	v_cndmask_b32_e32 v7, -1, v7, vcc_lo
	s_delay_alu instid0(VALU_DEP_1) | instskip(NEXT) | instid1(VALU_DEP_1)
	v_and_b32_e32 v7, s88, v7
	v_cmp_eq_u32_e32 vcc_lo, s87, v7
	s_and_b32 exec_lo, exec_lo, vcc_lo
	s_cbranch_execz .LBB124_148
; %bb.153:                              ;   in Loop: Header=BB124_149 Depth=2
	ds_store_b64 v15, v[23:24] offset:3072
	s_branch .LBB124_148
.LBB124_154:                            ;   in Loop: Header=BB124_21 Depth=1
                                        ; implicit-def: $sgpr13
                                        ; implicit-def: $sgpr19
                                        ; implicit-def: $sgpr12
	s_branch .LBB124_173
.LBB124_155:                            ;   in Loop: Header=BB124_21 Depth=1
                                        ; implicit-def: $vgpr2_vgpr3
	s_branch .LBB124_100
.LBB124_156:                            ;   in Loop: Header=BB124_21 Depth=1
                                        ; implicit-def: $vgpr2_vgpr3
	s_branch .LBB124_115
.LBB124_157:                            ;   in Loop: Header=BB124_21 Depth=1
	s_mov_b32 s13, -1
	s_mov_b32 s4, 0
                                        ; implicit-def: $sgpr12
                                        ; implicit-def: $vgpr25
	s_mov_b32 s19, s13
	s_cbranch_execnz .LBB124_160
	s_branch .LBB124_173
.LBB124_158:                            ;   in Loop: Header=BB124_21 Depth=1
	s_set_inst_prefetch_distance 0x2
	s_or_b32 exec_lo, exec_lo, s19
	s_delay_alu instid0(SALU_CYCLE_1)
	s_and_b32 s4, s20, exec_lo
.LBB124_159:                            ;   in Loop: Header=BB124_21 Depth=1
	s_or_b32 exec_lo, exec_lo, s5
	s_mov_b32 s12, -1
	s_mov_b32 s13, 0
	s_delay_alu instid0(SALU_CYCLE_1)
	s_mov_b32 s19, s13
	s_branch .LBB124_173
.LBB124_160:                            ;   in Loop: Header=BB124_21 Depth=1
	s_mov_b32 s48, s43
	s_delay_alu instid0(SALU_CYCLE_1)
	s_cmp_lg_u64 s[48:49], 0
	s_cbranch_scc0 .LBB124_203
; %bb.161:                              ;   in Loop: Header=BB124_21 Depth=1
	v_cvt_f32_u32_e32 v2, s29
	s_sub_u32 s12, 0, s29
	s_subb_u32 s13, 0, 0
	s_delay_alu instid0(VALU_DEP_1) | instskip(NEXT) | instid1(VALU_DEP_1)
	v_fmac_f32_e64 v2, 0, 0x4f800000
	v_rcp_f32_e32 v2, v2
	s_waitcnt_depctr 0xfff
	v_mul_f32_e32 v2, 0x5f7ffffc, v2
	s_delay_alu instid0(VALU_DEP_1) | instskip(NEXT) | instid1(VALU_DEP_1)
	v_mul_f32_e32 v3, 0x2f800000, v2
	v_trunc_f32_e32 v3, v3
	s_delay_alu instid0(VALU_DEP_1) | instskip(SKIP_1) | instid1(VALU_DEP_2)
	v_fmac_f32_e32 v2, 0xcf800000, v3
	v_cvt_u32_f32_e32 v3, v3
	v_cvt_u32_f32_e32 v2, v2
	s_delay_alu instid0(VALU_DEP_2) | instskip(NEXT) | instid1(VALU_DEP_2)
	v_readfirstlane_b32 s4, v3
	v_readfirstlane_b32 s5, v2
	s_delay_alu instid0(VALU_DEP_2) | instskip(NEXT) | instid1(VALU_DEP_1)
	s_mul_i32 s19, s12, s4
	s_mul_hi_u32 s22, s12, s5
	s_mul_i32 s20, s13, s5
	s_add_i32 s19, s22, s19
	s_mul_i32 s23, s12, s5
	s_add_i32 s19, s19, s20
	s_mul_hi_u32 s22, s5, s23
	s_mul_hi_u32 s42, s4, s23
	s_mul_i32 s20, s4, s23
	s_mul_hi_u32 s23, s5, s19
	s_mul_i32 s5, s5, s19
	s_mul_hi_u32 s48, s4, s19
	s_add_u32 s5, s22, s5
	s_addc_u32 s22, 0, s23
	s_add_u32 s5, s5, s20
	s_mul_i32 s19, s4, s19
	s_addc_u32 s5, s22, s42
	s_addc_u32 s20, s48, 0
	s_add_u32 s5, s5, s19
	s_addc_u32 s19, 0, s20
	v_add_co_u32 v2, s5, v2, s5
	s_delay_alu instid0(VALU_DEP_1) | instskip(SKIP_1) | instid1(VALU_DEP_1)
	s_cmp_lg_u32 s5, 0
	s_addc_u32 s4, s4, s19
	v_readfirstlane_b32 s5, v2
	s_mul_i32 s19, s12, s4
	s_delay_alu instid0(VALU_DEP_1)
	s_mul_hi_u32 s20, s12, s5
	s_mul_i32 s13, s13, s5
	s_add_i32 s19, s20, s19
	s_mul_i32 s12, s12, s5
	s_add_i32 s19, s19, s13
	s_mul_hi_u32 s20, s4, s12
	s_mul_i32 s22, s4, s12
	s_mul_hi_u32 s12, s5, s12
	s_mul_hi_u32 s23, s5, s19
	s_mul_i32 s5, s5, s19
	s_mul_hi_u32 s13, s4, s19
	s_add_u32 s5, s12, s5
	s_addc_u32 s12, 0, s23
	s_add_u32 s5, s5, s22
	s_mul_i32 s19, s4, s19
	s_addc_u32 s5, s12, s20
	s_addc_u32 s12, s13, 0
	s_add_u32 s5, s5, s19
	s_addc_u32 s12, 0, s12
	v_add_co_u32 v2, s5, v2, s5
	s_delay_alu instid0(VALU_DEP_1) | instskip(SKIP_1) | instid1(VALU_DEP_1)
	s_cmp_lg_u32 s5, 0
	s_addc_u32 s4, s4, s12
	v_readfirstlane_b32 s5, v2
	s_mul_i32 s13, s71, s4
	s_mul_hi_u32 s12, s71, s4
	s_mul_hi_u32 s19, s49, s4
	s_mul_i32 s4, s49, s4
	s_mul_hi_u32 s20, s71, s5
	s_mul_hi_u32 s22, s49, s5
	s_mul_i32 s5, s49, s5
	s_add_u32 s13, s20, s13
	s_addc_u32 s12, 0, s12
	s_add_u32 s5, s13, s5
	s_addc_u32 s5, s12, s22
	s_addc_u32 s12, s19, 0
	s_add_u32 s4, s5, s4
	s_addc_u32 s5, 0, s12
	s_mul_hi_u32 s12, s29, s4
	s_mul_i32 s4, s29, s4
	s_mul_i32 s5, s29, s5
	v_sub_co_u32 v2, s4, s71, s4
	s_add_i32 s12, s12, s5
	s_cmp_lg_u32 s4, 0
	s_delay_alu instid0(VALU_DEP_1) | instskip(SKIP_2) | instid1(VALU_DEP_1)
	v_sub_co_u32 v3, s4, v2, s29
	s_subb_u32 s5, s49, s12
	s_cmp_lg_u32 s4, 0
	v_cmp_le_u32_e32 vcc_lo, s29, v3
	v_sub_co_u32 v4, s4, v3, s29
	s_subb_u32 s12, s5, 0
	s_cmp_lg_u32 s4, 0
	v_cndmask_b32_e64 v5, 0, -1, vcc_lo
	s_subb_u32 s4, s12, 0
	s_cmp_eq_u32 s12, 0
	v_mov_b32_e32 v7, s4
	s_cselect_b32 vcc_lo, -1, 0
	s_cmp_eq_u32 s5, 0
	v_cndmask_b32_e32 v5, -1, v5, vcc_lo
	v_cmp_le_u32_e32 vcc_lo, s29, v2
	s_cselect_b32 s4, -1, 0
	v_cndmask_b32_e64 v6, 0, -1, vcc_lo
	s_delay_alu instid0(VALU_DEP_3) | instskip(NEXT) | instid1(VALU_DEP_2)
	v_cmp_ne_u32_e32 vcc_lo, 0, v5
	v_cndmask_b32_e64 v5, -1, v6, s4
	v_cndmask_b32_e32 v6, s12, v7, vcc_lo
	v_cndmask_b32_e32 v4, v3, v4, vcc_lo
	s_delay_alu instid0(VALU_DEP_3) | instskip(NEXT) | instid1(VALU_DEP_3)
	v_cmp_ne_u32_e32 vcc_lo, 0, v5
	v_cndmask_b32_e32 v3, s5, v6, vcc_lo
	s_delay_alu instid0(VALU_DEP_3)
	v_cndmask_b32_e32 v2, v2, v4, vcc_lo
	s_cbranch_execnz .LBB124_163
.LBB124_162:                            ;   in Loop: Header=BB124_21 Depth=1
	v_cvt_f32_u32_e32 v2, s29
	s_sub_i32 s4, 0, s29
	s_delay_alu instid0(VALU_DEP_1) | instskip(SKIP_2) | instid1(VALU_DEP_1)
	v_rcp_iflag_f32_e32 v2, v2
	s_waitcnt_depctr 0xfff
	v_mul_f32_e32 v2, 0x4f7ffffe, v2
	v_cvt_u32_f32_e32 v2, v2
	s_delay_alu instid0(VALU_DEP_1) | instskip(NEXT) | instid1(VALU_DEP_1)
	v_mul_lo_u32 v3, s4, v2
	v_mul_hi_u32 v3, v2, v3
	s_delay_alu instid0(VALU_DEP_1) | instskip(NEXT) | instid1(VALU_DEP_1)
	v_add_nc_u32_e32 v2, v2, v3
	v_mul_hi_u32 v2, s71, v2
	s_delay_alu instid0(VALU_DEP_1) | instskip(NEXT) | instid1(VALU_DEP_1)
	v_mul_lo_u32 v2, v2, s29
	v_sub_nc_u32_e32 v2, s71, v2
	s_delay_alu instid0(VALU_DEP_1) | instskip(SKIP_1) | instid1(VALU_DEP_2)
	v_subrev_nc_u32_e32 v3, s29, v2
	v_cmp_le_u32_e32 vcc_lo, s29, v2
	v_cndmask_b32_e32 v2, v2, v3, vcc_lo
	s_delay_alu instid0(VALU_DEP_1) | instskip(SKIP_1) | instid1(VALU_DEP_2)
	v_subrev_nc_u32_e32 v3, s29, v2
	v_cmp_le_u32_e32 vcc_lo, s29, v2
	v_cndmask_b32_e32 v14, v2, v3, vcc_lo
	s_delay_alu instid0(VALU_DEP_1)
	v_dual_mov_b32 v2, v14 :: v_dual_mov_b32 v3, v15
.LBB124_163:                            ;   in Loop: Header=BB124_21 Depth=1
	s_delay_alu instid0(VALU_DEP_1) | instskip(NEXT) | instid1(VALU_DEP_2)
	v_sub_co_u32 v2, vcc_lo, s71, v2
	v_sub_co_ci_u32_e32 v3, vcc_lo, s49, v3, vcc_lo
	s_mov_b32 s4, 0
	s_mov_b32 s5, exec_lo
                                        ; implicit-def: $vgpr25
	s_delay_alu instid0(VALU_DEP_1)
	v_cmpx_gt_u64_e64 v[2:3], v[0:1]
	s_cbranch_execz .LBB124_172
; %bb.164:                              ;   in Loop: Header=BB124_21 Depth=1
	v_dual_mov_b32 v4, v10 :: v_dual_mov_b32 v5, v11
	v_dual_mov_b32 v7, v1 :: v_dual_mov_b32 v6, v0
	s_mov_b32 s12, 0
                                        ; implicit-def: $sgpr13
	s_set_inst_prefetch_distance 0x1
	s_branch .LBB124_166
	.p2align	6
.LBB124_165:                            ;   in Loop: Header=BB124_166 Depth=2
	s_or_b32 exec_lo, exec_lo, s4
	s_waitcnt vmcnt(0) lgkmcnt(0)
	s_barrier
	buffer_gl0_inv
	ds_load_b64 v[24:25], v15 offset:3072
	v_add_co_u32 v6, vcc_lo, v6, s29
	v_add_co_ci_u32_e32 v7, vcc_lo, 0, v7, vcc_lo
	s_waitcnt lgkmcnt(0)
	s_barrier
	buffer_gl0_inv
	v_cmp_ge_u64_e32 vcc_lo, v[6:7], v[2:3]
	v_cmp_neq_f32_e64 s4, 0, v24
	s_delay_alu instid0(VALU_DEP_1)
	s_or_b32 s19, vcc_lo, s4
	v_add_co_u32 v4, vcc_lo, v4, s40
	s_and_b32 s19, exec_lo, s19
	v_add_co_ci_u32_e32 v5, vcc_lo, s41, v5, vcc_lo
	s_or_b32 s12, s19, s12
	s_and_not1_b32 s13, s13, exec_lo
	s_and_b32 s4, s4, exec_lo
	s_delay_alu instid0(SALU_CYCLE_1)
	s_or_b32 s13, s13, s4
	s_and_not1_b32 exec_lo, exec_lo, s12
	s_cbranch_execz .LBB124_171
.LBB124_166:                            ;   Parent Loop BB124_21 Depth=1
                                        ; =>  This Inner Loop Header: Depth=2
	s_delay_alu instid0(VALU_DEP_1)
	v_cmp_gt_u64_e32 vcc_lo, s[24:25], v[6:7]
	v_mov_b32_e32 v24, 0
	s_and_saveexec_b32 s4, vcc_lo
	s_cbranch_execz .LBB124_168
; %bb.167:                              ;   in Loop: Header=BB124_166 Depth=2
	global_load_b32 v24, v[4:5], off
.LBB124_168:                            ;   in Loop: Header=BB124_166 Depth=2
	s_or_b32 exec_lo, exec_lo, s4
	s_and_saveexec_b32 s4, vcc_lo
	s_cbranch_execz .LBB124_165
; %bb.169:                              ;   in Loop: Header=BB124_166 Depth=2
	s_waitcnt vmcnt(0)
	v_cmp_lt_i32_e32 vcc_lo, -1, v24
	v_cndmask_b32_e64 v8, -1, 0x80000000, vcc_lo
	v_cmp_o_f32_e32 vcc_lo, v24, v24
	s_delay_alu instid0(VALU_DEP_2) | instskip(NEXT) | instid1(VALU_DEP_1)
	v_xor_b32_e32 v8, v8, v24
	v_cndmask_b32_e32 v8, -1, v8, vcc_lo
	s_delay_alu instid0(VALU_DEP_1) | instskip(NEXT) | instid1(VALU_DEP_1)
	v_and_b32_e32 v8, s88, v8
	v_cmp_eq_u32_e32 vcc_lo, s87, v8
	s_and_b32 exec_lo, exec_lo, vcc_lo
	s_cbranch_execz .LBB124_165
; %bb.170:                              ;   in Loop: Header=BB124_166 Depth=2
	ds_store_b64 v15, v[23:24] offset:3072
	s_branch .LBB124_165
.LBB124_171:                            ;   in Loop: Header=BB124_21 Depth=1
	s_set_inst_prefetch_distance 0x2
	s_or_b32 exec_lo, exec_lo, s12
	s_delay_alu instid0(SALU_CYCLE_1)
	s_and_b32 s4, s13, exec_lo
.LBB124_172:                            ;   in Loop: Header=BB124_21 Depth=1
	s_or_b32 exec_lo, exec_lo, s5
	s_mov_b32 s19, -1
	s_mov_b32 s13, 0
	s_mov_b32 s12, 0
.LBB124_173:                            ;   in Loop: Header=BB124_21 Depth=1
	s_mov_b32 s5, 0
                                        ; implicit-def: $sgpr42
	s_and_saveexec_b32 s20, s4
	s_cbranch_execz .LBB124_284
; %bb.174:                              ;   in Loop: Header=BB124_21 Depth=1
	s_xor_b32 s4, s21, -1
	s_mov_b32 s42, 1
	s_and_not1_b32 vcc_lo, exec_lo, s4
	s_cbranch_vccnz .LBB124_185
; %bb.175:                              ;   in Loop: Header=BB124_21 Depth=1
	v_cmp_gt_u64_e64 s4, s[44:45], s[10:11]
                                        ; implicit-def: $sgpr42
                                        ; implicit-def: $sgpr5
                                        ; implicit-def: $sgpr21
	s_delay_alu instid0(VALU_DEP_1)
	s_and_b32 vcc_lo, exec_lo, s4
	s_mov_b32 s4, -1
	s_cbranch_vccnz .LBB124_181
; %bb.176:                              ;   in Loop: Header=BB124_21 Depth=1
	ds_load_b64 v[2:3], v15 offset:5120
	s_waitcnt lgkmcnt(0)
	v_cmp_ne_u64_e32 vcc_lo, 0, v[2:3]
	s_cbranch_vccnz .LBB124_180
; %bb.177:                              ;   in Loop: Header=BB124_21 Depth=1
	s_and_saveexec_b32 s4, s3
	s_cbranch_execz .LBB124_179
; %bb.178:                              ;   in Loop: Header=BB124_21 Depth=1
	v_dual_mov_b32 v2, s10 :: v_dual_mov_b32 v3, s11
	ds_store_b64 v15, v[2:3] offset:5128
.LBB124_179:                            ;   in Loop: Header=BB124_21 Depth=1
	s_or_b32 exec_lo, exec_lo, s4
	s_waitcnt lgkmcnt(0)
	s_barrier
	buffer_gl0_inv
.LBB124_180:                            ;   in Loop: Header=BB124_21 Depth=1
	s_lshl_b32 s4, 1, s17
	s_and_b32 s5, s87, s18
	s_or_b32 s21, s88, s16
	s_or_b32 s5, s5, s4
	s_mov_b32 s4, 0
	s_mov_b32 s42, 8
.LBB124_181:                            ;   in Loop: Header=BB124_21 Depth=1
	s_and_not1_b32 vcc_lo, exec_lo, s4
	s_cbranch_vccnz .LBB124_183
; %bb.182:                              ;   in Loop: Header=BB124_21 Depth=1
	s_sub_u32 s44, s44, s10
	s_subb_u32 s45, s45, s11
	s_mov_b32 s4, -1
	s_mov_b32 s42, 0
	s_mov_b32 s5, s87
	s_mov_b32 s21, s88
.LBB124_183:                            ;   in Loop: Header=BB124_21 Depth=1
	s_delay_alu instid0(SALU_CYCLE_1)
	s_mov_b32 s88, s21
	s_mov_b32 s87, s5
	s_and_not1_b32 vcc_lo, exec_lo, s4
	s_mov_b32 s5, -1
	s_cbranch_vccz .LBB124_186
.LBB124_184:                            ;   in Loop: Header=BB124_21 Depth=1
                                        ; implicit-def: $sgpr11
                                        ; implicit-def: $sgpr21
                                        ; implicit-def: $sgpr10
	s_branch .LBB124_283
.LBB124_185:                            ;   in Loop: Header=BB124_21 Depth=1
	s_mov_b64 s[44:45], 1
	s_mov_b32 s5, -1
	s_cbranch_execnz .LBB124_184
.LBB124_186:                            ;   in Loop: Header=BB124_21 Depth=1
	s_cmp_eq_u64 s[8:9], 1
	s_cselect_b32 s4, -1, 0
	s_cmp_eq_u64 s[44:45], 1
	s_cselect_b32 s5, -1, 0
	s_delay_alu instid0(SALU_CYCLE_1)
	s_and_b32 s23, s4, s5
	s_mov_b32 s4, -1
	s_and_b32 vcc_lo, exec_lo, s23
	s_cbranch_vccz .LBB124_201
; %bb.187:                              ;   in Loop: Header=BB124_21 Depth=1
	ds_load_b64 v[2:3], v15 offset:5120
	s_waitcnt lgkmcnt(0)
	s_barrier
	buffer_gl0_inv
	v_readfirstlane_b32 s10, v2
	v_readfirstlane_b32 s11, v3
	s_and_saveexec_b32 s4, s0
	s_cbranch_execz .LBB124_189
; %bb.188:                              ;   in Loop: Header=BB124_21 Depth=1
	ds_store_b32 v31, v15
.LBB124_189:                            ;   in Loop: Header=BB124_21 Depth=1
	s_or_b32 exec_lo, exec_lo, s4
	s_lshl_b32 s4, 2, s17
	s_and_b32 s5, s87, s18
	s_or_b32 s88, s88, s16
	s_or_b32 s87, s5, s4
	s_cmp_eq_u64 s[10:11], 0
	s_waitcnt lgkmcnt(0)
	s_barrier
	buffer_gl0_inv
	s_cbranch_scc1 .LBB124_204
; %bb.190:                              ;   in Loop: Header=BB124_21 Depth=1
	s_add_u32 s21, s69, s10
	s_addc_u32 s5, s70, s11
	s_mov_b32 s4, s43
	s_delay_alu instid0(SALU_CYCLE_1)
	s_cmp_lg_u64 s[4:5], 0
	s_cbranch_scc0 .LBB124_249
; %bb.191:                              ;   in Loop: Header=BB124_21 Depth=1
	v_cvt_f32_u32_e32 v2, s29
	s_sub_u32 s42, 0, s29
	s_subb_u32 s48, 0, 0
	s_delay_alu instid0(VALU_DEP_1) | instskip(NEXT) | instid1(VALU_DEP_1)
	v_fmac_f32_e64 v2, 0, 0x4f800000
	v_rcp_f32_e32 v2, v2
	s_waitcnt_depctr 0xfff
	v_mul_f32_e32 v2, 0x5f7ffffc, v2
	s_delay_alu instid0(VALU_DEP_1) | instskip(NEXT) | instid1(VALU_DEP_1)
	v_mul_f32_e32 v3, 0x2f800000, v2
	v_trunc_f32_e32 v3, v3
	s_delay_alu instid0(VALU_DEP_1) | instskip(SKIP_1) | instid1(VALU_DEP_2)
	v_fmac_f32_e32 v2, 0xcf800000, v3
	v_cvt_u32_f32_e32 v3, v3
	v_cvt_u32_f32_e32 v2, v2
	s_delay_alu instid0(VALU_DEP_2) | instskip(NEXT) | instid1(VALU_DEP_2)
	v_readfirstlane_b32 s4, v3
	v_readfirstlane_b32 s22, v2
	s_delay_alu instid0(VALU_DEP_2) | instskip(NEXT) | instid1(VALU_DEP_1)
	s_mul_i32 s56, s42, s4
	s_mul_hi_u32 s58, s42, s22
	s_mul_i32 s57, s48, s22
	s_add_i32 s56, s58, s56
	s_mul_i32 s59, s42, s22
	s_add_i32 s56, s56, s57
	s_mul_hi_u32 s58, s22, s59
	s_mul_hi_u32 s60, s4, s59
	s_mul_i32 s57, s4, s59
	s_mul_hi_u32 s59, s22, s56
	s_mul_i32 s22, s22, s56
	s_mul_hi_u32 s61, s4, s56
	s_add_u32 s22, s58, s22
	s_addc_u32 s58, 0, s59
	s_add_u32 s22, s22, s57
	s_mul_i32 s56, s4, s56
	s_addc_u32 s22, s58, s60
	s_addc_u32 s57, s61, 0
	s_add_u32 s22, s22, s56
	s_addc_u32 s56, 0, s57
	v_add_co_u32 v2, s22, v2, s22
	s_delay_alu instid0(VALU_DEP_1) | instskip(SKIP_1) | instid1(VALU_DEP_1)
	s_cmp_lg_u32 s22, 0
	s_addc_u32 s4, s4, s56
	v_readfirstlane_b32 s22, v2
	s_mul_i32 s56, s42, s4
	s_delay_alu instid0(VALU_DEP_1)
	s_mul_hi_u32 s57, s42, s22
	s_mul_i32 s48, s48, s22
	s_add_i32 s56, s57, s56
	s_mul_i32 s42, s42, s22
	s_add_i32 s56, s56, s48
	s_mul_hi_u32 s57, s4, s42
	s_mul_i32 s58, s4, s42
	s_mul_hi_u32 s42, s22, s42
	s_mul_hi_u32 s59, s22, s56
	s_mul_i32 s22, s22, s56
	s_mul_hi_u32 s48, s4, s56
	s_add_u32 s22, s42, s22
	s_addc_u32 s42, 0, s59
	s_add_u32 s22, s22, s58
	s_mul_i32 s56, s4, s56
	s_addc_u32 s22, s42, s57
	s_addc_u32 s42, s48, 0
	s_add_u32 s22, s22, s56
	s_addc_u32 s42, 0, s42
	v_add_co_u32 v2, s22, v2, s22
	s_delay_alu instid0(VALU_DEP_1) | instskip(SKIP_1) | instid1(VALU_DEP_1)
	s_cmp_lg_u32 s22, 0
	s_addc_u32 s4, s4, s42
	v_readfirstlane_b32 s22, v2
	s_mul_i32 s48, s21, s4
	s_mul_hi_u32 s42, s21, s4
	s_mul_hi_u32 s56, s5, s4
	s_mul_i32 s4, s5, s4
	s_mul_hi_u32 s57, s21, s22
	s_mul_hi_u32 s58, s5, s22
	s_mul_i32 s22, s5, s22
	s_add_u32 s48, s57, s48
	s_addc_u32 s42, 0, s42
	s_add_u32 s22, s48, s22
	s_addc_u32 s22, s42, s58
	s_addc_u32 s42, s56, 0
	s_add_u32 s4, s22, s4
	s_addc_u32 s22, 0, s42
	s_mul_hi_u32 s42, s29, s4
	s_mul_i32 s4, s29, s4
	s_mul_i32 s22, s29, s22
	v_sub_co_u32 v2, s4, s21, s4
	s_add_i32 s42, s42, s22
	s_cmp_lg_u32 s4, 0
	s_delay_alu instid0(VALU_DEP_1) | instskip(SKIP_2) | instid1(VALU_DEP_1)
	v_sub_co_u32 v3, s4, v2, s29
	s_subb_u32 s22, s5, s42
	s_cmp_lg_u32 s4, 0
	v_cmp_le_u32_e32 vcc_lo, s29, v3
	v_sub_co_u32 v4, s4, v3, s29
	s_subb_u32 s42, s22, 0
	s_cmp_lg_u32 s4, 0
	v_cndmask_b32_e64 v5, 0, -1, vcc_lo
	s_subb_u32 s4, s42, 0
	s_cmp_eq_u32 s42, 0
	v_mov_b32_e32 v7, s4
	s_cselect_b32 vcc_lo, -1, 0
	s_cmp_eq_u32 s22, 0
	v_cndmask_b32_e32 v5, -1, v5, vcc_lo
	v_cmp_le_u32_e32 vcc_lo, s29, v2
	s_cselect_b32 s4, -1, 0
	v_cndmask_b32_e64 v6, 0, -1, vcc_lo
	s_delay_alu instid0(VALU_DEP_3) | instskip(NEXT) | instid1(VALU_DEP_2)
	v_cmp_ne_u32_e32 vcc_lo, 0, v5
	v_cndmask_b32_e64 v5, -1, v6, s4
	v_cndmask_b32_e32 v6, s42, v7, vcc_lo
	v_cndmask_b32_e32 v4, v3, v4, vcc_lo
	s_delay_alu instid0(VALU_DEP_3) | instskip(NEXT) | instid1(VALU_DEP_3)
	v_cmp_ne_u32_e32 vcc_lo, 0, v5
	v_cndmask_b32_e32 v3, s22, v6, vcc_lo
	s_delay_alu instid0(VALU_DEP_3)
	v_cndmask_b32_e32 v2, v2, v4, vcc_lo
	s_cbranch_execnz .LBB124_193
.LBB124_192:                            ;   in Loop: Header=BB124_21 Depth=1
	v_cvt_f32_u32_e32 v2, s29
	s_sub_i32 s4, 0, s29
	s_delay_alu instid0(VALU_DEP_1) | instskip(SKIP_2) | instid1(VALU_DEP_1)
	v_rcp_iflag_f32_e32 v2, v2
	s_waitcnt_depctr 0xfff
	v_mul_f32_e32 v2, 0x4f7ffffe, v2
	v_cvt_u32_f32_e32 v2, v2
	s_delay_alu instid0(VALU_DEP_1) | instskip(NEXT) | instid1(VALU_DEP_1)
	v_mul_lo_u32 v3, s4, v2
	v_mul_hi_u32 v3, v2, v3
	s_delay_alu instid0(VALU_DEP_1) | instskip(NEXT) | instid1(VALU_DEP_1)
	v_add_nc_u32_e32 v2, v2, v3
	v_mul_hi_u32 v2, s21, v2
	s_delay_alu instid0(VALU_DEP_1) | instskip(NEXT) | instid1(VALU_DEP_1)
	v_mul_lo_u32 v2, v2, s29
	v_sub_nc_u32_e32 v2, s21, v2
	s_delay_alu instid0(VALU_DEP_1) | instskip(SKIP_1) | instid1(VALU_DEP_2)
	v_subrev_nc_u32_e32 v3, s29, v2
	v_cmp_le_u32_e32 vcc_lo, s29, v2
	v_cndmask_b32_e32 v2, v2, v3, vcc_lo
	s_delay_alu instid0(VALU_DEP_1) | instskip(SKIP_1) | instid1(VALU_DEP_2)
	v_subrev_nc_u32_e32 v3, s29, v2
	v_cmp_le_u32_e32 vcc_lo, s29, v2
	v_cndmask_b32_e32 v14, v2, v3, vcc_lo
	s_delay_alu instid0(VALU_DEP_1)
	v_dual_mov_b32 v2, v14 :: v_dual_mov_b32 v3, v15
.LBB124_193:                            ;   in Loop: Header=BB124_21 Depth=1
	s_delay_alu instid0(VALU_DEP_1) | instskip(NEXT) | instid1(VALU_DEP_2)
	v_sub_co_u32 v2, vcc_lo, s21, v2
	v_sub_co_ci_u32_e32 v3, vcc_lo, s5, v3, vcc_lo
	s_mov_b32 s4, 0
	s_mov_b32 s5, exec_lo
                                        ; implicit-def: $vgpr25
	s_delay_alu instid0(VALU_DEP_1)
	v_cmpx_gt_u64_e64 v[2:3], v[0:1]
	s_cbranch_execz .LBB124_206
; %bb.194:                              ;   in Loop: Header=BB124_21 Depth=1
	v_dual_mov_b32 v6, v12 :: v_dual_mov_b32 v5, v1
	v_mov_b32_e32 v4, v0
	s_mov_b32 s21, 0
                                        ; implicit-def: $sgpr22
	s_set_inst_prefetch_distance 0x1
	s_branch .LBB124_196
	.p2align	6
.LBB124_195:                            ;   in Loop: Header=BB124_196 Depth=2
	s_or_b32 exec_lo, exec_lo, s4
	s_waitcnt lgkmcnt(0)
	s_barrier
	buffer_gl0_inv
	ds_load_b64 v[24:25], v15 offset:3072
	v_add_co_u32 v4, vcc_lo, v4, s29
	v_add_co_ci_u32_e32 v5, vcc_lo, 0, v5, vcc_lo
	v_add_nc_u32_e32 v6, s77, v6
	s_waitcnt lgkmcnt(0)
	s_barrier
	s_delay_alu instid0(VALU_DEP_2) | instskip(SKIP_2) | instid1(VALU_DEP_1)
	v_cmp_ge_u64_e32 vcc_lo, v[4:5], v[2:3]
	buffer_gl0_inv
	v_cmp_neq_f32_e64 s4, 0, v24
	s_or_b32 s42, vcc_lo, s4
	s_delay_alu instid0(SALU_CYCLE_1) | instskip(NEXT) | instid1(SALU_CYCLE_1)
	s_and_b32 s42, exec_lo, s42
	s_or_b32 s21, s42, s21
	s_and_not1_b32 s22, s22, exec_lo
	s_and_b32 s4, s4, exec_lo
	s_delay_alu instid0(SALU_CYCLE_1)
	s_or_b32 s22, s22, s4
	s_and_not1_b32 exec_lo, exec_lo, s21
	s_cbranch_execz .LBB124_205
.LBB124_196:                            ;   Parent Loop BB124_21 Depth=1
                                        ; =>  This Inner Loop Header: Depth=2
	s_delay_alu instid0(VALU_DEP_1)
	v_cmp_gt_u64_e32 vcc_lo, s[10:11], v[4:5]
	v_mov_b32_e32 v24, 0
	s_and_saveexec_b32 s4, vcc_lo
	s_cbranch_execz .LBB124_198
; %bb.197:                              ;   in Loop: Header=BB124_196 Depth=2
	ds_load_b32 v24, v6
.LBB124_198:                            ;   in Loop: Header=BB124_196 Depth=2
	s_or_b32 exec_lo, exec_lo, s4
	s_and_saveexec_b32 s4, vcc_lo
	s_cbranch_execz .LBB124_195
; %bb.199:                              ;   in Loop: Header=BB124_196 Depth=2
	s_waitcnt lgkmcnt(0)
	v_cmp_lt_i32_e32 vcc_lo, -1, v24
	v_cndmask_b32_e64 v7, -1, 0x80000000, vcc_lo
	v_cmp_o_f32_e32 vcc_lo, v24, v24
	s_delay_alu instid0(VALU_DEP_2) | instskip(NEXT) | instid1(VALU_DEP_1)
	v_xor_b32_e32 v7, v7, v24
	v_cndmask_b32_e32 v7, -1, v7, vcc_lo
	s_delay_alu instid0(VALU_DEP_1) | instskip(NEXT) | instid1(VALU_DEP_1)
	v_and_b32_e32 v7, s88, v7
	v_cmp_eq_u32_e32 vcc_lo, s87, v7
	s_and_b32 exec_lo, exec_lo, vcc_lo
	s_cbranch_execz .LBB124_195
; %bb.200:                              ;   in Loop: Header=BB124_196 Depth=2
	ds_store_b64 v15, v[23:24] offset:3072
	s_branch .LBB124_195
.LBB124_201:                            ;   in Loop: Header=BB124_21 Depth=1
                                        ; implicit-def: $sgpr10
                                        ; implicit-def: $sgpr21
                                        ; implicit-def: $sgpr11
	s_branch .LBB124_220
.LBB124_202:                            ;   in Loop: Header=BB124_21 Depth=1
                                        ; implicit-def: $vgpr2_vgpr3
	s_branch .LBB124_145
.LBB124_203:                            ;   in Loop: Header=BB124_21 Depth=1
                                        ; implicit-def: $vgpr2_vgpr3
	s_branch .LBB124_162
.LBB124_204:                            ;   in Loop: Header=BB124_21 Depth=1
	s_mov_b32 s10, -1
	s_mov_b32 s4, 0
                                        ; implicit-def: $sgpr11
                                        ; implicit-def: $vgpr25
	s_mov_b32 s21, s10
	s_cbranch_execnz .LBB124_207
	s_branch .LBB124_220
.LBB124_205:                            ;   in Loop: Header=BB124_21 Depth=1
	s_set_inst_prefetch_distance 0x2
	s_or_b32 exec_lo, exec_lo, s21
	s_delay_alu instid0(SALU_CYCLE_1)
	s_and_b32 s4, s22, exec_lo
.LBB124_206:                            ;   in Loop: Header=BB124_21 Depth=1
	s_or_b32 exec_lo, exec_lo, s5
	s_mov_b32 s11, -1
	s_mov_b32 s10, 0
	s_delay_alu instid0(SALU_CYCLE_1)
	s_mov_b32 s21, s10
	s_branch .LBB124_220
.LBB124_207:                            ;   in Loop: Header=BB124_21 Depth=1
	s_mov_b32 s48, s43
	s_delay_alu instid0(SALU_CYCLE_1)
	s_cmp_lg_u64 s[48:49], 0
	s_cbranch_scc0 .LBB124_250
; %bb.208:                              ;   in Loop: Header=BB124_21 Depth=1
	v_cvt_f32_u32_e32 v2, s29
	s_sub_u32 s10, 0, s29
	s_subb_u32 s11, 0, 0
	s_delay_alu instid0(VALU_DEP_1) | instskip(NEXT) | instid1(VALU_DEP_1)
	v_fmac_f32_e64 v2, 0, 0x4f800000
	v_rcp_f32_e32 v2, v2
	s_waitcnt_depctr 0xfff
	v_mul_f32_e32 v2, 0x5f7ffffc, v2
	s_delay_alu instid0(VALU_DEP_1) | instskip(NEXT) | instid1(VALU_DEP_1)
	v_mul_f32_e32 v3, 0x2f800000, v2
	v_trunc_f32_e32 v3, v3
	s_delay_alu instid0(VALU_DEP_1) | instskip(SKIP_1) | instid1(VALU_DEP_2)
	v_fmac_f32_e32 v2, 0xcf800000, v3
	v_cvt_u32_f32_e32 v3, v3
	v_cvt_u32_f32_e32 v2, v2
	s_delay_alu instid0(VALU_DEP_2) | instskip(NEXT) | instid1(VALU_DEP_2)
	v_readfirstlane_b32 s4, v3
	v_readfirstlane_b32 s5, v2
	s_delay_alu instid0(VALU_DEP_2) | instskip(NEXT) | instid1(VALU_DEP_1)
	s_mul_i32 s21, s10, s4
	s_mul_hi_u32 s42, s10, s5
	s_mul_i32 s22, s11, s5
	s_add_i32 s21, s42, s21
	s_mul_i32 s48, s10, s5
	s_add_i32 s21, s21, s22
	s_mul_hi_u32 s42, s5, s48
	s_mul_hi_u32 s56, s4, s48
	s_mul_i32 s22, s4, s48
	s_mul_hi_u32 s48, s5, s21
	s_mul_i32 s5, s5, s21
	s_mul_hi_u32 s57, s4, s21
	s_add_u32 s5, s42, s5
	s_addc_u32 s42, 0, s48
	s_add_u32 s5, s5, s22
	s_mul_i32 s21, s4, s21
	s_addc_u32 s5, s42, s56
	s_addc_u32 s22, s57, 0
	s_add_u32 s5, s5, s21
	s_addc_u32 s21, 0, s22
	v_add_co_u32 v2, s5, v2, s5
	s_delay_alu instid0(VALU_DEP_1) | instskip(SKIP_1) | instid1(VALU_DEP_1)
	s_cmp_lg_u32 s5, 0
	s_addc_u32 s4, s4, s21
	v_readfirstlane_b32 s5, v2
	s_mul_i32 s21, s10, s4
	s_delay_alu instid0(VALU_DEP_1)
	s_mul_hi_u32 s22, s10, s5
	s_mul_i32 s11, s11, s5
	s_add_i32 s21, s22, s21
	s_mul_i32 s10, s10, s5
	s_add_i32 s21, s21, s11
	s_mul_hi_u32 s22, s4, s10
	s_mul_i32 s42, s4, s10
	s_mul_hi_u32 s10, s5, s10
	s_mul_hi_u32 s48, s5, s21
	s_mul_i32 s5, s5, s21
	s_mul_hi_u32 s11, s4, s21
	s_add_u32 s5, s10, s5
	s_addc_u32 s10, 0, s48
	s_add_u32 s5, s5, s42
	s_mul_i32 s21, s4, s21
	s_addc_u32 s5, s10, s22
	s_addc_u32 s10, s11, 0
	s_add_u32 s5, s5, s21
	s_addc_u32 s10, 0, s10
	v_add_co_u32 v2, s5, v2, s5
	s_delay_alu instid0(VALU_DEP_1) | instskip(SKIP_1) | instid1(VALU_DEP_1)
	s_cmp_lg_u32 s5, 0
	s_addc_u32 s4, s4, s10
	v_readfirstlane_b32 s5, v2
	s_mul_i32 s11, s71, s4
	s_mul_hi_u32 s10, s71, s4
	s_mul_hi_u32 s21, s49, s4
	s_mul_i32 s4, s49, s4
	s_mul_hi_u32 s22, s71, s5
	s_mul_hi_u32 s42, s49, s5
	s_mul_i32 s5, s49, s5
	s_add_u32 s11, s22, s11
	s_addc_u32 s10, 0, s10
	s_add_u32 s5, s11, s5
	s_addc_u32 s5, s10, s42
	s_addc_u32 s10, s21, 0
	s_add_u32 s4, s5, s4
	s_addc_u32 s5, 0, s10
	s_mul_hi_u32 s10, s29, s4
	s_mul_i32 s4, s29, s4
	s_mul_i32 s5, s29, s5
	v_sub_co_u32 v2, s4, s71, s4
	s_add_i32 s10, s10, s5
	s_cmp_lg_u32 s4, 0
	s_delay_alu instid0(VALU_DEP_1) | instskip(SKIP_2) | instid1(VALU_DEP_1)
	v_sub_co_u32 v3, s4, v2, s29
	s_subb_u32 s5, s49, s10
	s_cmp_lg_u32 s4, 0
	v_cmp_le_u32_e32 vcc_lo, s29, v3
	v_sub_co_u32 v4, s4, v3, s29
	s_subb_u32 s10, s5, 0
	s_cmp_lg_u32 s4, 0
	v_cndmask_b32_e64 v5, 0, -1, vcc_lo
	s_subb_u32 s4, s10, 0
	s_cmp_eq_u32 s10, 0
	v_mov_b32_e32 v7, s4
	s_cselect_b32 vcc_lo, -1, 0
	s_cmp_eq_u32 s5, 0
	v_cndmask_b32_e32 v5, -1, v5, vcc_lo
	v_cmp_le_u32_e32 vcc_lo, s29, v2
	s_cselect_b32 s4, -1, 0
	v_cndmask_b32_e64 v6, 0, -1, vcc_lo
	s_delay_alu instid0(VALU_DEP_3) | instskip(NEXT) | instid1(VALU_DEP_2)
	v_cmp_ne_u32_e32 vcc_lo, 0, v5
	v_cndmask_b32_e64 v5, -1, v6, s4
	v_cndmask_b32_e32 v6, s10, v7, vcc_lo
	v_cndmask_b32_e32 v4, v3, v4, vcc_lo
	s_delay_alu instid0(VALU_DEP_3) | instskip(NEXT) | instid1(VALU_DEP_3)
	v_cmp_ne_u32_e32 vcc_lo, 0, v5
	v_cndmask_b32_e32 v3, s5, v6, vcc_lo
	s_delay_alu instid0(VALU_DEP_3)
	v_cndmask_b32_e32 v2, v2, v4, vcc_lo
	s_cbranch_execnz .LBB124_210
.LBB124_209:                            ;   in Loop: Header=BB124_21 Depth=1
	v_cvt_f32_u32_e32 v2, s29
	s_sub_i32 s4, 0, s29
	s_delay_alu instid0(VALU_DEP_1) | instskip(SKIP_2) | instid1(VALU_DEP_1)
	v_rcp_iflag_f32_e32 v2, v2
	s_waitcnt_depctr 0xfff
	v_mul_f32_e32 v2, 0x4f7ffffe, v2
	v_cvt_u32_f32_e32 v2, v2
	s_delay_alu instid0(VALU_DEP_1) | instskip(NEXT) | instid1(VALU_DEP_1)
	v_mul_lo_u32 v3, s4, v2
	v_mul_hi_u32 v3, v2, v3
	s_delay_alu instid0(VALU_DEP_1) | instskip(NEXT) | instid1(VALU_DEP_1)
	v_add_nc_u32_e32 v2, v2, v3
	v_mul_hi_u32 v2, s71, v2
	s_delay_alu instid0(VALU_DEP_1) | instskip(NEXT) | instid1(VALU_DEP_1)
	v_mul_lo_u32 v2, v2, s29
	v_sub_nc_u32_e32 v2, s71, v2
	s_delay_alu instid0(VALU_DEP_1) | instskip(SKIP_1) | instid1(VALU_DEP_2)
	v_subrev_nc_u32_e32 v3, s29, v2
	v_cmp_le_u32_e32 vcc_lo, s29, v2
	v_cndmask_b32_e32 v2, v2, v3, vcc_lo
	s_delay_alu instid0(VALU_DEP_1) | instskip(SKIP_1) | instid1(VALU_DEP_2)
	v_subrev_nc_u32_e32 v3, s29, v2
	v_cmp_le_u32_e32 vcc_lo, s29, v2
	v_cndmask_b32_e32 v14, v2, v3, vcc_lo
	s_delay_alu instid0(VALU_DEP_1)
	v_dual_mov_b32 v2, v14 :: v_dual_mov_b32 v3, v15
.LBB124_210:                            ;   in Loop: Header=BB124_21 Depth=1
	s_delay_alu instid0(VALU_DEP_1) | instskip(NEXT) | instid1(VALU_DEP_2)
	v_sub_co_u32 v2, vcc_lo, s71, v2
	v_sub_co_ci_u32_e32 v3, vcc_lo, s49, v3, vcc_lo
	s_mov_b32 s4, 0
	s_mov_b32 s5, exec_lo
                                        ; implicit-def: $vgpr25
	s_delay_alu instid0(VALU_DEP_1)
	v_cmpx_gt_u64_e64 v[2:3], v[0:1]
	s_cbranch_execz .LBB124_219
; %bb.211:                              ;   in Loop: Header=BB124_21 Depth=1
	v_dual_mov_b32 v4, v10 :: v_dual_mov_b32 v5, v11
	v_dual_mov_b32 v7, v1 :: v_dual_mov_b32 v6, v0
	s_mov_b32 s10, 0
                                        ; implicit-def: $sgpr11
	s_set_inst_prefetch_distance 0x1
	s_branch .LBB124_213
	.p2align	6
.LBB124_212:                            ;   in Loop: Header=BB124_213 Depth=2
	s_or_b32 exec_lo, exec_lo, s4
	s_waitcnt vmcnt(0) lgkmcnt(0)
	s_barrier
	buffer_gl0_inv
	ds_load_b64 v[24:25], v15 offset:3072
	v_add_co_u32 v6, vcc_lo, v6, s29
	v_add_co_ci_u32_e32 v7, vcc_lo, 0, v7, vcc_lo
	s_waitcnt lgkmcnt(0)
	s_barrier
	buffer_gl0_inv
	v_cmp_ge_u64_e32 vcc_lo, v[6:7], v[2:3]
	v_cmp_neq_f32_e64 s4, 0, v24
	s_delay_alu instid0(VALU_DEP_1)
	s_or_b32 s21, vcc_lo, s4
	v_add_co_u32 v4, vcc_lo, v4, s40
	s_and_b32 s21, exec_lo, s21
	v_add_co_ci_u32_e32 v5, vcc_lo, s41, v5, vcc_lo
	s_or_b32 s10, s21, s10
	s_and_not1_b32 s11, s11, exec_lo
	s_and_b32 s4, s4, exec_lo
	s_delay_alu instid0(SALU_CYCLE_1)
	s_or_b32 s11, s11, s4
	s_and_not1_b32 exec_lo, exec_lo, s10
	s_cbranch_execz .LBB124_218
.LBB124_213:                            ;   Parent Loop BB124_21 Depth=1
                                        ; =>  This Inner Loop Header: Depth=2
	s_delay_alu instid0(VALU_DEP_1)
	v_cmp_gt_u64_e32 vcc_lo, s[24:25], v[6:7]
	v_mov_b32_e32 v24, 0
	s_and_saveexec_b32 s4, vcc_lo
	s_cbranch_execz .LBB124_215
; %bb.214:                              ;   in Loop: Header=BB124_213 Depth=2
	global_load_b32 v24, v[4:5], off
.LBB124_215:                            ;   in Loop: Header=BB124_213 Depth=2
	s_or_b32 exec_lo, exec_lo, s4
	s_and_saveexec_b32 s4, vcc_lo
	s_cbranch_execz .LBB124_212
; %bb.216:                              ;   in Loop: Header=BB124_213 Depth=2
	s_waitcnt vmcnt(0)
	v_cmp_lt_i32_e32 vcc_lo, -1, v24
	v_cndmask_b32_e64 v8, -1, 0x80000000, vcc_lo
	v_cmp_o_f32_e32 vcc_lo, v24, v24
	s_delay_alu instid0(VALU_DEP_2) | instskip(NEXT) | instid1(VALU_DEP_1)
	v_xor_b32_e32 v8, v8, v24
	v_cndmask_b32_e32 v8, -1, v8, vcc_lo
	s_delay_alu instid0(VALU_DEP_1) | instskip(NEXT) | instid1(VALU_DEP_1)
	v_and_b32_e32 v8, s88, v8
	v_cmp_eq_u32_e32 vcc_lo, s87, v8
	s_and_b32 exec_lo, exec_lo, vcc_lo
	s_cbranch_execz .LBB124_212
; %bb.217:                              ;   in Loop: Header=BB124_213 Depth=2
	ds_store_b64 v15, v[23:24] offset:3072
	s_branch .LBB124_212
.LBB124_218:                            ;   in Loop: Header=BB124_21 Depth=1
	s_set_inst_prefetch_distance 0x2
	s_or_b32 exec_lo, exec_lo, s10
	s_delay_alu instid0(SALU_CYCLE_1)
	s_and_b32 s4, s11, exec_lo
.LBB124_219:                            ;   in Loop: Header=BB124_21 Depth=1
	s_or_b32 exec_lo, exec_lo, s5
	s_mov_b32 s21, -1
	s_mov_b32 s10, 0
	s_mov_b32 s11, 0
.LBB124_220:                            ;   in Loop: Header=BB124_21 Depth=1
	s_mov_b32 s5, 0
                                        ; implicit-def: $sgpr42
	s_and_saveexec_b32 s22, s4
	s_cbranch_execz .LBB124_282
; %bb.221:                              ;   in Loop: Header=BB124_21 Depth=1
	s_xor_b32 s4, s23, -1
	s_mov_b32 s42, 1
	s_and_not1_b32 vcc_lo, exec_lo, s4
	s_cbranch_vccnz .LBB124_232
; %bb.222:                              ;   in Loop: Header=BB124_21 Depth=1
	v_cmp_gt_u64_e64 s4, s[44:45], s[8:9]
                                        ; implicit-def: $sgpr42
                                        ; implicit-def: $sgpr5
                                        ; implicit-def: $sgpr23
	s_delay_alu instid0(VALU_DEP_1)
	s_and_b32 vcc_lo, exec_lo, s4
	s_mov_b32 s4, -1
	s_cbranch_vccnz .LBB124_228
; %bb.223:                              ;   in Loop: Header=BB124_21 Depth=1
	ds_load_b64 v[2:3], v15 offset:5120
	s_waitcnt lgkmcnt(0)
	v_cmp_ne_u64_e32 vcc_lo, 0, v[2:3]
	s_cbranch_vccnz .LBB124_227
; %bb.224:                              ;   in Loop: Header=BB124_21 Depth=1
	s_and_saveexec_b32 s4, s3
	s_cbranch_execz .LBB124_226
; %bb.225:                              ;   in Loop: Header=BB124_21 Depth=1
	v_dual_mov_b32 v2, s8 :: v_dual_mov_b32 v3, s9
	ds_store_b64 v15, v[2:3] offset:5128
.LBB124_226:                            ;   in Loop: Header=BB124_21 Depth=1
	s_or_b32 exec_lo, exec_lo, s4
	s_waitcnt lgkmcnt(0)
	s_barrier
	buffer_gl0_inv
.LBB124_227:                            ;   in Loop: Header=BB124_21 Depth=1
	s_lshl_b32 s4, 2, s17
	s_and_b32 s5, s87, s18
	s_or_b32 s23, s88, s16
	s_or_b32 s5, s5, s4
	s_mov_b32 s4, 0
	s_mov_b32 s42, 8
.LBB124_228:                            ;   in Loop: Header=BB124_21 Depth=1
	s_and_not1_b32 vcc_lo, exec_lo, s4
	s_cbranch_vccnz .LBB124_230
; %bb.229:                              ;   in Loop: Header=BB124_21 Depth=1
	s_sub_u32 s44, s44, s8
	s_subb_u32 s45, s45, s9
	s_mov_b32 s4, -1
	s_mov_b32 s42, 0
	s_mov_b32 s5, s87
	;; [unrolled: 1-line block ×3, first 2 shown]
.LBB124_230:                            ;   in Loop: Header=BB124_21 Depth=1
	s_delay_alu instid0(SALU_CYCLE_1)
	s_mov_b32 s88, s23
	s_mov_b32 s87, s5
	s_and_not1_b32 vcc_lo, exec_lo, s4
	s_mov_b32 s56, -1
	s_cbranch_vccz .LBB124_233
.LBB124_231:                            ;   in Loop: Header=BB124_21 Depth=1
                                        ; implicit-def: $sgpr8
                                        ; implicit-def: $sgpr18
                                        ; implicit-def: $sgpr9
	s_branch .LBB124_281
.LBB124_232:                            ;   in Loop: Header=BB124_21 Depth=1
	s_mov_b64 s[44:45], 1
	s_mov_b32 s56, -1
	s_cbranch_execnz .LBB124_231
.LBB124_233:                            ;   in Loop: Header=BB124_21 Depth=1
	s_cmp_eq_u64 s[6:7], 1
	s_mov_b32 s23, -1
	s_cselect_b32 s4, -1, 0
	s_cmp_eq_u64 s[44:45], 1
	s_cselect_b32 s5, -1, 0
	s_delay_alu instid0(SALU_CYCLE_1) | instskip(NEXT) | instid1(SALU_CYCLE_1)
	s_and_b32 s17, s4, s5
	s_and_b32 vcc_lo, exec_lo, s17
	s_cbranch_vccz .LBB124_248
; %bb.234:                              ;   in Loop: Header=BB124_21 Depth=1
	ds_load_b64 v[2:3], v15 offset:5120
	s_waitcnt lgkmcnt(0)
	s_barrier
	buffer_gl0_inv
	v_readfirstlane_b32 s8, v2
	v_readfirstlane_b32 s9, v3
	s_and_saveexec_b32 s4, s0
	s_cbranch_execz .LBB124_236
; %bb.235:                              ;   in Loop: Header=BB124_21 Depth=1
	ds_store_b32 v31, v15
.LBB124_236:                            ;   in Loop: Header=BB124_21 Depth=1
	s_or_b32 exec_lo, exec_lo, s4
	s_or_b32 s87, s87, s16
	s_or_b32 s88, s88, s16
	s_cmp_eq_u64 s[8:9], 0
	s_waitcnt lgkmcnt(0)
	s_barrier
	buffer_gl0_inv
	s_cbranch_scc1 .LBB124_251
; %bb.237:                              ;   in Loop: Header=BB124_21 Depth=1
	s_add_u32 s18, s69, s8
	s_addc_u32 s5, s70, s9
	s_mov_b32 s4, s43
	s_delay_alu instid0(SALU_CYCLE_1)
	s_cmp_lg_u64 s[4:5], 0
	s_cbranch_scc0 .LBB124_287
; %bb.238:                              ;   in Loop: Header=BB124_21 Depth=1
	v_cvt_f32_u32_e32 v2, s29
	s_sub_u32 s42, 0, s29
	s_subb_u32 s48, 0, 0
	s_delay_alu instid0(VALU_DEP_1) | instskip(NEXT) | instid1(VALU_DEP_1)
	v_fmac_f32_e64 v2, 0, 0x4f800000
	v_rcp_f32_e32 v2, v2
	s_waitcnt_depctr 0xfff
	v_mul_f32_e32 v2, 0x5f7ffffc, v2
	s_delay_alu instid0(VALU_DEP_1) | instskip(NEXT) | instid1(VALU_DEP_1)
	v_mul_f32_e32 v3, 0x2f800000, v2
	v_trunc_f32_e32 v3, v3
	s_delay_alu instid0(VALU_DEP_1) | instskip(SKIP_1) | instid1(VALU_DEP_2)
	v_fmac_f32_e32 v2, 0xcf800000, v3
	v_cvt_u32_f32_e32 v3, v3
	v_cvt_u32_f32_e32 v2, v2
	s_delay_alu instid0(VALU_DEP_2) | instskip(NEXT) | instid1(VALU_DEP_2)
	v_readfirstlane_b32 s4, v3
	v_readfirstlane_b32 s23, v2
	s_delay_alu instid0(VALU_DEP_2) | instskip(NEXT) | instid1(VALU_DEP_1)
	s_mul_i32 s56, s42, s4
	s_mul_hi_u32 s58, s42, s23
	s_mul_i32 s57, s48, s23
	s_add_i32 s56, s58, s56
	s_mul_i32 s59, s42, s23
	s_add_i32 s56, s56, s57
	s_mul_hi_u32 s58, s23, s59
	s_mul_hi_u32 s60, s4, s59
	s_mul_i32 s57, s4, s59
	s_mul_hi_u32 s59, s23, s56
	s_mul_i32 s23, s23, s56
	s_mul_hi_u32 s61, s4, s56
	s_add_u32 s23, s58, s23
	s_addc_u32 s58, 0, s59
	s_add_u32 s23, s23, s57
	s_mul_i32 s56, s4, s56
	s_addc_u32 s23, s58, s60
	s_addc_u32 s57, s61, 0
	s_add_u32 s23, s23, s56
	s_addc_u32 s56, 0, s57
	v_add_co_u32 v2, s23, v2, s23
	s_delay_alu instid0(VALU_DEP_1) | instskip(SKIP_1) | instid1(VALU_DEP_1)
	s_cmp_lg_u32 s23, 0
	s_addc_u32 s4, s4, s56
	v_readfirstlane_b32 s23, v2
	s_mul_i32 s56, s42, s4
	s_delay_alu instid0(VALU_DEP_1)
	s_mul_hi_u32 s57, s42, s23
	s_mul_i32 s48, s48, s23
	s_add_i32 s56, s57, s56
	s_mul_i32 s42, s42, s23
	s_add_i32 s56, s56, s48
	s_mul_hi_u32 s57, s4, s42
	s_mul_i32 s58, s4, s42
	s_mul_hi_u32 s42, s23, s42
	s_mul_hi_u32 s59, s23, s56
	s_mul_i32 s23, s23, s56
	s_mul_hi_u32 s48, s4, s56
	s_add_u32 s23, s42, s23
	s_addc_u32 s42, 0, s59
	s_add_u32 s23, s23, s58
	s_mul_i32 s56, s4, s56
	s_addc_u32 s23, s42, s57
	s_addc_u32 s42, s48, 0
	s_add_u32 s23, s23, s56
	s_addc_u32 s42, 0, s42
	v_add_co_u32 v2, s23, v2, s23
	s_delay_alu instid0(VALU_DEP_1) | instskip(SKIP_1) | instid1(VALU_DEP_1)
	s_cmp_lg_u32 s23, 0
	s_addc_u32 s4, s4, s42
	v_readfirstlane_b32 s23, v2
	s_mul_i32 s48, s18, s4
	s_mul_hi_u32 s42, s18, s4
	s_mul_hi_u32 s56, s5, s4
	s_mul_i32 s4, s5, s4
	s_mul_hi_u32 s57, s18, s23
	s_mul_hi_u32 s58, s5, s23
	s_mul_i32 s23, s5, s23
	s_add_u32 s48, s57, s48
	s_addc_u32 s42, 0, s42
	s_add_u32 s23, s48, s23
	s_addc_u32 s23, s42, s58
	s_addc_u32 s42, s56, 0
	s_add_u32 s4, s23, s4
	s_addc_u32 s23, 0, s42
	s_mul_hi_u32 s42, s29, s4
	s_mul_i32 s4, s29, s4
	s_mul_i32 s23, s29, s23
	v_sub_co_u32 v2, s4, s18, s4
	s_add_i32 s42, s42, s23
	s_cmp_lg_u32 s4, 0
	s_delay_alu instid0(VALU_DEP_1) | instskip(SKIP_2) | instid1(VALU_DEP_1)
	v_sub_co_u32 v3, s4, v2, s29
	s_subb_u32 s23, s5, s42
	s_cmp_lg_u32 s4, 0
	v_cmp_le_u32_e32 vcc_lo, s29, v3
	v_sub_co_u32 v4, s4, v3, s29
	s_subb_u32 s42, s23, 0
	s_cmp_lg_u32 s4, 0
	v_cndmask_b32_e64 v5, 0, -1, vcc_lo
	s_subb_u32 s4, s42, 0
	s_cmp_eq_u32 s42, 0
	v_mov_b32_e32 v7, s4
	s_cselect_b32 vcc_lo, -1, 0
	s_cmp_eq_u32 s23, 0
	v_cndmask_b32_e32 v5, -1, v5, vcc_lo
	v_cmp_le_u32_e32 vcc_lo, s29, v2
	s_cselect_b32 s4, -1, 0
	v_cndmask_b32_e64 v6, 0, -1, vcc_lo
	s_delay_alu instid0(VALU_DEP_3) | instskip(NEXT) | instid1(VALU_DEP_2)
	v_cmp_ne_u32_e32 vcc_lo, 0, v5
	v_cndmask_b32_e64 v5, -1, v6, s4
	v_cndmask_b32_e32 v6, s42, v7, vcc_lo
	v_cndmask_b32_e32 v4, v3, v4, vcc_lo
	s_delay_alu instid0(VALU_DEP_3) | instskip(NEXT) | instid1(VALU_DEP_3)
	v_cmp_ne_u32_e32 vcc_lo, 0, v5
	v_cndmask_b32_e32 v3, s23, v6, vcc_lo
	s_delay_alu instid0(VALU_DEP_3)
	v_cndmask_b32_e32 v2, v2, v4, vcc_lo
	s_cbranch_execnz .LBB124_240
.LBB124_239:                            ;   in Loop: Header=BB124_21 Depth=1
	v_cvt_f32_u32_e32 v2, s29
	s_sub_i32 s4, 0, s29
	s_delay_alu instid0(VALU_DEP_1) | instskip(SKIP_2) | instid1(VALU_DEP_1)
	v_rcp_iflag_f32_e32 v2, v2
	s_waitcnt_depctr 0xfff
	v_mul_f32_e32 v2, 0x4f7ffffe, v2
	v_cvt_u32_f32_e32 v2, v2
	s_delay_alu instid0(VALU_DEP_1) | instskip(NEXT) | instid1(VALU_DEP_1)
	v_mul_lo_u32 v3, s4, v2
	v_mul_hi_u32 v3, v2, v3
	s_delay_alu instid0(VALU_DEP_1) | instskip(NEXT) | instid1(VALU_DEP_1)
	v_add_nc_u32_e32 v2, v2, v3
	v_mul_hi_u32 v2, s18, v2
	s_delay_alu instid0(VALU_DEP_1) | instskip(NEXT) | instid1(VALU_DEP_1)
	v_mul_lo_u32 v2, v2, s29
	v_sub_nc_u32_e32 v2, s18, v2
	s_delay_alu instid0(VALU_DEP_1) | instskip(SKIP_1) | instid1(VALU_DEP_2)
	v_subrev_nc_u32_e32 v3, s29, v2
	v_cmp_le_u32_e32 vcc_lo, s29, v2
	v_cndmask_b32_e32 v2, v2, v3, vcc_lo
	s_delay_alu instid0(VALU_DEP_1) | instskip(SKIP_1) | instid1(VALU_DEP_2)
	v_subrev_nc_u32_e32 v3, s29, v2
	v_cmp_le_u32_e32 vcc_lo, s29, v2
	v_cndmask_b32_e32 v14, v2, v3, vcc_lo
	s_delay_alu instid0(VALU_DEP_1)
	v_dual_mov_b32 v2, v14 :: v_dual_mov_b32 v3, v15
.LBB124_240:                            ;   in Loop: Header=BB124_21 Depth=1
	s_delay_alu instid0(VALU_DEP_1) | instskip(NEXT) | instid1(VALU_DEP_2)
	v_sub_co_u32 v2, vcc_lo, s18, v2
	v_sub_co_ci_u32_e32 v3, vcc_lo, s5, v3, vcc_lo
	s_mov_b32 s23, 0
	s_mov_b32 s5, exec_lo
                                        ; implicit-def: $vgpr25
	s_delay_alu instid0(VALU_DEP_1)
	v_cmpx_gt_u64_e64 v[2:3], v[0:1]
	s_cbranch_execz .LBB124_253
; %bb.241:                              ;   in Loop: Header=BB124_21 Depth=1
	v_dual_mov_b32 v6, v12 :: v_dual_mov_b32 v5, v1
	v_mov_b32_e32 v4, v0
	s_mov_b32 s18, 0
                                        ; implicit-def: $sgpr23
	s_set_inst_prefetch_distance 0x1
	s_branch .LBB124_243
	.p2align	6
.LBB124_242:                            ;   in Loop: Header=BB124_243 Depth=2
	s_or_b32 exec_lo, exec_lo, s4
	s_waitcnt lgkmcnt(0)
	s_barrier
	buffer_gl0_inv
	ds_load_b64 v[24:25], v15 offset:3072
	v_add_co_u32 v4, vcc_lo, v4, s29
	v_add_co_ci_u32_e32 v5, vcc_lo, 0, v5, vcc_lo
	v_add_nc_u32_e32 v6, s77, v6
	s_waitcnt lgkmcnt(0)
	s_barrier
	s_delay_alu instid0(VALU_DEP_2) | instskip(SKIP_2) | instid1(VALU_DEP_1)
	v_cmp_ge_u64_e32 vcc_lo, v[4:5], v[2:3]
	buffer_gl0_inv
	v_cmp_neq_f32_e64 s4, 0, v24
	s_or_b32 s42, vcc_lo, s4
	s_delay_alu instid0(SALU_CYCLE_1) | instskip(NEXT) | instid1(SALU_CYCLE_1)
	s_and_b32 s42, exec_lo, s42
	s_or_b32 s18, s42, s18
	s_and_not1_b32 s23, s23, exec_lo
	s_and_b32 s4, s4, exec_lo
	s_delay_alu instid0(SALU_CYCLE_1)
	s_or_b32 s23, s23, s4
	s_and_not1_b32 exec_lo, exec_lo, s18
	s_cbranch_execz .LBB124_252
.LBB124_243:                            ;   Parent Loop BB124_21 Depth=1
                                        ; =>  This Inner Loop Header: Depth=2
	s_delay_alu instid0(VALU_DEP_1)
	v_cmp_gt_u64_e32 vcc_lo, s[8:9], v[4:5]
	v_mov_b32_e32 v24, 0
	s_and_saveexec_b32 s4, vcc_lo
	s_cbranch_execz .LBB124_245
; %bb.244:                              ;   in Loop: Header=BB124_243 Depth=2
	ds_load_b32 v24, v6
.LBB124_245:                            ;   in Loop: Header=BB124_243 Depth=2
	s_or_b32 exec_lo, exec_lo, s4
	s_and_saveexec_b32 s4, vcc_lo
	s_cbranch_execz .LBB124_242
; %bb.246:                              ;   in Loop: Header=BB124_243 Depth=2
	s_waitcnt lgkmcnt(0)
	v_cmp_lt_i32_e32 vcc_lo, -1, v24
	v_cndmask_b32_e64 v7, -1, 0x80000000, vcc_lo
	v_cmp_o_f32_e32 vcc_lo, v24, v24
	s_delay_alu instid0(VALU_DEP_2) | instskip(NEXT) | instid1(VALU_DEP_1)
	v_xor_b32_e32 v7, v7, v24
	v_cndmask_b32_e32 v7, -1, v7, vcc_lo
	s_delay_alu instid0(VALU_DEP_1) | instskip(NEXT) | instid1(VALU_DEP_1)
	v_and_b32_e32 v7, s88, v7
	v_cmp_eq_u32_e32 vcc_lo, s87, v7
	s_and_b32 exec_lo, exec_lo, vcc_lo
	s_cbranch_execz .LBB124_242
; %bb.247:                              ;   in Loop: Header=BB124_243 Depth=2
	ds_store_b64 v15, v[23:24] offset:3072
	s_branch .LBB124_242
.LBB124_248:                            ;   in Loop: Header=BB124_21 Depth=1
                                        ; implicit-def: $sgpr8
                                        ; implicit-def: $sgpr18
                                        ; implicit-def: $sgpr9
	s_branch .LBB124_267
.LBB124_249:                            ;   in Loop: Header=BB124_21 Depth=1
                                        ; implicit-def: $vgpr2_vgpr3
	s_branch .LBB124_192
.LBB124_250:                            ;   in Loop: Header=BB124_21 Depth=1
                                        ; implicit-def: $vgpr2_vgpr3
	s_branch .LBB124_209
.LBB124_251:                            ;   in Loop: Header=BB124_21 Depth=1
	s_mov_b32 s8, -1
	s_mov_b32 s23, 0
                                        ; implicit-def: $sgpr9
                                        ; implicit-def: $vgpr25
	s_mov_b32 s18, s8
	s_cbranch_execnz .LBB124_254
	s_branch .LBB124_267
.LBB124_252:                            ;   in Loop: Header=BB124_21 Depth=1
	s_set_inst_prefetch_distance 0x2
	s_or_b32 exec_lo, exec_lo, s18
	s_delay_alu instid0(SALU_CYCLE_1)
	s_and_b32 s23, s23, exec_lo
.LBB124_253:                            ;   in Loop: Header=BB124_21 Depth=1
	s_or_b32 exec_lo, exec_lo, s5
	s_mov_b32 s9, -1
	s_mov_b32 s8, 0
	s_delay_alu instid0(SALU_CYCLE_1)
	s_mov_b32 s18, s8
	s_branch .LBB124_267
.LBB124_254:                            ;   in Loop: Header=BB124_21 Depth=1
	s_mov_b32 s48, s43
	s_delay_alu instid0(SALU_CYCLE_1)
	s_cmp_lg_u64 s[48:49], 0
	s_cbranch_scc0 .LBB124_288
; %bb.255:                              ;   in Loop: Header=BB124_21 Depth=1
	v_cvt_f32_u32_e32 v2, s29
	s_sub_u32 s8, 0, s29
	s_subb_u32 s9, 0, 0
	s_delay_alu instid0(VALU_DEP_1) | instskip(NEXT) | instid1(VALU_DEP_1)
	v_fmac_f32_e64 v2, 0, 0x4f800000
	v_rcp_f32_e32 v2, v2
	s_waitcnt_depctr 0xfff
	v_mul_f32_e32 v2, 0x5f7ffffc, v2
	s_delay_alu instid0(VALU_DEP_1) | instskip(NEXT) | instid1(VALU_DEP_1)
	v_mul_f32_e32 v3, 0x2f800000, v2
	v_trunc_f32_e32 v3, v3
	s_delay_alu instid0(VALU_DEP_1) | instskip(SKIP_1) | instid1(VALU_DEP_2)
	v_fmac_f32_e32 v2, 0xcf800000, v3
	v_cvt_u32_f32_e32 v3, v3
	v_cvt_u32_f32_e32 v2, v2
	s_delay_alu instid0(VALU_DEP_2) | instskip(NEXT) | instid1(VALU_DEP_2)
	v_readfirstlane_b32 s4, v3
	v_readfirstlane_b32 s5, v2
	s_delay_alu instid0(VALU_DEP_2) | instskip(NEXT) | instid1(VALU_DEP_1)
	s_mul_i32 s18, s8, s4
	s_mul_hi_u32 s42, s8, s5
	s_mul_i32 s23, s9, s5
	s_add_i32 s18, s42, s18
	s_mul_i32 s48, s8, s5
	s_add_i32 s18, s18, s23
	s_mul_hi_u32 s42, s5, s48
	s_mul_hi_u32 s56, s4, s48
	s_mul_i32 s23, s4, s48
	s_mul_hi_u32 s48, s5, s18
	s_mul_i32 s5, s5, s18
	s_mul_hi_u32 s57, s4, s18
	s_add_u32 s5, s42, s5
	s_addc_u32 s42, 0, s48
	s_add_u32 s5, s5, s23
	s_mul_i32 s18, s4, s18
	s_addc_u32 s5, s42, s56
	s_addc_u32 s23, s57, 0
	s_add_u32 s5, s5, s18
	s_addc_u32 s18, 0, s23
	v_add_co_u32 v2, s5, v2, s5
	s_delay_alu instid0(VALU_DEP_1) | instskip(SKIP_1) | instid1(VALU_DEP_1)
	s_cmp_lg_u32 s5, 0
	s_addc_u32 s4, s4, s18
	v_readfirstlane_b32 s5, v2
	s_mul_i32 s18, s8, s4
	s_delay_alu instid0(VALU_DEP_1)
	s_mul_hi_u32 s23, s8, s5
	s_mul_i32 s9, s9, s5
	s_add_i32 s18, s23, s18
	s_mul_i32 s8, s8, s5
	s_add_i32 s18, s18, s9
	s_mul_hi_u32 s23, s4, s8
	s_mul_i32 s42, s4, s8
	s_mul_hi_u32 s8, s5, s8
	s_mul_hi_u32 s48, s5, s18
	s_mul_i32 s5, s5, s18
	s_mul_hi_u32 s9, s4, s18
	s_add_u32 s5, s8, s5
	s_addc_u32 s8, 0, s48
	s_add_u32 s5, s5, s42
	s_mul_i32 s18, s4, s18
	s_addc_u32 s5, s8, s23
	s_addc_u32 s8, s9, 0
	s_add_u32 s5, s5, s18
	s_addc_u32 s8, 0, s8
	v_add_co_u32 v2, s5, v2, s5
	s_delay_alu instid0(VALU_DEP_1) | instskip(SKIP_1) | instid1(VALU_DEP_1)
	s_cmp_lg_u32 s5, 0
	s_addc_u32 s4, s4, s8
	v_readfirstlane_b32 s5, v2
	s_mul_i32 s9, s71, s4
	s_mul_hi_u32 s8, s71, s4
	s_mul_hi_u32 s18, s49, s4
	s_mul_i32 s4, s49, s4
	s_mul_hi_u32 s23, s71, s5
	s_mul_hi_u32 s42, s49, s5
	s_mul_i32 s5, s49, s5
	s_add_u32 s9, s23, s9
	s_addc_u32 s8, 0, s8
	s_add_u32 s5, s9, s5
	s_addc_u32 s5, s8, s42
	s_addc_u32 s8, s18, 0
	s_add_u32 s4, s5, s4
	s_addc_u32 s5, 0, s8
	s_mul_hi_u32 s8, s29, s4
	s_mul_i32 s4, s29, s4
	s_mul_i32 s5, s29, s5
	v_sub_co_u32 v2, s4, s71, s4
	s_add_i32 s8, s8, s5
	s_cmp_lg_u32 s4, 0
	s_delay_alu instid0(VALU_DEP_1) | instskip(SKIP_2) | instid1(VALU_DEP_1)
	v_sub_co_u32 v3, s4, v2, s29
	s_subb_u32 s5, s49, s8
	s_cmp_lg_u32 s4, 0
	v_cmp_le_u32_e32 vcc_lo, s29, v3
	v_sub_co_u32 v4, s4, v3, s29
	s_subb_u32 s8, s5, 0
	s_cmp_lg_u32 s4, 0
	v_cndmask_b32_e64 v5, 0, -1, vcc_lo
	s_subb_u32 s4, s8, 0
	s_cmp_eq_u32 s8, 0
	v_mov_b32_e32 v7, s4
	s_cselect_b32 vcc_lo, -1, 0
	s_cmp_eq_u32 s5, 0
	v_cndmask_b32_e32 v5, -1, v5, vcc_lo
	v_cmp_le_u32_e32 vcc_lo, s29, v2
	s_cselect_b32 s4, -1, 0
	v_cndmask_b32_e64 v6, 0, -1, vcc_lo
	s_delay_alu instid0(VALU_DEP_3) | instskip(NEXT) | instid1(VALU_DEP_2)
	v_cmp_ne_u32_e32 vcc_lo, 0, v5
	v_cndmask_b32_e64 v5, -1, v6, s4
	v_cndmask_b32_e32 v6, s8, v7, vcc_lo
	v_cndmask_b32_e32 v4, v3, v4, vcc_lo
	s_delay_alu instid0(VALU_DEP_3) | instskip(NEXT) | instid1(VALU_DEP_3)
	v_cmp_ne_u32_e32 vcc_lo, 0, v5
	v_cndmask_b32_e32 v3, s5, v6, vcc_lo
	s_delay_alu instid0(VALU_DEP_3)
	v_cndmask_b32_e32 v2, v2, v4, vcc_lo
	s_cbranch_execnz .LBB124_257
.LBB124_256:                            ;   in Loop: Header=BB124_21 Depth=1
	v_cvt_f32_u32_e32 v2, s29
	s_sub_i32 s4, 0, s29
	s_delay_alu instid0(VALU_DEP_1) | instskip(SKIP_2) | instid1(VALU_DEP_1)
	v_rcp_iflag_f32_e32 v2, v2
	s_waitcnt_depctr 0xfff
	v_mul_f32_e32 v2, 0x4f7ffffe, v2
	v_cvt_u32_f32_e32 v2, v2
	s_delay_alu instid0(VALU_DEP_1) | instskip(NEXT) | instid1(VALU_DEP_1)
	v_mul_lo_u32 v3, s4, v2
	v_mul_hi_u32 v3, v2, v3
	s_delay_alu instid0(VALU_DEP_1) | instskip(NEXT) | instid1(VALU_DEP_1)
	v_add_nc_u32_e32 v2, v2, v3
	v_mul_hi_u32 v2, s71, v2
	s_delay_alu instid0(VALU_DEP_1) | instskip(NEXT) | instid1(VALU_DEP_1)
	v_mul_lo_u32 v2, v2, s29
	v_sub_nc_u32_e32 v2, s71, v2
	s_delay_alu instid0(VALU_DEP_1) | instskip(SKIP_1) | instid1(VALU_DEP_2)
	v_subrev_nc_u32_e32 v3, s29, v2
	v_cmp_le_u32_e32 vcc_lo, s29, v2
	v_cndmask_b32_e32 v2, v2, v3, vcc_lo
	s_delay_alu instid0(VALU_DEP_1) | instskip(SKIP_1) | instid1(VALU_DEP_2)
	v_subrev_nc_u32_e32 v3, s29, v2
	v_cmp_le_u32_e32 vcc_lo, s29, v2
	v_cndmask_b32_e32 v14, v2, v3, vcc_lo
	s_delay_alu instid0(VALU_DEP_1)
	v_dual_mov_b32 v2, v14 :: v_dual_mov_b32 v3, v15
.LBB124_257:                            ;   in Loop: Header=BB124_21 Depth=1
	s_delay_alu instid0(VALU_DEP_1) | instskip(NEXT) | instid1(VALU_DEP_2)
	v_sub_co_u32 v2, vcc_lo, s71, v2
	v_sub_co_ci_u32_e32 v3, vcc_lo, s49, v3, vcc_lo
	s_mov_b32 s23, 0
	s_mov_b32 s5, exec_lo
                                        ; implicit-def: $vgpr25
	s_delay_alu instid0(VALU_DEP_1)
	v_cmpx_gt_u64_e64 v[2:3], v[0:1]
	s_cbranch_execz .LBB124_266
; %bb.258:                              ;   in Loop: Header=BB124_21 Depth=1
	v_dual_mov_b32 v4, v10 :: v_dual_mov_b32 v5, v11
	v_dual_mov_b32 v7, v1 :: v_dual_mov_b32 v6, v0
	s_mov_b32 s8, 0
                                        ; implicit-def: $sgpr9
	s_set_inst_prefetch_distance 0x1
	s_branch .LBB124_260
	.p2align	6
.LBB124_259:                            ;   in Loop: Header=BB124_260 Depth=2
	s_or_b32 exec_lo, exec_lo, s4
	s_waitcnt vmcnt(0) lgkmcnt(0)
	s_barrier
	buffer_gl0_inv
	ds_load_b64 v[24:25], v15 offset:3072
	v_add_co_u32 v6, vcc_lo, v6, s29
	v_add_co_ci_u32_e32 v7, vcc_lo, 0, v7, vcc_lo
	s_waitcnt lgkmcnt(0)
	s_barrier
	buffer_gl0_inv
	v_cmp_ge_u64_e32 vcc_lo, v[6:7], v[2:3]
	v_cmp_neq_f32_e64 s4, 0, v24
	s_delay_alu instid0(VALU_DEP_1)
	s_or_b32 s18, vcc_lo, s4
	v_add_co_u32 v4, vcc_lo, v4, s40
	s_and_b32 s18, exec_lo, s18
	v_add_co_ci_u32_e32 v5, vcc_lo, s41, v5, vcc_lo
	s_or_b32 s8, s18, s8
	s_and_not1_b32 s9, s9, exec_lo
	s_and_b32 s4, s4, exec_lo
	s_delay_alu instid0(SALU_CYCLE_1)
	s_or_b32 s9, s9, s4
	s_and_not1_b32 exec_lo, exec_lo, s8
	s_cbranch_execz .LBB124_265
.LBB124_260:                            ;   Parent Loop BB124_21 Depth=1
                                        ; =>  This Inner Loop Header: Depth=2
	s_delay_alu instid0(VALU_DEP_1)
	v_cmp_gt_u64_e32 vcc_lo, s[24:25], v[6:7]
	v_mov_b32_e32 v24, 0
	s_and_saveexec_b32 s4, vcc_lo
	s_cbranch_execz .LBB124_262
; %bb.261:                              ;   in Loop: Header=BB124_260 Depth=2
	global_load_b32 v24, v[4:5], off
.LBB124_262:                            ;   in Loop: Header=BB124_260 Depth=2
	s_or_b32 exec_lo, exec_lo, s4
	s_and_saveexec_b32 s4, vcc_lo
	s_cbranch_execz .LBB124_259
; %bb.263:                              ;   in Loop: Header=BB124_260 Depth=2
	s_waitcnt vmcnt(0)
	v_cmp_lt_i32_e32 vcc_lo, -1, v24
	v_cndmask_b32_e64 v8, -1, 0x80000000, vcc_lo
	v_cmp_o_f32_e32 vcc_lo, v24, v24
	s_delay_alu instid0(VALU_DEP_2) | instskip(NEXT) | instid1(VALU_DEP_1)
	v_xor_b32_e32 v8, v8, v24
	v_cndmask_b32_e32 v8, -1, v8, vcc_lo
	s_delay_alu instid0(VALU_DEP_1) | instskip(NEXT) | instid1(VALU_DEP_1)
	v_and_b32_e32 v8, s88, v8
	v_cmp_eq_u32_e32 vcc_lo, s87, v8
	s_and_b32 exec_lo, exec_lo, vcc_lo
	s_cbranch_execz .LBB124_259
; %bb.264:                              ;   in Loop: Header=BB124_260 Depth=2
	ds_store_b64 v15, v[23:24] offset:3072
	s_branch .LBB124_259
.LBB124_265:                            ;   in Loop: Header=BB124_21 Depth=1
	s_set_inst_prefetch_distance 0x2
	s_or_b32 exec_lo, exec_lo, s8
	s_delay_alu instid0(SALU_CYCLE_1)
	s_and_b32 s23, s9, exec_lo
.LBB124_266:                            ;   in Loop: Header=BB124_21 Depth=1
	s_or_b32 exec_lo, exec_lo, s5
	s_mov_b32 s18, -1
	s_mov_b32 s8, 0
	s_mov_b32 s9, 0
.LBB124_267:                            ;   in Loop: Header=BB124_21 Depth=1
	s_mov_b32 s56, 0
                                        ; implicit-def: $sgpr42
                                        ; implicit-def: $sgpr4_sgpr5
	s_and_saveexec_b32 s48, s23
	s_cbranch_execz .LBB124_280
; %bb.268:                              ;   in Loop: Header=BB124_21 Depth=1
	s_xor_b32 s17, s17, -1
	s_mov_b64 s[4:5], 1
	s_and_not1_b32 vcc_lo, exec_lo, s17
	s_mov_b32 s42, 1
	s_cbranch_vccnz .LBB124_279
; %bb.269:                              ;   in Loop: Header=BB124_21 Depth=1
	v_cmp_gt_u64_e64 s4, s[44:45], s[6:7]
	s_delay_alu instid0(VALU_DEP_1)
	s_and_b32 vcc_lo, exec_lo, s4
	s_cbranch_vccnz .LBB124_275
; %bb.270:                              ;   in Loop: Header=BB124_21 Depth=1
	ds_load_b64 v[2:3], v15 offset:5120
	s_waitcnt lgkmcnt(0)
	v_cmp_ne_u64_e32 vcc_lo, 0, v[2:3]
	s_cbranch_vccnz .LBB124_274
; %bb.271:                              ;   in Loop: Header=BB124_21 Depth=1
	s_and_saveexec_b32 s4, s3
	s_cbranch_execz .LBB124_273
; %bb.272:                              ;   in Loop: Header=BB124_21 Depth=1
	v_dual_mov_b32 v2, s6 :: v_dual_mov_b32 v3, s7
	ds_store_b64 v15, v[2:3] offset:5128
.LBB124_273:                            ;   in Loop: Header=BB124_21 Depth=1
	s_or_b32 exec_lo, exec_lo, s4
	s_waitcnt lgkmcnt(0)
	s_barrier
	buffer_gl0_inv
.LBB124_274:                            ;   in Loop: Header=BB124_21 Depth=1
	s_or_b32 s17, s87, s16
	s_or_b32 s16, s88, s16
	s_mov_b32 s4, 0
	s_mov_b32 s42, 8
	s_branch .LBB124_276
.LBB124_275:                            ;   in Loop: Header=BB124_21 Depth=1
	s_mov_b32 s4, -1
                                        ; implicit-def: $sgpr42
                                        ; implicit-def: $sgpr17
                                        ; implicit-def: $sgpr16
.LBB124_276:                            ;   in Loop: Header=BB124_21 Depth=1
	s_delay_alu instid0(SALU_CYCLE_1)
	s_and_not1_b32 vcc_lo, exec_lo, s4
	s_cbranch_vccnz .LBB124_278
; %bb.277:                              ;   in Loop: Header=BB124_21 Depth=1
	s_sub_u32 s44, s44, s6
	s_subb_u32 s45, s45, s7
	s_mov_b32 s42, 8
	s_mov_b32 s17, s87
	;; [unrolled: 1-line block ×3, first 2 shown]
.LBB124_278:                            ;   in Loop: Header=BB124_21 Depth=1
	s_mov_b64 s[4:5], s[44:45]
	s_mov_b32 s87, s17
	s_mov_b32 s88, s16
.LBB124_279:                            ;   in Loop: Header=BB124_21 Depth=1
	s_mov_b32 s56, exec_lo
.LBB124_280:                            ;   in Loop: Header=BB124_21 Depth=1
	s_or_b32 exec_lo, exec_lo, s48
	s_mov_b64 s[44:45], s[4:5]
.LBB124_281:                            ;   in Loop: Header=BB124_21 Depth=1
	s_and_not1_b32 s4, s10, exec_lo
	s_and_b32 s5, s8, exec_lo
	s_and_not1_b32 s6, s11, exec_lo
	s_or_b32 s10, s4, s5
	s_and_not1_b32 s4, s21, exec_lo
	s_and_b32 s5, s18, exec_lo
	s_and_b32 s7, s9, exec_lo
	s_or_b32 s21, s4, s5
	s_or_b32 s11, s6, s7
	s_and_b32 s5, s56, exec_lo
.LBB124_282:                            ;   in Loop: Header=BB124_21 Depth=1
	s_or_b32 exec_lo, exec_lo, s22
.LBB124_283:                            ;   in Loop: Header=BB124_21 Depth=1
	s_delay_alu instid0(SALU_CYCLE_1)
	s_and_not1_b32 s4, s13, exec_lo
	s_and_b32 s6, s10, exec_lo
	s_and_not1_b32 s7, s12, exec_lo
	s_or_b32 s13, s4, s6
	s_and_not1_b32 s4, s19, exec_lo
	s_and_b32 s6, s21, exec_lo
	s_and_b32 s8, s11, exec_lo
	s_or_b32 s19, s4, s6
	s_or_b32 s12, s7, s8
	s_and_b32 s5, s5, exec_lo
.LBB124_284:                            ;   in Loop: Header=BB124_21 Depth=1
	s_or_b32 exec_lo, exec_lo, s20
	s_and_saveexec_b32 s4, s5
	s_delay_alu instid0(SALU_CYCLE_1)
	s_xor_b32 s4, exec_lo, s4
	s_cbranch_execz .LBB124_19
.LBB124_285:                            ;   in Loop: Header=BB124_21 Depth=1
	s_and_b32 s5, s42, -9
	s_delay_alu instid0(SALU_CYCLE_1)
	s_cmp_eq_u32 s5, 0
	s_cbranch_scc1 .LBB124_17
; %bb.286:                              ;   in Loop: Header=BB124_21 Depth=1
	s_mov_b32 s5, -1
	s_mov_b32 s6, -1
                                        ; implicit-def: $sgpr88
                                        ; implicit-def: $sgpr44_sgpr45
                                        ; implicit-def: $sgpr82
                                        ; implicit-def: $sgpr85
	s_branch .LBB124_18
.LBB124_287:                            ;   in Loop: Header=BB124_21 Depth=1
                                        ; implicit-def: $vgpr2_vgpr3
	s_branch .LBB124_239
.LBB124_288:                            ;   in Loop: Header=BB124_21 Depth=1
                                        ; implicit-def: $vgpr2_vgpr3
	s_branch .LBB124_256
.LBB124_289:
	s_or_b32 exec_lo, exec_lo, s78
	s_xor_b32 s3, s81, -1
	s_xor_b32 s1, s79, -1
	;; [unrolled: 1-line block ×3, first 2 shown]
	s_mov_b32 s0, 0
	s_and_saveexec_b32 s5, s1
	s_delay_alu instid0(SALU_CYCLE_1)
	s_xor_b32 s1, exec_lo, s5
	s_cbranch_execz .LBB124_303
; %bb.290:
	s_and_saveexec_b32 s0, s3
	s_delay_alu instid0(SALU_CYCLE_1)
	s_xor_b32 s3, exec_lo, s0
	s_cbranch_execz .LBB124_301
; %bb.291:
	s_and_saveexec_b32 s0, s4
	s_delay_alu instid0(SALU_CYCLE_1)
	s_xor_b32 s0, exec_lo, s0
; %bb.292:
	v_cmp_lt_i32_e32 vcc_lo, -1, v2
	v_cndmask_b32_e64 v3, 0x80000000, -1, vcc_lo
	s_delay_alu instid0(VALU_DEP_1)
	v_xor_b32_e32 v25, v3, v2
; %bb.293:
	s_or_b32 exec_lo, exec_lo, s0
	s_mul_i32 s0, s37, s28
	s_mul_hi_u32 s5, s36, s28
	s_mul_i32 s4, s36, s28
	s_add_i32 s5, s5, s0
	v_mov_b32_e32 v2, 0
	s_lshl_b64 s[4:5], s[4:5], 2
	s_delay_alu instid0(SALU_CYCLE_1)
	s_add_u32 s4, s34, s4
	s_addc_u32 s5, s35, s5
	global_store_b32 v2, v25, s[4:5]
	s_and_saveexec_b32 s4, s2
	s_cbranch_execz .LBB124_300
; %bb.294:
	v_cmp_u_f32_e32 vcc_lo, v25, v25
	s_mov_b32 s2, 0
                                        ; implicit-def: $sgpr5
                                        ; implicit-def: $sgpr8
                                        ; implicit-def: $sgpr7
	s_xor_b32 s6, vcc_lo, -1
	s_set_inst_prefetch_distance 0x1
	s_branch .LBB124_296
	.p2align	6
.LBB124_295:                            ;   in Loop: Header=BB124_296 Depth=1
	s_or_b32 exec_lo, exec_lo, s9
	s_delay_alu instid0(SALU_CYCLE_1) | instskip(NEXT) | instid1(SALU_CYCLE_1)
	s_and_b32 s0, exec_lo, s8
	s_or_b32 s2, s0, s2
	s_and_not1_b32 s0, s5, exec_lo
	s_and_b32 s5, s7, exec_lo
	s_delay_alu instid0(SALU_CYCLE_1)
	s_or_b32 s5, s0, s5
	s_and_not1_b32 exec_lo, exec_lo, s2
	s_cbranch_execz .LBB124_298
.LBB124_296:                            ; =>This Inner Loop Header: Depth=1
	global_load_b32 v2, v[10:11], off
	s_or_b32 s7, s7, exec_lo
	s_or_b32 s8, s8, exec_lo
	s_waitcnt vmcnt(0)
	v_cmp_o_f32_e32 vcc_lo, v2, v2
	v_cmp_neq_f32_e64 s0, v2, v25
	v_dual_mov_b32 v3, v1 :: v_dual_mov_b32 v2, v0
                                        ; implicit-def: $vgpr0_vgpr1
	s_or_b32 s9, vcc_lo, s6
	s_delay_alu instid0(VALU_DEP_2) | instid1(SALU_CYCLE_1)
	s_and_b32 s0, s0, s9
	s_delay_alu instid0(SALU_CYCLE_1)
	s_and_saveexec_b32 s9, s0
	s_cbranch_execz .LBB124_295
; %bb.297:                              ;   in Loop: Header=BB124_296 Depth=1
	v_add_co_u32 v0, vcc_lo, v2, s29
	v_add_co_ci_u32_e32 v1, vcc_lo, 0, v3, vcc_lo
	v_add_co_u32 v10, s0, v10, s40
	s_delay_alu instid0(VALU_DEP_1) | instskip(NEXT) | instid1(VALU_DEP_3)
	v_add_co_ci_u32_e64 v11, s0, s41, v11, s0
	v_cmp_le_u64_e32 vcc_lo, s[24:25], v[0:1]
	s_and_not1_b32 s0, s8, exec_lo
	s_and_not1_b32 s7, s7, exec_lo
	s_and_b32 s8, vcc_lo, exec_lo
	s_delay_alu instid0(SALU_CYCLE_1)
	s_or_b32 s8, s0, s8
	s_branch .LBB124_295
.LBB124_298:
	s_set_inst_prefetch_distance 0x2
	s_or_b32 exec_lo, exec_lo, s2
	s_and_saveexec_b32 s0, s5
	s_delay_alu instid0(SALU_CYCLE_1)
	s_xor_b32 s0, exec_lo, s0
	s_cbranch_execz .LBB124_300
; %bb.299:
	s_mul_i32 s0, s31, s28
	s_mul_hi_u32 s2, s30, s28
	s_mul_i32 s6, s30, s28
	s_add_i32 s7, s2, s0
	v_mov_b32_e32 v0, 0
	s_lshl_b64 s[6:7], s[6:7], 3
	s_delay_alu instid0(SALU_CYCLE_1)
	s_add_u32 s6, s26, s6
	s_addc_u32 s7, s27, s7
	global_store_b64 v0, v[2:3], s[6:7]
.LBB124_300:
	s_or_b32 exec_lo, exec_lo, s4
.LBB124_301:
	s_or_saveexec_b32 s0, s3
	s_mov_b32 s2, 0
	s_xor_b32 exec_lo, exec_lo, s0
	s_cbranch_execnz .LBB124_309
.LBB124_302:
	s_or_b32 exec_lo, exec_lo, s0
	s_delay_alu instid0(SALU_CYCLE_1)
	s_and_b32 s0, s2, exec_lo
.LBB124_303:
	s_and_not1_saveexec_b32 s1, s1
	s_cbranch_execnz .LBB124_307
; %bb.304:
	s_or_b32 exec_lo, exec_lo, s1
	s_and_saveexec_b32 s1, s0
.LBB124_305:
	; divergent unreachable
.LBB124_306:
	s_nop 0
	s_sendmsg sendmsg(MSG_DEALLOC_VGPRS)
	s_endpgm
.LBB124_307:
	s_cbranch_execnz .LBB124_311
; %bb.308:
	s_or_b32 s0, s0, exec_lo
	s_or_b32 exec_lo, exec_lo, s1
	s_and_saveexec_b32 s1, s0
	s_cbranch_execnz .LBB124_305
	s_branch .LBB124_306
.LBB124_309:
	s_cbranch_execnz .LBB124_313
; %bb.310:
	s_mov_b32 s2, exec_lo
	s_branch .LBB124_302
.LBB124_311:
	s_trap 2
	s_sendmsg_rtn_b32 s0, sendmsg(MSG_RTN_GET_DOORBELL)
	s_mov_b32 ttmp2, m0
	s_waitcnt lgkmcnt(0)
	s_and_b32 s0, s0, 0x3ff
	s_delay_alu instid0(SALU_CYCLE_1) | instskip(NEXT) | instid1(SALU_CYCLE_1)
	s_bitset1_b32 s0, 10
	s_mov_b32 m0, s0
	s_sendmsg sendmsg(MSG_INTERRUPT)
	s_mov_b32 m0, ttmp2
.LBB124_312:                            ; =>This Inner Loop Header: Depth=1
	s_sethalt 5
	s_branch .LBB124_312
.LBB124_313:
	s_trap 2
	s_sendmsg_rtn_b32 s0, sendmsg(MSG_RTN_GET_DOORBELL)
	s_mov_b32 ttmp2, m0
	s_waitcnt lgkmcnt(0)
	s_and_b32 s0, s0, 0x3ff
	s_delay_alu instid0(SALU_CYCLE_1) | instskip(NEXT) | instid1(SALU_CYCLE_1)
	s_bitset1_b32 s0, 10
	s_mov_b32 m0, s0
	s_sendmsg sendmsg(MSG_INTERRUPT)
	s_mov_b32 m0, ttmp2
.LBB124_314:                            ; =>This Inner Loop Header: Depth=1
	s_sethalt 5
	s_branch .LBB124_314
	.section	.rodata,"a",@progbits
	.p2align	6, 0x0
	.amdhsa_kernel _ZN2at6native12_GLOBAL__N_112gatherMedianIfmLi1EEEvNS_4cuda6detail10TensorInfoIT_T0_EENS5_IlS7_EENS5_IKS6_S7_EES7_S7_S7_b
		.amdhsa_group_segment_fixed_size 5152
		.amdhsa_private_segment_fixed_size 0
		.amdhsa_kernarg_size 1536
		.amdhsa_user_sgpr_count 13
		.amdhsa_user_sgpr_dispatch_ptr 0
		.amdhsa_user_sgpr_queue_ptr 0
		.amdhsa_user_sgpr_kernarg_segment_ptr 1
		.amdhsa_user_sgpr_dispatch_id 0
		.amdhsa_user_sgpr_private_segment_size 0
		.amdhsa_wavefront_size32 1
		.amdhsa_uses_dynamic_stack 0
		.amdhsa_enable_private_segment 0
		.amdhsa_system_sgpr_workgroup_id_x 1
		.amdhsa_system_sgpr_workgroup_id_y 1
		.amdhsa_system_sgpr_workgroup_id_z 1
		.amdhsa_system_sgpr_workgroup_info 0
		.amdhsa_system_vgpr_workitem_id 0
		.amdhsa_next_free_vgpr 41
		.amdhsa_next_free_sgpr 93
		.amdhsa_reserve_vcc 1
		.amdhsa_float_round_mode_32 0
		.amdhsa_float_round_mode_16_64 0
		.amdhsa_float_denorm_mode_32 3
		.amdhsa_float_denorm_mode_16_64 3
		.amdhsa_dx10_clamp 1
		.amdhsa_ieee_mode 1
		.amdhsa_fp16_overflow 0
		.amdhsa_workgroup_processor_mode 1
		.amdhsa_memory_ordered 1
		.amdhsa_forward_progress 0
		.amdhsa_shared_vgpr_count 0
		.amdhsa_exception_fp_ieee_invalid_op 0
		.amdhsa_exception_fp_denorm_src 0
		.amdhsa_exception_fp_ieee_div_zero 0
		.amdhsa_exception_fp_ieee_overflow 0
		.amdhsa_exception_fp_ieee_underflow 0
		.amdhsa_exception_fp_ieee_inexact 0
		.amdhsa_exception_int_div_zero 0
	.end_amdhsa_kernel
	.section	.text._ZN2at6native12_GLOBAL__N_112gatherMedianIfmLi1EEEvNS_4cuda6detail10TensorInfoIT_T0_EENS5_IlS7_EENS5_IKS6_S7_EES7_S7_S7_b,"axG",@progbits,_ZN2at6native12_GLOBAL__N_112gatherMedianIfmLi1EEEvNS_4cuda6detail10TensorInfoIT_T0_EENS5_IlS7_EENS5_IKS6_S7_EES7_S7_S7_b,comdat
.Lfunc_end124:
	.size	_ZN2at6native12_GLOBAL__N_112gatherMedianIfmLi1EEEvNS_4cuda6detail10TensorInfoIT_T0_EENS5_IlS7_EENS5_IKS6_S7_EES7_S7_S7_b, .Lfunc_end124-_ZN2at6native12_GLOBAL__N_112gatherMedianIfmLi1EEEvNS_4cuda6detail10TensorInfoIT_T0_EENS5_IlS7_EENS5_IKS6_S7_EES7_S7_S7_b
                                        ; -- End function
	.section	.AMDGPU.csdata,"",@progbits
; Kernel info:
; codeLenInByte = 17312
; NumSgprs: 95
; NumVgprs: 41
; ScratchSize: 0
; MemoryBound: 0
; FloatMode: 240
; IeeeMode: 1
; LDSByteSize: 5152 bytes/workgroup (compile time only)
; SGPRBlocks: 11
; VGPRBlocks: 5
; NumSGPRsForWavesPerEU: 95
; NumVGPRsForWavesPerEU: 41
; Occupancy: 16
; WaveLimiterHint : 1
; COMPUTE_PGM_RSRC2:SCRATCH_EN: 0
; COMPUTE_PGM_RSRC2:USER_SGPR: 13
; COMPUTE_PGM_RSRC2:TRAP_HANDLER: 0
; COMPUTE_PGM_RSRC2:TGID_X_EN: 1
; COMPUTE_PGM_RSRC2:TGID_Y_EN: 1
; COMPUTE_PGM_RSRC2:TGID_Z_EN: 1
; COMPUTE_PGM_RSRC2:TIDIG_COMP_CNT: 0
	.section	.text._ZN2at6native12_GLOBAL__N_112gatherMedianIfmLi2EEEvNS_4cuda6detail10TensorInfoIT_T0_EENS5_IlS7_EENS5_IKS6_S7_EES7_S7_S7_b,"axG",@progbits,_ZN2at6native12_GLOBAL__N_112gatherMedianIfmLi2EEEvNS_4cuda6detail10TensorInfoIT_T0_EENS5_IlS7_EENS5_IKS6_S7_EES7_S7_S7_b,comdat
	.globl	_ZN2at6native12_GLOBAL__N_112gatherMedianIfmLi2EEEvNS_4cuda6detail10TensorInfoIT_T0_EENS5_IlS7_EENS5_IKS6_S7_EES7_S7_S7_b ; -- Begin function _ZN2at6native12_GLOBAL__N_112gatherMedianIfmLi2EEEvNS_4cuda6detail10TensorInfoIT_T0_EENS5_IlS7_EENS5_IKS6_S7_EES7_S7_S7_b
	.p2align	8
	.type	_ZN2at6native12_GLOBAL__N_112gatherMedianIfmLi2EEEvNS_4cuda6detail10TensorInfoIT_T0_EENS5_IlS7_EENS5_IKS6_S7_EES7_S7_S7_b,@function
_ZN2at6native12_GLOBAL__N_112gatherMedianIfmLi2EEEvNS_4cuda6detail10TensorInfoIT_T0_EENS5_IlS7_EENS5_IKS6_S7_EES7_S7_S7_b: ; @_ZN2at6native12_GLOBAL__N_112gatherMedianIfmLi2EEEvNS_4cuda6detail10TensorInfoIT_T0_EENS5_IlS7_EENS5_IKS6_S7_EES7_S7_S7_b
; %bb.0:
	s_clause 0x1
	s_load_b64 s[8:9], s[0:1], 0x500
	s_load_b128 s[24:27], s[0:1], 0x4e0
	s_add_u32 s10, s0, 0x500
	s_addc_u32 s11, s1, 0
	s_mov_b32 s35, 0
	s_waitcnt lgkmcnt(0)
	s_mul_i32 s2, s9, s15
	s_delay_alu instid0(SALU_CYCLE_1) | instskip(NEXT) | instid1(SALU_CYCLE_1)
	s_add_i32 s2, s2, s14
	s_mul_i32 s2, s2, s8
	s_delay_alu instid0(SALU_CYCLE_1) | instskip(NEXT) | instid1(SALU_CYCLE_1)
	s_add_i32 s34, s2, s13
	v_cmp_ge_u64_e64 s2, s[34:35], s[26:27]
	s_delay_alu instid0(VALU_DEP_1)
	s_and_b32 vcc_lo, exec_lo, s2
	s_cbranch_vccnz .LBB125_312
; %bb.1:
	s_clause 0x3
	s_load_b64 s[46:47], s[0:1], 0x10
	s_load_b64 s[42:43], s[0:1], 0x4f0
	;; [unrolled: 1-line block ×4, first 2 shown]
	s_mov_b64 s[40:41], 0
	s_mov_b64 s[48:49], 0
	s_waitcnt lgkmcnt(0)
	v_cmp_lt_u64_e64 s4, s[34:35], s[46:47]
	s_delay_alu instid0(VALU_DEP_1)
	s_and_b32 vcc_lo, exec_lo, s4
	s_cbranch_vccnz .LBB125_3
; %bb.2:
	v_cvt_f32_u32_e32 v1, s46
	s_sub_i32 s5, 0, s46
	s_delay_alu instid0(VALU_DEP_1) | instskip(SKIP_2) | instid1(VALU_DEP_1)
	v_rcp_iflag_f32_e32 v1, v1
	s_waitcnt_depctr 0xfff
	v_mul_f32_e32 v1, 0x4f7ffffe, v1
	v_cvt_u32_f32_e32 v1, v1
	s_delay_alu instid0(VALU_DEP_1) | instskip(NEXT) | instid1(VALU_DEP_1)
	v_readfirstlane_b32 s4, v1
	s_mul_i32 s5, s5, s4
	s_delay_alu instid0(SALU_CYCLE_1) | instskip(NEXT) | instid1(SALU_CYCLE_1)
	s_mul_hi_u32 s5, s4, s5
	s_add_i32 s4, s4, s5
	s_delay_alu instid0(SALU_CYCLE_1) | instskip(NEXT) | instid1(SALU_CYCLE_1)
	s_mul_hi_u32 s4, s34, s4
	s_mul_i32 s5, s4, s46
	s_add_i32 s6, s4, 1
	s_sub_i32 s5, s34, s5
	s_delay_alu instid0(SALU_CYCLE_1)
	s_sub_i32 s7, s5, s46
	s_cmp_ge_u32 s5, s46
	s_cselect_b32 s4, s6, s4
	s_cselect_b32 s5, s7, s5
	s_add_i32 s6, s4, 1
	s_cmp_ge_u32 s5, s46
	s_cselect_b32 s48, s6, s4
.LBB125_3:
	s_load_b64 s[14:15], s[0:1], 0x340
	v_cmp_lt_u64_e64 s4, s[34:35], s[26:27]
	s_delay_alu instid0(VALU_DEP_1)
	s_and_b32 vcc_lo, exec_lo, s4
	s_cbranch_vccnz .LBB125_5
; %bb.4:
	v_cvt_f32_u32_e32 v1, s26
	s_sub_i32 s5, 0, s26
	s_delay_alu instid0(VALU_DEP_1) | instskip(SKIP_2) | instid1(VALU_DEP_1)
	v_rcp_iflag_f32_e32 v1, v1
	s_waitcnt_depctr 0xfff
	v_mul_f32_e32 v1, 0x4f7ffffe, v1
	v_cvt_u32_f32_e32 v1, v1
	s_delay_alu instid0(VALU_DEP_1) | instskip(NEXT) | instid1(VALU_DEP_1)
	v_readfirstlane_b32 s4, v1
	s_mul_i32 s5, s5, s4
	s_delay_alu instid0(SALU_CYCLE_1) | instskip(NEXT) | instid1(SALU_CYCLE_1)
	s_mul_hi_u32 s5, s4, s5
	s_add_i32 s4, s4, s5
	s_delay_alu instid0(SALU_CYCLE_1) | instskip(NEXT) | instid1(SALU_CYCLE_1)
	s_mul_hi_u32 s4, s34, s4
	s_mul_i32 s5, s4, s26
	s_add_i32 s6, s4, 1
	s_sub_i32 s5, s34, s5
	s_delay_alu instid0(SALU_CYCLE_1)
	s_sub_i32 s7, s5, s26
	s_cmp_ge_u32 s5, s26
	s_cselect_b32 s4, s6, s4
	s_cselect_b32 s5, s7, s5
	s_add_i32 s6, s4, 1
	s_cmp_ge_u32 s5, s26
	s_cselect_b32 s40, s6, s4
.LBB125_5:
	s_load_b128 s[4:7], s[0:1], 0x410
	v_cmp_lt_u64_e64 s9, s[34:35], s[2:3]
	s_mov_b64 s[16:17], 0
	s_delay_alu instid0(VALU_DEP_1)
	s_and_b32 vcc_lo, exec_lo, s9
	s_cbranch_vccnz .LBB125_7
; %bb.6:
	v_cvt_f32_u32_e32 v1, s2
	s_sub_i32 s12, 0, s2
	s_delay_alu instid0(VALU_DEP_1) | instskip(SKIP_2) | instid1(VALU_DEP_1)
	v_rcp_iflag_f32_e32 v1, v1
	s_waitcnt_depctr 0xfff
	v_mul_f32_e32 v1, 0x4f7ffffe, v1
	v_cvt_u32_f32_e32 v1, v1
	s_delay_alu instid0(VALU_DEP_1) | instskip(NEXT) | instid1(VALU_DEP_1)
	v_readfirstlane_b32 s9, v1
	s_mul_i32 s12, s12, s9
	s_delay_alu instid0(SALU_CYCLE_1) | instskip(NEXT) | instid1(SALU_CYCLE_1)
	s_mul_hi_u32 s12, s9, s12
	s_add_i32 s9, s9, s12
	s_delay_alu instid0(SALU_CYCLE_1) | instskip(NEXT) | instid1(SALU_CYCLE_1)
	s_mul_hi_u32 s9, s34, s9
	s_mul_i32 s12, s9, s2
	s_add_i32 s16, s9, 1
	s_sub_i32 s12, s34, s12
	s_delay_alu instid0(SALU_CYCLE_1)
	s_sub_i32 s17, s12, s2
	s_cmp_ge_u32 s12, s2
	s_cselect_b32 s9, s16, s9
	s_cselect_b32 s12, s17, s12
	s_add_i32 s16, s9, 1
	s_cmp_ge_u32 s12, s2
	s_cselect_b32 s16, s16, s9
.LBB125_7:
	s_clause 0x1
	s_load_b64 s[44:45], s[0:1], 0x1a0
	s_load_b64 s[50:51], s[0:1], 0x0
	s_mul_i32 s3, s16, s3
	s_mul_hi_u32 s9, s16, s2
	s_mul_i32 s2, s16, s2
	s_add_i32 s9, s9, s3
	s_sub_u32 s12, s34, s2
	v_dual_mov_b32 v1, 0 :: v_dual_mov_b32 v2, 0
	s_waitcnt lgkmcnt(0)
	s_mul_i32 s2, s12, s7
	s_mul_hi_u32 s3, s12, s6
	s_subb_u32 s7, 0, s9
	s_add_i32 s2, s3, s2
	s_mul_i32 s7, s7, s6
	s_mul_i32 s3, s16, s5
	s_mul_hi_u32 s9, s16, s4
	s_add_i32 s5, s2, s7
	s_add_i32 s3, s9, s3
	s_mul_i32 s2, s16, s4
	s_mul_i32 s4, s12, s6
	s_lshl_b64 s[2:3], s[2:3], 2
	v_mov_b32_e32 v3, 0
	s_add_u32 s6, s14, s2
	v_cmp_gt_u64_e64 s2, s[24:25], v[0:1]
	s_addc_u32 s3, s15, s3
	s_lshl_b64 s[4:5], s[4:5], 2
	s_delay_alu instid0(SALU_CYCLE_1) | instskip(SKIP_1) | instid1(VALU_DEP_1)
	s_add_u32 s33, s6, s4
	s_addc_u32 s35, s3, s5
	s_and_saveexec_b32 s4, s2
	s_cbranch_execz .LBB125_11
; %bb.8:
	s_load_b32 s3, s[10:11], 0xc
	v_dual_mov_b32 v2, 0 :: v_dual_mov_b32 v5, v1
	v_dual_mov_b32 v3, 0 :: v_dual_mov_b32 v4, v0
	s_mov_b32 s5, 0
	s_waitcnt lgkmcnt(0)
	s_and_b32 s6, s3, 0xffff
	.p2align	6
.LBB125_9:                              ; =>This Inner Loop Header: Depth=1
	v_mul_lo_u32 v8, v5, s42
	v_mul_lo_u32 v9, v4, s43
	v_mad_u64_u32 v[6:7], null, v4, s42, 0
	s_delay_alu instid0(VALU_DEP_1) | instskip(NEXT) | instid1(VALU_DEP_1)
	v_add3_u32 v7, v7, v9, v8
	v_lshlrev_b64 v[6:7], 2, v[6:7]
	s_delay_alu instid0(VALU_DEP_1) | instskip(NEXT) | instid1(VALU_DEP_2)
	v_add_co_u32 v6, vcc_lo, s33, v6
	v_add_co_ci_u32_e32 v7, vcc_lo, s35, v7, vcc_lo
	v_add_co_u32 v4, vcc_lo, v4, s6
	v_add_co_ci_u32_e32 v5, vcc_lo, 0, v5, vcc_lo
	global_load_b32 v6, v[6:7], off
	s_waitcnt vmcnt(0)
	v_cmp_u_f32_e32 vcc_lo, v6, v6
	v_cndmask_b32_e64 v6, 0, 1, vcc_lo
	v_cmp_le_u64_e32 vcc_lo, s[24:25], v[4:5]
	s_delay_alu instid0(VALU_DEP_2) | instskip(NEXT) | instid1(VALU_DEP_1)
	v_add_co_u32 v2, s3, v2, v6
	v_add_co_ci_u32_e64 v3, s3, 0, v3, s3
	s_or_b32 s5, vcc_lo, s5
	s_delay_alu instid0(SALU_CYCLE_1)
	s_and_not1_b32 exec_lo, exec_lo, s5
	s_cbranch_execnz .LBB125_9
; %bb.10:
	s_or_b32 exec_lo, exec_lo, s5
.LBB125_11:
	s_delay_alu instid0(SALU_CYCLE_1) | instskip(SKIP_4) | instid1(VALU_DEP_1)
	s_or_b32 exec_lo, exec_lo, s4
	s_clause 0x1
	s_load_b128 s[28:31], s[0:1], 0x270
	s_load_b128 s[36:39], s[0:1], 0xd0
	v_cmp_eq_u32_e64 s3, 0, v0
	s_and_saveexec_b32 s4, s3
	s_cbranch_execz .LBB125_13
; %bb.12:
	v_mov_b32_e32 v4, 0
	s_delay_alu instid0(VALU_DEP_1)
	v_mov_b32_e32 v5, v4
	ds_store_b64 v4, v[4:5] offset:5136
.LBB125_13:
	s_or_b32 exec_lo, exec_lo, s4
	s_mov_b64 s[4:5], 0
	s_mov_b32 s6, exec_lo
	s_waitcnt lgkmcnt(0)
	s_barrier
	buffer_gl0_inv
	v_cmpx_ne_u64_e32 0, v[2:3]
	s_cbranch_execz .LBB125_18
; %bb.14:
	s_mov_b32 s7, exec_lo
.LBB125_15:                             ; =>This Inner Loop Header: Depth=1
	s_delay_alu instid0(SALU_CYCLE_1) | instskip(NEXT) | instid1(SALU_CYCLE_1)
	s_ctz_i32_b32 s9, s7
	v_readlane_b32 s12, v2, s9
	v_readlane_b32 s14, v3, s9
	s_delay_alu instid0(VALU_DEP_2) | instskip(NEXT) | instid1(VALU_DEP_1)
	s_add_u32 s4, s4, s12
	s_addc_u32 s5, s5, s14
	s_lshl_b32 s9, 1, s9
	s_delay_alu instid0(SALU_CYCLE_1) | instskip(NEXT) | instid1(SALU_CYCLE_1)
	s_and_not1_b32 s7, s7, s9
	s_cmp_lg_u32 s7, 0
	s_cbranch_scc1 .LBB125_15
; %bb.16:
	v_mbcnt_lo_u32_b32 v2, exec_lo, 0
	s_mov_b32 s7, exec_lo
	s_delay_alu instid0(VALU_DEP_1)
	v_cmpx_eq_u32_e32 0, v2
	s_xor_b32 s7, exec_lo, s7
	s_cbranch_execz .LBB125_18
; %bb.17:
	v_mov_b32_e32 v2, s4
	v_dual_mov_b32 v4, 0 :: v_dual_mov_b32 v3, s5
	ds_add_u64 v4, v[2:3] offset:5136
.LBB125_18:
	s_or_b32 exec_lo, exec_lo, s6
	v_mov_b32_e32 v2, 0
	s_waitcnt lgkmcnt(0)
	s_barrier
	buffer_gl0_inv
	s_load_b32 s4, s[0:1], 0x4f8
	ds_load_b64 v[2:3], v2 offset:5136
	s_mov_b64 s[52:53], s[24:25]
	s_waitcnt lgkmcnt(0)
	s_bitcmp1_b32 s4, 0
	v_readfirstlane_b32 s0, v2
	v_readfirstlane_b32 s1, v3
	s_cselect_b32 s4, -1, 0
	s_delay_alu instid0(VALU_DEP_1) | instskip(NEXT) | instid1(VALU_DEP_1)
	v_cmp_lt_i64_e64 s5, s[0:1], 1
	s_or_b32 s4, s4, s5
	s_delay_alu instid0(SALU_CYCLE_1)
	s_and_not1_b32 vcc_lo, exec_lo, s4
	s_cbranch_vccnz .LBB125_20
; %bb.19:
	s_not_b64 s[0:1], s[0:1]
	s_delay_alu instid0(SALU_CYCLE_1) | instskip(SKIP_1) | instid1(SALU_CYCLE_1)
	s_add_u32 s0, s0, s24
	s_addc_u32 s1, s1, s25
	s_lshr_b64 s[0:1], s[0:1], 1
	s_delay_alu instid0(SALU_CYCLE_1)
	s_add_u32 s52, s0, 1
	s_addc_u32 s53, s1, 0
.LBB125_20:
	s_and_saveexec_b32 s0, s3
	s_cbranch_execz .LBB125_22
; %bb.21:
	v_dual_mov_b32 v2, 0 :: v_dual_mov_b32 v5, s25
	s_delay_alu instid0(VALU_DEP_1)
	v_dual_mov_b32 v4, s24 :: v_dual_mov_b32 v3, v2
	ds_store_b32 v2, v2 offset:5144
	ds_store_b128 v2, v[2:5] offset:5120
.LBB125_22:
	s_or_b32 exec_lo, exec_lo, s0
	v_mad_u64_u32 v[2:3], null, v0, s42, 0
	s_waitcnt lgkmcnt(0)
	s_barrier
	buffer_gl0_inv
	s_load_b32 s5, s[10:11], 0xc
	v_mbcnt_lo_u32_b32 v23, -1, 0
	v_cmp_gt_u32_e32 vcc_lo, 32, v0
	v_mad_u64_u32 v[4:5], null, v0, s43, v[3:4]
	v_dual_mov_b32 v13, 0 :: v_dual_lshlrev_b32 v10, 2, v0
	s_delay_alu instid0(VALU_DEP_4)
	v_cmp_gt_i32_e64 s4, 4, v23
	v_lshrrev_b32_e32 v5, 3, v0
	v_cmp_lt_u64_e64 s49, 0x300, s[24:25]
	v_cmp_gt_u32_e64 s0, 2, v0
	v_dual_mov_b32 v3, v4 :: v_dual_add_nc_u32 v24, 0xc00, v10
	s_and_b32 s70, vcc_lo, s4
	v_cmp_eq_u32_e64 s1, 0, v23
	v_dual_mov_b32 v11, v13 :: v_dual_mov_b32 v16, 1.0
	s_delay_alu instid0(VALU_DEP_3)
	v_lshlrev_b64 v[2:3], 2, v[2:3]
	v_dual_mov_b32 v18, 0 :: v_dual_and_b32 v25, 0x7c, v5
	s_waitcnt lgkmcnt(0)
	s_and_b32 s41, s5, 0xffff
	s_bfe_u32 s4, s5, 0xb0005
	s_add_u32 s71, s41, -1
	s_addc_u32 s72, 0, -1
	s_add_u32 s73, s71, s24
	s_addc_u32 s57, s72, s25
	s_cmp_lt_u32 s13, s8
	v_add_co_u32 v14, vcc_lo, s33, v2
	s_cselect_b32 s6, 12, 18
	v_add_co_ci_u32_e32 v15, vcc_lo, s35, v3, vcc_lo
	v_lshlrev_b64 v[2:3], v23, -1
	s_add_u32 s58, s10, s6
	s_addc_u32 s59, s11, 0
	s_add_i32 s6, s4, -1
	s_bfe_u32 s74, s41, 0x30005
	s_cmp_gt_u32 s6, 6
	v_not_b32_e32 v26, v2
	s_cselect_b32 s75, -1, 0
	s_and_b32 s76, s4, 0x7f8
	v_cmp_gt_u16_e64 s77, s5, 31
	v_lshlrev_b32_e32 v27, 4, v0
	v_lshl_or_b32 v28, v23, 3, 0xc00
	s_cmp_lg_u32 s74, 0
	s_mov_b32 s55, 0
	s_cselect_b32 s78, -1, 0
	s_lshl_b32 s79, s41, 2
	s_mov_b32 s84, 30
	s_mov_b32 s80, 0
	;; [unrolled: 1-line block ×5, first 2 shown]
                                        ; implicit-def: $sgpr81
                                        ; implicit-def: $sgpr83
                                        ; implicit-def: $sgpr82
                                        ; implicit-def: $sgpr86
                                        ; implicit-def: $sgpr88
                                        ; implicit-def: $sgpr85
	s_branch .LBB125_27
.LBB125_23:                             ;   in Loop: Header=BB125_27 Depth=1
	s_xor_b32 s87, s87, 1
	s_add_i32 s7, s84, -2
	s_cmp_eq_u32 s84, 0
	s_mov_b32 s5, 0
	s_cselect_b32 s6, -1, 0
	s_mov_b32 s84, s7
.LBB125_24:                             ;   in Loop: Header=BB125_27 Depth=1
	s_and_not1_b32 s7, s13, exec_lo
	s_and_b32 s5, s5, exec_lo
	s_and_not1_b32 s19, s19, exec_lo
	s_or_b32 s13, s7, s5
	s_and_not1_b32 s12, s12, exec_lo
	s_or_not1_b32 s15, s6, exec_lo
.LBB125_25:                             ;   in Loop: Header=BB125_27 Depth=1
	s_or_b32 exec_lo, exec_lo, s4
	s_delay_alu instid0(SALU_CYCLE_1)
	s_and_not1_b32 s4, s85, exec_lo
	s_and_b32 s5, s13, exec_lo
	s_and_not1_b32 s6, s86, exec_lo
	s_or_b32 s85, s4, s5
	s_and_not1_b32 s4, s88, exec_lo
	s_and_b32 s5, s19, exec_lo
	s_and_b32 s7, s12, exec_lo
	s_or_b32 s88, s4, s5
	s_or_b32 s86, s6, s7
	s_or_not1_b32 s19, s15, exec_lo
.LBB125_26:                             ;   in Loop: Header=BB125_27 Depth=1
	s_or_b32 exec_lo, exec_lo, s14
	s_delay_alu instid0(SALU_CYCLE_1)
	s_and_b32 s4, exec_lo, s19
	v_mov_b32_e32 v2, s89
	s_or_b32 s80, s4, s80
	s_and_not1_b32 s4, s82, exec_lo
	s_and_b32 s5, s85, exec_lo
	s_and_not1_b32 s6, s81, exec_lo
	s_or_b32 s82, s4, s5
	s_and_not1_b32 s4, s83, exec_lo
	s_and_b32 s5, s88, exec_lo
	s_and_b32 s7, s86, exec_lo
	s_or_b32 s83, s4, s5
	s_or_b32 s81, s6, s7
	s_and_not1_b32 exec_lo, exec_lo, s80
	s_cbranch_execz .LBB125_295
.LBB125_27:                             ; =>This Loop Header: Depth=1
                                        ;     Child Loop BB125_35 Depth 2
                                        ;     Child Loop BB125_53 Depth 2
	;; [unrolled: 1-line block ×16, first 2 shown]
	ds_load_b128 v[2:5], v13 offset:5120
	s_waitcnt lgkmcnt(0)
	v_readfirstlane_b32 s61, v3
	v_readfirstlane_b32 s60, v2
	s_delay_alu instid0(VALU_DEP_1)
	s_cmp_lg_u64 s[60:61], 0
	s_cbranch_scc1 .LBB125_60
; %bb.28:                               ;   in Loop: Header=BB125_27 Depth=1
	s_and_b32 vcc_lo, exec_lo, s49
	s_cbranch_vccz .LBB125_43
; %bb.29:                               ;   in Loop: Header=BB125_27 Depth=1
	v_cmp_gt_u64_e32 vcc_lo, 0x301, v[4:5]
	s_mov_b32 s6, 0
	s_mov_b32 s4, 0
	s_cbranch_vccz .LBB125_44
; %bb.30:                               ;   in Loop: Header=BB125_27 Depth=1
	v_mov_b32_e32 v4, 0
	s_and_saveexec_b32 s4, s2
	s_cbranch_execz .LBB125_32
; %bb.31:                               ;   in Loop: Header=BB125_27 Depth=1
	global_load_b32 v4, v[14:15], off
.LBB125_32:                             ;   in Loop: Header=BB125_27 Depth=1
	s_or_b32 exec_lo, exec_lo, s4
	s_and_saveexec_b32 s7, s2
	s_cbranch_execz .LBB125_45
; %bb.33:                               ;   in Loop: Header=BB125_27 Depth=1
	global_load_u16 v2, v13, s[58:59]
	s_mov_b32 s8, 0
	s_waitcnt vmcnt(0)
	v_and_b32_e32 v5, 0xffff, v2
	v_dual_mov_b32 v3, v1 :: v_dual_mov_b32 v2, v0
	s_branch .LBB125_35
.LBB125_34:                             ;   in Loop: Header=BB125_35 Depth=2
	s_or_b32 exec_lo, exec_lo, s5
	s_waitcnt vmcnt(0)
	v_mov_b32_e32 v4, v6
	s_and_not1_b32 exec_lo, exec_lo, s8
	s_cbranch_execz .LBB125_45
.LBB125_35:                             ;   Parent Loop BB125_27 Depth=1
                                        ; =>  This Inner Loop Header: Depth=2
	s_delay_alu instid0(VALU_DEP_1) | instskip(NEXT) | instid1(VALU_DEP_2)
	v_add_co_u32 v2, vcc_lo, v2, v5
	v_add_co_ci_u32_e32 v3, vcc_lo, 0, v3, vcc_lo
	s_waitcnt lgkmcnt(0)
	v_dual_mov_b32 v7, 0 :: v_dual_mov_b32 v6, 0
	s_mov_b32 s5, exec_lo
	s_delay_alu instid0(VALU_DEP_2)
	v_cmp_le_u64_e32 vcc_lo, s[24:25], v[2:3]
	v_cmpx_gt_u64_e64 s[24:25], v[2:3]
	s_cbranch_execz .LBB125_37
; %bb.36:                               ;   in Loop: Header=BB125_35 Depth=2
	v_mul_lo_u32 v6, v3, s42
	v_mul_lo_u32 v12, v2, s43
	v_mad_u64_u32 v[8:9], null, v2, s42, 0
	s_delay_alu instid0(VALU_DEP_1) | instskip(NEXT) | instid1(VALU_DEP_1)
	v_add3_u32 v9, v9, v12, v6
	v_lshlrev_b64 v[8:9], 2, v[8:9]
	s_delay_alu instid0(VALU_DEP_1) | instskip(NEXT) | instid1(VALU_DEP_1)
	v_add_co_u32 v8, s4, s33, v8
	v_add_co_ci_u32_e64 v9, s4, s35, v9, s4
	global_load_b32 v6, v[8:9], off
.LBB125_37:                             ;   in Loop: Header=BB125_35 Depth=2
	s_or_b32 exec_lo, exec_lo, s5
	v_cmp_lt_i32_e64 s4, -1, v4
	s_delay_alu instid0(VALU_DEP_1) | instskip(SKIP_1) | instid1(VALU_DEP_2)
	v_cndmask_b32_e64 v8, -1, 0x80000000, s4
	v_cmp_o_f32_e64 s4, v4, v4
	v_xor_b32_e32 v8, v8, v4
	s_delay_alu instid0(VALU_DEP_1) | instskip(NEXT) | instid1(VALU_DEP_1)
	v_cndmask_b32_e64 v8, -1, v8, s4
	v_and_b32_e32 v8, s90, v8
	s_delay_alu instid0(VALU_DEP_1) | instskip(NEXT) | instid1(VALU_DEP_1)
	v_cmp_eq_u32_e64 s4, s89, v8
	s_cmp_lg_u32 s4, 0
	s_cselect_b32 s5, -1, 0
	s_delay_alu instid0(SALU_CYCLE_1) | instskip(NEXT) | instid1(SALU_CYCLE_1)
	s_and_b32 s5, s1, s5
	s_and_saveexec_b32 s9, s5
	s_cbranch_execz .LBB125_41
; %bb.38:                               ;   in Loop: Header=BB125_35 Depth=2
	s_mov_b32 s12, exec_lo
	s_bcnt1_i32_b32 s10, s4
	v_mbcnt_lo_u32_b32 v7, s12, 0
	s_mov_b32 s11, exec_lo
                                        ; implicit-def: $vgpr8
	s_delay_alu instid0(VALU_DEP_1)
	v_cmpx_eq_u32_e32 0, v7
	s_cbranch_execz .LBB125_40
; %bb.39:                               ;   in Loop: Header=BB125_35 Depth=2
	s_bcnt1_i32_b32 s5, s12
	s_delay_alu instid0(SALU_CYCLE_1) | instskip(NEXT) | instid1(SALU_CYCLE_1)
	s_mul_i32 s5, s10, s5
	v_mov_b32_e32 v8, s5
	ds_add_rtn_u32 v8, v13, v8 offset:5144
.LBB125_40:                             ;   in Loop: Header=BB125_35 Depth=2
	s_or_b32 exec_lo, exec_lo, s11
	s_waitcnt lgkmcnt(0)
	v_readfirstlane_b32 s5, v8
	s_delay_alu instid0(VALU_DEP_1)
	v_mad_u32_u24 v7, s10, v7, s5
.LBB125_41:                             ;   in Loop: Header=BB125_35 Depth=2
	s_or_b32 exec_lo, exec_lo, s9
	ds_bpermute_b32 v7, v13, v7
	s_and_b32 s5, exec_lo, vcc_lo
	s_delay_alu instid0(SALU_CYCLE_1)
	s_or_b32 s8, s5, s8
	s_and_saveexec_b32 s5, s4
	s_cbranch_execz .LBB125_34
; %bb.42:                               ;   in Loop: Header=BB125_35 Depth=2
	v_and_b32_e32 v8, s4, v26
	s_delay_alu instid0(VALU_DEP_1) | instskip(NEXT) | instid1(VALU_DEP_1)
	v_bcnt_u32_b32 v8, v8, 0
	v_lshlrev_b32_e32 v8, 2, v8
	s_waitcnt lgkmcnt(0)
	s_delay_alu instid0(VALU_DEP_1)
	v_lshl_add_u32 v7, v7, 2, v8
	ds_store_b32 v7, v4
	s_branch .LBB125_34
.LBB125_43:                             ;   in Loop: Header=BB125_27 Depth=1
	s_mov_b32 s4, 0
                                        ; implicit-def: $sgpr60_sgpr61
	s_cbranch_execnz .LBB125_48
	s_branch .LBB125_58
.LBB125_44:                             ;   in Loop: Header=BB125_27 Depth=1
	s_mov_b64 s[60:61], 0
	s_and_b32 vcc_lo, exec_lo, s6
	s_cbranch_vccnz .LBB125_48
	s_branch .LBB125_58
.LBB125_45:                             ;   in Loop: Header=BB125_27 Depth=1
	s_or_b32 exec_lo, exec_lo, s7
	s_waitcnt vmcnt(0) lgkmcnt(0)
	s_barrier
	buffer_gl0_inv
	s_and_saveexec_b32 s4, s3
	s_cbranch_execz .LBB125_47
; %bb.46:                               ;   in Loop: Header=BB125_27 Depth=1
	ds_load_b32 v2, v13 offset:5144
	s_waitcnt lgkmcnt(0)
	v_ashrrev_i32_e32 v3, 31, v2
	ds_store_b64 v13, v[2:3] offset:5120
.LBB125_47:                             ;   in Loop: Header=BB125_27 Depth=1
	s_or_b32 exec_lo, exec_lo, s4
	s_waitcnt lgkmcnt(0)
	s_mov_b32 s4, -1
	s_barrier
	s_mov_b64 s[60:61], 0
	s_and_b32 vcc_lo, exec_lo, s6
	s_cbranch_vccz .LBB125_58
.LBB125_48:                             ;   in Loop: Header=BB125_27 Depth=1
	v_mov_b32_e32 v4, 0
	s_and_saveexec_b32 s4, s2
	s_cbranch_execz .LBB125_50
; %bb.49:                               ;   in Loop: Header=BB125_27 Depth=1
	global_load_b32 v4, v[14:15], off
.LBB125_50:                             ;   in Loop: Header=BB125_27 Depth=1
	s_or_b32 exec_lo, exec_lo, s4
	s_and_saveexec_b32 s5, s2
	s_cbranch_execz .LBB125_55
; %bb.51:                               ;   in Loop: Header=BB125_27 Depth=1
	global_load_u16 v2, v13, s[58:59]
	s_mov_b32 s6, 0
	s_waitcnt vmcnt(0)
	v_dual_mov_b32 v6, v10 :: v_dual_and_b32 v5, 0xffff, v2
	v_dual_mov_b32 v3, v1 :: v_dual_mov_b32 v2, v0
	s_delay_alu instid0(VALU_DEP_2)
	v_lshlrev_b32_e32 v7, 2, v5
	s_set_inst_prefetch_distance 0x1
	s_branch .LBB125_53
	.p2align	6
.LBB125_52:                             ;   in Loop: Header=BB125_53 Depth=2
	s_or_b32 exec_lo, exec_lo, s7
	ds_store_b32 v6, v4
	v_add_nc_u32_e32 v6, v6, v7
	s_waitcnt vmcnt(0)
	v_mov_b32_e32 v4, v8
	s_and_b32 s4, exec_lo, vcc_lo
	s_delay_alu instid0(SALU_CYCLE_1) | instskip(NEXT) | instid1(SALU_CYCLE_1)
	s_or_b32 s6, s4, s6
	s_and_not1_b32 exec_lo, exec_lo, s6
	s_cbranch_execz .LBB125_55
.LBB125_53:                             ;   Parent Loop BB125_27 Depth=1
                                        ; =>  This Inner Loop Header: Depth=2
	s_delay_alu instid0(VALU_DEP_2) | instskip(SKIP_3) | instid1(VALU_DEP_2)
	v_add_co_u32 v2, vcc_lo, v2, v5
	v_add_co_ci_u32_e32 v3, vcc_lo, 0, v3, vcc_lo
	v_mov_b32_e32 v8, 0
	s_mov_b32 s7, exec_lo
	v_cmp_le_u64_e32 vcc_lo, s[24:25], v[2:3]
	v_cmpx_gt_u64_e64 s[24:25], v[2:3]
	s_cbranch_execz .LBB125_52
; %bb.54:                               ;   in Loop: Header=BB125_53 Depth=2
	v_mul_lo_u32 v12, v3, s42
	v_mul_lo_u32 v17, v2, s43
	v_mad_u64_u32 v[8:9], null, v2, s42, 0
	s_delay_alu instid0(VALU_DEP_1) | instskip(NEXT) | instid1(VALU_DEP_1)
	v_add3_u32 v9, v9, v17, v12
	v_lshlrev_b64 v[8:9], 2, v[8:9]
	s_delay_alu instid0(VALU_DEP_1) | instskip(NEXT) | instid1(VALU_DEP_1)
	v_add_co_u32 v8, s4, s33, v8
	v_add_co_ci_u32_e64 v9, s4, s35, v9, s4
	global_load_b32 v8, v[8:9], off
	s_branch .LBB125_52
.LBB125_55:                             ;   in Loop: Header=BB125_27 Depth=1
	s_set_inst_prefetch_distance 0x2
	s_or_b32 exec_lo, exec_lo, s5
	s_waitcnt vmcnt(0) lgkmcnt(0)
	s_barrier
	buffer_gl0_inv
	s_and_saveexec_b32 s4, s3
	s_cbranch_execz .LBB125_57
; %bb.56:                               ;   in Loop: Header=BB125_27 Depth=1
	v_dual_mov_b32 v2, s24 :: v_dual_mov_b32 v3, s25
	ds_store_b64 v13, v[2:3] offset:5120
.LBB125_57:                             ;   in Loop: Header=BB125_27 Depth=1
	s_or_b32 exec_lo, exec_lo, s4
	s_mov_b32 s4, -1
	s_waitcnt lgkmcnt(0)
	s_barrier
                                        ; implicit-def: $sgpr60_sgpr61
.LBB125_58:                             ;   in Loop: Header=BB125_27 Depth=1
	s_and_b32 vcc_lo, exec_lo, s4
	s_cbranch_vccz .LBB125_60
; %bb.59:                               ;   in Loop: Header=BB125_27 Depth=1
	buffer_gl0_inv
	ds_load_b64 v[2:3], v13 offset:5120
	s_waitcnt lgkmcnt(0)
	v_readfirstlane_b32 s60, v2
.LBB125_60:                             ;   in Loop: Header=BB125_27 Depth=1
	s_delay_alu instid0(VALU_DEP_1)
	s_cmp_lt_i32 s60, 1
	s_cbranch_scc0 .LBB125_75
; %bb.61:                               ;   in Loop: Header=BB125_27 Depth=1
	global_load_u16 v17, v13, s[58:59]
	s_mov_b32 s5, s25
	s_waitcnt vmcnt(0)
	v_readfirstlane_b32 s4, v17
	s_delay_alu instid0(VALU_DEP_1)
	s_and_b32 s6, 0xffff, s4
	s_mov_b32 s4, s55
	s_lshl_b32 s54, s6, 2
	s_cmp_lg_u64 s[4:5], 0
	s_cbranch_scc0 .LBB125_95
; %bb.62:                               ;   in Loop: Header=BB125_27 Depth=1
	v_cvt_f32_u32_e32 v2, s54
	s_sub_u32 s6, 0, s54
	s_subb_u32 s7, 0, 0
	s_delay_alu instid0(VALU_DEP_1) | instskip(NEXT) | instid1(VALU_DEP_1)
	v_fmac_f32_e64 v2, 0, 0x4f800000
	v_rcp_f32_e32 v2, v2
	s_waitcnt_depctr 0xfff
	v_mul_f32_e32 v2, 0x5f7ffffc, v2
	s_delay_alu instid0(VALU_DEP_1) | instskip(NEXT) | instid1(VALU_DEP_1)
	v_mul_f32_e32 v3, 0x2f800000, v2
	v_trunc_f32_e32 v3, v3
	s_delay_alu instid0(VALU_DEP_1) | instskip(SKIP_1) | instid1(VALU_DEP_2)
	v_fmac_f32_e32 v2, 0xcf800000, v3
	v_cvt_u32_f32_e32 v3, v3
	v_cvt_u32_f32_e32 v2, v2
	s_delay_alu instid0(VALU_DEP_2) | instskip(NEXT) | instid1(VALU_DEP_2)
	v_readfirstlane_b32 s4, v3
	v_readfirstlane_b32 s5, v2
	s_delay_alu instid0(VALU_DEP_2) | instskip(NEXT) | instid1(VALU_DEP_1)
	s_mul_i32 s8, s6, s4
	s_mul_hi_u32 s10, s6, s5
	s_mul_i32 s9, s7, s5
	s_add_i32 s8, s10, s8
	s_mul_i32 s11, s6, s5
	s_add_i32 s8, s8, s9
	s_mul_hi_u32 s10, s5, s11
	s_mul_hi_u32 s12, s4, s11
	s_mul_i32 s9, s4, s11
	s_mul_hi_u32 s11, s5, s8
	s_mul_i32 s5, s5, s8
	s_mul_hi_u32 s13, s4, s8
	s_add_u32 s5, s10, s5
	s_addc_u32 s10, 0, s11
	s_add_u32 s5, s5, s9
	s_mul_i32 s8, s4, s8
	s_addc_u32 s5, s10, s12
	s_addc_u32 s9, s13, 0
	s_add_u32 s5, s5, s8
	s_addc_u32 s8, 0, s9
	v_add_co_u32 v2, s5, v2, s5
	s_delay_alu instid0(VALU_DEP_1) | instskip(SKIP_1) | instid1(VALU_DEP_1)
	s_cmp_lg_u32 s5, 0
	s_addc_u32 s4, s4, s8
	v_readfirstlane_b32 s5, v2
	s_mul_i32 s8, s6, s4
	s_delay_alu instid0(VALU_DEP_1)
	s_mul_hi_u32 s9, s6, s5
	s_mul_i32 s7, s7, s5
	s_add_i32 s8, s9, s8
	s_mul_i32 s6, s6, s5
	s_add_i32 s8, s8, s7
	s_mul_hi_u32 s9, s4, s6
	s_mul_i32 s10, s4, s6
	s_mul_hi_u32 s6, s5, s6
	s_mul_hi_u32 s11, s5, s8
	s_mul_i32 s5, s5, s8
	s_mul_hi_u32 s7, s4, s8
	s_add_u32 s5, s6, s5
	s_addc_u32 s6, 0, s11
	s_add_u32 s5, s5, s10
	s_mul_i32 s8, s4, s8
	s_addc_u32 s5, s6, s9
	s_addc_u32 s6, s7, 0
	s_add_u32 s5, s5, s8
	s_addc_u32 s6, 0, s6
	v_add_co_u32 v2, s5, v2, s5
	s_delay_alu instid0(VALU_DEP_1) | instskip(SKIP_1) | instid1(VALU_DEP_1)
	s_cmp_lg_u32 s5, 0
	s_addc_u32 s4, s4, s6
	v_readfirstlane_b32 s5, v2
	s_mul_i32 s7, s24, s4
	s_mul_hi_u32 s6, s24, s4
	s_mul_hi_u32 s8, s25, s4
	s_mul_i32 s4, s25, s4
	s_mul_hi_u32 s9, s24, s5
	s_mul_hi_u32 s10, s25, s5
	s_mul_i32 s5, s25, s5
	s_add_u32 s7, s9, s7
	s_addc_u32 s6, 0, s6
	s_add_u32 s5, s7, s5
	s_addc_u32 s5, s6, s10
	s_addc_u32 s6, s8, 0
	s_add_u32 s4, s5, s4
	s_addc_u32 s5, 0, s6
	s_mul_hi_u32 s6, s54, s4
	s_mul_i32 s4, s54, s4
	s_mul_i32 s5, s54, s5
	v_sub_co_u32 v2, s4, s24, s4
	s_add_i32 s6, s6, s5
	s_cmp_lg_u32 s4, 0
	s_delay_alu instid0(VALU_DEP_1) | instskip(SKIP_2) | instid1(VALU_DEP_1)
	v_sub_co_u32 v3, s4, v2, s54
	s_subb_u32 s5, s25, s6
	s_cmp_lg_u32 s4, 0
	v_cmp_le_u32_e32 vcc_lo, s54, v3
	v_sub_co_u32 v4, s4, v3, s54
	s_subb_u32 s6, s5, 0
	s_cmp_lg_u32 s4, 0
	v_cndmask_b32_e64 v5, 0, -1, vcc_lo
	s_subb_u32 s4, s6, 0
	s_cmp_eq_u32 s6, 0
	v_mov_b32_e32 v7, s4
	s_cselect_b32 vcc_lo, -1, 0
	s_cmp_eq_u32 s5, 0
	v_cndmask_b32_e32 v5, -1, v5, vcc_lo
	v_cmp_le_u32_e32 vcc_lo, s54, v2
	s_cselect_b32 s4, -1, 0
	v_cndmask_b32_e64 v6, 0, -1, vcc_lo
	s_delay_alu instid0(VALU_DEP_3) | instskip(NEXT) | instid1(VALU_DEP_2)
	v_cmp_ne_u32_e32 vcc_lo, 0, v5
	v_cndmask_b32_e64 v5, -1, v6, s4
	v_cndmask_b32_e32 v6, s6, v7, vcc_lo
	v_cndmask_b32_e32 v4, v3, v4, vcc_lo
	s_delay_alu instid0(VALU_DEP_3) | instskip(NEXT) | instid1(VALU_DEP_3)
	v_cmp_ne_u32_e32 vcc_lo, 0, v5
	v_cndmask_b32_e32 v3, s5, v6, vcc_lo
	s_delay_alu instid0(VALU_DEP_3)
	v_cndmask_b32_e32 v2, v2, v4, vcc_lo
	s_cbranch_execnz .LBB125_64
.LBB125_63:                             ;   in Loop: Header=BB125_27 Depth=1
	v_cvt_f32_u32_e32 v2, s54
	s_sub_i32 s4, 0, s54
	s_delay_alu instid0(VALU_DEP_1) | instskip(SKIP_2) | instid1(VALU_DEP_1)
	v_rcp_iflag_f32_e32 v2, v2
	s_waitcnt_depctr 0xfff
	v_mul_f32_e32 v2, 0x4f7ffffe, v2
	v_cvt_u32_f32_e32 v2, v2
	s_delay_alu instid0(VALU_DEP_1) | instskip(NEXT) | instid1(VALU_DEP_1)
	v_mul_lo_u32 v3, s4, v2
	v_mul_hi_u32 v3, v2, v3
	s_delay_alu instid0(VALU_DEP_1) | instskip(NEXT) | instid1(VALU_DEP_1)
	v_add_nc_u32_e32 v2, v2, v3
	v_mul_hi_u32 v2, s24, v2
	s_delay_alu instid0(VALU_DEP_1) | instskip(NEXT) | instid1(VALU_DEP_1)
	v_mul_lo_u32 v2, v2, s54
	v_sub_nc_u32_e32 v2, s24, v2
	s_delay_alu instid0(VALU_DEP_1) | instskip(SKIP_1) | instid1(VALU_DEP_2)
	v_subrev_nc_u32_e32 v3, s54, v2
	v_cmp_le_u32_e32 vcc_lo, s54, v2
	v_cndmask_b32_e32 v2, v2, v3, vcc_lo
	s_delay_alu instid0(VALU_DEP_1) | instskip(SKIP_1) | instid1(VALU_DEP_2)
	v_subrev_nc_u32_e32 v3, s54, v2
	v_cmp_le_u32_e32 vcc_lo, s54, v2
	v_cndmask_b32_e32 v12, v2, v3, vcc_lo
	s_delay_alu instid0(VALU_DEP_1)
	v_dual_mov_b32 v2, v12 :: v_dual_mov_b32 v3, v13
.LBB125_64:                             ;   in Loop: Header=BB125_27 Depth=1
	s_delay_alu instid0(VALU_DEP_1) | instskip(NEXT) | instid1(VALU_DEP_2)
	v_sub_co_u32 v19, vcc_lo, s24, v2
	v_sub_co_ci_u32_e32 v20, vcc_lo, s25, v3, vcc_lo
	v_mov_b32_e32 v2, 0
	v_mov_b32_e32 v3, 0
	s_mov_b64 s[22:23], 0
	s_mov_b32 s56, exec_lo
	s_delay_alu instid0(VALU_DEP_1)
	v_dual_mov_b32 v5, v3 :: v_dual_mov_b32 v4, v2
	v_dual_mov_b32 v7, v3 :: v_dual_mov_b32 v6, v2
	;; [unrolled: 1-line block ×3, first 2 shown]
	v_cmpx_gt_u64_e64 v[19:20], v[10:11]
	s_cbranch_execz .LBB125_68
; %bb.65:                               ;   in Loop: Header=BB125_27 Depth=1
	v_dual_mov_b32 v22, v11 :: v_dual_mov_b32 v21, v10
	s_and_b32 s68, s84, 0xfe
	s_mov_b32 s61, 0
	s_mov_b64 s[62:63], 0
	s_mov_b64 s[64:65], 0
	;; [unrolled: 1-line block ×3, first 2 shown]
.LBB125_66:                             ;   Parent Loop BB125_27 Depth=1
                                        ; =>  This Inner Loop Header: Depth=2
	v_mul_lo_u32 v4, v22, s42
	v_mul_lo_u32 v5, v21, s43
	v_mad_u64_u32 v[2:3], null, v21, s42, 0
	s_lshl_b64 s[4:5], s[42:43], 2
	s_delay_alu instid0(VALU_DEP_1) | instskip(NEXT) | instid1(VALU_DEP_1)
	v_add3_u32 v3, v3, v5, v4
	v_lshlrev_b64 v[2:3], 2, v[2:3]
	s_delay_alu instid0(VALU_DEP_1) | instskip(NEXT) | instid1(VALU_DEP_2)
	v_add_co_u32 v2, vcc_lo, s33, v2
	v_add_co_ci_u32_e32 v3, vcc_lo, s35, v3, vcc_lo
	s_delay_alu instid0(VALU_DEP_2) | instskip(NEXT) | instid1(VALU_DEP_2)
	v_add_co_u32 v4, vcc_lo, v2, s4
	v_add_co_ci_u32_e32 v5, vcc_lo, s5, v3, vcc_lo
	global_load_b32 v6, v[2:3], off
	v_add_co_u32 v2, vcc_lo, v4, s4
	v_add_co_ci_u32_e32 v3, vcc_lo, s5, v5, vcc_lo
	s_clause 0x1
	global_load_b32 v4, v[4:5], off
	global_load_b32 v5, v[2:3], off
	v_add_co_u32 v2, vcc_lo, v2, s4
	v_add_co_ci_u32_e32 v3, vcc_lo, s5, v3, vcc_lo
	v_add_co_u32 v21, vcc_lo, v21, s54
	v_add_co_ci_u32_e32 v22, vcc_lo, 0, v22, vcc_lo
	global_load_b32 v2, v[2:3], off
	v_cmp_ge_u64_e32 vcc_lo, v[21:22], v[19:20]
	s_waitcnt vmcnt(3)
	v_cmp_lt_i32_e64 s4, -1, v6
	s_delay_alu instid0(VALU_DEP_1)
	v_cndmask_b32_e64 v3, -1, 0x80000000, s4
	s_waitcnt vmcnt(2)
	v_cmp_lt_i32_e64 s4, -1, v4
	s_waitcnt vmcnt(1)
	v_cmp_lt_i32_e64 s5, -1, v5
	v_xor_b32_e32 v3, v3, v6
	s_delay_alu instid0(VALU_DEP_3) | instskip(SKIP_3) | instid1(VALU_DEP_3)
	v_cndmask_b32_e64 v7, -1, 0x80000000, s4
	v_cmp_o_f32_e64 s4, v6, v6
	s_waitcnt vmcnt(0)
	v_cmp_o_f32_e64 s9, v2, v2
	v_xor_b32_e32 v6, v7, v4
	s_delay_alu instid0(VALU_DEP_3) | instskip(SKIP_2) | instid1(VALU_DEP_3)
	v_cndmask_b32_e64 v3, -1, v3, s4
	v_cmp_o_f32_e64 s4, v4, v4
	v_cndmask_b32_e64 v7, -1, 0x80000000, s5
	v_and_b32_e32 v8, s90, v3
	s_delay_alu instid0(VALU_DEP_3) | instskip(SKIP_1) | instid1(VALU_DEP_4)
	v_cndmask_b32_e64 v4, -1, v6, s4
	v_cmp_lt_i32_e64 s4, -1, v2
	v_xor_b32_e32 v6, v7, v5
	v_bfe_u32 v3, v3, s68, 2
	s_delay_alu instid0(VALU_DEP_3) | instskip(SKIP_1) | instid1(VALU_DEP_3)
	v_cndmask_b32_e64 v7, -1, 0x80000000, s4
	v_cmp_o_f32_e64 s4, v5, v5
	v_cmp_eq_u32_e64 s5, 0, v3
	v_cmp_eq_u32_e64 s6, 1, v3
	;; [unrolled: 1-line block ×4, first 2 shown]
	v_cndmask_b32_e64 v5, -1, v6, s4
	v_xor_b32_e32 v6, v7, v2
	v_cmp_eq_u32_e64 s4, s89, v8
	v_and_b32_e32 v7, s90, v4
	v_bfe_u32 v4, v4, s68, 2
	v_and_b32_e32 v3, s90, v5
	v_cndmask_b32_e64 v2, -1, v6, s9
	v_bfe_u32 v5, v5, s68, 2
	v_cmp_eq_u32_e64 s9, s89, v7
	v_cmp_eq_u32_e64 s10, 0, v4
	s_and_b32 s5, s4, s5
	v_cmp_eq_u32_e64 s13, s89, v3
	v_cndmask_b32_e64 v6, 0, 1, s5
	v_and_b32_e32 v3, s90, v2
	v_bfe_u32 v2, v2, s68, 2
	v_cmp_eq_u32_e64 s14, 0, v5
	s_and_b32 s10, s9, s10
	v_cmp_eq_u32_e64 s5, 1, v4
	v_cmp_eq_u32_e64 s11, 2, v4
	;; [unrolled: 1-line block ×3, first 2 shown]
	v_cmp_ne_u32_e64 s15, 0, v6
	v_cndmask_b32_e64 v4, 0, 1, s10
	v_cmp_eq_u32_e64 s18, s89, v3
	v_cmp_eq_u32_e64 s19, 0, v2
	s_and_b32 s14, s13, s14
	s_bcnt1_i32_b32 s69, s15
	v_cmp_ne_u32_e64 s15, 0, v4
	v_cndmask_b32_e64 v3, 0, 1, s14
	s_and_b32 s19, s18, s19
	v_cmp_eq_u32_e64 s14, 1, v2
	v_cmp_eq_u32_e64 s20, 2, v2
	v_cmp_eq_u32_e64 s21, 3, v2
	v_cndmask_b32_e64 v2, 0, 1, s19
	s_bcnt1_i32_b32 s19, s15
	v_cmp_ne_u32_e64 s15, 0, v3
	s_add_i32 s69, s19, s69
	v_cmp_eq_u32_e64 s10, 1, v5
	v_cmp_ne_u32_e64 s19, 0, v2
	v_cmp_eq_u32_e64 s16, 2, v5
	s_bcnt1_i32_b32 s15, s15
	v_cmp_eq_u32_e64 s17, 3, v5
	s_add_i32 s15, s69, s15
	s_bcnt1_i32_b32 s19, s19
	s_delay_alu instid0(SALU_CYCLE_1) | instskip(NEXT) | instid1(SALU_CYCLE_1)
	s_add_i32 s15, s15, s19
	s_add_u32 s66, s66, s15
	s_addc_u32 s67, s67, 0
	s_and_b32 s6, s4, s6
	s_and_b32 s5, s9, s5
	v_cndmask_b32_e64 v2, 0, 1, s6
	v_cndmask_b32_e64 v3, 0, 1, s5
	s_and_b32 s5, s13, s10
	s_delay_alu instid0(SALU_CYCLE_1) | instskip(SKIP_1) | instid1(VALU_DEP_2)
	v_cndmask_b32_e64 v4, 0, 1, s5
	s_and_b32 s5, s18, s14
	v_cmp_ne_u32_e64 s6, 0, v3
	v_cndmask_b32_e64 v5, 0, 1, s5
	v_cmp_ne_u32_e64 s5, 0, v2
	v_cmp_ne_u32_e64 s10, 0, v4
	s_delay_alu instid0(VALU_DEP_4) | instskip(NEXT) | instid1(VALU_DEP_3)
	s_bcnt1_i32_b32 s6, s6
	v_cmp_ne_u32_e64 s14, 0, v5
	s_delay_alu instid0(VALU_DEP_3) | instskip(NEXT) | instid1(VALU_DEP_2)
	s_bcnt1_i32_b32 s5, s5
	s_bcnt1_i32_b32 s10, s10
	s_add_i32 s5, s6, s5
	s_delay_alu instid0(VALU_DEP_1) | instskip(SKIP_1) | instid1(SALU_CYCLE_1)
	s_bcnt1_i32_b32 s14, s14
	s_add_i32 s5, s5, s10
	s_add_i32 s5, s5, s14
	s_delay_alu instid0(SALU_CYCLE_1) | instskip(SKIP_2) | instid1(SALU_CYCLE_1)
	s_add_u32 s64, s64, s5
	s_addc_u32 s65, s65, 0
	s_and_b32 s5, s4, s7
	v_cndmask_b32_e64 v2, 0, 1, s5
	s_and_b32 s5, s9, s11
	s_delay_alu instid0(SALU_CYCLE_1) | instskip(SKIP_1) | instid1(SALU_CYCLE_1)
	v_cndmask_b32_e64 v3, 0, 1, s5
	s_and_b32 s5, s13, s16
	v_cndmask_b32_e64 v4, 0, 1, s5
	s_and_b32 s5, s18, s20
	s_delay_alu instid0(VALU_DEP_2) | instskip(SKIP_3) | instid1(VALU_DEP_4)
	v_cmp_ne_u32_e64 s6, 0, v3
	v_cndmask_b32_e64 v5, 0, 1, s5
	v_cmp_ne_u32_e64 s5, 0, v2
	v_cmp_ne_u32_e64 s7, 0, v4
	s_bcnt1_i32_b32 s6, s6
	s_delay_alu instid0(VALU_DEP_3) | instskip(NEXT) | instid1(VALU_DEP_3)
	v_cmp_ne_u32_e64 s10, 0, v5
	s_bcnt1_i32_b32 s5, s5
	s_delay_alu instid0(VALU_DEP_2) | instskip(SKIP_1) | instid1(VALU_DEP_1)
	s_bcnt1_i32_b32 s7, s7
	s_add_i32 s5, s6, s5
	s_bcnt1_i32_b32 s10, s10
	s_add_i32 s5, s5, s7
	s_delay_alu instid0(SALU_CYCLE_1) | instskip(NEXT) | instid1(SALU_CYCLE_1)
	s_add_i32 s5, s5, s10
	s_add_u32 s62, s62, s5
	s_addc_u32 s63, s63, 0
	v_mov_b32_e32 v6, s62
	s_and_b32 s4, s4, s8
	v_mov_b32_e32 v7, s63
	v_cndmask_b32_e64 v2, 0, 1, s4
	s_and_b32 s4, s9, s12
	s_delay_alu instid0(SALU_CYCLE_1) | instskip(SKIP_1) | instid1(SALU_CYCLE_1)
	v_cndmask_b32_e64 v3, 0, 1, s4
	s_and_b32 s4, s13, s17
	v_cndmask_b32_e64 v4, 0, 1, s4
	s_and_b32 s4, s18, s21
	s_delay_alu instid0(VALU_DEP_2)
	v_cmp_ne_u32_e64 s5, 0, v3
	v_cndmask_b32_e64 v5, 0, 1, s4
	v_cmp_ne_u32_e64 s4, 0, v2
	v_cmp_ne_u32_e64 s6, 0, v4
	v_mov_b32_e32 v2, s66
	s_bcnt1_i32_b32 s5, s5
	v_cmp_ne_u32_e64 s7, 0, v5
	s_bcnt1_i32_b32 s4, s4
	s_bcnt1_i32_b32 s6, s6
	s_add_i32 s4, s5, s4
	v_mov_b32_e32 v4, s64
	s_bcnt1_i32_b32 s5, s7
	s_add_i32 s4, s4, s6
	v_mov_b32_e32 v3, s67
	s_add_i32 s4, s4, s5
	s_delay_alu instid0(SALU_CYCLE_1) | instskip(SKIP_4) | instid1(SALU_CYCLE_1)
	s_add_u32 s22, s22, s4
	s_addc_u32 s23, s23, 0
	v_dual_mov_b32 v5, s65 :: v_dual_mov_b32 v8, s22
	v_mov_b32_e32 v9, s23
	s_or_b32 s61, vcc_lo, s61
	s_and_not1_b32 exec_lo, exec_lo, s61
	s_cbranch_execnz .LBB125_66
; %bb.67:                               ;   in Loop: Header=BB125_27 Depth=1
	s_or_b32 exec_lo, exec_lo, s61
.LBB125_68:                             ;   in Loop: Header=BB125_27 Depth=1
	s_delay_alu instid0(SALU_CYCLE_1) | instskip(SKIP_3) | instid1(VALU_DEP_2)
	s_or_b32 exec_lo, exec_lo, s56
	v_add_co_u32 v19, vcc_lo, v19, v0
	v_add_co_ci_u32_e32 v20, vcc_lo, 0, v20, vcc_lo
	v_dual_mov_b32 v21, 0 :: v_dual_and_b32 v12, 0xffff, v17
	v_cmp_gt_u64_e32 vcc_lo, s[24:25], v[19:20]
	s_and_saveexec_b32 s5, vcc_lo
	s_cbranch_execz .LBB125_70
; %bb.69:                               ;   in Loop: Header=BB125_27 Depth=1
	v_mul_lo_u32 v17, v20, s42
	v_mul_lo_u32 v29, v19, s43
	v_mad_u64_u32 v[21:22], null, v19, s42, 0
	s_delay_alu instid0(VALU_DEP_1) | instskip(NEXT) | instid1(VALU_DEP_1)
	v_add3_u32 v22, v22, v29, v17
	v_lshlrev_b64 v[21:22], 2, v[21:22]
	s_delay_alu instid0(VALU_DEP_1) | instskip(NEXT) | instid1(VALU_DEP_1)
	v_add_co_u32 v21, s4, s33, v21
	v_add_co_ci_u32_e64 v22, s4, s35, v22, s4
	global_load_b32 v21, v[21:22], off
.LBB125_70:                             ;   in Loop: Header=BB125_27 Depth=1
	s_or_b32 exec_lo, exec_lo, s5
	s_and_saveexec_b32 s8, vcc_lo
	s_cbranch_execz .LBB125_77
; %bb.71:                               ;   in Loop: Header=BB125_27 Depth=1
	s_and_b32 s10, s84, 0xfe
	s_mov_b32 s9, 0
	s_branch .LBB125_73
.LBB125_72:                             ;   in Loop: Header=BB125_73 Depth=2
	s_or_b32 exec_lo, exec_lo, s5
	s_waitcnt vmcnt(0)
	v_cmp_lt_i32_e64 s4, -1, v21
	s_and_b32 s5, exec_lo, vcc_lo
	s_delay_alu instid0(SALU_CYCLE_1) | instskip(NEXT) | instid1(VALU_DEP_1)
	s_or_b32 s9, s5, s9
	v_cndmask_b32_e64 v22, -1, 0x80000000, s4
	v_cmp_o_f32_e64 s4, v21, v21
	s_delay_alu instid0(VALU_DEP_2) | instskip(NEXT) | instid1(VALU_DEP_1)
	v_xor_b32_e32 v22, v22, v21
	v_cndmask_b32_e64 v21, -1, v22, s4
	s_delay_alu instid0(VALU_DEP_1) | instskip(SKIP_1) | instid1(VALU_DEP_2)
	v_and_b32_e32 v22, s90, v21
	v_bfe_u32 v21, v21, s10, 2
	v_cmp_eq_u32_e32 vcc_lo, s89, v22
	s_delay_alu instid0(VALU_DEP_2) | instskip(SKIP_3) | instid1(VALU_DEP_4)
	v_cmp_eq_u32_e64 s4, 0, v21
	v_cmp_eq_u32_e64 s5, 1, v21
	;; [unrolled: 1-line block ×4, first 2 shown]
	s_and_b32 s4, vcc_lo, s4
	s_delay_alu instid0(SALU_CYCLE_1) | instskip(SKIP_1) | instid1(SALU_CYCLE_1)
	v_cndmask_b32_e64 v21, 0, 1, s4
	s_and_b32 s4, vcc_lo, s5
	v_cndmask_b32_e64 v22, 0, 1, s4
	s_and_b32 s4, vcc_lo, s6
	s_delay_alu instid0(SALU_CYCLE_1)
	v_cndmask_b32_e64 v29, 0, 1, s4
	s_and_b32 s4, vcc_lo, s7
	v_cmp_ne_u32_e32 vcc_lo, 0, v21
	v_mov_b32_e32 v21, v17
	v_cndmask_b32_e64 v30, 0, 1, s4
	v_cmp_ne_u32_e64 s4, 0, v22
	v_cmp_ne_u32_e64 s5, 0, v29
	s_bcnt1_i32_b32 s7, vcc_lo
	s_delay_alu instid0(SALU_CYCLE_1) | instskip(NEXT) | instid1(VALU_DEP_3)
	v_add_co_u32 v2, vcc_lo, v2, s7
	s_bcnt1_i32_b32 s4, s4
	v_cmp_ne_u32_e64 s6, 0, v30
	v_add_co_ci_u32_e32 v3, vcc_lo, 0, v3, vcc_lo
	v_add_co_u32 v4, vcc_lo, v4, s4
	s_bcnt1_i32_b32 s5, s5
	v_add_co_ci_u32_e32 v5, vcc_lo, 0, v5, vcc_lo
	v_add_co_u32 v6, vcc_lo, v6, s5
	s_bcnt1_i32_b32 s4, s6
	v_add_co_ci_u32_e32 v7, vcc_lo, 0, v7, vcc_lo
	v_add_co_u32 v8, vcc_lo, v8, s4
	v_add_co_ci_u32_e32 v9, vcc_lo, 0, v9, vcc_lo
	s_and_not1_b32 exec_lo, exec_lo, s9
	s_cbranch_execz .LBB125_76
.LBB125_73:                             ;   Parent Loop BB125_27 Depth=1
                                        ; =>  This Inner Loop Header: Depth=2
	v_add_co_u32 v19, vcc_lo, v19, v12
	v_add_co_ci_u32_e32 v20, vcc_lo, 0, v20, vcc_lo
	v_mov_b32_e32 v17, 0
	s_mov_b32 s5, exec_lo
	s_delay_alu instid0(VALU_DEP_2)
	v_cmp_le_u64_e32 vcc_lo, s[24:25], v[19:20]
	v_cmpx_gt_u64_e64 s[24:25], v[19:20]
	s_cbranch_execz .LBB125_72
; %bb.74:                               ;   in Loop: Header=BB125_73 Depth=2
	v_mul_lo_u32 v17, v20, s42
	v_mul_lo_u32 v22, v19, s43
	v_mad_u64_u32 v[29:30], null, v19, s42, 0
	s_delay_alu instid0(VALU_DEP_1) | instskip(NEXT) | instid1(VALU_DEP_1)
	v_add3_u32 v30, v30, v22, v17
	v_lshlrev_b64 v[29:30], 2, v[29:30]
	s_delay_alu instid0(VALU_DEP_1) | instskip(NEXT) | instid1(VALU_DEP_1)
	v_add_co_u32 v29, s4, s33, v29
	v_add_co_ci_u32_e64 v30, s4, s35, v30, s4
	global_load_b32 v17, v[29:30], off
	s_branch .LBB125_72
.LBB125_75:                             ;   in Loop: Header=BB125_27 Depth=1
                                        ; implicit-def: $vgpr8_vgpr9
                                        ; implicit-def: $vgpr4_vgpr5
	s_cbranch_execnz .LBB125_78
	s_branch .LBB125_87
.LBB125_76:                             ;   in Loop: Header=BB125_27 Depth=1
	s_or_b32 exec_lo, exec_lo, s9
.LBB125_77:                             ;   in Loop: Header=BB125_27 Depth=1
	s_delay_alu instid0(SALU_CYCLE_1)
	s_or_b32 exec_lo, exec_lo, s8
	s_branch .LBB125_87
.LBB125_78:                             ;   in Loop: Header=BB125_27 Depth=1
	global_load_u16 v8, v13, s[58:59]
	s_mov_b64 s[62:63], 0
	s_mov_b32 s61, exec_lo
	s_waitcnt vmcnt(0)
	v_readfirstlane_b32 s4, v8
	v_and_b32_e32 v17, 0xffff, v8
	s_delay_alu instid0(VALU_DEP_2) | instskip(NEXT) | instid1(SALU_CYCLE_1)
	s_and_b32 s4, 0xffff, s4
	s_lshl_b32 s56, s4, 2
	s_delay_alu instid0(SALU_CYCLE_1) | instskip(SKIP_1) | instid1(VALU_DEP_1)
	v_cvt_f32_u32_e32 v2, s56
	s_sub_i32 s5, 0, s56
	v_rcp_iflag_f32_e32 v2, v2
	s_waitcnt_depctr 0xfff
	v_mul_f32_e32 v2, 0x4f7ffffe, v2
	s_delay_alu instid0(VALU_DEP_1) | instskip(NEXT) | instid1(VALU_DEP_1)
	v_cvt_u32_f32_e32 v2, v2
	v_readfirstlane_b32 s4, v2
	v_mov_b32_e32 v2, 0
	v_mov_b32_e32 v3, 0
	s_delay_alu instid0(VALU_DEP_3) | instskip(NEXT) | instid1(VALU_DEP_1)
	s_mul_i32 s5, s5, s4
	v_dual_mov_b32 v5, v3 :: v_dual_mov_b32 v4, v2
	s_mul_hi_u32 s5, s4, s5
	v_dual_mov_b32 v7, v3 :: v_dual_mov_b32 v6, v2
	s_add_i32 s4, s4, s5
	v_dual_mov_b32 v9, v3 :: v_dual_mov_b32 v8, v2
	s_mul_hi_u32 s4, s60, s4
	s_delay_alu instid0(SALU_CYCLE_1) | instskip(NEXT) | instid1(SALU_CYCLE_1)
	s_mul_i32 s4, s4, s56
	s_sub_i32 s4, s60, s4
	s_delay_alu instid0(SALU_CYCLE_1) | instskip(SKIP_2) | instid1(SALU_CYCLE_1)
	s_sub_i32 s5, s4, s56
	s_cmp_ge_u32 s4, s56
	s_cselect_b32 s4, s5, s4
	s_sub_i32 s5, s4, s56
	s_cmp_ge_u32 s4, s56
	s_cselect_b32 s4, s5, s4
	s_delay_alu instid0(SALU_CYCLE_1) | instskip(NEXT) | instid1(SALU_CYCLE_1)
	s_sub_i32 s54, s60, s4
	v_cmpx_gt_u32_e64 s54, v10
	s_cbranch_execz .LBB125_82
; %bb.79:                               ;   in Loop: Header=BB125_27 Depth=1
	v_dual_mov_b32 v21, v27 :: v_dual_lshlrev_b32 v12, 4, v17
	v_dual_mov_b32 v20, v11 :: v_dual_mov_b32 v19, v10
	s_and_b32 s91, s84, 0xfe
	s_mov_b32 s92, 0
	s_mov_b64 s[64:65], 0
	s_mov_b64 s[66:67], 0
	;; [unrolled: 1-line block ×3, first 2 shown]
.LBB125_80:                             ;   Parent Loop BB125_27 Depth=1
                                        ; =>  This Inner Loop Header: Depth=2
	ds_load_b128 v[2:5], v21
	v_add_co_u32 v19, vcc_lo, v19, s56
	v_add_co_ci_u32_e32 v20, vcc_lo, 0, v20, vcc_lo
	s_delay_alu instid0(VALU_DEP_1)
	v_cmp_le_u64_e32 vcc_lo, s[54:55], v[19:20]
	s_waitcnt lgkmcnt(0)
	v_cmp_lt_i32_e64 s4, -1, v2
	v_cmp_o_f32_e64 s7, v2, v2
	v_cmp_o_f32_e64 s5, v4, v4
	;; [unrolled: 1-line block ×3, first 2 shown]
	s_delay_alu instid0(VALU_DEP_4) | instskip(SKIP_1) | instid1(VALU_DEP_2)
	v_cndmask_b32_e64 v6, -1, 0x80000000, s4
	v_cmp_lt_i32_e64 s4, -1, v3
	v_xor_b32_e32 v6, v6, v2
	s_delay_alu instid0(VALU_DEP_2) | instskip(SKIP_1) | instid1(VALU_DEP_3)
	v_cndmask_b32_e64 v7, -1, 0x80000000, s4
	v_cmp_lt_i32_e64 s4, -1, v4
	v_cndmask_b32_e64 v2, -1, v6, s7
	s_delay_alu instid0(VALU_DEP_3) | instskip(NEXT) | instid1(VALU_DEP_3)
	v_xor_b32_e32 v7, v7, v3
	v_cndmask_b32_e64 v8, -1, 0x80000000, s4
	v_cmp_lt_i32_e64 s4, -1, v5
	s_delay_alu instid0(VALU_DEP_4) | instskip(SKIP_1) | instid1(VALU_DEP_3)
	v_and_b32_e32 v6, s90, v2
	v_bfe_u32 v2, v2, s91, 2
	v_cndmask_b32_e64 v9, -1, 0x80000000, s4
	v_cmp_o_f32_e64 s4, v3, v3
	v_xor_b32_e32 v3, v8, v4
	s_delay_alu instid0(VALU_DEP_4)
	v_cmp_eq_u32_e64 s8, 0, v2
	v_cmp_eq_u32_e64 s12, 1, v2
	v_xor_b32_e32 v4, v9, v5
	v_cndmask_b32_e64 v5, -1, v7, s4
	v_cndmask_b32_e64 v3, -1, v3, s5
	v_cmp_eq_u32_e64 s4, s89, v6
	v_cmp_eq_u32_e64 s16, 2, v2
	v_cndmask_b32_e64 v4, -1, v4, s6
	v_and_b32_e32 v7, s90, v5
	v_bfe_u32 v5, v5, s91, 2
	v_and_b32_e32 v8, s90, v3
	v_bfe_u32 v3, v3, s91, 2
	;; [unrolled: 2-line block ×3, first 2 shown]
	v_cmp_eq_u32_e64 s5, s89, v7
	v_cmp_eq_u32_e64 s9, 0, v5
	;; [unrolled: 1-line block ×4, first 2 shown]
	s_and_b32 s8, s4, s8
	v_cmp_eq_u32_e64 s7, s89, v9
	v_cmp_eq_u32_e64 s11, 0, v4
	v_cmp_eq_u32_e64 s20, 3, v2
	v_cndmask_b32_e64 v2, 0, 1, s8
	s_and_b32 s8, s5, s9
	v_cmp_eq_u32_e64 s14, 1, v3
	v_cmp_eq_u32_e64 s18, 2, v3
	v_cmp_eq_u32_e64 s22, 3, v3
	v_cndmask_b32_e64 v3, 0, 1, s8
	;; [unrolled: 5-line block ×4, first 2 shown]
	v_cmp_ne_u32_e64 s8, 0, v2
	v_cmp_ne_u32_e64 s9, 0, v3
	;; [unrolled: 1-line block ×3, first 2 shown]
	s_delay_alu instid0(VALU_DEP_4) | instskip(NEXT) | instid1(VALU_DEP_4)
	v_cmp_ne_u32_e64 s11, 0, v5
	s_bcnt1_i32_b32 s8, s8
	s_delay_alu instid0(VALU_DEP_3) | instskip(NEXT) | instid1(VALU_DEP_2)
	s_bcnt1_i32_b32 s9, s9
	s_bcnt1_i32_b32 s10, s10
	s_add_i32 s8, s9, s8
	s_bcnt1_i32_b32 s11, s11
	s_add_i32 s8, s8, s10
	s_delay_alu instid0(SALU_CYCLE_1) | instskip(NEXT) | instid1(SALU_CYCLE_1)
	s_add_i32 s8, s8, s11
	s_add_u32 s68, s68, s8
	s_addc_u32 s69, s69, 0
	s_and_b32 s8, s4, s12
	v_add_nc_u32_e32 v21, v21, v12
	v_cndmask_b32_e64 v2, 0, 1, s8
	s_and_b32 s8, s5, s13
	s_delay_alu instid0(SALU_CYCLE_1) | instskip(SKIP_1) | instid1(SALU_CYCLE_1)
	v_cndmask_b32_e64 v3, 0, 1, s8
	s_and_b32 s8, s6, s14
	v_cndmask_b32_e64 v4, 0, 1, s8
	s_and_b32 s8, s7, s15
	s_delay_alu instid0(VALU_DEP_2) | instskip(SKIP_3) | instid1(VALU_DEP_4)
	v_cmp_ne_u32_e64 s9, 0, v3
	v_cndmask_b32_e64 v5, 0, 1, s8
	v_cmp_ne_u32_e64 s8, 0, v2
	v_cmp_ne_u32_e64 s10, 0, v4
	s_bcnt1_i32_b32 s9, s9
	s_delay_alu instid0(VALU_DEP_3) | instskip(NEXT) | instid1(VALU_DEP_3)
	v_cmp_ne_u32_e64 s11, 0, v5
	s_bcnt1_i32_b32 s8, s8
	s_delay_alu instid0(VALU_DEP_2) | instskip(SKIP_1) | instid1(VALU_DEP_1)
	s_bcnt1_i32_b32 s10, s10
	s_add_i32 s8, s9, s8
	s_bcnt1_i32_b32 s11, s11
	s_add_i32 s8, s8, s10
	s_delay_alu instid0(SALU_CYCLE_1) | instskip(NEXT) | instid1(SALU_CYCLE_1)
	s_add_i32 s8, s8, s11
	s_add_u32 s66, s66, s8
	s_addc_u32 s67, s67, 0
	s_and_b32 s8, s4, s16
	s_delay_alu instid0(SALU_CYCLE_1) | instskip(SKIP_1) | instid1(SALU_CYCLE_1)
	v_cndmask_b32_e64 v2, 0, 1, s8
	s_and_b32 s8, s5, s17
	v_cndmask_b32_e64 v3, 0, 1, s8
	s_and_b32 s8, s6, s18
	s_delay_alu instid0(SALU_CYCLE_1) | instskip(SKIP_1) | instid1(VALU_DEP_2)
	v_cndmask_b32_e64 v4, 0, 1, s8
	s_and_b32 s8, s7, s19
	v_cmp_ne_u32_e64 s9, 0, v3
	v_cndmask_b32_e64 v5, 0, 1, s8
	v_cmp_ne_u32_e64 s8, 0, v2
	v_cmp_ne_u32_e64 s10, 0, v4
	s_delay_alu instid0(VALU_DEP_4) | instskip(NEXT) | instid1(VALU_DEP_3)
	s_bcnt1_i32_b32 s9, s9
	v_cmp_ne_u32_e64 s11, 0, v5
	s_delay_alu instid0(VALU_DEP_3) | instskip(NEXT) | instid1(VALU_DEP_2)
	s_bcnt1_i32_b32 s8, s8
	s_bcnt1_i32_b32 s10, s10
	s_add_i32 s8, s9, s8
	s_delay_alu instid0(VALU_DEP_1) | instskip(SKIP_1) | instid1(SALU_CYCLE_1)
	s_bcnt1_i32_b32 s11, s11
	s_add_i32 s8, s8, s10
	s_add_i32 s8, s8, s11
	s_delay_alu instid0(SALU_CYCLE_1)
	s_add_u32 s64, s64, s8
	s_addc_u32 s65, s65, 0
	s_and_b32 s4, s4, s20
	v_mov_b32_e32 v6, s64
	v_cndmask_b32_e64 v2, 0, 1, s4
	s_and_b32 s4, s5, s21
	s_delay_alu instid0(SALU_CYCLE_1) | instskip(SKIP_1) | instid1(SALU_CYCLE_1)
	v_cndmask_b32_e64 v3, 0, 1, s4
	s_and_b32 s4, s6, s22
	v_cndmask_b32_e64 v4, 0, 1, s4
	s_and_b32 s4, s7, s23
	s_delay_alu instid0(VALU_DEP_2)
	v_cmp_ne_u32_e64 s5, 0, v3
	v_cndmask_b32_e64 v5, 0, 1, s4
	v_cmp_ne_u32_e64 s4, 0, v2
	v_mov_b32_e32 v2, s68
	v_cmp_ne_u32_e64 s6, 0, v4
	s_bcnt1_i32_b32 s5, s5
	v_cmp_ne_u32_e64 s7, 0, v5
	s_bcnt1_i32_b32 s4, s4
	v_mov_b32_e32 v4, s66
	s_bcnt1_i32_b32 s6, s6
	s_add_i32 s4, s5, s4
	s_bcnt1_i32_b32 s5, s7
	s_add_i32 s4, s4, s6
	v_mov_b32_e32 v3, s69
	s_add_i32 s4, s4, s5
	v_mov_b32_e32 v5, s67
	s_add_u32 s62, s62, s4
	s_addc_u32 s63, s63, 0
	v_dual_mov_b32 v7, s65 :: v_dual_mov_b32 v8, s62
	v_mov_b32_e32 v9, s63
	s_or_b32 s92, vcc_lo, s92
	s_delay_alu instid0(SALU_CYCLE_1)
	s_and_not1_b32 exec_lo, exec_lo, s92
	s_cbranch_execnz .LBB125_80
; %bb.81:                               ;   in Loop: Header=BB125_27 Depth=1
	s_or_b32 exec_lo, exec_lo, s92
.LBB125_82:                             ;   in Loop: Header=BB125_27 Depth=1
	s_delay_alu instid0(SALU_CYCLE_1) | instskip(SKIP_2) | instid1(VALU_DEP_1)
	s_or_b32 exec_lo, exec_lo, s61
	v_add_nc_u32_e32 v12, s54, v0
	s_mov_b32 s9, exec_lo
	v_cmpx_gt_u32_e64 s60, v12
	s_cbranch_execz .LBB125_86
; %bb.83:                               ;   in Loop: Header=BB125_27 Depth=1
	v_dual_mov_b32 v20, v13 :: v_dual_lshlrev_b32 v21, 2, v12
	v_mov_b32_e32 v19, v12
	s_mov_b32 s11, 0
	s_and_b32 s10, s60, 0x7fffffff
	s_and_b32 s13, s84, 0xfe
	s_mov_b32 s12, s11
.LBB125_84:                             ;   Parent Loop BB125_27 Depth=1
                                        ; =>  This Inner Loop Header: Depth=2
	ds_load_b32 v12, v21
	v_add_co_u32 v19, vcc_lo, v19, v17
	v_add_co_ci_u32_e32 v20, vcc_lo, 0, v20, vcc_lo
	v_add_nc_u32_e32 v21, s56, v21
	s_delay_alu instid0(VALU_DEP_2) | instskip(SKIP_2) | instid1(VALU_DEP_1)
	v_cmp_le_u64_e32 vcc_lo, s[10:11], v[19:20]
	s_waitcnt lgkmcnt(0)
	v_cmp_lt_i32_e64 s4, -1, v12
	v_cndmask_b32_e64 v22, -1, 0x80000000, s4
	v_cmp_o_f32_e64 s4, v12, v12
	s_delay_alu instid0(VALU_DEP_2) | instskip(NEXT) | instid1(VALU_DEP_1)
	v_xor_b32_e32 v22, v22, v12
	v_cndmask_b32_e64 v12, -1, v22, s4
	s_delay_alu instid0(VALU_DEP_1) | instskip(SKIP_1) | instid1(VALU_DEP_2)
	v_and_b32_e32 v22, s90, v12
	v_bfe_u32 v12, v12, s13, 2
	v_cmp_eq_u32_e64 s4, s89, v22
	s_delay_alu instid0(VALU_DEP_2) | instskip(SKIP_3) | instid1(VALU_DEP_4)
	v_cmp_eq_u32_e64 s5, 0, v12
	v_cmp_eq_u32_e64 s6, 1, v12
	;; [unrolled: 1-line block ×4, first 2 shown]
	s_and_b32 s5, s4, s5
	s_delay_alu instid0(SALU_CYCLE_1) | instskip(SKIP_1) | instid1(SALU_CYCLE_1)
	v_cndmask_b32_e64 v12, 0, 1, s5
	s_and_b32 s5, s4, s6
	v_cndmask_b32_e64 v22, 0, 1, s5
	s_and_b32 s5, s4, s7
	s_and_b32 s4, s4, s8
	v_cndmask_b32_e64 v29, 0, 1, s5
	v_cndmask_b32_e64 v30, 0, 1, s4
	v_cmp_ne_u32_e64 s4, 0, v12
	v_cmp_ne_u32_e64 s5, 0, v22
	s_delay_alu instid0(VALU_DEP_4) | instskip(NEXT) | instid1(VALU_DEP_4)
	v_cmp_ne_u32_e64 s6, 0, v29
	v_cmp_ne_u32_e64 s7, 0, v30
	s_delay_alu instid0(VALU_DEP_4) | instskip(NEXT) | instid1(VALU_DEP_3)
	s_bcnt1_i32_b32 s4, s4
	s_bcnt1_i32_b32 s5, s5
	v_add_co_u32 v2, s4, v2, s4
	s_delay_alu instid0(VALU_DEP_1)
	v_add_co_ci_u32_e64 v3, s4, 0, v3, s4
	v_add_co_u32 v4, s4, v4, s5
	s_bcnt1_i32_b32 s6, s6
	v_add_co_ci_u32_e64 v5, s4, 0, v5, s4
	v_add_co_u32 v6, s4, v6, s6
	s_bcnt1_i32_b32 s7, s7
	v_add_co_ci_u32_e64 v7, s4, 0, v7, s4
	v_add_co_u32 v8, s4, v8, s7
	s_delay_alu instid0(VALU_DEP_1) | instskip(SKIP_1) | instid1(SALU_CYCLE_1)
	v_add_co_ci_u32_e64 v9, s4, 0, v9, s4
	s_or_b32 s12, vcc_lo, s12
	s_and_not1_b32 exec_lo, exec_lo, s12
	s_cbranch_execnz .LBB125_84
; %bb.85:                               ;   in Loop: Header=BB125_27 Depth=1
	s_or_b32 exec_lo, exec_lo, s12
.LBB125_86:                             ;   in Loop: Header=BB125_27 Depth=1
	s_delay_alu instid0(SALU_CYCLE_1)
	s_or_b32 exec_lo, exec_lo, s9
.LBB125_87:                             ;   in Loop: Header=BB125_27 Depth=1
	s_lshl_b32 s4, s87, 7
	s_and_saveexec_b32 s5, s1
	s_cbranch_execz .LBB125_89
; %bb.88:                               ;   in Loop: Header=BB125_27 Depth=1
	v_or_b32_e32 v12, s4, v25
	s_delay_alu instid0(VALU_DEP_1)
	v_lshlrev_b32_e32 v12, 3, v12
	ds_store_b128 v12, v[2:5] offset:3072
	ds_store_b128 v12, v[6:9] offset:3088
.LBB125_89:                             ;   in Loop: Header=BB125_27 Depth=1
	s_or_b32 exec_lo, exec_lo, s5
	s_waitcnt vmcnt(0) lgkmcnt(0)
	s_barrier
	buffer_gl0_inv
	s_and_saveexec_b32 s5, s70
	s_cbranch_execz .LBB125_100
; %bb.90:                               ;   in Loop: Header=BB125_27 Depth=1
	v_mov_b32_e32 v2, 0
	v_mov_b32_e32 v3, 0
	s_and_not1_b32 vcc_lo, exec_lo, s77
	s_cbranch_vccnz .LBB125_99
; %bb.91:                               ;   in Loop: Header=BB125_27 Depth=1
	v_mov_b32_e32 v2, 0
	v_mov_b32_e32 v3, 0
	s_and_not1_b32 vcc_lo, exec_lo, s75
	s_cbranch_vccnz .LBB125_96
; %bb.92:                               ;   in Loop: Header=BB125_27 Depth=1
	v_lshl_add_u32 v4, s87, 10, v28
	s_mov_b32 s6, 0
	s_set_inst_prefetch_distance 0x1
	.p2align	6
.LBB125_93:                             ;   Parent Loop BB125_27 Depth=1
                                        ; =>  This Inner Loop Header: Depth=2
	ds_load_2addr_b64 v[5:8], v4 offset1:4
	ds_load_2addr_b64 v[19:22], v4 offset0:8 offset1:12
	ds_load_2addr_b64 v[29:32], v4 offset0:16 offset1:20
	s_add_i32 s6, s6, 8
	s_delay_alu instid0(SALU_CYCLE_1) | instskip(SKIP_3) | instid1(VALU_DEP_2)
	s_cmp_eq_u32 s76, s6
	s_waitcnt lgkmcnt(2)
	v_add_co_u32 v2, vcc_lo, v5, v2
	v_add_co_ci_u32_e32 v3, vcc_lo, v6, v3, vcc_lo
	v_add_co_u32 v2, vcc_lo, v7, v2
	s_delay_alu instid0(VALU_DEP_2)
	v_add_co_ci_u32_e32 v3, vcc_lo, v8, v3, vcc_lo
	ds_load_2addr_b64 v[5:8], v4 offset0:24 offset1:28
	s_waitcnt lgkmcnt(2)
	v_add_co_u32 v2, vcc_lo, v19, v2
	v_add_co_ci_u32_e32 v3, vcc_lo, v20, v3, vcc_lo
	v_add_nc_u32_e32 v4, 0x100, v4
	s_delay_alu instid0(VALU_DEP_3) | instskip(NEXT) | instid1(VALU_DEP_3)
	v_add_co_u32 v2, vcc_lo, v21, v2
	v_add_co_ci_u32_e32 v3, vcc_lo, v22, v3, vcc_lo
	s_waitcnt lgkmcnt(1)
	s_delay_alu instid0(VALU_DEP_2) | instskip(NEXT) | instid1(VALU_DEP_2)
	v_add_co_u32 v2, vcc_lo, v29, v2
	v_add_co_ci_u32_e32 v3, vcc_lo, v30, v3, vcc_lo
	s_delay_alu instid0(VALU_DEP_2) | instskip(NEXT) | instid1(VALU_DEP_2)
	v_add_co_u32 v2, vcc_lo, v31, v2
	v_add_co_ci_u32_e32 v3, vcc_lo, v32, v3, vcc_lo
	s_waitcnt lgkmcnt(0)
	s_delay_alu instid0(VALU_DEP_2) | instskip(NEXT) | instid1(VALU_DEP_2)
	v_add_co_u32 v2, vcc_lo, v5, v2
	v_add_co_ci_u32_e32 v3, vcc_lo, v6, v3, vcc_lo
	s_delay_alu instid0(VALU_DEP_2) | instskip(NEXT) | instid1(VALU_DEP_2)
	v_add_co_u32 v2, vcc_lo, v7, v2
	v_add_co_ci_u32_e32 v3, vcc_lo, v8, v3, vcc_lo
	s_cbranch_scc0 .LBB125_93
; %bb.94:                               ;   in Loop: Header=BB125_27 Depth=1
	s_set_inst_prefetch_distance 0x2
	s_mov_b32 s6, s76
	s_and_not1_b32 vcc_lo, exec_lo, s78
	s_cbranch_vccz .LBB125_97
	s_branch .LBB125_99
.LBB125_95:                             ;   in Loop: Header=BB125_27 Depth=1
                                        ; implicit-def: $vgpr2_vgpr3
	s_branch .LBB125_63
.LBB125_96:                             ;   in Loop: Header=BB125_27 Depth=1
	s_mov_b32 s6, 0
	s_and_not1_b32 vcc_lo, exec_lo, s78
	s_cbranch_vccnz .LBB125_99
.LBB125_97:                             ;   in Loop: Header=BB125_27 Depth=1
	s_lshl_b32 s7, s87, 10
	s_lshl_b32 s6, s6, 5
	s_delay_alu instid0(SALU_CYCLE_1)
	v_add3_u32 v4, s7, s6, v28
	s_mov_b32 s6, s74
.LBB125_98:                             ;   Parent Loop BB125_27 Depth=1
                                        ; =>  This Inner Loop Header: Depth=2
	ds_load_b64 v[5:6], v4
	v_add_nc_u32_e32 v4, 32, v4
	s_add_i32 s6, s6, -1
	s_delay_alu instid0(SALU_CYCLE_1)
	s_cmp_lg_u32 s6, 0
	s_waitcnt lgkmcnt(0)
	v_add_co_u32 v2, vcc_lo, v5, v2
	v_add_co_ci_u32_e32 v3, vcc_lo, v6, v3, vcc_lo
	s_cbranch_scc1 .LBB125_98
.LBB125_99:                             ;   in Loop: Header=BB125_27 Depth=1
	v_add_lshl_u32 v4, s4, v23, 3
	ds_store_b64 v4, v[2:3] offset:3072
.LBB125_100:                            ;   in Loop: Header=BB125_27 Depth=1
	s_or_b32 exec_lo, exec_lo, s5
	s_lshl_b32 s4, s4, 3
	s_waitcnt lgkmcnt(0)
	v_mov_b32_e32 v6, s4
	s_barrier
	buffer_gl0_inv
	s_and_b32 s17, s84, 0xfe
	s_mov_b32 s19, -1
	ds_load_b128 v[2:5], v6 offset:3072
	ds_load_b128 v[6:9], v6 offset:3088
	s_lshl_b32 s16, 3, s17
	s_delay_alu instid0(SALU_CYCLE_1)
	s_not_b32 s18, s16
	s_waitcnt lgkmcnt(1)
	v_readfirstlane_b32 s13, v3
	v_readfirstlane_b32 s12, v2
	;; [unrolled: 1-line block ×4, first 2 shown]
	s_waitcnt lgkmcnt(0)
	v_readfirstlane_b32 s8, v6
	v_readfirstlane_b32 s9, v7
	s_cmp_eq_u64 s[12:13], 1
	v_readfirstlane_b32 s6, v8
	s_cselect_b32 s4, -1, 0
	s_cmp_eq_u64 s[52:53], 1
	v_readfirstlane_b32 s7, v9
	s_cselect_b32 s5, -1, 0
	s_delay_alu instid0(SALU_CYCLE_1) | instskip(NEXT) | instid1(SALU_CYCLE_1)
	s_and_b32 s20, s4, s5
	s_and_b32 vcc_lo, exec_lo, s20
	s_cbranch_vccz .LBB125_115
; %bb.101:                              ;   in Loop: Header=BB125_27 Depth=1
	ds_load_b64 v[2:3], v13 offset:5120
	s_waitcnt lgkmcnt(0)
	s_barrier
	buffer_gl0_inv
	v_readfirstlane_b32 s14, v2
	v_readfirstlane_b32 s15, v3
	s_and_saveexec_b32 s4, s0
	s_cbranch_execz .LBB125_103
; %bb.102:                              ;   in Loop: Header=BB125_27 Depth=1
	ds_store_b32 v24, v13
.LBB125_103:                            ;   in Loop: Header=BB125_27 Depth=1
	s_or_b32 exec_lo, exec_lo, s4
	s_and_b32 s89, s89, s18
	s_or_b32 s90, s90, s16
	s_cmp_eq_u64 s[14:15], 0
	s_waitcnt lgkmcnt(0)
	s_barrier
	buffer_gl0_inv
	s_cbranch_scc1 .LBB125_116
; %bb.104:                              ;   in Loop: Header=BB125_27 Depth=1
	s_add_u32 s21, s71, s14
	s_addc_u32 s5, s72, s15
	s_mov_b32 s4, s55
	s_delay_alu instid0(SALU_CYCLE_1)
	s_cmp_lg_u64 s[4:5], 0
	s_cbranch_scc0 .LBB125_161
; %bb.105:                              ;   in Loop: Header=BB125_27 Depth=1
	v_cvt_f32_u32_e32 v2, s41
	s_sub_u32 s23, 0, s41
	s_subb_u32 s54, 0, 0
	s_delay_alu instid0(VALU_DEP_1) | instskip(NEXT) | instid1(VALU_DEP_1)
	v_fmac_f32_e64 v2, 0, 0x4f800000
	v_rcp_f32_e32 v2, v2
	s_waitcnt_depctr 0xfff
	v_mul_f32_e32 v2, 0x5f7ffffc, v2
	s_delay_alu instid0(VALU_DEP_1) | instskip(NEXT) | instid1(VALU_DEP_1)
	v_mul_f32_e32 v3, 0x2f800000, v2
	v_trunc_f32_e32 v3, v3
	s_delay_alu instid0(VALU_DEP_1) | instskip(SKIP_1) | instid1(VALU_DEP_2)
	v_fmac_f32_e32 v2, 0xcf800000, v3
	v_cvt_u32_f32_e32 v3, v3
	v_cvt_u32_f32_e32 v2, v2
	s_delay_alu instid0(VALU_DEP_2) | instskip(NEXT) | instid1(VALU_DEP_2)
	v_readfirstlane_b32 s4, v3
	v_readfirstlane_b32 s22, v2
	s_delay_alu instid0(VALU_DEP_2) | instskip(NEXT) | instid1(VALU_DEP_1)
	s_mul_i32 s56, s23, s4
	s_mul_hi_u32 s61, s23, s22
	s_mul_i32 s60, s54, s22
	s_add_i32 s56, s61, s56
	s_mul_i32 s62, s23, s22
	s_add_i32 s56, s56, s60
	s_mul_hi_u32 s61, s22, s62
	s_mul_hi_u32 s63, s4, s62
	s_mul_i32 s60, s4, s62
	s_mul_hi_u32 s62, s22, s56
	s_mul_i32 s22, s22, s56
	s_mul_hi_u32 s64, s4, s56
	s_add_u32 s22, s61, s22
	s_addc_u32 s61, 0, s62
	s_add_u32 s22, s22, s60
	s_mul_i32 s56, s4, s56
	s_addc_u32 s22, s61, s63
	s_addc_u32 s60, s64, 0
	s_add_u32 s22, s22, s56
	s_addc_u32 s56, 0, s60
	v_add_co_u32 v2, s22, v2, s22
	s_delay_alu instid0(VALU_DEP_1) | instskip(SKIP_1) | instid1(VALU_DEP_1)
	s_cmp_lg_u32 s22, 0
	s_addc_u32 s4, s4, s56
	v_readfirstlane_b32 s22, v2
	s_mul_i32 s56, s23, s4
	s_delay_alu instid0(VALU_DEP_1)
	s_mul_hi_u32 s60, s23, s22
	s_mul_i32 s54, s54, s22
	s_add_i32 s56, s60, s56
	s_mul_i32 s23, s23, s22
	s_add_i32 s56, s56, s54
	s_mul_hi_u32 s60, s4, s23
	s_mul_i32 s61, s4, s23
	s_mul_hi_u32 s23, s22, s23
	s_mul_hi_u32 s62, s22, s56
	s_mul_i32 s22, s22, s56
	s_mul_hi_u32 s54, s4, s56
	s_add_u32 s22, s23, s22
	s_addc_u32 s23, 0, s62
	s_add_u32 s22, s22, s61
	s_mul_i32 s56, s4, s56
	s_addc_u32 s22, s23, s60
	s_addc_u32 s23, s54, 0
	s_add_u32 s22, s22, s56
	s_addc_u32 s23, 0, s23
	v_add_co_u32 v2, s22, v2, s22
	s_delay_alu instid0(VALU_DEP_1) | instskip(SKIP_1) | instid1(VALU_DEP_1)
	s_cmp_lg_u32 s22, 0
	s_addc_u32 s4, s4, s23
	v_readfirstlane_b32 s22, v2
	s_mul_i32 s54, s21, s4
	s_mul_hi_u32 s23, s21, s4
	s_mul_hi_u32 s56, s5, s4
	s_mul_i32 s4, s5, s4
	s_mul_hi_u32 s60, s21, s22
	s_mul_hi_u32 s61, s5, s22
	s_mul_i32 s22, s5, s22
	s_add_u32 s54, s60, s54
	s_addc_u32 s23, 0, s23
	s_add_u32 s22, s54, s22
	s_addc_u32 s22, s23, s61
	s_addc_u32 s23, s56, 0
	s_add_u32 s4, s22, s4
	s_addc_u32 s22, 0, s23
	s_mul_hi_u32 s23, s41, s4
	s_mul_i32 s4, s41, s4
	s_mul_i32 s22, s41, s22
	v_sub_co_u32 v2, s4, s21, s4
	s_add_i32 s23, s23, s22
	s_cmp_lg_u32 s4, 0
	s_delay_alu instid0(VALU_DEP_1) | instskip(SKIP_2) | instid1(VALU_DEP_1)
	v_sub_co_u32 v3, s4, v2, s41
	s_subb_u32 s22, s5, s23
	s_cmp_lg_u32 s4, 0
	v_cmp_le_u32_e32 vcc_lo, s41, v3
	v_sub_co_u32 v4, s4, v3, s41
	s_subb_u32 s23, s22, 0
	s_cmp_lg_u32 s4, 0
	v_cndmask_b32_e64 v5, 0, -1, vcc_lo
	s_subb_u32 s4, s23, 0
	s_cmp_eq_u32 s23, 0
	v_mov_b32_e32 v7, s4
	s_cselect_b32 vcc_lo, -1, 0
	s_cmp_eq_u32 s22, 0
	v_cndmask_b32_e32 v5, -1, v5, vcc_lo
	v_cmp_le_u32_e32 vcc_lo, s41, v2
	s_cselect_b32 s4, -1, 0
	v_cndmask_b32_e64 v6, 0, -1, vcc_lo
	s_delay_alu instid0(VALU_DEP_3) | instskip(NEXT) | instid1(VALU_DEP_2)
	v_cmp_ne_u32_e32 vcc_lo, 0, v5
	v_cndmask_b32_e64 v5, -1, v6, s4
	v_cndmask_b32_e32 v6, s23, v7, vcc_lo
	v_cndmask_b32_e32 v4, v3, v4, vcc_lo
	s_delay_alu instid0(VALU_DEP_3) | instskip(NEXT) | instid1(VALU_DEP_3)
	v_cmp_ne_u32_e32 vcc_lo, 0, v5
	v_cndmask_b32_e32 v3, s22, v6, vcc_lo
	s_delay_alu instid0(VALU_DEP_3)
	v_cndmask_b32_e32 v2, v2, v4, vcc_lo
	s_cbranch_execnz .LBB125_107
.LBB125_106:                            ;   in Loop: Header=BB125_27 Depth=1
	v_cvt_f32_u32_e32 v2, s41
	s_sub_i32 s4, 0, s41
	s_delay_alu instid0(VALU_DEP_1) | instskip(SKIP_2) | instid1(VALU_DEP_1)
	v_rcp_iflag_f32_e32 v2, v2
	s_waitcnt_depctr 0xfff
	v_mul_f32_e32 v2, 0x4f7ffffe, v2
	v_cvt_u32_f32_e32 v2, v2
	s_delay_alu instid0(VALU_DEP_1) | instskip(NEXT) | instid1(VALU_DEP_1)
	v_mul_lo_u32 v3, s4, v2
	v_mul_hi_u32 v3, v2, v3
	s_delay_alu instid0(VALU_DEP_1) | instskip(NEXT) | instid1(VALU_DEP_1)
	v_add_nc_u32_e32 v2, v2, v3
	v_mul_hi_u32 v2, s21, v2
	s_delay_alu instid0(VALU_DEP_1) | instskip(NEXT) | instid1(VALU_DEP_1)
	v_mul_lo_u32 v2, v2, s41
	v_sub_nc_u32_e32 v2, s21, v2
	s_delay_alu instid0(VALU_DEP_1) | instskip(SKIP_1) | instid1(VALU_DEP_2)
	v_subrev_nc_u32_e32 v3, s41, v2
	v_cmp_le_u32_e32 vcc_lo, s41, v2
	v_cndmask_b32_e32 v2, v2, v3, vcc_lo
	s_delay_alu instid0(VALU_DEP_1) | instskip(SKIP_1) | instid1(VALU_DEP_2)
	v_subrev_nc_u32_e32 v3, s41, v2
	v_cmp_le_u32_e32 vcc_lo, s41, v2
	v_cndmask_b32_e32 v12, v2, v3, vcc_lo
	s_delay_alu instid0(VALU_DEP_1)
	v_dual_mov_b32 v2, v12 :: v_dual_mov_b32 v3, v13
.LBB125_107:                            ;   in Loop: Header=BB125_27 Depth=1
	s_delay_alu instid0(VALU_DEP_1) | instskip(NEXT) | instid1(VALU_DEP_2)
	v_sub_co_u32 v2, vcc_lo, s21, v2
	v_sub_co_ci_u32_e32 v3, vcc_lo, s5, v3, vcc_lo
	s_mov_b32 s4, 0
	s_mov_b32 s5, exec_lo
                                        ; implicit-def: $vgpr18
	s_delay_alu instid0(VALU_DEP_1)
	v_cmpx_gt_u64_e64 v[2:3], v[0:1]
	s_cbranch_execz .LBB125_118
; %bb.108:                              ;   in Loop: Header=BB125_27 Depth=1
	v_dual_mov_b32 v6, v10 :: v_dual_mov_b32 v5, v1
	v_mov_b32_e32 v4, v0
	s_mov_b32 s21, 0
                                        ; implicit-def: $sgpr22
	s_set_inst_prefetch_distance 0x1
	s_branch .LBB125_110
	.p2align	6
.LBB125_109:                            ;   in Loop: Header=BB125_110 Depth=2
	s_or_b32 exec_lo, exec_lo, s4
	s_waitcnt lgkmcnt(0)
	s_barrier
	buffer_gl0_inv
	ds_load_b64 v[17:18], v13 offset:3072
	v_add_co_u32 v4, vcc_lo, v4, s41
	v_add_co_ci_u32_e32 v5, vcc_lo, 0, v5, vcc_lo
	v_add_nc_u32_e32 v6, s79, v6
	s_waitcnt lgkmcnt(0)
	s_barrier
	s_delay_alu instid0(VALU_DEP_2) | instskip(SKIP_2) | instid1(VALU_DEP_1)
	v_cmp_ge_u64_e32 vcc_lo, v[4:5], v[2:3]
	buffer_gl0_inv
	v_cmp_neq_f32_e64 s4, 0, v17
	s_or_b32 s23, vcc_lo, s4
	s_delay_alu instid0(SALU_CYCLE_1) | instskip(NEXT) | instid1(SALU_CYCLE_1)
	s_and_b32 s23, exec_lo, s23
	s_or_b32 s21, s23, s21
	s_and_not1_b32 s22, s22, exec_lo
	s_and_b32 s4, s4, exec_lo
	s_delay_alu instid0(SALU_CYCLE_1)
	s_or_b32 s22, s22, s4
	s_and_not1_b32 exec_lo, exec_lo, s21
	s_cbranch_execz .LBB125_117
.LBB125_110:                            ;   Parent Loop BB125_27 Depth=1
                                        ; =>  This Inner Loop Header: Depth=2
	s_delay_alu instid0(VALU_DEP_1)
	v_cmp_gt_u64_e32 vcc_lo, s[14:15], v[4:5]
	v_mov_b32_e32 v17, 0
	s_and_saveexec_b32 s4, vcc_lo
	s_cbranch_execz .LBB125_112
; %bb.111:                              ;   in Loop: Header=BB125_110 Depth=2
	ds_load_b32 v17, v6
.LBB125_112:                            ;   in Loop: Header=BB125_110 Depth=2
	s_or_b32 exec_lo, exec_lo, s4
	s_and_saveexec_b32 s4, vcc_lo
	s_cbranch_execz .LBB125_109
; %bb.113:                              ;   in Loop: Header=BB125_110 Depth=2
	s_waitcnt lgkmcnt(0)
	v_cmp_lt_i32_e32 vcc_lo, -1, v17
	v_cndmask_b32_e64 v7, -1, 0x80000000, vcc_lo
	v_cmp_o_f32_e32 vcc_lo, v17, v17
	s_delay_alu instid0(VALU_DEP_2) | instskip(NEXT) | instid1(VALU_DEP_1)
	v_xor_b32_e32 v7, v7, v17
	v_cndmask_b32_e32 v7, -1, v7, vcc_lo
	s_delay_alu instid0(VALU_DEP_1) | instskip(NEXT) | instid1(VALU_DEP_1)
	v_and_b32_e32 v7, s90, v7
	v_cmp_eq_u32_e32 vcc_lo, s89, v7
	s_and_b32 exec_lo, exec_lo, vcc_lo
	s_cbranch_execz .LBB125_109
; %bb.114:                              ;   in Loop: Header=BB125_110 Depth=2
	ds_store_b64 v13, v[16:17] offset:3072
	s_branch .LBB125_109
.LBB125_115:                            ;   in Loop: Header=BB125_27 Depth=1
	s_mov_b32 s4, -1
                                        ; implicit-def: $sgpr5
                                        ; implicit-def: $sgpr15
                                        ; implicit-def: $sgpr14
	s_branch .LBB125_132
.LBB125_116:                            ;   in Loop: Header=BB125_27 Depth=1
	s_mov_b32 s5, -1
	s_mov_b32 s4, 0
                                        ; implicit-def: $sgpr14
                                        ; implicit-def: $vgpr18
	s_mov_b32 s15, s5
	s_cbranch_execnz .LBB125_119
	s_branch .LBB125_132
.LBB125_117:                            ;   in Loop: Header=BB125_27 Depth=1
	s_set_inst_prefetch_distance 0x2
	s_or_b32 exec_lo, exec_lo, s21
	s_delay_alu instid0(SALU_CYCLE_1)
	s_and_b32 s4, s22, exec_lo
.LBB125_118:                            ;   in Loop: Header=BB125_27 Depth=1
	s_or_b32 exec_lo, exec_lo, s5
	s_mov_b32 s14, -1
	s_mov_b32 s5, 0
	s_delay_alu instid0(SALU_CYCLE_1)
	s_mov_b32 s15, s5
	s_branch .LBB125_132
.LBB125_119:                            ;   in Loop: Header=BB125_27 Depth=1
	s_mov_b32 s56, s55
	s_delay_alu instid0(SALU_CYCLE_1)
	s_cmp_lg_u64 s[56:57], 0
	s_cbranch_scc0 .LBB125_162
; %bb.120:                              ;   in Loop: Header=BB125_27 Depth=1
	v_cvt_f32_u32_e32 v2, s41
	s_sub_u32 s14, 0, s41
	s_subb_u32 s15, 0, 0
	s_delay_alu instid0(VALU_DEP_1) | instskip(NEXT) | instid1(VALU_DEP_1)
	v_fmac_f32_e64 v2, 0, 0x4f800000
	v_rcp_f32_e32 v2, v2
	s_waitcnt_depctr 0xfff
	v_mul_f32_e32 v2, 0x5f7ffffc, v2
	s_delay_alu instid0(VALU_DEP_1) | instskip(NEXT) | instid1(VALU_DEP_1)
	v_mul_f32_e32 v3, 0x2f800000, v2
	v_trunc_f32_e32 v3, v3
	s_delay_alu instid0(VALU_DEP_1) | instskip(SKIP_1) | instid1(VALU_DEP_2)
	v_fmac_f32_e32 v2, 0xcf800000, v3
	v_cvt_u32_f32_e32 v3, v3
	v_cvt_u32_f32_e32 v2, v2
	s_delay_alu instid0(VALU_DEP_2) | instskip(NEXT) | instid1(VALU_DEP_2)
	v_readfirstlane_b32 s4, v3
	v_readfirstlane_b32 s5, v2
	s_delay_alu instid0(VALU_DEP_2) | instskip(NEXT) | instid1(VALU_DEP_1)
	s_mul_i32 s21, s14, s4
	s_mul_hi_u32 s23, s14, s5
	s_mul_i32 s22, s15, s5
	s_add_i32 s21, s23, s21
	s_mul_i32 s54, s14, s5
	s_add_i32 s21, s21, s22
	s_mul_hi_u32 s23, s5, s54
	s_mul_hi_u32 s56, s4, s54
	s_mul_i32 s22, s4, s54
	s_mul_hi_u32 s54, s5, s21
	s_mul_i32 s5, s5, s21
	s_mul_hi_u32 s60, s4, s21
	s_add_u32 s5, s23, s5
	s_addc_u32 s23, 0, s54
	s_add_u32 s5, s5, s22
	s_mul_i32 s21, s4, s21
	s_addc_u32 s5, s23, s56
	s_addc_u32 s22, s60, 0
	s_add_u32 s5, s5, s21
	s_addc_u32 s21, 0, s22
	v_add_co_u32 v2, s5, v2, s5
	s_delay_alu instid0(VALU_DEP_1) | instskip(SKIP_1) | instid1(VALU_DEP_1)
	s_cmp_lg_u32 s5, 0
	s_addc_u32 s4, s4, s21
	v_readfirstlane_b32 s5, v2
	s_mul_i32 s21, s14, s4
	s_delay_alu instid0(VALU_DEP_1)
	s_mul_hi_u32 s22, s14, s5
	s_mul_i32 s15, s15, s5
	s_add_i32 s21, s22, s21
	s_mul_i32 s14, s14, s5
	s_add_i32 s21, s21, s15
	s_mul_hi_u32 s22, s4, s14
	s_mul_i32 s23, s4, s14
	s_mul_hi_u32 s14, s5, s14
	s_mul_hi_u32 s54, s5, s21
	s_mul_i32 s5, s5, s21
	s_mul_hi_u32 s15, s4, s21
	s_add_u32 s5, s14, s5
	s_addc_u32 s14, 0, s54
	s_add_u32 s5, s5, s23
	s_mul_i32 s21, s4, s21
	s_addc_u32 s5, s14, s22
	s_addc_u32 s14, s15, 0
	s_add_u32 s5, s5, s21
	s_addc_u32 s14, 0, s14
	v_add_co_u32 v2, s5, v2, s5
	s_delay_alu instid0(VALU_DEP_1) | instskip(SKIP_1) | instid1(VALU_DEP_1)
	s_cmp_lg_u32 s5, 0
	s_addc_u32 s4, s4, s14
	v_readfirstlane_b32 s5, v2
	s_mul_i32 s15, s73, s4
	s_mul_hi_u32 s14, s73, s4
	s_mul_hi_u32 s21, s57, s4
	s_mul_i32 s4, s57, s4
	s_mul_hi_u32 s22, s73, s5
	s_mul_hi_u32 s23, s57, s5
	s_mul_i32 s5, s57, s5
	s_add_u32 s15, s22, s15
	s_addc_u32 s14, 0, s14
	s_add_u32 s5, s15, s5
	s_addc_u32 s5, s14, s23
	s_addc_u32 s14, s21, 0
	s_add_u32 s4, s5, s4
	s_addc_u32 s5, 0, s14
	s_mul_hi_u32 s14, s41, s4
	s_mul_i32 s4, s41, s4
	s_mul_i32 s5, s41, s5
	v_sub_co_u32 v2, s4, s73, s4
	s_add_i32 s14, s14, s5
	s_cmp_lg_u32 s4, 0
	s_delay_alu instid0(VALU_DEP_1) | instskip(SKIP_2) | instid1(VALU_DEP_1)
	v_sub_co_u32 v3, s4, v2, s41
	s_subb_u32 s5, s57, s14
	s_cmp_lg_u32 s4, 0
	v_cmp_le_u32_e32 vcc_lo, s41, v3
	v_sub_co_u32 v4, s4, v3, s41
	s_subb_u32 s14, s5, 0
	s_cmp_lg_u32 s4, 0
	v_cndmask_b32_e64 v5, 0, -1, vcc_lo
	s_subb_u32 s4, s14, 0
	s_cmp_eq_u32 s14, 0
	v_mov_b32_e32 v7, s4
	s_cselect_b32 vcc_lo, -1, 0
	s_cmp_eq_u32 s5, 0
	v_cndmask_b32_e32 v5, -1, v5, vcc_lo
	v_cmp_le_u32_e32 vcc_lo, s41, v2
	s_cselect_b32 s4, -1, 0
	v_cndmask_b32_e64 v6, 0, -1, vcc_lo
	s_delay_alu instid0(VALU_DEP_3) | instskip(NEXT) | instid1(VALU_DEP_2)
	v_cmp_ne_u32_e32 vcc_lo, 0, v5
	v_cndmask_b32_e64 v5, -1, v6, s4
	v_cndmask_b32_e32 v6, s14, v7, vcc_lo
	v_cndmask_b32_e32 v4, v3, v4, vcc_lo
	s_delay_alu instid0(VALU_DEP_3) | instskip(NEXT) | instid1(VALU_DEP_3)
	v_cmp_ne_u32_e32 vcc_lo, 0, v5
	v_cndmask_b32_e32 v3, s5, v6, vcc_lo
	s_delay_alu instid0(VALU_DEP_3)
	v_cndmask_b32_e32 v2, v2, v4, vcc_lo
	s_cbranch_execnz .LBB125_122
.LBB125_121:                            ;   in Loop: Header=BB125_27 Depth=1
	v_cvt_f32_u32_e32 v2, s41
	s_sub_i32 s4, 0, s41
	s_delay_alu instid0(VALU_DEP_1) | instskip(SKIP_2) | instid1(VALU_DEP_1)
	v_rcp_iflag_f32_e32 v2, v2
	s_waitcnt_depctr 0xfff
	v_mul_f32_e32 v2, 0x4f7ffffe, v2
	v_cvt_u32_f32_e32 v2, v2
	s_delay_alu instid0(VALU_DEP_1) | instskip(NEXT) | instid1(VALU_DEP_1)
	v_mul_lo_u32 v3, s4, v2
	v_mul_hi_u32 v3, v2, v3
	s_delay_alu instid0(VALU_DEP_1) | instskip(NEXT) | instid1(VALU_DEP_1)
	v_add_nc_u32_e32 v2, v2, v3
	v_mul_hi_u32 v2, s73, v2
	s_delay_alu instid0(VALU_DEP_1) | instskip(NEXT) | instid1(VALU_DEP_1)
	v_mul_lo_u32 v2, v2, s41
	v_sub_nc_u32_e32 v2, s73, v2
	s_delay_alu instid0(VALU_DEP_1) | instskip(SKIP_1) | instid1(VALU_DEP_2)
	v_subrev_nc_u32_e32 v3, s41, v2
	v_cmp_le_u32_e32 vcc_lo, s41, v2
	v_cndmask_b32_e32 v2, v2, v3, vcc_lo
	s_delay_alu instid0(VALU_DEP_1) | instskip(SKIP_1) | instid1(VALU_DEP_2)
	v_subrev_nc_u32_e32 v3, s41, v2
	v_cmp_le_u32_e32 vcc_lo, s41, v2
	v_cndmask_b32_e32 v12, v2, v3, vcc_lo
	s_delay_alu instid0(VALU_DEP_1)
	v_dual_mov_b32 v2, v12 :: v_dual_mov_b32 v3, v13
.LBB125_122:                            ;   in Loop: Header=BB125_27 Depth=1
	s_delay_alu instid0(VALU_DEP_1) | instskip(NEXT) | instid1(VALU_DEP_2)
	v_sub_co_u32 v2, vcc_lo, s73, v2
	v_sub_co_ci_u32_e32 v3, vcc_lo, s57, v3, vcc_lo
	s_mov_b32 s4, 0
	s_mov_b32 s5, exec_lo
                                        ; implicit-def: $vgpr18
	s_delay_alu instid0(VALU_DEP_1)
	v_cmpx_gt_u64_e64 v[2:3], v[0:1]
	s_cbranch_execz .LBB125_131
; %bb.123:                              ;   in Loop: Header=BB125_27 Depth=1
	v_dual_mov_b32 v5, v1 :: v_dual_mov_b32 v4, v0
	s_mov_b32 s14, 0
                                        ; implicit-def: $sgpr15
	s_branch .LBB125_125
.LBB125_124:                            ;   in Loop: Header=BB125_125 Depth=2
	s_or_b32 exec_lo, exec_lo, s4
	s_waitcnt vmcnt(0) lgkmcnt(0)
	s_barrier
	buffer_gl0_inv
	ds_load_b64 v[17:18], v13 offset:3072
	v_add_co_u32 v4, vcc_lo, v4, s41
	v_add_co_ci_u32_e32 v5, vcc_lo, 0, v5, vcc_lo
	s_waitcnt lgkmcnt(0)
	s_barrier
	buffer_gl0_inv
	v_cmp_ge_u64_e32 vcc_lo, v[4:5], v[2:3]
	v_cmp_neq_f32_e64 s4, 0, v17
	s_delay_alu instid0(VALU_DEP_1) | instskip(NEXT) | instid1(SALU_CYCLE_1)
	s_or_b32 s21, vcc_lo, s4
	s_and_b32 s21, exec_lo, s21
	s_delay_alu instid0(SALU_CYCLE_1) | instskip(SKIP_2) | instid1(SALU_CYCLE_1)
	s_or_b32 s14, s21, s14
	s_and_not1_b32 s15, s15, exec_lo
	s_and_b32 s4, s4, exec_lo
	s_or_b32 s15, s15, s4
	s_and_not1_b32 exec_lo, exec_lo, s14
	s_cbranch_execz .LBB125_130
.LBB125_125:                            ;   Parent Loop BB125_27 Depth=1
                                        ; =>  This Inner Loop Header: Depth=2
	s_delay_alu instid0(VALU_DEP_1)
	v_cmp_gt_u64_e32 vcc_lo, s[24:25], v[4:5]
	v_mov_b32_e32 v17, 0
	s_and_saveexec_b32 s21, vcc_lo
	s_cbranch_execz .LBB125_127
; %bb.126:                              ;   in Loop: Header=BB125_125 Depth=2
	v_mul_lo_u32 v8, v5, s42
	v_mul_lo_u32 v9, v4, s43
	v_mad_u64_u32 v[6:7], null, v4, s42, 0
	s_delay_alu instid0(VALU_DEP_1) | instskip(NEXT) | instid1(VALU_DEP_1)
	v_add3_u32 v7, v7, v9, v8
	v_lshlrev_b64 v[6:7], 2, v[6:7]
	s_delay_alu instid0(VALU_DEP_1) | instskip(NEXT) | instid1(VALU_DEP_1)
	v_add_co_u32 v6, s4, s33, v6
	v_add_co_ci_u32_e64 v7, s4, s35, v7, s4
	global_load_b32 v17, v[6:7], off
.LBB125_127:                            ;   in Loop: Header=BB125_125 Depth=2
	s_or_b32 exec_lo, exec_lo, s21
	s_and_saveexec_b32 s4, vcc_lo
	s_cbranch_execz .LBB125_124
; %bb.128:                              ;   in Loop: Header=BB125_125 Depth=2
	s_waitcnt vmcnt(0)
	v_cmp_lt_i32_e32 vcc_lo, -1, v17
	v_cndmask_b32_e64 v6, -1, 0x80000000, vcc_lo
	v_cmp_o_f32_e32 vcc_lo, v17, v17
	s_delay_alu instid0(VALU_DEP_2) | instskip(NEXT) | instid1(VALU_DEP_1)
	v_xor_b32_e32 v6, v6, v17
	v_cndmask_b32_e32 v6, -1, v6, vcc_lo
	s_delay_alu instid0(VALU_DEP_1) | instskip(NEXT) | instid1(VALU_DEP_1)
	v_and_b32_e32 v6, s90, v6
	v_cmp_eq_u32_e32 vcc_lo, s89, v6
	s_and_b32 exec_lo, exec_lo, vcc_lo
	s_cbranch_execz .LBB125_124
; %bb.129:                              ;   in Loop: Header=BB125_125 Depth=2
	ds_store_b64 v13, v[16:17] offset:3072
	s_branch .LBB125_124
.LBB125_130:                            ;   in Loop: Header=BB125_27 Depth=1
	s_or_b32 exec_lo, exec_lo, s14
	s_delay_alu instid0(SALU_CYCLE_1)
	s_and_b32 s4, s15, exec_lo
.LBB125_131:                            ;   in Loop: Header=BB125_27 Depth=1
	s_or_b32 exec_lo, exec_lo, s5
	s_mov_b32 s15, -1
	s_mov_b32 s5, 0
	s_mov_b32 s14, 0
.LBB125_132:                            ;   in Loop: Header=BB125_27 Depth=1
	s_and_not1_b32 s21, s85, exec_lo
	s_and_b32 s5, s5, exec_lo
	s_and_b32 s15, s15, exec_lo
	s_or_b32 s85, s21, s5
	s_and_not1_b32 s5, s88, exec_lo
	s_and_not1_b32 s21, s86, exec_lo
	s_and_b32 s14, s14, exec_lo
	s_or_b32 s88, s5, s15
	s_or_b32 s86, s21, s14
	s_and_saveexec_b32 s14, s4
	s_cbranch_execz .LBB125_26
; %bb.133:                              ;   in Loop: Header=BB125_27 Depth=1
	s_xor_b32 s4, s20, -1
	s_mov_b32 s54, 1
	s_and_not1_b32 vcc_lo, exec_lo, s4
	s_cbranch_vccnz .LBB125_144
; %bb.134:                              ;   in Loop: Header=BB125_27 Depth=1
	v_cmp_gt_u64_e64 s4, s[52:53], s[12:13]
                                        ; implicit-def: $sgpr54
                                        ; implicit-def: $sgpr5
                                        ; implicit-def: $sgpr15
	s_delay_alu instid0(VALU_DEP_1)
	s_and_b32 vcc_lo, exec_lo, s4
	s_mov_b32 s4, -1
	s_cbranch_vccnz .LBB125_140
; %bb.135:                              ;   in Loop: Header=BB125_27 Depth=1
	ds_load_b64 v[2:3], v13 offset:5120
	s_waitcnt lgkmcnt(0)
	v_cmp_ne_u64_e32 vcc_lo, 0, v[2:3]
	s_cbranch_vccnz .LBB125_139
; %bb.136:                              ;   in Loop: Header=BB125_27 Depth=1
	s_and_saveexec_b32 s4, s3
	s_cbranch_execz .LBB125_138
; %bb.137:                              ;   in Loop: Header=BB125_27 Depth=1
	v_dual_mov_b32 v2, s12 :: v_dual_mov_b32 v3, s13
	ds_store_b64 v13, v[2:3] offset:5128
.LBB125_138:                            ;   in Loop: Header=BB125_27 Depth=1
	s_or_b32 exec_lo, exec_lo, s4
	s_waitcnt lgkmcnt(0)
	s_barrier
	buffer_gl0_inv
.LBB125_139:                            ;   in Loop: Header=BB125_27 Depth=1
	s_and_b32 s5, s89, s18
	s_or_b32 s15, s90, s16
	s_mov_b32 s4, 0
	s_mov_b32 s54, 8
.LBB125_140:                            ;   in Loop: Header=BB125_27 Depth=1
	s_and_not1_b32 vcc_lo, exec_lo, s4
	s_cbranch_vccnz .LBB125_142
; %bb.141:                              ;   in Loop: Header=BB125_27 Depth=1
	s_sub_u32 s52, s52, s12
	s_subb_u32 s53, s53, s13
	s_mov_b32 s4, -1
	s_mov_b32 s54, 0
	s_mov_b32 s5, s89
	;; [unrolled: 1-line block ×3, first 2 shown]
.LBB125_142:                            ;   in Loop: Header=BB125_27 Depth=1
	s_delay_alu instid0(SALU_CYCLE_1)
	s_mov_b32 s90, s15
	s_mov_b32 s89, s5
	s_and_b32 vcc_lo, exec_lo, s4
	s_mov_b32 s15, -1
	s_cbranch_vccnz .LBB125_145
.LBB125_143:                            ;   in Loop: Header=BB125_27 Depth=1
	s_mov_b32 s5, -1
                                        ; implicit-def: $sgpr12
                                        ; implicit-def: $sgpr19
                                        ; implicit-def: $sgpr13
	s_delay_alu instid0(SALU_CYCLE_1) | instskip(NEXT) | instid1(SALU_CYCLE_1)
	s_and_saveexec_b32 s4, s5
	s_xor_b32 s4, exec_lo, s4
	s_cbranch_execz .LBB125_25
	s_branch .LBB125_291
.LBB125_144:                            ;   in Loop: Header=BB125_27 Depth=1
	s_mov_b64 s[52:53], 1
	s_mov_b32 s15, -1
	s_branch .LBB125_143
.LBB125_145:                            ;   in Loop: Header=BB125_27 Depth=1
	s_cmp_eq_u64 s[10:11], 1
	s_cselect_b32 s4, -1, 0
	s_cmp_eq_u64 s[52:53], 1
	s_cselect_b32 s5, -1, 0
	s_delay_alu instid0(SALU_CYCLE_1)
	s_and_b32 s21, s4, s5
	s_mov_b32 s4, -1
	s_and_b32 vcc_lo, exec_lo, s21
	s_cbranch_vccz .LBB125_160
; %bb.146:                              ;   in Loop: Header=BB125_27 Depth=1
	ds_load_b64 v[2:3], v13 offset:5120
	s_waitcnt lgkmcnt(0)
	s_barrier
	buffer_gl0_inv
	v_readfirstlane_b32 s12, v2
	v_readfirstlane_b32 s13, v3
	s_and_saveexec_b32 s4, s0
	s_cbranch_execz .LBB125_148
; %bb.147:                              ;   in Loop: Header=BB125_27 Depth=1
	ds_store_b32 v24, v13
.LBB125_148:                            ;   in Loop: Header=BB125_27 Depth=1
	s_or_b32 exec_lo, exec_lo, s4
	s_lshl_b32 s4, 1, s17
	s_and_b32 s5, s89, s18
	s_or_b32 s90, s90, s16
	s_or_b32 s89, s5, s4
	s_cmp_eq_u64 s[12:13], 0
	s_waitcnt lgkmcnt(0)
	s_barrier
	buffer_gl0_inv
	s_cbranch_scc1 .LBB125_163
; %bb.149:                              ;   in Loop: Header=BB125_27 Depth=1
	s_add_u32 s19, s71, s12
	s_addc_u32 s5, s72, s13
	s_mov_b32 s4, s55
	s_delay_alu instid0(SALU_CYCLE_1)
	s_cmp_lg_u64 s[4:5], 0
	s_cbranch_scc0 .LBB125_208
; %bb.150:                              ;   in Loop: Header=BB125_27 Depth=1
	v_cvt_f32_u32_e32 v2, s41
	s_sub_u32 s22, 0, s41
	s_subb_u32 s23, 0, 0
	s_delay_alu instid0(VALU_DEP_1) | instskip(NEXT) | instid1(VALU_DEP_1)
	v_fmac_f32_e64 v2, 0, 0x4f800000
	v_rcp_f32_e32 v2, v2
	s_waitcnt_depctr 0xfff
	v_mul_f32_e32 v2, 0x5f7ffffc, v2
	s_delay_alu instid0(VALU_DEP_1) | instskip(NEXT) | instid1(VALU_DEP_1)
	v_mul_f32_e32 v3, 0x2f800000, v2
	v_trunc_f32_e32 v3, v3
	s_delay_alu instid0(VALU_DEP_1) | instskip(SKIP_1) | instid1(VALU_DEP_2)
	v_fmac_f32_e32 v2, 0xcf800000, v3
	v_cvt_u32_f32_e32 v3, v3
	v_cvt_u32_f32_e32 v2, v2
	s_delay_alu instid0(VALU_DEP_2) | instskip(NEXT) | instid1(VALU_DEP_2)
	v_readfirstlane_b32 s4, v3
	v_readfirstlane_b32 s20, v2
	s_delay_alu instid0(VALU_DEP_2) | instskip(NEXT) | instid1(VALU_DEP_1)
	s_mul_i32 s54, s22, s4
	s_mul_hi_u32 s60, s22, s20
	s_mul_i32 s56, s23, s20
	s_add_i32 s54, s60, s54
	s_mul_i32 s61, s22, s20
	s_add_i32 s54, s54, s56
	s_mul_hi_u32 s60, s20, s61
	s_mul_hi_u32 s62, s4, s61
	s_mul_i32 s56, s4, s61
	s_mul_hi_u32 s61, s20, s54
	s_mul_i32 s20, s20, s54
	s_mul_hi_u32 s63, s4, s54
	s_add_u32 s20, s60, s20
	s_addc_u32 s60, 0, s61
	s_add_u32 s20, s20, s56
	s_mul_i32 s54, s4, s54
	s_addc_u32 s20, s60, s62
	s_addc_u32 s56, s63, 0
	s_add_u32 s20, s20, s54
	s_addc_u32 s54, 0, s56
	v_add_co_u32 v2, s20, v2, s20
	s_delay_alu instid0(VALU_DEP_1) | instskip(SKIP_1) | instid1(VALU_DEP_1)
	s_cmp_lg_u32 s20, 0
	s_addc_u32 s4, s4, s54
	v_readfirstlane_b32 s20, v2
	s_mul_i32 s54, s22, s4
	s_delay_alu instid0(VALU_DEP_1)
	s_mul_hi_u32 s56, s22, s20
	s_mul_i32 s23, s23, s20
	s_add_i32 s54, s56, s54
	s_mul_i32 s22, s22, s20
	s_add_i32 s54, s54, s23
	s_mul_hi_u32 s56, s4, s22
	s_mul_i32 s60, s4, s22
	s_mul_hi_u32 s22, s20, s22
	s_mul_hi_u32 s61, s20, s54
	s_mul_i32 s20, s20, s54
	s_mul_hi_u32 s23, s4, s54
	s_add_u32 s20, s22, s20
	s_addc_u32 s22, 0, s61
	s_add_u32 s20, s20, s60
	s_mul_i32 s54, s4, s54
	s_addc_u32 s20, s22, s56
	s_addc_u32 s22, s23, 0
	s_add_u32 s20, s20, s54
	s_addc_u32 s22, 0, s22
	v_add_co_u32 v2, s20, v2, s20
	s_delay_alu instid0(VALU_DEP_1) | instskip(SKIP_1) | instid1(VALU_DEP_1)
	s_cmp_lg_u32 s20, 0
	s_addc_u32 s4, s4, s22
	v_readfirstlane_b32 s20, v2
	s_mul_i32 s23, s19, s4
	s_mul_hi_u32 s22, s19, s4
	s_mul_hi_u32 s54, s5, s4
	s_mul_i32 s4, s5, s4
	s_mul_hi_u32 s56, s19, s20
	s_mul_hi_u32 s60, s5, s20
	s_mul_i32 s20, s5, s20
	s_add_u32 s23, s56, s23
	s_addc_u32 s22, 0, s22
	s_add_u32 s20, s23, s20
	s_addc_u32 s20, s22, s60
	s_addc_u32 s22, s54, 0
	s_add_u32 s4, s20, s4
	s_addc_u32 s20, 0, s22
	s_mul_hi_u32 s22, s41, s4
	s_mul_i32 s4, s41, s4
	s_mul_i32 s20, s41, s20
	v_sub_co_u32 v2, s4, s19, s4
	s_add_i32 s22, s22, s20
	s_cmp_lg_u32 s4, 0
	s_delay_alu instid0(VALU_DEP_1) | instskip(SKIP_2) | instid1(VALU_DEP_1)
	v_sub_co_u32 v3, s4, v2, s41
	s_subb_u32 s20, s5, s22
	s_cmp_lg_u32 s4, 0
	v_cmp_le_u32_e32 vcc_lo, s41, v3
	v_sub_co_u32 v4, s4, v3, s41
	s_subb_u32 s22, s20, 0
	s_cmp_lg_u32 s4, 0
	v_cndmask_b32_e64 v5, 0, -1, vcc_lo
	s_subb_u32 s4, s22, 0
	s_cmp_eq_u32 s22, 0
	v_mov_b32_e32 v7, s4
	s_cselect_b32 vcc_lo, -1, 0
	s_cmp_eq_u32 s20, 0
	v_cndmask_b32_e32 v5, -1, v5, vcc_lo
	v_cmp_le_u32_e32 vcc_lo, s41, v2
	s_cselect_b32 s4, -1, 0
	v_cndmask_b32_e64 v6, 0, -1, vcc_lo
	s_delay_alu instid0(VALU_DEP_3) | instskip(NEXT) | instid1(VALU_DEP_2)
	v_cmp_ne_u32_e32 vcc_lo, 0, v5
	v_cndmask_b32_e64 v5, -1, v6, s4
	v_cndmask_b32_e32 v6, s22, v7, vcc_lo
	v_cndmask_b32_e32 v4, v3, v4, vcc_lo
	s_delay_alu instid0(VALU_DEP_3) | instskip(NEXT) | instid1(VALU_DEP_3)
	v_cmp_ne_u32_e32 vcc_lo, 0, v5
	v_cndmask_b32_e32 v3, s20, v6, vcc_lo
	s_delay_alu instid0(VALU_DEP_3)
	v_cndmask_b32_e32 v2, v2, v4, vcc_lo
	s_cbranch_execnz .LBB125_152
.LBB125_151:                            ;   in Loop: Header=BB125_27 Depth=1
	v_cvt_f32_u32_e32 v2, s41
	s_sub_i32 s4, 0, s41
	s_delay_alu instid0(VALU_DEP_1) | instskip(SKIP_2) | instid1(VALU_DEP_1)
	v_rcp_iflag_f32_e32 v2, v2
	s_waitcnt_depctr 0xfff
	v_mul_f32_e32 v2, 0x4f7ffffe, v2
	v_cvt_u32_f32_e32 v2, v2
	s_delay_alu instid0(VALU_DEP_1) | instskip(NEXT) | instid1(VALU_DEP_1)
	v_mul_lo_u32 v3, s4, v2
	v_mul_hi_u32 v3, v2, v3
	s_delay_alu instid0(VALU_DEP_1) | instskip(NEXT) | instid1(VALU_DEP_1)
	v_add_nc_u32_e32 v2, v2, v3
	v_mul_hi_u32 v2, s19, v2
	s_delay_alu instid0(VALU_DEP_1) | instskip(NEXT) | instid1(VALU_DEP_1)
	v_mul_lo_u32 v2, v2, s41
	v_sub_nc_u32_e32 v2, s19, v2
	s_delay_alu instid0(VALU_DEP_1) | instskip(SKIP_1) | instid1(VALU_DEP_2)
	v_subrev_nc_u32_e32 v3, s41, v2
	v_cmp_le_u32_e32 vcc_lo, s41, v2
	v_cndmask_b32_e32 v2, v2, v3, vcc_lo
	s_delay_alu instid0(VALU_DEP_1) | instskip(SKIP_1) | instid1(VALU_DEP_2)
	v_subrev_nc_u32_e32 v3, s41, v2
	v_cmp_le_u32_e32 vcc_lo, s41, v2
	v_cndmask_b32_e32 v12, v2, v3, vcc_lo
	s_delay_alu instid0(VALU_DEP_1)
	v_dual_mov_b32 v2, v12 :: v_dual_mov_b32 v3, v13
.LBB125_152:                            ;   in Loop: Header=BB125_27 Depth=1
	s_delay_alu instid0(VALU_DEP_1) | instskip(NEXT) | instid1(VALU_DEP_2)
	v_sub_co_u32 v2, vcc_lo, s19, v2
	v_sub_co_ci_u32_e32 v3, vcc_lo, s5, v3, vcc_lo
	s_mov_b32 s4, 0
	s_mov_b32 s5, exec_lo
                                        ; implicit-def: $vgpr18
	s_delay_alu instid0(VALU_DEP_1)
	v_cmpx_gt_u64_e64 v[2:3], v[0:1]
	s_cbranch_execz .LBB125_165
; %bb.153:                              ;   in Loop: Header=BB125_27 Depth=1
	v_dual_mov_b32 v6, v10 :: v_dual_mov_b32 v5, v1
	v_mov_b32_e32 v4, v0
	s_mov_b32 s19, 0
                                        ; implicit-def: $sgpr20
	s_set_inst_prefetch_distance 0x1
	s_branch .LBB125_155
	.p2align	6
.LBB125_154:                            ;   in Loop: Header=BB125_155 Depth=2
	s_or_b32 exec_lo, exec_lo, s4
	s_waitcnt lgkmcnt(0)
	s_barrier
	buffer_gl0_inv
	ds_load_b64 v[17:18], v13 offset:3072
	v_add_co_u32 v4, vcc_lo, v4, s41
	v_add_co_ci_u32_e32 v5, vcc_lo, 0, v5, vcc_lo
	v_add_nc_u32_e32 v6, s79, v6
	s_waitcnt lgkmcnt(0)
	s_barrier
	s_delay_alu instid0(VALU_DEP_2) | instskip(SKIP_2) | instid1(VALU_DEP_1)
	v_cmp_ge_u64_e32 vcc_lo, v[4:5], v[2:3]
	buffer_gl0_inv
	v_cmp_neq_f32_e64 s4, 0, v17
	s_or_b32 s22, vcc_lo, s4
	s_delay_alu instid0(SALU_CYCLE_1) | instskip(NEXT) | instid1(SALU_CYCLE_1)
	s_and_b32 s22, exec_lo, s22
	s_or_b32 s19, s22, s19
	s_and_not1_b32 s20, s20, exec_lo
	s_and_b32 s4, s4, exec_lo
	s_delay_alu instid0(SALU_CYCLE_1)
	s_or_b32 s20, s20, s4
	s_and_not1_b32 exec_lo, exec_lo, s19
	s_cbranch_execz .LBB125_164
.LBB125_155:                            ;   Parent Loop BB125_27 Depth=1
                                        ; =>  This Inner Loop Header: Depth=2
	s_delay_alu instid0(VALU_DEP_1)
	v_cmp_gt_u64_e32 vcc_lo, s[12:13], v[4:5]
	v_mov_b32_e32 v17, 0
	s_and_saveexec_b32 s4, vcc_lo
	s_cbranch_execz .LBB125_157
; %bb.156:                              ;   in Loop: Header=BB125_155 Depth=2
	ds_load_b32 v17, v6
.LBB125_157:                            ;   in Loop: Header=BB125_155 Depth=2
	s_or_b32 exec_lo, exec_lo, s4
	s_and_saveexec_b32 s4, vcc_lo
	s_cbranch_execz .LBB125_154
; %bb.158:                              ;   in Loop: Header=BB125_155 Depth=2
	s_waitcnt lgkmcnt(0)
	v_cmp_lt_i32_e32 vcc_lo, -1, v17
	v_cndmask_b32_e64 v7, -1, 0x80000000, vcc_lo
	v_cmp_o_f32_e32 vcc_lo, v17, v17
	s_delay_alu instid0(VALU_DEP_2) | instskip(NEXT) | instid1(VALU_DEP_1)
	v_xor_b32_e32 v7, v7, v17
	v_cndmask_b32_e32 v7, -1, v7, vcc_lo
	s_delay_alu instid0(VALU_DEP_1) | instskip(NEXT) | instid1(VALU_DEP_1)
	v_and_b32_e32 v7, s90, v7
	v_cmp_eq_u32_e32 vcc_lo, s89, v7
	s_and_b32 exec_lo, exec_lo, vcc_lo
	s_cbranch_execz .LBB125_154
; %bb.159:                              ;   in Loop: Header=BB125_155 Depth=2
	ds_store_b64 v13, v[16:17] offset:3072
	s_branch .LBB125_154
.LBB125_160:                            ;   in Loop: Header=BB125_27 Depth=1
                                        ; implicit-def: $sgpr13
                                        ; implicit-def: $sgpr19
                                        ; implicit-def: $sgpr12
	s_branch .LBB125_179
.LBB125_161:                            ;   in Loop: Header=BB125_27 Depth=1
                                        ; implicit-def: $vgpr2_vgpr3
	s_branch .LBB125_106
.LBB125_162:                            ;   in Loop: Header=BB125_27 Depth=1
                                        ; implicit-def: $vgpr2_vgpr3
	s_branch .LBB125_121
.LBB125_163:                            ;   in Loop: Header=BB125_27 Depth=1
	s_mov_b32 s13, -1
	s_mov_b32 s4, 0
                                        ; implicit-def: $sgpr12
                                        ; implicit-def: $vgpr18
	s_mov_b32 s19, s13
	s_cbranch_execnz .LBB125_166
	s_branch .LBB125_179
.LBB125_164:                            ;   in Loop: Header=BB125_27 Depth=1
	s_set_inst_prefetch_distance 0x2
	s_or_b32 exec_lo, exec_lo, s19
	s_delay_alu instid0(SALU_CYCLE_1)
	s_and_b32 s4, s20, exec_lo
.LBB125_165:                            ;   in Loop: Header=BB125_27 Depth=1
	s_or_b32 exec_lo, exec_lo, s5
	s_mov_b32 s12, -1
	s_mov_b32 s13, 0
	s_delay_alu instid0(SALU_CYCLE_1)
	s_mov_b32 s19, s13
	s_branch .LBB125_179
.LBB125_166:                            ;   in Loop: Header=BB125_27 Depth=1
	s_mov_b32 s56, s55
	s_delay_alu instid0(SALU_CYCLE_1)
	s_cmp_lg_u64 s[56:57], 0
	s_cbranch_scc0 .LBB125_209
; %bb.167:                              ;   in Loop: Header=BB125_27 Depth=1
	v_cvt_f32_u32_e32 v2, s41
	s_sub_u32 s12, 0, s41
	s_subb_u32 s13, 0, 0
	s_delay_alu instid0(VALU_DEP_1) | instskip(NEXT) | instid1(VALU_DEP_1)
	v_fmac_f32_e64 v2, 0, 0x4f800000
	v_rcp_f32_e32 v2, v2
	s_waitcnt_depctr 0xfff
	v_mul_f32_e32 v2, 0x5f7ffffc, v2
	s_delay_alu instid0(VALU_DEP_1) | instskip(NEXT) | instid1(VALU_DEP_1)
	v_mul_f32_e32 v3, 0x2f800000, v2
	v_trunc_f32_e32 v3, v3
	s_delay_alu instid0(VALU_DEP_1) | instskip(SKIP_1) | instid1(VALU_DEP_2)
	v_fmac_f32_e32 v2, 0xcf800000, v3
	v_cvt_u32_f32_e32 v3, v3
	v_cvt_u32_f32_e32 v2, v2
	s_delay_alu instid0(VALU_DEP_2) | instskip(NEXT) | instid1(VALU_DEP_2)
	v_readfirstlane_b32 s4, v3
	v_readfirstlane_b32 s5, v2
	s_delay_alu instid0(VALU_DEP_2) | instskip(NEXT) | instid1(VALU_DEP_1)
	s_mul_i32 s19, s12, s4
	s_mul_hi_u32 s22, s12, s5
	s_mul_i32 s20, s13, s5
	s_add_i32 s19, s22, s19
	s_mul_i32 s23, s12, s5
	s_add_i32 s19, s19, s20
	s_mul_hi_u32 s22, s5, s23
	s_mul_hi_u32 s54, s4, s23
	s_mul_i32 s20, s4, s23
	s_mul_hi_u32 s23, s5, s19
	s_mul_i32 s5, s5, s19
	s_mul_hi_u32 s56, s4, s19
	s_add_u32 s5, s22, s5
	s_addc_u32 s22, 0, s23
	s_add_u32 s5, s5, s20
	s_mul_i32 s19, s4, s19
	s_addc_u32 s5, s22, s54
	s_addc_u32 s20, s56, 0
	s_add_u32 s5, s5, s19
	s_addc_u32 s19, 0, s20
	v_add_co_u32 v2, s5, v2, s5
	s_delay_alu instid0(VALU_DEP_1) | instskip(SKIP_1) | instid1(VALU_DEP_1)
	s_cmp_lg_u32 s5, 0
	s_addc_u32 s4, s4, s19
	v_readfirstlane_b32 s5, v2
	s_mul_i32 s19, s12, s4
	s_delay_alu instid0(VALU_DEP_1)
	s_mul_hi_u32 s20, s12, s5
	s_mul_i32 s13, s13, s5
	s_add_i32 s19, s20, s19
	s_mul_i32 s12, s12, s5
	s_add_i32 s19, s19, s13
	s_mul_hi_u32 s20, s4, s12
	s_mul_i32 s22, s4, s12
	s_mul_hi_u32 s12, s5, s12
	s_mul_hi_u32 s23, s5, s19
	s_mul_i32 s5, s5, s19
	s_mul_hi_u32 s13, s4, s19
	s_add_u32 s5, s12, s5
	s_addc_u32 s12, 0, s23
	s_add_u32 s5, s5, s22
	s_mul_i32 s19, s4, s19
	s_addc_u32 s5, s12, s20
	s_addc_u32 s12, s13, 0
	s_add_u32 s5, s5, s19
	s_addc_u32 s12, 0, s12
	v_add_co_u32 v2, s5, v2, s5
	s_delay_alu instid0(VALU_DEP_1) | instskip(SKIP_1) | instid1(VALU_DEP_1)
	s_cmp_lg_u32 s5, 0
	s_addc_u32 s4, s4, s12
	v_readfirstlane_b32 s5, v2
	s_mul_i32 s13, s73, s4
	s_mul_hi_u32 s12, s73, s4
	s_mul_hi_u32 s19, s57, s4
	s_mul_i32 s4, s57, s4
	s_mul_hi_u32 s20, s73, s5
	s_mul_hi_u32 s22, s57, s5
	s_mul_i32 s5, s57, s5
	s_add_u32 s13, s20, s13
	s_addc_u32 s12, 0, s12
	s_add_u32 s5, s13, s5
	s_addc_u32 s5, s12, s22
	s_addc_u32 s12, s19, 0
	s_add_u32 s4, s5, s4
	s_addc_u32 s5, 0, s12
	s_mul_hi_u32 s12, s41, s4
	s_mul_i32 s4, s41, s4
	s_mul_i32 s5, s41, s5
	v_sub_co_u32 v2, s4, s73, s4
	s_add_i32 s12, s12, s5
	s_cmp_lg_u32 s4, 0
	s_delay_alu instid0(VALU_DEP_1) | instskip(SKIP_2) | instid1(VALU_DEP_1)
	v_sub_co_u32 v3, s4, v2, s41
	s_subb_u32 s5, s57, s12
	s_cmp_lg_u32 s4, 0
	v_cmp_le_u32_e32 vcc_lo, s41, v3
	v_sub_co_u32 v4, s4, v3, s41
	s_subb_u32 s12, s5, 0
	s_cmp_lg_u32 s4, 0
	v_cndmask_b32_e64 v5, 0, -1, vcc_lo
	s_subb_u32 s4, s12, 0
	s_cmp_eq_u32 s12, 0
	v_mov_b32_e32 v7, s4
	s_cselect_b32 vcc_lo, -1, 0
	s_cmp_eq_u32 s5, 0
	v_cndmask_b32_e32 v5, -1, v5, vcc_lo
	v_cmp_le_u32_e32 vcc_lo, s41, v2
	s_cselect_b32 s4, -1, 0
	v_cndmask_b32_e64 v6, 0, -1, vcc_lo
	s_delay_alu instid0(VALU_DEP_3) | instskip(NEXT) | instid1(VALU_DEP_2)
	v_cmp_ne_u32_e32 vcc_lo, 0, v5
	v_cndmask_b32_e64 v5, -1, v6, s4
	v_cndmask_b32_e32 v6, s12, v7, vcc_lo
	v_cndmask_b32_e32 v4, v3, v4, vcc_lo
	s_delay_alu instid0(VALU_DEP_3) | instskip(NEXT) | instid1(VALU_DEP_3)
	v_cmp_ne_u32_e32 vcc_lo, 0, v5
	v_cndmask_b32_e32 v3, s5, v6, vcc_lo
	s_delay_alu instid0(VALU_DEP_3)
	v_cndmask_b32_e32 v2, v2, v4, vcc_lo
	s_cbranch_execnz .LBB125_169
.LBB125_168:                            ;   in Loop: Header=BB125_27 Depth=1
	v_cvt_f32_u32_e32 v2, s41
	s_sub_i32 s4, 0, s41
	s_delay_alu instid0(VALU_DEP_1) | instskip(SKIP_2) | instid1(VALU_DEP_1)
	v_rcp_iflag_f32_e32 v2, v2
	s_waitcnt_depctr 0xfff
	v_mul_f32_e32 v2, 0x4f7ffffe, v2
	v_cvt_u32_f32_e32 v2, v2
	s_delay_alu instid0(VALU_DEP_1) | instskip(NEXT) | instid1(VALU_DEP_1)
	v_mul_lo_u32 v3, s4, v2
	v_mul_hi_u32 v3, v2, v3
	s_delay_alu instid0(VALU_DEP_1) | instskip(NEXT) | instid1(VALU_DEP_1)
	v_add_nc_u32_e32 v2, v2, v3
	v_mul_hi_u32 v2, s73, v2
	s_delay_alu instid0(VALU_DEP_1) | instskip(NEXT) | instid1(VALU_DEP_1)
	v_mul_lo_u32 v2, v2, s41
	v_sub_nc_u32_e32 v2, s73, v2
	s_delay_alu instid0(VALU_DEP_1) | instskip(SKIP_1) | instid1(VALU_DEP_2)
	v_subrev_nc_u32_e32 v3, s41, v2
	v_cmp_le_u32_e32 vcc_lo, s41, v2
	v_cndmask_b32_e32 v2, v2, v3, vcc_lo
	s_delay_alu instid0(VALU_DEP_1) | instskip(SKIP_1) | instid1(VALU_DEP_2)
	v_subrev_nc_u32_e32 v3, s41, v2
	v_cmp_le_u32_e32 vcc_lo, s41, v2
	v_cndmask_b32_e32 v12, v2, v3, vcc_lo
	s_delay_alu instid0(VALU_DEP_1)
	v_dual_mov_b32 v2, v12 :: v_dual_mov_b32 v3, v13
.LBB125_169:                            ;   in Loop: Header=BB125_27 Depth=1
	s_delay_alu instid0(VALU_DEP_1) | instskip(NEXT) | instid1(VALU_DEP_2)
	v_sub_co_u32 v2, vcc_lo, s73, v2
	v_sub_co_ci_u32_e32 v3, vcc_lo, s57, v3, vcc_lo
	s_mov_b32 s4, 0
	s_mov_b32 s5, exec_lo
                                        ; implicit-def: $vgpr18
	s_delay_alu instid0(VALU_DEP_1)
	v_cmpx_gt_u64_e64 v[2:3], v[0:1]
	s_cbranch_execz .LBB125_178
; %bb.170:                              ;   in Loop: Header=BB125_27 Depth=1
	v_dual_mov_b32 v5, v1 :: v_dual_mov_b32 v4, v0
	s_mov_b32 s12, 0
                                        ; implicit-def: $sgpr13
	s_branch .LBB125_172
.LBB125_171:                            ;   in Loop: Header=BB125_172 Depth=2
	s_or_b32 exec_lo, exec_lo, s4
	s_waitcnt vmcnt(0) lgkmcnt(0)
	s_barrier
	buffer_gl0_inv
	ds_load_b64 v[17:18], v13 offset:3072
	v_add_co_u32 v4, vcc_lo, v4, s41
	v_add_co_ci_u32_e32 v5, vcc_lo, 0, v5, vcc_lo
	s_waitcnt lgkmcnt(0)
	s_barrier
	buffer_gl0_inv
	v_cmp_ge_u64_e32 vcc_lo, v[4:5], v[2:3]
	v_cmp_neq_f32_e64 s4, 0, v17
	s_delay_alu instid0(VALU_DEP_1) | instskip(NEXT) | instid1(SALU_CYCLE_1)
	s_or_b32 s19, vcc_lo, s4
	s_and_b32 s19, exec_lo, s19
	s_delay_alu instid0(SALU_CYCLE_1) | instskip(SKIP_2) | instid1(SALU_CYCLE_1)
	s_or_b32 s12, s19, s12
	s_and_not1_b32 s13, s13, exec_lo
	s_and_b32 s4, s4, exec_lo
	s_or_b32 s13, s13, s4
	s_and_not1_b32 exec_lo, exec_lo, s12
	s_cbranch_execz .LBB125_177
.LBB125_172:                            ;   Parent Loop BB125_27 Depth=1
                                        ; =>  This Inner Loop Header: Depth=2
	s_delay_alu instid0(VALU_DEP_1)
	v_cmp_gt_u64_e32 vcc_lo, s[24:25], v[4:5]
	v_mov_b32_e32 v17, 0
	s_and_saveexec_b32 s19, vcc_lo
	s_cbranch_execz .LBB125_174
; %bb.173:                              ;   in Loop: Header=BB125_172 Depth=2
	v_mul_lo_u32 v8, v5, s42
	v_mul_lo_u32 v9, v4, s43
	v_mad_u64_u32 v[6:7], null, v4, s42, 0
	s_delay_alu instid0(VALU_DEP_1) | instskip(NEXT) | instid1(VALU_DEP_1)
	v_add3_u32 v7, v7, v9, v8
	v_lshlrev_b64 v[6:7], 2, v[6:7]
	s_delay_alu instid0(VALU_DEP_1) | instskip(NEXT) | instid1(VALU_DEP_1)
	v_add_co_u32 v6, s4, s33, v6
	v_add_co_ci_u32_e64 v7, s4, s35, v7, s4
	global_load_b32 v17, v[6:7], off
.LBB125_174:                            ;   in Loop: Header=BB125_172 Depth=2
	s_or_b32 exec_lo, exec_lo, s19
	s_and_saveexec_b32 s4, vcc_lo
	s_cbranch_execz .LBB125_171
; %bb.175:                              ;   in Loop: Header=BB125_172 Depth=2
	s_waitcnt vmcnt(0)
	v_cmp_lt_i32_e32 vcc_lo, -1, v17
	v_cndmask_b32_e64 v6, -1, 0x80000000, vcc_lo
	v_cmp_o_f32_e32 vcc_lo, v17, v17
	s_delay_alu instid0(VALU_DEP_2) | instskip(NEXT) | instid1(VALU_DEP_1)
	v_xor_b32_e32 v6, v6, v17
	v_cndmask_b32_e32 v6, -1, v6, vcc_lo
	s_delay_alu instid0(VALU_DEP_1) | instskip(NEXT) | instid1(VALU_DEP_1)
	v_and_b32_e32 v6, s90, v6
	v_cmp_eq_u32_e32 vcc_lo, s89, v6
	s_and_b32 exec_lo, exec_lo, vcc_lo
	s_cbranch_execz .LBB125_171
; %bb.176:                              ;   in Loop: Header=BB125_172 Depth=2
	ds_store_b64 v13, v[16:17] offset:3072
	s_branch .LBB125_171
.LBB125_177:                            ;   in Loop: Header=BB125_27 Depth=1
	s_or_b32 exec_lo, exec_lo, s12
	s_delay_alu instid0(SALU_CYCLE_1)
	s_and_b32 s4, s13, exec_lo
.LBB125_178:                            ;   in Loop: Header=BB125_27 Depth=1
	s_or_b32 exec_lo, exec_lo, s5
	s_mov_b32 s19, -1
	s_mov_b32 s13, 0
	s_mov_b32 s12, 0
.LBB125_179:                            ;   in Loop: Header=BB125_27 Depth=1
	s_mov_b32 s5, 0
                                        ; implicit-def: $sgpr54
	s_and_saveexec_b32 s20, s4
	s_cbranch_execz .LBB125_290
; %bb.180:                              ;   in Loop: Header=BB125_27 Depth=1
	s_xor_b32 s4, s21, -1
	s_mov_b32 s54, 1
	s_and_not1_b32 vcc_lo, exec_lo, s4
	s_cbranch_vccnz .LBB125_191
; %bb.181:                              ;   in Loop: Header=BB125_27 Depth=1
	v_cmp_gt_u64_e64 s4, s[52:53], s[10:11]
                                        ; implicit-def: $sgpr54
                                        ; implicit-def: $sgpr5
                                        ; implicit-def: $sgpr21
	s_delay_alu instid0(VALU_DEP_1)
	s_and_b32 vcc_lo, exec_lo, s4
	s_mov_b32 s4, -1
	s_cbranch_vccnz .LBB125_187
; %bb.182:                              ;   in Loop: Header=BB125_27 Depth=1
	ds_load_b64 v[2:3], v13 offset:5120
	s_waitcnt lgkmcnt(0)
	v_cmp_ne_u64_e32 vcc_lo, 0, v[2:3]
	s_cbranch_vccnz .LBB125_186
; %bb.183:                              ;   in Loop: Header=BB125_27 Depth=1
	s_and_saveexec_b32 s4, s3
	s_cbranch_execz .LBB125_185
; %bb.184:                              ;   in Loop: Header=BB125_27 Depth=1
	v_dual_mov_b32 v2, s10 :: v_dual_mov_b32 v3, s11
	ds_store_b64 v13, v[2:3] offset:5128
.LBB125_185:                            ;   in Loop: Header=BB125_27 Depth=1
	s_or_b32 exec_lo, exec_lo, s4
	s_waitcnt lgkmcnt(0)
	s_barrier
	buffer_gl0_inv
.LBB125_186:                            ;   in Loop: Header=BB125_27 Depth=1
	s_lshl_b32 s4, 1, s17
	s_and_b32 s5, s89, s18
	s_or_b32 s21, s90, s16
	s_or_b32 s5, s5, s4
	s_mov_b32 s4, 0
	s_mov_b32 s54, 8
.LBB125_187:                            ;   in Loop: Header=BB125_27 Depth=1
	s_and_not1_b32 vcc_lo, exec_lo, s4
	s_cbranch_vccnz .LBB125_189
; %bb.188:                              ;   in Loop: Header=BB125_27 Depth=1
	s_sub_u32 s52, s52, s10
	s_subb_u32 s53, s53, s11
	s_mov_b32 s4, -1
	s_mov_b32 s54, 0
	s_mov_b32 s5, s89
	;; [unrolled: 1-line block ×3, first 2 shown]
.LBB125_189:                            ;   in Loop: Header=BB125_27 Depth=1
	s_delay_alu instid0(SALU_CYCLE_1)
	s_mov_b32 s90, s21
	s_mov_b32 s89, s5
	s_and_not1_b32 vcc_lo, exec_lo, s4
	s_mov_b32 s5, -1
	s_cbranch_vccz .LBB125_192
.LBB125_190:                            ;   in Loop: Header=BB125_27 Depth=1
                                        ; implicit-def: $sgpr11
                                        ; implicit-def: $sgpr21
                                        ; implicit-def: $sgpr10
	s_branch .LBB125_289
.LBB125_191:                            ;   in Loop: Header=BB125_27 Depth=1
	s_mov_b64 s[52:53], 1
	s_mov_b32 s5, -1
	s_cbranch_execnz .LBB125_190
.LBB125_192:                            ;   in Loop: Header=BB125_27 Depth=1
	s_cmp_eq_u64 s[8:9], 1
	s_cselect_b32 s4, -1, 0
	s_cmp_eq_u64 s[52:53], 1
	s_cselect_b32 s5, -1, 0
	s_delay_alu instid0(SALU_CYCLE_1)
	s_and_b32 s23, s4, s5
	s_mov_b32 s4, -1
	s_and_b32 vcc_lo, exec_lo, s23
	s_cbranch_vccz .LBB125_207
; %bb.193:                              ;   in Loop: Header=BB125_27 Depth=1
	ds_load_b64 v[2:3], v13 offset:5120
	s_waitcnt lgkmcnt(0)
	s_barrier
	buffer_gl0_inv
	v_readfirstlane_b32 s10, v2
	v_readfirstlane_b32 s11, v3
	s_and_saveexec_b32 s4, s0
	s_cbranch_execz .LBB125_195
; %bb.194:                              ;   in Loop: Header=BB125_27 Depth=1
	ds_store_b32 v24, v13
.LBB125_195:                            ;   in Loop: Header=BB125_27 Depth=1
	s_or_b32 exec_lo, exec_lo, s4
	s_lshl_b32 s4, 2, s17
	s_and_b32 s5, s89, s18
	s_or_b32 s90, s90, s16
	s_or_b32 s89, s5, s4
	s_cmp_eq_u64 s[10:11], 0
	s_waitcnt lgkmcnt(0)
	s_barrier
	buffer_gl0_inv
	s_cbranch_scc1 .LBB125_210
; %bb.196:                              ;   in Loop: Header=BB125_27 Depth=1
	s_add_u32 s21, s71, s10
	s_addc_u32 s5, s72, s11
	s_mov_b32 s4, s55
	s_delay_alu instid0(SALU_CYCLE_1)
	s_cmp_lg_u64 s[4:5], 0
	s_cbranch_scc0 .LBB125_255
; %bb.197:                              ;   in Loop: Header=BB125_27 Depth=1
	v_cvt_f32_u32_e32 v2, s41
	s_sub_u32 s54, 0, s41
	s_subb_u32 s56, 0, 0
	s_delay_alu instid0(VALU_DEP_1) | instskip(NEXT) | instid1(VALU_DEP_1)
	v_fmac_f32_e64 v2, 0, 0x4f800000
	v_rcp_f32_e32 v2, v2
	s_waitcnt_depctr 0xfff
	v_mul_f32_e32 v2, 0x5f7ffffc, v2
	s_delay_alu instid0(VALU_DEP_1) | instskip(NEXT) | instid1(VALU_DEP_1)
	v_mul_f32_e32 v3, 0x2f800000, v2
	v_trunc_f32_e32 v3, v3
	s_delay_alu instid0(VALU_DEP_1) | instskip(SKIP_1) | instid1(VALU_DEP_2)
	v_fmac_f32_e32 v2, 0xcf800000, v3
	v_cvt_u32_f32_e32 v3, v3
	v_cvt_u32_f32_e32 v2, v2
	s_delay_alu instid0(VALU_DEP_2) | instskip(NEXT) | instid1(VALU_DEP_2)
	v_readfirstlane_b32 s4, v3
	v_readfirstlane_b32 s22, v2
	s_delay_alu instid0(VALU_DEP_2) | instskip(NEXT) | instid1(VALU_DEP_1)
	s_mul_i32 s60, s54, s4
	s_mul_hi_u32 s62, s54, s22
	s_mul_i32 s61, s56, s22
	s_add_i32 s60, s62, s60
	s_mul_i32 s63, s54, s22
	s_add_i32 s60, s60, s61
	s_mul_hi_u32 s62, s22, s63
	s_mul_hi_u32 s64, s4, s63
	s_mul_i32 s61, s4, s63
	s_mul_hi_u32 s63, s22, s60
	s_mul_i32 s22, s22, s60
	s_mul_hi_u32 s65, s4, s60
	s_add_u32 s22, s62, s22
	s_addc_u32 s62, 0, s63
	s_add_u32 s22, s22, s61
	s_mul_i32 s60, s4, s60
	s_addc_u32 s22, s62, s64
	s_addc_u32 s61, s65, 0
	s_add_u32 s22, s22, s60
	s_addc_u32 s60, 0, s61
	v_add_co_u32 v2, s22, v2, s22
	s_delay_alu instid0(VALU_DEP_1) | instskip(SKIP_1) | instid1(VALU_DEP_1)
	s_cmp_lg_u32 s22, 0
	s_addc_u32 s4, s4, s60
	v_readfirstlane_b32 s22, v2
	s_mul_i32 s60, s54, s4
	s_delay_alu instid0(VALU_DEP_1)
	s_mul_hi_u32 s61, s54, s22
	s_mul_i32 s56, s56, s22
	s_add_i32 s60, s61, s60
	s_mul_i32 s54, s54, s22
	s_add_i32 s60, s60, s56
	s_mul_hi_u32 s61, s4, s54
	s_mul_i32 s62, s4, s54
	s_mul_hi_u32 s54, s22, s54
	s_mul_hi_u32 s63, s22, s60
	s_mul_i32 s22, s22, s60
	s_mul_hi_u32 s56, s4, s60
	s_add_u32 s22, s54, s22
	s_addc_u32 s54, 0, s63
	s_add_u32 s22, s22, s62
	s_mul_i32 s60, s4, s60
	s_addc_u32 s22, s54, s61
	s_addc_u32 s54, s56, 0
	s_add_u32 s22, s22, s60
	s_addc_u32 s54, 0, s54
	v_add_co_u32 v2, s22, v2, s22
	s_delay_alu instid0(VALU_DEP_1) | instskip(SKIP_1) | instid1(VALU_DEP_1)
	s_cmp_lg_u32 s22, 0
	s_addc_u32 s4, s4, s54
	v_readfirstlane_b32 s22, v2
	s_mul_i32 s56, s21, s4
	s_mul_hi_u32 s54, s21, s4
	s_mul_hi_u32 s60, s5, s4
	s_mul_i32 s4, s5, s4
	s_mul_hi_u32 s61, s21, s22
	s_mul_hi_u32 s62, s5, s22
	s_mul_i32 s22, s5, s22
	s_add_u32 s56, s61, s56
	s_addc_u32 s54, 0, s54
	s_add_u32 s22, s56, s22
	s_addc_u32 s22, s54, s62
	s_addc_u32 s54, s60, 0
	s_add_u32 s4, s22, s4
	s_addc_u32 s22, 0, s54
	s_mul_hi_u32 s54, s41, s4
	s_mul_i32 s4, s41, s4
	s_mul_i32 s22, s41, s22
	v_sub_co_u32 v2, s4, s21, s4
	s_add_i32 s54, s54, s22
	s_cmp_lg_u32 s4, 0
	s_delay_alu instid0(VALU_DEP_1) | instskip(SKIP_2) | instid1(VALU_DEP_1)
	v_sub_co_u32 v3, s4, v2, s41
	s_subb_u32 s22, s5, s54
	s_cmp_lg_u32 s4, 0
	v_cmp_le_u32_e32 vcc_lo, s41, v3
	v_sub_co_u32 v4, s4, v3, s41
	s_subb_u32 s54, s22, 0
	s_cmp_lg_u32 s4, 0
	v_cndmask_b32_e64 v5, 0, -1, vcc_lo
	s_subb_u32 s4, s54, 0
	s_cmp_eq_u32 s54, 0
	v_mov_b32_e32 v7, s4
	s_cselect_b32 vcc_lo, -1, 0
	s_cmp_eq_u32 s22, 0
	v_cndmask_b32_e32 v5, -1, v5, vcc_lo
	v_cmp_le_u32_e32 vcc_lo, s41, v2
	s_cselect_b32 s4, -1, 0
	v_cndmask_b32_e64 v6, 0, -1, vcc_lo
	s_delay_alu instid0(VALU_DEP_3) | instskip(NEXT) | instid1(VALU_DEP_2)
	v_cmp_ne_u32_e32 vcc_lo, 0, v5
	v_cndmask_b32_e64 v5, -1, v6, s4
	v_cndmask_b32_e32 v6, s54, v7, vcc_lo
	v_cndmask_b32_e32 v4, v3, v4, vcc_lo
	s_delay_alu instid0(VALU_DEP_3) | instskip(NEXT) | instid1(VALU_DEP_3)
	v_cmp_ne_u32_e32 vcc_lo, 0, v5
	v_cndmask_b32_e32 v3, s22, v6, vcc_lo
	s_delay_alu instid0(VALU_DEP_3)
	v_cndmask_b32_e32 v2, v2, v4, vcc_lo
	s_cbranch_execnz .LBB125_199
.LBB125_198:                            ;   in Loop: Header=BB125_27 Depth=1
	v_cvt_f32_u32_e32 v2, s41
	s_sub_i32 s4, 0, s41
	s_delay_alu instid0(VALU_DEP_1) | instskip(SKIP_2) | instid1(VALU_DEP_1)
	v_rcp_iflag_f32_e32 v2, v2
	s_waitcnt_depctr 0xfff
	v_mul_f32_e32 v2, 0x4f7ffffe, v2
	v_cvt_u32_f32_e32 v2, v2
	s_delay_alu instid0(VALU_DEP_1) | instskip(NEXT) | instid1(VALU_DEP_1)
	v_mul_lo_u32 v3, s4, v2
	v_mul_hi_u32 v3, v2, v3
	s_delay_alu instid0(VALU_DEP_1) | instskip(NEXT) | instid1(VALU_DEP_1)
	v_add_nc_u32_e32 v2, v2, v3
	v_mul_hi_u32 v2, s21, v2
	s_delay_alu instid0(VALU_DEP_1) | instskip(NEXT) | instid1(VALU_DEP_1)
	v_mul_lo_u32 v2, v2, s41
	v_sub_nc_u32_e32 v2, s21, v2
	s_delay_alu instid0(VALU_DEP_1) | instskip(SKIP_1) | instid1(VALU_DEP_2)
	v_subrev_nc_u32_e32 v3, s41, v2
	v_cmp_le_u32_e32 vcc_lo, s41, v2
	v_cndmask_b32_e32 v2, v2, v3, vcc_lo
	s_delay_alu instid0(VALU_DEP_1) | instskip(SKIP_1) | instid1(VALU_DEP_2)
	v_subrev_nc_u32_e32 v3, s41, v2
	v_cmp_le_u32_e32 vcc_lo, s41, v2
	v_cndmask_b32_e32 v12, v2, v3, vcc_lo
	s_delay_alu instid0(VALU_DEP_1)
	v_dual_mov_b32 v2, v12 :: v_dual_mov_b32 v3, v13
.LBB125_199:                            ;   in Loop: Header=BB125_27 Depth=1
	s_delay_alu instid0(VALU_DEP_1) | instskip(NEXT) | instid1(VALU_DEP_2)
	v_sub_co_u32 v2, vcc_lo, s21, v2
	v_sub_co_ci_u32_e32 v3, vcc_lo, s5, v3, vcc_lo
	s_mov_b32 s4, 0
	s_mov_b32 s5, exec_lo
                                        ; implicit-def: $vgpr18
	s_delay_alu instid0(VALU_DEP_1)
	v_cmpx_gt_u64_e64 v[2:3], v[0:1]
	s_cbranch_execz .LBB125_212
; %bb.200:                              ;   in Loop: Header=BB125_27 Depth=1
	v_dual_mov_b32 v6, v10 :: v_dual_mov_b32 v5, v1
	v_mov_b32_e32 v4, v0
	s_mov_b32 s21, 0
                                        ; implicit-def: $sgpr22
	s_set_inst_prefetch_distance 0x1
	s_branch .LBB125_202
	.p2align	6
.LBB125_201:                            ;   in Loop: Header=BB125_202 Depth=2
	s_or_b32 exec_lo, exec_lo, s4
	s_waitcnt lgkmcnt(0)
	s_barrier
	buffer_gl0_inv
	ds_load_b64 v[17:18], v13 offset:3072
	v_add_co_u32 v4, vcc_lo, v4, s41
	v_add_co_ci_u32_e32 v5, vcc_lo, 0, v5, vcc_lo
	v_add_nc_u32_e32 v6, s79, v6
	s_waitcnt lgkmcnt(0)
	s_barrier
	s_delay_alu instid0(VALU_DEP_2) | instskip(SKIP_2) | instid1(VALU_DEP_1)
	v_cmp_ge_u64_e32 vcc_lo, v[4:5], v[2:3]
	buffer_gl0_inv
	v_cmp_neq_f32_e64 s4, 0, v17
	s_or_b32 s54, vcc_lo, s4
	s_delay_alu instid0(SALU_CYCLE_1) | instskip(NEXT) | instid1(SALU_CYCLE_1)
	s_and_b32 s54, exec_lo, s54
	s_or_b32 s21, s54, s21
	s_and_not1_b32 s22, s22, exec_lo
	s_and_b32 s4, s4, exec_lo
	s_delay_alu instid0(SALU_CYCLE_1)
	s_or_b32 s22, s22, s4
	s_and_not1_b32 exec_lo, exec_lo, s21
	s_cbranch_execz .LBB125_211
.LBB125_202:                            ;   Parent Loop BB125_27 Depth=1
                                        ; =>  This Inner Loop Header: Depth=2
	s_delay_alu instid0(VALU_DEP_1)
	v_cmp_gt_u64_e32 vcc_lo, s[10:11], v[4:5]
	v_mov_b32_e32 v17, 0
	s_and_saveexec_b32 s4, vcc_lo
	s_cbranch_execz .LBB125_204
; %bb.203:                              ;   in Loop: Header=BB125_202 Depth=2
	ds_load_b32 v17, v6
.LBB125_204:                            ;   in Loop: Header=BB125_202 Depth=2
	s_or_b32 exec_lo, exec_lo, s4
	s_and_saveexec_b32 s4, vcc_lo
	s_cbranch_execz .LBB125_201
; %bb.205:                              ;   in Loop: Header=BB125_202 Depth=2
	s_waitcnt lgkmcnt(0)
	v_cmp_lt_i32_e32 vcc_lo, -1, v17
	v_cndmask_b32_e64 v7, -1, 0x80000000, vcc_lo
	v_cmp_o_f32_e32 vcc_lo, v17, v17
	s_delay_alu instid0(VALU_DEP_2) | instskip(NEXT) | instid1(VALU_DEP_1)
	v_xor_b32_e32 v7, v7, v17
	v_cndmask_b32_e32 v7, -1, v7, vcc_lo
	s_delay_alu instid0(VALU_DEP_1) | instskip(NEXT) | instid1(VALU_DEP_1)
	v_and_b32_e32 v7, s90, v7
	v_cmp_eq_u32_e32 vcc_lo, s89, v7
	s_and_b32 exec_lo, exec_lo, vcc_lo
	s_cbranch_execz .LBB125_201
; %bb.206:                              ;   in Loop: Header=BB125_202 Depth=2
	ds_store_b64 v13, v[16:17] offset:3072
	s_branch .LBB125_201
.LBB125_207:                            ;   in Loop: Header=BB125_27 Depth=1
                                        ; implicit-def: $sgpr10
                                        ; implicit-def: $sgpr21
                                        ; implicit-def: $sgpr11
	s_branch .LBB125_226
.LBB125_208:                            ;   in Loop: Header=BB125_27 Depth=1
                                        ; implicit-def: $vgpr2_vgpr3
	s_branch .LBB125_151
.LBB125_209:                            ;   in Loop: Header=BB125_27 Depth=1
                                        ; implicit-def: $vgpr2_vgpr3
	s_branch .LBB125_168
.LBB125_210:                            ;   in Loop: Header=BB125_27 Depth=1
	s_mov_b32 s10, -1
	s_mov_b32 s4, 0
                                        ; implicit-def: $sgpr11
                                        ; implicit-def: $vgpr18
	s_mov_b32 s21, s10
	s_cbranch_execnz .LBB125_213
	s_branch .LBB125_226
.LBB125_211:                            ;   in Loop: Header=BB125_27 Depth=1
	s_set_inst_prefetch_distance 0x2
	s_or_b32 exec_lo, exec_lo, s21
	s_delay_alu instid0(SALU_CYCLE_1)
	s_and_b32 s4, s22, exec_lo
.LBB125_212:                            ;   in Loop: Header=BB125_27 Depth=1
	s_or_b32 exec_lo, exec_lo, s5
	s_mov_b32 s11, -1
	s_mov_b32 s10, 0
	s_delay_alu instid0(SALU_CYCLE_1)
	s_mov_b32 s21, s10
	s_branch .LBB125_226
.LBB125_213:                            ;   in Loop: Header=BB125_27 Depth=1
	s_mov_b32 s56, s55
	s_delay_alu instid0(SALU_CYCLE_1)
	s_cmp_lg_u64 s[56:57], 0
	s_cbranch_scc0 .LBB125_256
; %bb.214:                              ;   in Loop: Header=BB125_27 Depth=1
	v_cvt_f32_u32_e32 v2, s41
	s_sub_u32 s10, 0, s41
	s_subb_u32 s11, 0, 0
	s_delay_alu instid0(VALU_DEP_1) | instskip(NEXT) | instid1(VALU_DEP_1)
	v_fmac_f32_e64 v2, 0, 0x4f800000
	v_rcp_f32_e32 v2, v2
	s_waitcnt_depctr 0xfff
	v_mul_f32_e32 v2, 0x5f7ffffc, v2
	s_delay_alu instid0(VALU_DEP_1) | instskip(NEXT) | instid1(VALU_DEP_1)
	v_mul_f32_e32 v3, 0x2f800000, v2
	v_trunc_f32_e32 v3, v3
	s_delay_alu instid0(VALU_DEP_1) | instskip(SKIP_1) | instid1(VALU_DEP_2)
	v_fmac_f32_e32 v2, 0xcf800000, v3
	v_cvt_u32_f32_e32 v3, v3
	v_cvt_u32_f32_e32 v2, v2
	s_delay_alu instid0(VALU_DEP_2) | instskip(NEXT) | instid1(VALU_DEP_2)
	v_readfirstlane_b32 s4, v3
	v_readfirstlane_b32 s5, v2
	s_delay_alu instid0(VALU_DEP_2) | instskip(NEXT) | instid1(VALU_DEP_1)
	s_mul_i32 s21, s10, s4
	s_mul_hi_u32 s54, s10, s5
	s_mul_i32 s22, s11, s5
	s_add_i32 s21, s54, s21
	s_mul_i32 s56, s10, s5
	s_add_i32 s21, s21, s22
	s_mul_hi_u32 s54, s5, s56
	s_mul_hi_u32 s60, s4, s56
	s_mul_i32 s22, s4, s56
	s_mul_hi_u32 s56, s5, s21
	s_mul_i32 s5, s5, s21
	s_mul_hi_u32 s61, s4, s21
	s_add_u32 s5, s54, s5
	s_addc_u32 s54, 0, s56
	s_add_u32 s5, s5, s22
	s_mul_i32 s21, s4, s21
	s_addc_u32 s5, s54, s60
	s_addc_u32 s22, s61, 0
	s_add_u32 s5, s5, s21
	s_addc_u32 s21, 0, s22
	v_add_co_u32 v2, s5, v2, s5
	s_delay_alu instid0(VALU_DEP_1) | instskip(SKIP_1) | instid1(VALU_DEP_1)
	s_cmp_lg_u32 s5, 0
	s_addc_u32 s4, s4, s21
	v_readfirstlane_b32 s5, v2
	s_mul_i32 s21, s10, s4
	s_delay_alu instid0(VALU_DEP_1)
	s_mul_hi_u32 s22, s10, s5
	s_mul_i32 s11, s11, s5
	s_add_i32 s21, s22, s21
	s_mul_i32 s10, s10, s5
	s_add_i32 s21, s21, s11
	s_mul_hi_u32 s22, s4, s10
	s_mul_i32 s54, s4, s10
	s_mul_hi_u32 s10, s5, s10
	s_mul_hi_u32 s56, s5, s21
	s_mul_i32 s5, s5, s21
	s_mul_hi_u32 s11, s4, s21
	s_add_u32 s5, s10, s5
	s_addc_u32 s10, 0, s56
	s_add_u32 s5, s5, s54
	s_mul_i32 s21, s4, s21
	s_addc_u32 s5, s10, s22
	s_addc_u32 s10, s11, 0
	s_add_u32 s5, s5, s21
	s_addc_u32 s10, 0, s10
	v_add_co_u32 v2, s5, v2, s5
	s_delay_alu instid0(VALU_DEP_1) | instskip(SKIP_1) | instid1(VALU_DEP_1)
	s_cmp_lg_u32 s5, 0
	s_addc_u32 s4, s4, s10
	v_readfirstlane_b32 s5, v2
	s_mul_i32 s11, s73, s4
	s_mul_hi_u32 s10, s73, s4
	s_mul_hi_u32 s21, s57, s4
	s_mul_i32 s4, s57, s4
	s_mul_hi_u32 s22, s73, s5
	s_mul_hi_u32 s54, s57, s5
	s_mul_i32 s5, s57, s5
	s_add_u32 s11, s22, s11
	s_addc_u32 s10, 0, s10
	s_add_u32 s5, s11, s5
	s_addc_u32 s5, s10, s54
	s_addc_u32 s10, s21, 0
	s_add_u32 s4, s5, s4
	s_addc_u32 s5, 0, s10
	s_mul_hi_u32 s10, s41, s4
	s_mul_i32 s4, s41, s4
	s_mul_i32 s5, s41, s5
	v_sub_co_u32 v2, s4, s73, s4
	s_add_i32 s10, s10, s5
	s_cmp_lg_u32 s4, 0
	s_delay_alu instid0(VALU_DEP_1) | instskip(SKIP_2) | instid1(VALU_DEP_1)
	v_sub_co_u32 v3, s4, v2, s41
	s_subb_u32 s5, s57, s10
	s_cmp_lg_u32 s4, 0
	v_cmp_le_u32_e32 vcc_lo, s41, v3
	v_sub_co_u32 v4, s4, v3, s41
	s_subb_u32 s10, s5, 0
	s_cmp_lg_u32 s4, 0
	v_cndmask_b32_e64 v5, 0, -1, vcc_lo
	s_subb_u32 s4, s10, 0
	s_cmp_eq_u32 s10, 0
	v_mov_b32_e32 v7, s4
	s_cselect_b32 vcc_lo, -1, 0
	s_cmp_eq_u32 s5, 0
	v_cndmask_b32_e32 v5, -1, v5, vcc_lo
	v_cmp_le_u32_e32 vcc_lo, s41, v2
	s_cselect_b32 s4, -1, 0
	v_cndmask_b32_e64 v6, 0, -1, vcc_lo
	s_delay_alu instid0(VALU_DEP_3) | instskip(NEXT) | instid1(VALU_DEP_2)
	v_cmp_ne_u32_e32 vcc_lo, 0, v5
	v_cndmask_b32_e64 v5, -1, v6, s4
	v_cndmask_b32_e32 v6, s10, v7, vcc_lo
	v_cndmask_b32_e32 v4, v3, v4, vcc_lo
	s_delay_alu instid0(VALU_DEP_3) | instskip(NEXT) | instid1(VALU_DEP_3)
	v_cmp_ne_u32_e32 vcc_lo, 0, v5
	v_cndmask_b32_e32 v3, s5, v6, vcc_lo
	s_delay_alu instid0(VALU_DEP_3)
	v_cndmask_b32_e32 v2, v2, v4, vcc_lo
	s_cbranch_execnz .LBB125_216
.LBB125_215:                            ;   in Loop: Header=BB125_27 Depth=1
	v_cvt_f32_u32_e32 v2, s41
	s_sub_i32 s4, 0, s41
	s_delay_alu instid0(VALU_DEP_1) | instskip(SKIP_2) | instid1(VALU_DEP_1)
	v_rcp_iflag_f32_e32 v2, v2
	s_waitcnt_depctr 0xfff
	v_mul_f32_e32 v2, 0x4f7ffffe, v2
	v_cvt_u32_f32_e32 v2, v2
	s_delay_alu instid0(VALU_DEP_1) | instskip(NEXT) | instid1(VALU_DEP_1)
	v_mul_lo_u32 v3, s4, v2
	v_mul_hi_u32 v3, v2, v3
	s_delay_alu instid0(VALU_DEP_1) | instskip(NEXT) | instid1(VALU_DEP_1)
	v_add_nc_u32_e32 v2, v2, v3
	v_mul_hi_u32 v2, s73, v2
	s_delay_alu instid0(VALU_DEP_1) | instskip(NEXT) | instid1(VALU_DEP_1)
	v_mul_lo_u32 v2, v2, s41
	v_sub_nc_u32_e32 v2, s73, v2
	s_delay_alu instid0(VALU_DEP_1) | instskip(SKIP_1) | instid1(VALU_DEP_2)
	v_subrev_nc_u32_e32 v3, s41, v2
	v_cmp_le_u32_e32 vcc_lo, s41, v2
	v_cndmask_b32_e32 v2, v2, v3, vcc_lo
	s_delay_alu instid0(VALU_DEP_1) | instskip(SKIP_1) | instid1(VALU_DEP_2)
	v_subrev_nc_u32_e32 v3, s41, v2
	v_cmp_le_u32_e32 vcc_lo, s41, v2
	v_cndmask_b32_e32 v12, v2, v3, vcc_lo
	s_delay_alu instid0(VALU_DEP_1)
	v_dual_mov_b32 v2, v12 :: v_dual_mov_b32 v3, v13
.LBB125_216:                            ;   in Loop: Header=BB125_27 Depth=1
	s_delay_alu instid0(VALU_DEP_1) | instskip(NEXT) | instid1(VALU_DEP_2)
	v_sub_co_u32 v2, vcc_lo, s73, v2
	v_sub_co_ci_u32_e32 v3, vcc_lo, s57, v3, vcc_lo
	s_mov_b32 s4, 0
	s_mov_b32 s5, exec_lo
                                        ; implicit-def: $vgpr18
	s_delay_alu instid0(VALU_DEP_1)
	v_cmpx_gt_u64_e64 v[2:3], v[0:1]
	s_cbranch_execz .LBB125_225
; %bb.217:                              ;   in Loop: Header=BB125_27 Depth=1
	v_dual_mov_b32 v5, v1 :: v_dual_mov_b32 v4, v0
	s_mov_b32 s10, 0
                                        ; implicit-def: $sgpr11
	s_branch .LBB125_219
.LBB125_218:                            ;   in Loop: Header=BB125_219 Depth=2
	s_or_b32 exec_lo, exec_lo, s4
	s_waitcnt vmcnt(0) lgkmcnt(0)
	s_barrier
	buffer_gl0_inv
	ds_load_b64 v[17:18], v13 offset:3072
	v_add_co_u32 v4, vcc_lo, v4, s41
	v_add_co_ci_u32_e32 v5, vcc_lo, 0, v5, vcc_lo
	s_waitcnt lgkmcnt(0)
	s_barrier
	buffer_gl0_inv
	v_cmp_ge_u64_e32 vcc_lo, v[4:5], v[2:3]
	v_cmp_neq_f32_e64 s4, 0, v17
	s_delay_alu instid0(VALU_DEP_1) | instskip(NEXT) | instid1(SALU_CYCLE_1)
	s_or_b32 s21, vcc_lo, s4
	s_and_b32 s21, exec_lo, s21
	s_delay_alu instid0(SALU_CYCLE_1) | instskip(SKIP_2) | instid1(SALU_CYCLE_1)
	s_or_b32 s10, s21, s10
	s_and_not1_b32 s11, s11, exec_lo
	s_and_b32 s4, s4, exec_lo
	s_or_b32 s11, s11, s4
	s_and_not1_b32 exec_lo, exec_lo, s10
	s_cbranch_execz .LBB125_224
.LBB125_219:                            ;   Parent Loop BB125_27 Depth=1
                                        ; =>  This Inner Loop Header: Depth=2
	s_delay_alu instid0(VALU_DEP_1)
	v_cmp_gt_u64_e32 vcc_lo, s[24:25], v[4:5]
	v_mov_b32_e32 v17, 0
	s_and_saveexec_b32 s21, vcc_lo
	s_cbranch_execz .LBB125_221
; %bb.220:                              ;   in Loop: Header=BB125_219 Depth=2
	v_mul_lo_u32 v8, v5, s42
	v_mul_lo_u32 v9, v4, s43
	v_mad_u64_u32 v[6:7], null, v4, s42, 0
	s_delay_alu instid0(VALU_DEP_1) | instskip(NEXT) | instid1(VALU_DEP_1)
	v_add3_u32 v7, v7, v9, v8
	v_lshlrev_b64 v[6:7], 2, v[6:7]
	s_delay_alu instid0(VALU_DEP_1) | instskip(NEXT) | instid1(VALU_DEP_1)
	v_add_co_u32 v6, s4, s33, v6
	v_add_co_ci_u32_e64 v7, s4, s35, v7, s4
	global_load_b32 v17, v[6:7], off
.LBB125_221:                            ;   in Loop: Header=BB125_219 Depth=2
	s_or_b32 exec_lo, exec_lo, s21
	s_and_saveexec_b32 s4, vcc_lo
	s_cbranch_execz .LBB125_218
; %bb.222:                              ;   in Loop: Header=BB125_219 Depth=2
	s_waitcnt vmcnt(0)
	v_cmp_lt_i32_e32 vcc_lo, -1, v17
	v_cndmask_b32_e64 v6, -1, 0x80000000, vcc_lo
	v_cmp_o_f32_e32 vcc_lo, v17, v17
	s_delay_alu instid0(VALU_DEP_2) | instskip(NEXT) | instid1(VALU_DEP_1)
	v_xor_b32_e32 v6, v6, v17
	v_cndmask_b32_e32 v6, -1, v6, vcc_lo
	s_delay_alu instid0(VALU_DEP_1) | instskip(NEXT) | instid1(VALU_DEP_1)
	v_and_b32_e32 v6, s90, v6
	v_cmp_eq_u32_e32 vcc_lo, s89, v6
	s_and_b32 exec_lo, exec_lo, vcc_lo
	s_cbranch_execz .LBB125_218
; %bb.223:                              ;   in Loop: Header=BB125_219 Depth=2
	ds_store_b64 v13, v[16:17] offset:3072
	s_branch .LBB125_218
.LBB125_224:                            ;   in Loop: Header=BB125_27 Depth=1
	s_or_b32 exec_lo, exec_lo, s10
	s_delay_alu instid0(SALU_CYCLE_1)
	s_and_b32 s4, s11, exec_lo
.LBB125_225:                            ;   in Loop: Header=BB125_27 Depth=1
	s_or_b32 exec_lo, exec_lo, s5
	s_mov_b32 s21, -1
	s_mov_b32 s10, 0
	s_mov_b32 s11, 0
.LBB125_226:                            ;   in Loop: Header=BB125_27 Depth=1
	s_mov_b32 s5, 0
                                        ; implicit-def: $sgpr54
	s_and_saveexec_b32 s22, s4
	s_cbranch_execz .LBB125_288
; %bb.227:                              ;   in Loop: Header=BB125_27 Depth=1
	s_xor_b32 s4, s23, -1
	s_mov_b32 s54, 1
	s_and_not1_b32 vcc_lo, exec_lo, s4
	s_cbranch_vccnz .LBB125_238
; %bb.228:                              ;   in Loop: Header=BB125_27 Depth=1
	v_cmp_gt_u64_e64 s4, s[52:53], s[8:9]
                                        ; implicit-def: $sgpr54
                                        ; implicit-def: $sgpr5
                                        ; implicit-def: $sgpr23
	s_delay_alu instid0(VALU_DEP_1)
	s_and_b32 vcc_lo, exec_lo, s4
	s_mov_b32 s4, -1
	s_cbranch_vccnz .LBB125_234
; %bb.229:                              ;   in Loop: Header=BB125_27 Depth=1
	ds_load_b64 v[2:3], v13 offset:5120
	s_waitcnt lgkmcnt(0)
	v_cmp_ne_u64_e32 vcc_lo, 0, v[2:3]
	s_cbranch_vccnz .LBB125_233
; %bb.230:                              ;   in Loop: Header=BB125_27 Depth=1
	s_and_saveexec_b32 s4, s3
	s_cbranch_execz .LBB125_232
; %bb.231:                              ;   in Loop: Header=BB125_27 Depth=1
	v_dual_mov_b32 v2, s8 :: v_dual_mov_b32 v3, s9
	ds_store_b64 v13, v[2:3] offset:5128
.LBB125_232:                            ;   in Loop: Header=BB125_27 Depth=1
	s_or_b32 exec_lo, exec_lo, s4
	s_waitcnt lgkmcnt(0)
	s_barrier
	buffer_gl0_inv
.LBB125_233:                            ;   in Loop: Header=BB125_27 Depth=1
	s_lshl_b32 s4, 2, s17
	s_and_b32 s5, s89, s18
	s_or_b32 s23, s90, s16
	s_or_b32 s5, s5, s4
	s_mov_b32 s4, 0
	s_mov_b32 s54, 8
.LBB125_234:                            ;   in Loop: Header=BB125_27 Depth=1
	s_and_not1_b32 vcc_lo, exec_lo, s4
	s_cbranch_vccnz .LBB125_236
; %bb.235:                              ;   in Loop: Header=BB125_27 Depth=1
	s_sub_u32 s52, s52, s8
	s_subb_u32 s53, s53, s9
	s_mov_b32 s4, -1
	s_mov_b32 s54, 0
	s_mov_b32 s5, s89
	;; [unrolled: 1-line block ×3, first 2 shown]
.LBB125_236:                            ;   in Loop: Header=BB125_27 Depth=1
	s_delay_alu instid0(SALU_CYCLE_1)
	s_mov_b32 s90, s23
	s_mov_b32 s89, s5
	s_and_not1_b32 vcc_lo, exec_lo, s4
	s_mov_b32 s60, -1
	s_cbranch_vccz .LBB125_239
.LBB125_237:                            ;   in Loop: Header=BB125_27 Depth=1
                                        ; implicit-def: $sgpr8
                                        ; implicit-def: $sgpr18
                                        ; implicit-def: $sgpr9
	s_branch .LBB125_287
.LBB125_238:                            ;   in Loop: Header=BB125_27 Depth=1
	s_mov_b64 s[52:53], 1
	s_mov_b32 s60, -1
	s_cbranch_execnz .LBB125_237
.LBB125_239:                            ;   in Loop: Header=BB125_27 Depth=1
	s_cmp_eq_u64 s[6:7], 1
	s_mov_b32 s23, -1
	s_cselect_b32 s4, -1, 0
	s_cmp_eq_u64 s[52:53], 1
	s_cselect_b32 s5, -1, 0
	s_delay_alu instid0(SALU_CYCLE_1) | instskip(NEXT) | instid1(SALU_CYCLE_1)
	s_and_b32 s17, s4, s5
	s_and_b32 vcc_lo, exec_lo, s17
	s_cbranch_vccz .LBB125_254
; %bb.240:                              ;   in Loop: Header=BB125_27 Depth=1
	ds_load_b64 v[2:3], v13 offset:5120
	s_waitcnt lgkmcnt(0)
	s_barrier
	buffer_gl0_inv
	v_readfirstlane_b32 s8, v2
	v_readfirstlane_b32 s9, v3
	s_and_saveexec_b32 s4, s0
	s_cbranch_execz .LBB125_242
; %bb.241:                              ;   in Loop: Header=BB125_27 Depth=1
	ds_store_b32 v24, v13
.LBB125_242:                            ;   in Loop: Header=BB125_27 Depth=1
	s_or_b32 exec_lo, exec_lo, s4
	s_or_b32 s89, s89, s16
	s_or_b32 s90, s90, s16
	s_cmp_eq_u64 s[8:9], 0
	s_waitcnt lgkmcnt(0)
	s_barrier
	buffer_gl0_inv
	s_cbranch_scc1 .LBB125_257
; %bb.243:                              ;   in Loop: Header=BB125_27 Depth=1
	s_add_u32 s18, s71, s8
	s_addc_u32 s5, s72, s9
	s_mov_b32 s4, s55
	s_delay_alu instid0(SALU_CYCLE_1)
	s_cmp_lg_u64 s[4:5], 0
	s_cbranch_scc0 .LBB125_293
; %bb.244:                              ;   in Loop: Header=BB125_27 Depth=1
	v_cvt_f32_u32_e32 v2, s41
	s_sub_u32 s54, 0, s41
	s_subb_u32 s56, 0, 0
	s_delay_alu instid0(VALU_DEP_1) | instskip(NEXT) | instid1(VALU_DEP_1)
	v_fmac_f32_e64 v2, 0, 0x4f800000
	v_rcp_f32_e32 v2, v2
	s_waitcnt_depctr 0xfff
	v_mul_f32_e32 v2, 0x5f7ffffc, v2
	s_delay_alu instid0(VALU_DEP_1) | instskip(NEXT) | instid1(VALU_DEP_1)
	v_mul_f32_e32 v3, 0x2f800000, v2
	v_trunc_f32_e32 v3, v3
	s_delay_alu instid0(VALU_DEP_1) | instskip(SKIP_1) | instid1(VALU_DEP_2)
	v_fmac_f32_e32 v2, 0xcf800000, v3
	v_cvt_u32_f32_e32 v3, v3
	v_cvt_u32_f32_e32 v2, v2
	s_delay_alu instid0(VALU_DEP_2) | instskip(NEXT) | instid1(VALU_DEP_2)
	v_readfirstlane_b32 s4, v3
	v_readfirstlane_b32 s23, v2
	s_delay_alu instid0(VALU_DEP_2) | instskip(NEXT) | instid1(VALU_DEP_1)
	s_mul_i32 s60, s54, s4
	s_mul_hi_u32 s62, s54, s23
	s_mul_i32 s61, s56, s23
	s_add_i32 s60, s62, s60
	s_mul_i32 s63, s54, s23
	s_add_i32 s60, s60, s61
	s_mul_hi_u32 s62, s23, s63
	s_mul_hi_u32 s64, s4, s63
	s_mul_i32 s61, s4, s63
	s_mul_hi_u32 s63, s23, s60
	s_mul_i32 s23, s23, s60
	s_mul_hi_u32 s65, s4, s60
	s_add_u32 s23, s62, s23
	s_addc_u32 s62, 0, s63
	s_add_u32 s23, s23, s61
	s_mul_i32 s60, s4, s60
	s_addc_u32 s23, s62, s64
	s_addc_u32 s61, s65, 0
	s_add_u32 s23, s23, s60
	s_addc_u32 s60, 0, s61
	v_add_co_u32 v2, s23, v2, s23
	s_delay_alu instid0(VALU_DEP_1) | instskip(SKIP_1) | instid1(VALU_DEP_1)
	s_cmp_lg_u32 s23, 0
	s_addc_u32 s4, s4, s60
	v_readfirstlane_b32 s23, v2
	s_mul_i32 s60, s54, s4
	s_delay_alu instid0(VALU_DEP_1)
	s_mul_hi_u32 s61, s54, s23
	s_mul_i32 s56, s56, s23
	s_add_i32 s60, s61, s60
	s_mul_i32 s54, s54, s23
	s_add_i32 s60, s60, s56
	s_mul_hi_u32 s61, s4, s54
	s_mul_i32 s62, s4, s54
	s_mul_hi_u32 s54, s23, s54
	s_mul_hi_u32 s63, s23, s60
	s_mul_i32 s23, s23, s60
	s_mul_hi_u32 s56, s4, s60
	s_add_u32 s23, s54, s23
	s_addc_u32 s54, 0, s63
	s_add_u32 s23, s23, s62
	s_mul_i32 s60, s4, s60
	s_addc_u32 s23, s54, s61
	s_addc_u32 s54, s56, 0
	s_add_u32 s23, s23, s60
	s_addc_u32 s54, 0, s54
	v_add_co_u32 v2, s23, v2, s23
	s_delay_alu instid0(VALU_DEP_1) | instskip(SKIP_1) | instid1(VALU_DEP_1)
	s_cmp_lg_u32 s23, 0
	s_addc_u32 s4, s4, s54
	v_readfirstlane_b32 s23, v2
	s_mul_i32 s56, s18, s4
	s_mul_hi_u32 s54, s18, s4
	s_mul_hi_u32 s60, s5, s4
	s_mul_i32 s4, s5, s4
	s_mul_hi_u32 s61, s18, s23
	s_mul_hi_u32 s62, s5, s23
	s_mul_i32 s23, s5, s23
	s_add_u32 s56, s61, s56
	s_addc_u32 s54, 0, s54
	s_add_u32 s23, s56, s23
	s_addc_u32 s23, s54, s62
	s_addc_u32 s54, s60, 0
	s_add_u32 s4, s23, s4
	s_addc_u32 s23, 0, s54
	s_mul_hi_u32 s54, s41, s4
	s_mul_i32 s4, s41, s4
	s_mul_i32 s23, s41, s23
	v_sub_co_u32 v2, s4, s18, s4
	s_add_i32 s54, s54, s23
	s_cmp_lg_u32 s4, 0
	s_delay_alu instid0(VALU_DEP_1) | instskip(SKIP_2) | instid1(VALU_DEP_1)
	v_sub_co_u32 v3, s4, v2, s41
	s_subb_u32 s23, s5, s54
	s_cmp_lg_u32 s4, 0
	v_cmp_le_u32_e32 vcc_lo, s41, v3
	v_sub_co_u32 v4, s4, v3, s41
	s_subb_u32 s54, s23, 0
	s_cmp_lg_u32 s4, 0
	v_cndmask_b32_e64 v5, 0, -1, vcc_lo
	s_subb_u32 s4, s54, 0
	s_cmp_eq_u32 s54, 0
	v_mov_b32_e32 v7, s4
	s_cselect_b32 vcc_lo, -1, 0
	s_cmp_eq_u32 s23, 0
	v_cndmask_b32_e32 v5, -1, v5, vcc_lo
	v_cmp_le_u32_e32 vcc_lo, s41, v2
	s_cselect_b32 s4, -1, 0
	v_cndmask_b32_e64 v6, 0, -1, vcc_lo
	s_delay_alu instid0(VALU_DEP_3) | instskip(NEXT) | instid1(VALU_DEP_2)
	v_cmp_ne_u32_e32 vcc_lo, 0, v5
	v_cndmask_b32_e64 v5, -1, v6, s4
	v_cndmask_b32_e32 v6, s54, v7, vcc_lo
	v_cndmask_b32_e32 v4, v3, v4, vcc_lo
	s_delay_alu instid0(VALU_DEP_3) | instskip(NEXT) | instid1(VALU_DEP_3)
	v_cmp_ne_u32_e32 vcc_lo, 0, v5
	v_cndmask_b32_e32 v3, s23, v6, vcc_lo
	s_delay_alu instid0(VALU_DEP_3)
	v_cndmask_b32_e32 v2, v2, v4, vcc_lo
	s_cbranch_execnz .LBB125_246
.LBB125_245:                            ;   in Loop: Header=BB125_27 Depth=1
	v_cvt_f32_u32_e32 v2, s41
	s_sub_i32 s4, 0, s41
	s_delay_alu instid0(VALU_DEP_1) | instskip(SKIP_2) | instid1(VALU_DEP_1)
	v_rcp_iflag_f32_e32 v2, v2
	s_waitcnt_depctr 0xfff
	v_mul_f32_e32 v2, 0x4f7ffffe, v2
	v_cvt_u32_f32_e32 v2, v2
	s_delay_alu instid0(VALU_DEP_1) | instskip(NEXT) | instid1(VALU_DEP_1)
	v_mul_lo_u32 v3, s4, v2
	v_mul_hi_u32 v3, v2, v3
	s_delay_alu instid0(VALU_DEP_1) | instskip(NEXT) | instid1(VALU_DEP_1)
	v_add_nc_u32_e32 v2, v2, v3
	v_mul_hi_u32 v2, s18, v2
	s_delay_alu instid0(VALU_DEP_1) | instskip(NEXT) | instid1(VALU_DEP_1)
	v_mul_lo_u32 v2, v2, s41
	v_sub_nc_u32_e32 v2, s18, v2
	s_delay_alu instid0(VALU_DEP_1) | instskip(SKIP_1) | instid1(VALU_DEP_2)
	v_subrev_nc_u32_e32 v3, s41, v2
	v_cmp_le_u32_e32 vcc_lo, s41, v2
	v_cndmask_b32_e32 v2, v2, v3, vcc_lo
	s_delay_alu instid0(VALU_DEP_1) | instskip(SKIP_1) | instid1(VALU_DEP_2)
	v_subrev_nc_u32_e32 v3, s41, v2
	v_cmp_le_u32_e32 vcc_lo, s41, v2
	v_cndmask_b32_e32 v12, v2, v3, vcc_lo
	s_delay_alu instid0(VALU_DEP_1)
	v_dual_mov_b32 v2, v12 :: v_dual_mov_b32 v3, v13
.LBB125_246:                            ;   in Loop: Header=BB125_27 Depth=1
	s_delay_alu instid0(VALU_DEP_1) | instskip(NEXT) | instid1(VALU_DEP_2)
	v_sub_co_u32 v2, vcc_lo, s18, v2
	v_sub_co_ci_u32_e32 v3, vcc_lo, s5, v3, vcc_lo
	s_mov_b32 s23, 0
	s_mov_b32 s5, exec_lo
                                        ; implicit-def: $vgpr18
	s_delay_alu instid0(VALU_DEP_1)
	v_cmpx_gt_u64_e64 v[2:3], v[0:1]
	s_cbranch_execz .LBB125_259
; %bb.247:                              ;   in Loop: Header=BB125_27 Depth=1
	v_dual_mov_b32 v6, v10 :: v_dual_mov_b32 v5, v1
	v_mov_b32_e32 v4, v0
	s_mov_b32 s18, 0
                                        ; implicit-def: $sgpr23
	s_set_inst_prefetch_distance 0x1
	s_branch .LBB125_249
	.p2align	6
.LBB125_248:                            ;   in Loop: Header=BB125_249 Depth=2
	s_or_b32 exec_lo, exec_lo, s4
	s_waitcnt lgkmcnt(0)
	s_barrier
	buffer_gl0_inv
	ds_load_b64 v[17:18], v13 offset:3072
	v_add_co_u32 v4, vcc_lo, v4, s41
	v_add_co_ci_u32_e32 v5, vcc_lo, 0, v5, vcc_lo
	v_add_nc_u32_e32 v6, s79, v6
	s_waitcnt lgkmcnt(0)
	s_barrier
	s_delay_alu instid0(VALU_DEP_2) | instskip(SKIP_2) | instid1(VALU_DEP_1)
	v_cmp_ge_u64_e32 vcc_lo, v[4:5], v[2:3]
	buffer_gl0_inv
	v_cmp_neq_f32_e64 s4, 0, v17
	s_or_b32 s54, vcc_lo, s4
	s_delay_alu instid0(SALU_CYCLE_1) | instskip(NEXT) | instid1(SALU_CYCLE_1)
	s_and_b32 s54, exec_lo, s54
	s_or_b32 s18, s54, s18
	s_and_not1_b32 s23, s23, exec_lo
	s_and_b32 s4, s4, exec_lo
	s_delay_alu instid0(SALU_CYCLE_1)
	s_or_b32 s23, s23, s4
	s_and_not1_b32 exec_lo, exec_lo, s18
	s_cbranch_execz .LBB125_258
.LBB125_249:                            ;   Parent Loop BB125_27 Depth=1
                                        ; =>  This Inner Loop Header: Depth=2
	s_delay_alu instid0(VALU_DEP_1)
	v_cmp_gt_u64_e32 vcc_lo, s[8:9], v[4:5]
	v_mov_b32_e32 v17, 0
	s_and_saveexec_b32 s4, vcc_lo
	s_cbranch_execz .LBB125_251
; %bb.250:                              ;   in Loop: Header=BB125_249 Depth=2
	ds_load_b32 v17, v6
.LBB125_251:                            ;   in Loop: Header=BB125_249 Depth=2
	s_or_b32 exec_lo, exec_lo, s4
	s_and_saveexec_b32 s4, vcc_lo
	s_cbranch_execz .LBB125_248
; %bb.252:                              ;   in Loop: Header=BB125_249 Depth=2
	s_waitcnt lgkmcnt(0)
	v_cmp_lt_i32_e32 vcc_lo, -1, v17
	v_cndmask_b32_e64 v7, -1, 0x80000000, vcc_lo
	v_cmp_o_f32_e32 vcc_lo, v17, v17
	s_delay_alu instid0(VALU_DEP_2) | instskip(NEXT) | instid1(VALU_DEP_1)
	v_xor_b32_e32 v7, v7, v17
	v_cndmask_b32_e32 v7, -1, v7, vcc_lo
	s_delay_alu instid0(VALU_DEP_1) | instskip(NEXT) | instid1(VALU_DEP_1)
	v_and_b32_e32 v7, s90, v7
	v_cmp_eq_u32_e32 vcc_lo, s89, v7
	s_and_b32 exec_lo, exec_lo, vcc_lo
	s_cbranch_execz .LBB125_248
; %bb.253:                              ;   in Loop: Header=BB125_249 Depth=2
	ds_store_b64 v13, v[16:17] offset:3072
	s_branch .LBB125_248
.LBB125_254:                            ;   in Loop: Header=BB125_27 Depth=1
                                        ; implicit-def: $sgpr8
                                        ; implicit-def: $sgpr18
                                        ; implicit-def: $sgpr9
	s_branch .LBB125_273
.LBB125_255:                            ;   in Loop: Header=BB125_27 Depth=1
                                        ; implicit-def: $vgpr2_vgpr3
	s_branch .LBB125_198
.LBB125_256:                            ;   in Loop: Header=BB125_27 Depth=1
                                        ; implicit-def: $vgpr2_vgpr3
	s_branch .LBB125_215
.LBB125_257:                            ;   in Loop: Header=BB125_27 Depth=1
	s_mov_b32 s8, -1
	s_mov_b32 s23, 0
                                        ; implicit-def: $sgpr9
                                        ; implicit-def: $vgpr18
	s_mov_b32 s18, s8
	s_cbranch_execnz .LBB125_260
	s_branch .LBB125_273
.LBB125_258:                            ;   in Loop: Header=BB125_27 Depth=1
	s_set_inst_prefetch_distance 0x2
	s_or_b32 exec_lo, exec_lo, s18
	s_delay_alu instid0(SALU_CYCLE_1)
	s_and_b32 s23, s23, exec_lo
.LBB125_259:                            ;   in Loop: Header=BB125_27 Depth=1
	s_or_b32 exec_lo, exec_lo, s5
	s_mov_b32 s9, -1
	s_mov_b32 s8, 0
	s_delay_alu instid0(SALU_CYCLE_1)
	s_mov_b32 s18, s8
	s_branch .LBB125_273
.LBB125_260:                            ;   in Loop: Header=BB125_27 Depth=1
	s_mov_b32 s56, s55
	s_delay_alu instid0(SALU_CYCLE_1)
	s_cmp_lg_u64 s[56:57], 0
	s_cbranch_scc0 .LBB125_294
; %bb.261:                              ;   in Loop: Header=BB125_27 Depth=1
	v_cvt_f32_u32_e32 v2, s41
	s_sub_u32 s8, 0, s41
	s_subb_u32 s9, 0, 0
	s_delay_alu instid0(VALU_DEP_1) | instskip(NEXT) | instid1(VALU_DEP_1)
	v_fmac_f32_e64 v2, 0, 0x4f800000
	v_rcp_f32_e32 v2, v2
	s_waitcnt_depctr 0xfff
	v_mul_f32_e32 v2, 0x5f7ffffc, v2
	s_delay_alu instid0(VALU_DEP_1) | instskip(NEXT) | instid1(VALU_DEP_1)
	v_mul_f32_e32 v3, 0x2f800000, v2
	v_trunc_f32_e32 v3, v3
	s_delay_alu instid0(VALU_DEP_1) | instskip(SKIP_1) | instid1(VALU_DEP_2)
	v_fmac_f32_e32 v2, 0xcf800000, v3
	v_cvt_u32_f32_e32 v3, v3
	v_cvt_u32_f32_e32 v2, v2
	s_delay_alu instid0(VALU_DEP_2) | instskip(NEXT) | instid1(VALU_DEP_2)
	v_readfirstlane_b32 s4, v3
	v_readfirstlane_b32 s5, v2
	s_delay_alu instid0(VALU_DEP_2) | instskip(NEXT) | instid1(VALU_DEP_1)
	s_mul_i32 s18, s8, s4
	s_mul_hi_u32 s54, s8, s5
	s_mul_i32 s23, s9, s5
	s_add_i32 s18, s54, s18
	s_mul_i32 s56, s8, s5
	s_add_i32 s18, s18, s23
	s_mul_hi_u32 s54, s5, s56
	s_mul_hi_u32 s60, s4, s56
	s_mul_i32 s23, s4, s56
	s_mul_hi_u32 s56, s5, s18
	s_mul_i32 s5, s5, s18
	s_mul_hi_u32 s61, s4, s18
	s_add_u32 s5, s54, s5
	s_addc_u32 s54, 0, s56
	s_add_u32 s5, s5, s23
	s_mul_i32 s18, s4, s18
	s_addc_u32 s5, s54, s60
	s_addc_u32 s23, s61, 0
	s_add_u32 s5, s5, s18
	s_addc_u32 s18, 0, s23
	v_add_co_u32 v2, s5, v2, s5
	s_delay_alu instid0(VALU_DEP_1) | instskip(SKIP_1) | instid1(VALU_DEP_1)
	s_cmp_lg_u32 s5, 0
	s_addc_u32 s4, s4, s18
	v_readfirstlane_b32 s5, v2
	s_mul_i32 s18, s8, s4
	s_delay_alu instid0(VALU_DEP_1)
	s_mul_hi_u32 s23, s8, s5
	s_mul_i32 s9, s9, s5
	s_add_i32 s18, s23, s18
	s_mul_i32 s8, s8, s5
	s_add_i32 s18, s18, s9
	s_mul_hi_u32 s23, s4, s8
	s_mul_i32 s54, s4, s8
	s_mul_hi_u32 s8, s5, s8
	s_mul_hi_u32 s56, s5, s18
	s_mul_i32 s5, s5, s18
	s_mul_hi_u32 s9, s4, s18
	s_add_u32 s5, s8, s5
	s_addc_u32 s8, 0, s56
	s_add_u32 s5, s5, s54
	s_mul_i32 s18, s4, s18
	s_addc_u32 s5, s8, s23
	s_addc_u32 s8, s9, 0
	s_add_u32 s5, s5, s18
	s_addc_u32 s8, 0, s8
	v_add_co_u32 v2, s5, v2, s5
	s_delay_alu instid0(VALU_DEP_1) | instskip(SKIP_1) | instid1(VALU_DEP_1)
	s_cmp_lg_u32 s5, 0
	s_addc_u32 s4, s4, s8
	v_readfirstlane_b32 s5, v2
	s_mul_i32 s9, s73, s4
	s_mul_hi_u32 s8, s73, s4
	s_mul_hi_u32 s18, s57, s4
	s_mul_i32 s4, s57, s4
	s_mul_hi_u32 s23, s73, s5
	s_mul_hi_u32 s54, s57, s5
	s_mul_i32 s5, s57, s5
	s_add_u32 s9, s23, s9
	s_addc_u32 s8, 0, s8
	s_add_u32 s5, s9, s5
	s_addc_u32 s5, s8, s54
	s_addc_u32 s8, s18, 0
	s_add_u32 s4, s5, s4
	s_addc_u32 s5, 0, s8
	s_mul_hi_u32 s8, s41, s4
	s_mul_i32 s4, s41, s4
	s_mul_i32 s5, s41, s5
	v_sub_co_u32 v2, s4, s73, s4
	s_add_i32 s8, s8, s5
	s_cmp_lg_u32 s4, 0
	s_delay_alu instid0(VALU_DEP_1) | instskip(SKIP_2) | instid1(VALU_DEP_1)
	v_sub_co_u32 v3, s4, v2, s41
	s_subb_u32 s5, s57, s8
	s_cmp_lg_u32 s4, 0
	v_cmp_le_u32_e32 vcc_lo, s41, v3
	v_sub_co_u32 v4, s4, v3, s41
	s_subb_u32 s8, s5, 0
	s_cmp_lg_u32 s4, 0
	v_cndmask_b32_e64 v5, 0, -1, vcc_lo
	s_subb_u32 s4, s8, 0
	s_cmp_eq_u32 s8, 0
	v_mov_b32_e32 v7, s4
	s_cselect_b32 vcc_lo, -1, 0
	s_cmp_eq_u32 s5, 0
	v_cndmask_b32_e32 v5, -1, v5, vcc_lo
	v_cmp_le_u32_e32 vcc_lo, s41, v2
	s_cselect_b32 s4, -1, 0
	v_cndmask_b32_e64 v6, 0, -1, vcc_lo
	s_delay_alu instid0(VALU_DEP_3) | instskip(NEXT) | instid1(VALU_DEP_2)
	v_cmp_ne_u32_e32 vcc_lo, 0, v5
	v_cndmask_b32_e64 v5, -1, v6, s4
	v_cndmask_b32_e32 v6, s8, v7, vcc_lo
	v_cndmask_b32_e32 v4, v3, v4, vcc_lo
	s_delay_alu instid0(VALU_DEP_3) | instskip(NEXT) | instid1(VALU_DEP_3)
	v_cmp_ne_u32_e32 vcc_lo, 0, v5
	v_cndmask_b32_e32 v3, s5, v6, vcc_lo
	s_delay_alu instid0(VALU_DEP_3)
	v_cndmask_b32_e32 v2, v2, v4, vcc_lo
	s_cbranch_execnz .LBB125_263
.LBB125_262:                            ;   in Loop: Header=BB125_27 Depth=1
	v_cvt_f32_u32_e32 v2, s41
	s_sub_i32 s4, 0, s41
	s_delay_alu instid0(VALU_DEP_1) | instskip(SKIP_2) | instid1(VALU_DEP_1)
	v_rcp_iflag_f32_e32 v2, v2
	s_waitcnt_depctr 0xfff
	v_mul_f32_e32 v2, 0x4f7ffffe, v2
	v_cvt_u32_f32_e32 v2, v2
	s_delay_alu instid0(VALU_DEP_1) | instskip(NEXT) | instid1(VALU_DEP_1)
	v_mul_lo_u32 v3, s4, v2
	v_mul_hi_u32 v3, v2, v3
	s_delay_alu instid0(VALU_DEP_1) | instskip(NEXT) | instid1(VALU_DEP_1)
	v_add_nc_u32_e32 v2, v2, v3
	v_mul_hi_u32 v2, s73, v2
	s_delay_alu instid0(VALU_DEP_1) | instskip(NEXT) | instid1(VALU_DEP_1)
	v_mul_lo_u32 v2, v2, s41
	v_sub_nc_u32_e32 v2, s73, v2
	s_delay_alu instid0(VALU_DEP_1) | instskip(SKIP_1) | instid1(VALU_DEP_2)
	v_subrev_nc_u32_e32 v3, s41, v2
	v_cmp_le_u32_e32 vcc_lo, s41, v2
	v_cndmask_b32_e32 v2, v2, v3, vcc_lo
	s_delay_alu instid0(VALU_DEP_1) | instskip(SKIP_1) | instid1(VALU_DEP_2)
	v_subrev_nc_u32_e32 v3, s41, v2
	v_cmp_le_u32_e32 vcc_lo, s41, v2
	v_cndmask_b32_e32 v12, v2, v3, vcc_lo
	s_delay_alu instid0(VALU_DEP_1)
	v_dual_mov_b32 v2, v12 :: v_dual_mov_b32 v3, v13
.LBB125_263:                            ;   in Loop: Header=BB125_27 Depth=1
	s_delay_alu instid0(VALU_DEP_1) | instskip(NEXT) | instid1(VALU_DEP_2)
	v_sub_co_u32 v2, vcc_lo, s73, v2
	v_sub_co_ci_u32_e32 v3, vcc_lo, s57, v3, vcc_lo
	s_mov_b32 s23, 0
	s_mov_b32 s5, exec_lo
                                        ; implicit-def: $vgpr18
	s_delay_alu instid0(VALU_DEP_1)
	v_cmpx_gt_u64_e64 v[2:3], v[0:1]
	s_cbranch_execz .LBB125_272
; %bb.264:                              ;   in Loop: Header=BB125_27 Depth=1
	v_dual_mov_b32 v5, v1 :: v_dual_mov_b32 v4, v0
	s_mov_b32 s8, 0
                                        ; implicit-def: $sgpr9
	s_branch .LBB125_266
.LBB125_265:                            ;   in Loop: Header=BB125_266 Depth=2
	s_or_b32 exec_lo, exec_lo, s4
	s_waitcnt vmcnt(0) lgkmcnt(0)
	s_barrier
	buffer_gl0_inv
	ds_load_b64 v[17:18], v13 offset:3072
	v_add_co_u32 v4, vcc_lo, v4, s41
	v_add_co_ci_u32_e32 v5, vcc_lo, 0, v5, vcc_lo
	s_waitcnt lgkmcnt(0)
	s_barrier
	buffer_gl0_inv
	v_cmp_ge_u64_e32 vcc_lo, v[4:5], v[2:3]
	v_cmp_neq_f32_e64 s4, 0, v17
	s_delay_alu instid0(VALU_DEP_1) | instskip(NEXT) | instid1(SALU_CYCLE_1)
	s_or_b32 s18, vcc_lo, s4
	s_and_b32 s18, exec_lo, s18
	s_delay_alu instid0(SALU_CYCLE_1) | instskip(SKIP_2) | instid1(SALU_CYCLE_1)
	s_or_b32 s8, s18, s8
	s_and_not1_b32 s9, s9, exec_lo
	s_and_b32 s4, s4, exec_lo
	s_or_b32 s9, s9, s4
	s_and_not1_b32 exec_lo, exec_lo, s8
	s_cbranch_execz .LBB125_271
.LBB125_266:                            ;   Parent Loop BB125_27 Depth=1
                                        ; =>  This Inner Loop Header: Depth=2
	s_delay_alu instid0(VALU_DEP_1)
	v_cmp_gt_u64_e32 vcc_lo, s[24:25], v[4:5]
	v_mov_b32_e32 v17, 0
	s_and_saveexec_b32 s18, vcc_lo
	s_cbranch_execz .LBB125_268
; %bb.267:                              ;   in Loop: Header=BB125_266 Depth=2
	v_mul_lo_u32 v8, v5, s42
	v_mul_lo_u32 v9, v4, s43
	v_mad_u64_u32 v[6:7], null, v4, s42, 0
	s_delay_alu instid0(VALU_DEP_1) | instskip(NEXT) | instid1(VALU_DEP_1)
	v_add3_u32 v7, v7, v9, v8
	v_lshlrev_b64 v[6:7], 2, v[6:7]
	s_delay_alu instid0(VALU_DEP_1) | instskip(NEXT) | instid1(VALU_DEP_1)
	v_add_co_u32 v6, s4, s33, v6
	v_add_co_ci_u32_e64 v7, s4, s35, v7, s4
	global_load_b32 v17, v[6:7], off
.LBB125_268:                            ;   in Loop: Header=BB125_266 Depth=2
	s_or_b32 exec_lo, exec_lo, s18
	s_and_saveexec_b32 s4, vcc_lo
	s_cbranch_execz .LBB125_265
; %bb.269:                              ;   in Loop: Header=BB125_266 Depth=2
	s_waitcnt vmcnt(0)
	v_cmp_lt_i32_e32 vcc_lo, -1, v17
	v_cndmask_b32_e64 v6, -1, 0x80000000, vcc_lo
	v_cmp_o_f32_e32 vcc_lo, v17, v17
	s_delay_alu instid0(VALU_DEP_2) | instskip(NEXT) | instid1(VALU_DEP_1)
	v_xor_b32_e32 v6, v6, v17
	v_cndmask_b32_e32 v6, -1, v6, vcc_lo
	s_delay_alu instid0(VALU_DEP_1) | instskip(NEXT) | instid1(VALU_DEP_1)
	v_and_b32_e32 v6, s90, v6
	v_cmp_eq_u32_e32 vcc_lo, s89, v6
	s_and_b32 exec_lo, exec_lo, vcc_lo
	s_cbranch_execz .LBB125_265
; %bb.270:                              ;   in Loop: Header=BB125_266 Depth=2
	ds_store_b64 v13, v[16:17] offset:3072
	s_branch .LBB125_265
.LBB125_271:                            ;   in Loop: Header=BB125_27 Depth=1
	s_or_b32 exec_lo, exec_lo, s8
	s_delay_alu instid0(SALU_CYCLE_1)
	s_and_b32 s23, s9, exec_lo
.LBB125_272:                            ;   in Loop: Header=BB125_27 Depth=1
	s_or_b32 exec_lo, exec_lo, s5
	s_mov_b32 s18, -1
	s_mov_b32 s8, 0
	s_mov_b32 s9, 0
.LBB125_273:                            ;   in Loop: Header=BB125_27 Depth=1
	s_mov_b32 s60, 0
                                        ; implicit-def: $sgpr54
                                        ; implicit-def: $sgpr4_sgpr5
	s_and_saveexec_b32 s56, s23
	s_cbranch_execz .LBB125_286
; %bb.274:                              ;   in Loop: Header=BB125_27 Depth=1
	s_xor_b32 s17, s17, -1
	s_mov_b64 s[4:5], 1
	s_and_not1_b32 vcc_lo, exec_lo, s17
	s_mov_b32 s54, 1
	s_cbranch_vccnz .LBB125_285
; %bb.275:                              ;   in Loop: Header=BB125_27 Depth=1
	v_cmp_gt_u64_e64 s4, s[52:53], s[6:7]
	s_delay_alu instid0(VALU_DEP_1)
	s_and_b32 vcc_lo, exec_lo, s4
	s_cbranch_vccnz .LBB125_281
; %bb.276:                              ;   in Loop: Header=BB125_27 Depth=1
	ds_load_b64 v[2:3], v13 offset:5120
	s_waitcnt lgkmcnt(0)
	v_cmp_ne_u64_e32 vcc_lo, 0, v[2:3]
	s_cbranch_vccnz .LBB125_280
; %bb.277:                              ;   in Loop: Header=BB125_27 Depth=1
	s_and_saveexec_b32 s4, s3
	s_cbranch_execz .LBB125_279
; %bb.278:                              ;   in Loop: Header=BB125_27 Depth=1
	v_dual_mov_b32 v2, s6 :: v_dual_mov_b32 v3, s7
	ds_store_b64 v13, v[2:3] offset:5128
.LBB125_279:                            ;   in Loop: Header=BB125_27 Depth=1
	s_or_b32 exec_lo, exec_lo, s4
	s_waitcnt lgkmcnt(0)
	s_barrier
	buffer_gl0_inv
.LBB125_280:                            ;   in Loop: Header=BB125_27 Depth=1
	s_or_b32 s17, s89, s16
	s_or_b32 s16, s90, s16
	s_mov_b32 s4, 0
	s_mov_b32 s54, 8
	s_branch .LBB125_282
.LBB125_281:                            ;   in Loop: Header=BB125_27 Depth=1
	s_mov_b32 s4, -1
                                        ; implicit-def: $sgpr54
                                        ; implicit-def: $sgpr17
                                        ; implicit-def: $sgpr16
.LBB125_282:                            ;   in Loop: Header=BB125_27 Depth=1
	s_delay_alu instid0(SALU_CYCLE_1)
	s_and_not1_b32 vcc_lo, exec_lo, s4
	s_cbranch_vccnz .LBB125_284
; %bb.283:                              ;   in Loop: Header=BB125_27 Depth=1
	s_sub_u32 s52, s52, s6
	s_subb_u32 s53, s53, s7
	s_mov_b32 s54, 8
	s_mov_b32 s17, s89
	s_mov_b32 s16, s90
.LBB125_284:                            ;   in Loop: Header=BB125_27 Depth=1
	s_mov_b64 s[4:5], s[52:53]
	s_mov_b32 s89, s17
	s_mov_b32 s90, s16
.LBB125_285:                            ;   in Loop: Header=BB125_27 Depth=1
	s_mov_b32 s60, exec_lo
.LBB125_286:                            ;   in Loop: Header=BB125_27 Depth=1
	s_or_b32 exec_lo, exec_lo, s56
	s_mov_b64 s[52:53], s[4:5]
.LBB125_287:                            ;   in Loop: Header=BB125_27 Depth=1
	s_and_not1_b32 s4, s10, exec_lo
	s_and_b32 s5, s8, exec_lo
	s_and_not1_b32 s6, s11, exec_lo
	s_or_b32 s10, s4, s5
	s_and_not1_b32 s4, s21, exec_lo
	s_and_b32 s5, s18, exec_lo
	s_and_b32 s7, s9, exec_lo
	s_or_b32 s21, s4, s5
	s_or_b32 s11, s6, s7
	s_and_b32 s5, s60, exec_lo
.LBB125_288:                            ;   in Loop: Header=BB125_27 Depth=1
	s_or_b32 exec_lo, exec_lo, s22
.LBB125_289:                            ;   in Loop: Header=BB125_27 Depth=1
	s_delay_alu instid0(SALU_CYCLE_1)
	s_and_not1_b32 s4, s13, exec_lo
	s_and_b32 s6, s10, exec_lo
	s_and_not1_b32 s7, s12, exec_lo
	s_or_b32 s13, s4, s6
	s_and_not1_b32 s4, s19, exec_lo
	s_and_b32 s6, s21, exec_lo
	s_and_b32 s8, s11, exec_lo
	s_or_b32 s19, s4, s6
	s_or_b32 s12, s7, s8
	s_and_b32 s5, s5, exec_lo
.LBB125_290:                            ;   in Loop: Header=BB125_27 Depth=1
	s_or_b32 exec_lo, exec_lo, s20
	s_and_saveexec_b32 s4, s5
	s_delay_alu instid0(SALU_CYCLE_1)
	s_xor_b32 s4, exec_lo, s4
	s_cbranch_execz .LBB125_25
.LBB125_291:                            ;   in Loop: Header=BB125_27 Depth=1
	s_and_b32 s5, s54, -9
	s_delay_alu instid0(SALU_CYCLE_1)
	s_cmp_eq_u32 s5, 0
	s_cbranch_scc1 .LBB125_23
; %bb.292:                              ;   in Loop: Header=BB125_27 Depth=1
	s_mov_b32 s5, -1
	s_mov_b32 s6, -1
                                        ; implicit-def: $sgpr90
                                        ; implicit-def: $sgpr52_sgpr53
                                        ; implicit-def: $sgpr84
                                        ; implicit-def: $sgpr87
	s_branch .LBB125_24
.LBB125_293:                            ;   in Loop: Header=BB125_27 Depth=1
                                        ; implicit-def: $vgpr2_vgpr3
	s_branch .LBB125_245
.LBB125_294:                            ;   in Loop: Header=BB125_27 Depth=1
                                        ; implicit-def: $vgpr2_vgpr3
	s_branch .LBB125_262
.LBB125_295:
	s_or_b32 exec_lo, exec_lo, s80
	s_xor_b32 s3, s83, -1
	s_xor_b32 s1, s81, -1
	;; [unrolled: 1-line block ×3, first 2 shown]
	s_mov_b32 s0, 0
	s_and_saveexec_b32 s5, s1
	s_delay_alu instid0(SALU_CYCLE_1)
	s_xor_b32 s1, exec_lo, s5
	s_cbranch_execz .LBB125_309
; %bb.296:
	s_and_saveexec_b32 s0, s3
	s_delay_alu instid0(SALU_CYCLE_1)
	s_xor_b32 s3, exec_lo, s0
	s_cbranch_execz .LBB125_307
; %bb.297:
	s_and_saveexec_b32 s0, s4
	s_delay_alu instid0(SALU_CYCLE_1)
	s_xor_b32 s0, exec_lo, s0
; %bb.298:
	v_cmp_lt_i32_e32 vcc_lo, -1, v2
	v_cndmask_b32_e64 v3, 0x80000000, -1, vcc_lo
	s_delay_alu instid0(VALU_DEP_1)
	v_xor_b32_e32 v18, v3, v2
; %bb.299:
	s_or_b32 exec_lo, exec_lo, s0
	s_mul_i32 s0, s48, s47
	s_mul_hi_u32 s4, s48, s46
	s_mul_i32 s5, s48, s46
	s_add_i32 s4, s4, s0
	s_sub_u32 s0, s34, s5
	s_subb_u32 s4, 0, s4
	s_mul_i32 s5, s0, s39
	s_mul_hi_u32 s6, s0, s38
	s_mul_hi_u32 s7, s48, s36
	s_add_i32 s6, s6, s5
	s_mul_i32 s5, s48, s37
	s_mul_i32 s8, s4, s38
	s_add_i32 s5, s7, s5
	s_mul_i32 s4, s48, s36
	s_add_i32 s7, s6, s8
	s_lshl_b64 s[4:5], s[4:5], 2
	s_mul_i32 s6, s0, s38
	s_add_u32 s0, s50, s4
	s_addc_u32 s8, s51, s5
	s_lshl_b64 s[4:5], s[6:7], 2
	v_mov_b32_e32 v2, 0
	s_add_u32 s4, s0, s4
	s_addc_u32 s5, s8, s5
	global_store_b32 v2, v18, s[4:5]
	s_and_saveexec_b32 s4, s2
	s_cbranch_execz .LBB125_306
; %bb.300:
	v_cmp_u_f32_e32 vcc_lo, v18, v18
	s_mov_b32 s2, 0
                                        ; implicit-def: $sgpr5
                                        ; implicit-def: $sgpr8
                                        ; implicit-def: $sgpr7
	s_xor_b32 s6, vcc_lo, -1
	s_set_inst_prefetch_distance 0x1
	s_branch .LBB125_302
	.p2align	6
.LBB125_301:                            ;   in Loop: Header=BB125_302 Depth=1
	s_or_b32 exec_lo, exec_lo, s0
	s_delay_alu instid0(SALU_CYCLE_1) | instskip(NEXT) | instid1(SALU_CYCLE_1)
	s_and_b32 s0, exec_lo, s8
	s_or_b32 s2, s0, s2
	s_and_not1_b32 s0, s5, exec_lo
	s_and_b32 s5, s7, exec_lo
	s_delay_alu instid0(SALU_CYCLE_1)
	s_or_b32 s5, s0, s5
	s_and_not1_b32 exec_lo, exec_lo, s2
	s_cbranch_execz .LBB125_304
.LBB125_302:                            ; =>This Inner Loop Header: Depth=1
	v_dual_mov_b32 v3, v1 :: v_dual_mov_b32 v2, v0
	s_or_b32 s7, s7, exec_lo
	s_or_b32 s8, s8, exec_lo
	s_delay_alu instid0(VALU_DEP_1) | instskip(NEXT) | instid1(VALU_DEP_2)
	v_mul_lo_u32 v4, v3, s42
	v_mul_lo_u32 v5, v2, s43
	v_mad_u64_u32 v[0:1], null, v2, s42, 0
	s_delay_alu instid0(VALU_DEP_1) | instskip(NEXT) | instid1(VALU_DEP_1)
	v_add3_u32 v1, v1, v5, v4
	v_lshlrev_b64 v[0:1], 2, v[0:1]
	s_delay_alu instid0(VALU_DEP_1) | instskip(NEXT) | instid1(VALU_DEP_2)
	v_add_co_u32 v0, vcc_lo, s33, v0
	v_add_co_ci_u32_e32 v1, vcc_lo, s35, v1, vcc_lo
	global_load_b32 v0, v[0:1], off
	s_waitcnt vmcnt(0)
	v_cmp_o_f32_e32 vcc_lo, v0, v0
	v_cmp_neq_f32_e64 s0, v0, v18
                                        ; implicit-def: $vgpr0_vgpr1
	s_or_b32 s9, vcc_lo, s6
	s_delay_alu instid0(VALU_DEP_1) | instid1(SALU_CYCLE_1)
	s_and_b32 s9, s0, s9
	s_delay_alu instid0(SALU_CYCLE_1)
	s_and_saveexec_b32 s0, s9
	s_cbranch_execz .LBB125_301
; %bb.303:                              ;   in Loop: Header=BB125_302 Depth=1
	v_add_co_u32 v0, vcc_lo, v2, s41
	v_add_co_ci_u32_e32 v1, vcc_lo, 0, v3, vcc_lo
	s_and_not1_b32 s8, s8, exec_lo
	s_and_not1_b32 s7, s7, exec_lo
	s_delay_alu instid0(VALU_DEP_1) | instskip(SKIP_1) | instid1(SALU_CYCLE_1)
	v_cmp_le_u64_e32 vcc_lo, s[24:25], v[0:1]
	s_and_b32 s9, vcc_lo, exec_lo
	s_or_b32 s8, s8, s9
	s_branch .LBB125_301
.LBB125_304:
	s_set_inst_prefetch_distance 0x2
	s_or_b32 exec_lo, exec_lo, s2
	s_and_saveexec_b32 s0, s5
	s_delay_alu instid0(SALU_CYCLE_1)
	s_xor_b32 s0, exec_lo, s0
	s_cbranch_execz .LBB125_306
; %bb.305:
	s_mul_i32 s0, s40, s27
	s_mul_hi_u32 s2, s40, s26
	s_mul_i32 s5, s40, s26
	s_add_i32 s2, s2, s0
	s_sub_u32 s0, s34, s5
	s_subb_u32 s2, 0, s2
	s_mul_i32 s5, s0, s31
	s_mul_hi_u32 s6, s0, s30
	s_mul_hi_u32 s7, s40, s28
	s_add_i32 s5, s6, s5
	s_mul_i32 s6, s40, s29
	s_mul_i32 s2, s2, s30
	s_add_i32 s7, s7, s6
	s_mul_i32 s6, s40, s28
	s_add_i32 s9, s5, s2
	s_lshl_b64 s[6:7], s[6:7], 3
	s_mul_i32 s8, s0, s30
	s_add_u32 s0, s44, s6
	s_addc_u32 s2, s45, s7
	s_lshl_b64 s[6:7], s[8:9], 3
	v_mov_b32_e32 v0, 0
	s_add_u32 s6, s0, s6
	s_addc_u32 s7, s2, s7
	global_store_b64 v0, v[2:3], s[6:7]
.LBB125_306:
	s_or_b32 exec_lo, exec_lo, s4
.LBB125_307:
	s_or_saveexec_b32 s0, s3
	s_mov_b32 s2, 0
	s_xor_b32 exec_lo, exec_lo, s0
	s_cbranch_execnz .LBB125_315
.LBB125_308:
	s_or_b32 exec_lo, exec_lo, s0
	s_delay_alu instid0(SALU_CYCLE_1)
	s_and_b32 s0, s2, exec_lo
.LBB125_309:
	s_and_not1_saveexec_b32 s1, s1
	s_cbranch_execnz .LBB125_313
; %bb.310:
	s_or_b32 exec_lo, exec_lo, s1
	s_and_saveexec_b32 s1, s0
.LBB125_311:
	; divergent unreachable
.LBB125_312:
	s_nop 0
	s_sendmsg sendmsg(MSG_DEALLOC_VGPRS)
	s_endpgm
.LBB125_313:
	s_cbranch_execnz .LBB125_317
; %bb.314:
	s_or_b32 s0, s0, exec_lo
	s_or_b32 exec_lo, exec_lo, s1
	s_and_saveexec_b32 s1, s0
	s_cbranch_execnz .LBB125_311
	s_branch .LBB125_312
.LBB125_315:
	s_cbranch_execnz .LBB125_319
; %bb.316:
	s_mov_b32 s2, exec_lo
	s_branch .LBB125_308
.LBB125_317:
	s_trap 2
	s_sendmsg_rtn_b32 s0, sendmsg(MSG_RTN_GET_DOORBELL)
	s_mov_b32 ttmp2, m0
	s_waitcnt lgkmcnt(0)
	s_and_b32 s0, s0, 0x3ff
	s_delay_alu instid0(SALU_CYCLE_1) | instskip(NEXT) | instid1(SALU_CYCLE_1)
	s_bitset1_b32 s0, 10
	s_mov_b32 m0, s0
	s_sendmsg sendmsg(MSG_INTERRUPT)
	s_mov_b32 m0, ttmp2
.LBB125_318:                            ; =>This Inner Loop Header: Depth=1
	s_sethalt 5
	s_branch .LBB125_318
.LBB125_319:
	s_trap 2
	s_sendmsg_rtn_b32 s0, sendmsg(MSG_RTN_GET_DOORBELL)
	s_mov_b32 ttmp2, m0
	s_waitcnt lgkmcnt(0)
	s_and_b32 s0, s0, 0x3ff
	s_delay_alu instid0(SALU_CYCLE_1) | instskip(NEXT) | instid1(SALU_CYCLE_1)
	s_bitset1_b32 s0, 10
	s_mov_b32 m0, s0
	s_sendmsg sendmsg(MSG_INTERRUPT)
	s_mov_b32 m0, ttmp2
.LBB125_320:                            ; =>This Inner Loop Header: Depth=1
	s_sethalt 5
	s_branch .LBB125_320
	.section	.rodata,"a",@progbits
	.p2align	6, 0x0
	.amdhsa_kernel _ZN2at6native12_GLOBAL__N_112gatherMedianIfmLi2EEEvNS_4cuda6detail10TensorInfoIT_T0_EENS5_IlS7_EENS5_IKS6_S7_EES7_S7_S7_b
		.amdhsa_group_segment_fixed_size 5152
		.amdhsa_private_segment_fixed_size 0
		.amdhsa_kernarg_size 1536
		.amdhsa_user_sgpr_count 13
		.amdhsa_user_sgpr_dispatch_ptr 0
		.amdhsa_user_sgpr_queue_ptr 0
		.amdhsa_user_sgpr_kernarg_segment_ptr 1
		.amdhsa_user_sgpr_dispatch_id 0
		.amdhsa_user_sgpr_private_segment_size 0
		.amdhsa_wavefront_size32 1
		.amdhsa_uses_dynamic_stack 0
		.amdhsa_enable_private_segment 0
		.amdhsa_system_sgpr_workgroup_id_x 1
		.amdhsa_system_sgpr_workgroup_id_y 1
		.amdhsa_system_sgpr_workgroup_id_z 1
		.amdhsa_system_sgpr_workgroup_info 0
		.amdhsa_system_vgpr_workitem_id 0
		.amdhsa_next_free_vgpr 33
		.amdhsa_next_free_sgpr 93
		.amdhsa_reserve_vcc 1
		.amdhsa_float_round_mode_32 0
		.amdhsa_float_round_mode_16_64 0
		.amdhsa_float_denorm_mode_32 3
		.amdhsa_float_denorm_mode_16_64 3
		.amdhsa_dx10_clamp 1
		.amdhsa_ieee_mode 1
		.amdhsa_fp16_overflow 0
		.amdhsa_workgroup_processor_mode 1
		.amdhsa_memory_ordered 1
		.amdhsa_forward_progress 0
		.amdhsa_shared_vgpr_count 0
		.amdhsa_exception_fp_ieee_invalid_op 0
		.amdhsa_exception_fp_denorm_src 0
		.amdhsa_exception_fp_ieee_div_zero 0
		.amdhsa_exception_fp_ieee_overflow 0
		.amdhsa_exception_fp_ieee_underflow 0
		.amdhsa_exception_fp_ieee_inexact 0
		.amdhsa_exception_int_div_zero 0
	.end_amdhsa_kernel
	.section	.text._ZN2at6native12_GLOBAL__N_112gatherMedianIfmLi2EEEvNS_4cuda6detail10TensorInfoIT_T0_EENS5_IlS7_EENS5_IKS6_S7_EES7_S7_S7_b,"axG",@progbits,_ZN2at6native12_GLOBAL__N_112gatherMedianIfmLi2EEEvNS_4cuda6detail10TensorInfoIT_T0_EENS5_IlS7_EENS5_IKS6_S7_EES7_S7_S7_b,comdat
.Lfunc_end125:
	.size	_ZN2at6native12_GLOBAL__N_112gatherMedianIfmLi2EEEvNS_4cuda6detail10TensorInfoIT_T0_EENS5_IlS7_EENS5_IKS6_S7_EES7_S7_S7_b, .Lfunc_end125-_ZN2at6native12_GLOBAL__N_112gatherMedianIfmLi2EEEvNS_4cuda6detail10TensorInfoIT_T0_EENS5_IlS7_EENS5_IKS6_S7_EES7_S7_S7_b
                                        ; -- End function
	.section	.AMDGPU.csdata,"",@progbits
; Kernel info:
; codeLenInByte = 17960
; NumSgprs: 95
; NumVgprs: 33
; ScratchSize: 0
; MemoryBound: 0
; FloatMode: 240
; IeeeMode: 1
; LDSByteSize: 5152 bytes/workgroup (compile time only)
; SGPRBlocks: 11
; VGPRBlocks: 4
; NumSGPRsForWavesPerEU: 95
; NumVGPRsForWavesPerEU: 33
; Occupancy: 16
; WaveLimiterHint : 1
; COMPUTE_PGM_RSRC2:SCRATCH_EN: 0
; COMPUTE_PGM_RSRC2:USER_SGPR: 13
; COMPUTE_PGM_RSRC2:TRAP_HANDLER: 0
; COMPUTE_PGM_RSRC2:TGID_X_EN: 1
; COMPUTE_PGM_RSRC2:TGID_Y_EN: 1
; COMPUTE_PGM_RSRC2:TGID_Z_EN: 1
; COMPUTE_PGM_RSRC2:TIDIG_COMP_CNT: 0
	.section	.text._ZN2at6native12_GLOBAL__N_112gatherMedianIfmLi3EEEvNS_4cuda6detail10TensorInfoIT_T0_EENS5_IlS7_EENS5_IKS6_S7_EES7_S7_S7_b,"axG",@progbits,_ZN2at6native12_GLOBAL__N_112gatherMedianIfmLi3EEEvNS_4cuda6detail10TensorInfoIT_T0_EENS5_IlS7_EENS5_IKS6_S7_EES7_S7_S7_b,comdat
	.globl	_ZN2at6native12_GLOBAL__N_112gatherMedianIfmLi3EEEvNS_4cuda6detail10TensorInfoIT_T0_EENS5_IlS7_EENS5_IKS6_S7_EES7_S7_S7_b ; -- Begin function _ZN2at6native12_GLOBAL__N_112gatherMedianIfmLi3EEEvNS_4cuda6detail10TensorInfoIT_T0_EENS5_IlS7_EENS5_IKS6_S7_EES7_S7_S7_b
	.p2align	8
	.type	_ZN2at6native12_GLOBAL__N_112gatherMedianIfmLi3EEEvNS_4cuda6detail10TensorInfoIT_T0_EENS5_IlS7_EENS5_IKS6_S7_EES7_S7_S7_b,@function
_ZN2at6native12_GLOBAL__N_112gatherMedianIfmLi3EEEvNS_4cuda6detail10TensorInfoIT_T0_EENS5_IlS7_EENS5_IKS6_S7_EES7_S7_S7_b: ; @_ZN2at6native12_GLOBAL__N_112gatherMedianIfmLi3EEEvNS_4cuda6detail10TensorInfoIT_T0_EENS5_IlS7_EENS5_IKS6_S7_EES7_S7_S7_b
; %bb.0:
	s_clause 0x1
	s_load_b64 s[16:17], s[0:1], 0x500
	s_load_b128 s[24:27], s[0:1], 0x4e0
	s_add_u32 s18, s0, 0x500
	s_addc_u32 s19, s1, 0
	s_mov_b32 s35, 0
	s_waitcnt lgkmcnt(0)
	s_mul_i32 s2, s17, s15
	s_delay_alu instid0(SALU_CYCLE_1) | instskip(NEXT) | instid1(SALU_CYCLE_1)
	s_add_i32 s2, s2, s14
	s_mul_i32 s2, s2, s16
	s_delay_alu instid0(SALU_CYCLE_1) | instskip(NEXT) | instid1(SALU_CYCLE_1)
	s_add_i32 s34, s2, s13
	v_cmp_ge_u64_e64 s2, s[34:35], s[26:27]
	s_delay_alu instid0(VALU_DEP_1)
	s_and_b32 vcc_lo, exec_lo, s2
	s_cbranch_vccnz .LBB126_318
; %bb.1:
	s_load_b128 s[36:39], s[0:1], 0x10
	s_mov_b64 s[52:53], 0
	s_mov_b64 s[54:55], 0
	s_waitcnt lgkmcnt(0)
	v_cmp_lt_u64_e64 s2, s[34:35], s[38:39]
	s_delay_alu instid0(VALU_DEP_1)
	s_and_b32 vcc_lo, exec_lo, s2
	s_cbranch_vccnz .LBB126_3
; %bb.2:
	v_cvt_f32_u32_e32 v1, s38
	s_sub_i32 s3, 0, s38
	s_mov_b32 s55, 0
	s_delay_alu instid0(VALU_DEP_1) | instskip(SKIP_2) | instid1(VALU_DEP_1)
	v_rcp_iflag_f32_e32 v1, v1
	s_waitcnt_depctr 0xfff
	v_mul_f32_e32 v1, 0x4f7ffffe, v1
	v_cvt_u32_f32_e32 v1, v1
	s_delay_alu instid0(VALU_DEP_1) | instskip(NEXT) | instid1(VALU_DEP_1)
	v_readfirstlane_b32 s2, v1
	s_mul_i32 s3, s3, s2
	s_delay_alu instid0(SALU_CYCLE_1) | instskip(NEXT) | instid1(SALU_CYCLE_1)
	s_mul_hi_u32 s3, s2, s3
	s_add_i32 s2, s2, s3
	s_delay_alu instid0(SALU_CYCLE_1) | instskip(NEXT) | instid1(SALU_CYCLE_1)
	s_mul_hi_u32 s2, s34, s2
	s_mul_i32 s3, s2, s38
	s_add_i32 s4, s2, 1
	s_sub_i32 s3, s34, s3
	s_delay_alu instid0(SALU_CYCLE_1)
	s_sub_i32 s5, s3, s38
	s_cmp_ge_u32 s3, s38
	s_cselect_b32 s2, s4, s2
	s_cselect_b32 s3, s5, s3
	s_add_i32 s4, s2, 1
	s_cmp_ge_u32 s3, s38
	s_cselect_b32 s54, s4, s2
.LBB126_3:
	s_load_b128 s[28:31], s[0:1], 0x1b0
	v_cmp_lt_u64_e64 s2, s[54:55], s[36:37]
	s_delay_alu instid0(VALU_DEP_1)
	s_and_b32 vcc_lo, exec_lo, s2
	s_cbranch_vccnz .LBB126_5
; %bb.4:
	v_cvt_f32_u32_e32 v1, s36
	s_sub_i32 s3, 0, s36
	s_delay_alu instid0(VALU_DEP_1) | instskip(SKIP_2) | instid1(VALU_DEP_1)
	v_rcp_iflag_f32_e32 v1, v1
	s_waitcnt_depctr 0xfff
	v_mul_f32_e32 v1, 0x4f7ffffe, v1
	v_cvt_u32_f32_e32 v1, v1
	s_delay_alu instid0(VALU_DEP_1) | instskip(NEXT) | instid1(VALU_DEP_1)
	v_readfirstlane_b32 s2, v1
	s_mul_i32 s3, s3, s2
	s_delay_alu instid0(SALU_CYCLE_1) | instskip(NEXT) | instid1(SALU_CYCLE_1)
	s_mul_hi_u32 s3, s2, s3
	s_add_i32 s2, s2, s3
	s_delay_alu instid0(SALU_CYCLE_1) | instskip(NEXT) | instid1(SALU_CYCLE_1)
	s_mul_hi_u32 s2, s54, s2
	s_mul_i32 s3, s2, s36
	s_add_i32 s4, s2, 1
	s_sub_i32 s3, s54, s3
	s_delay_alu instid0(SALU_CYCLE_1)
	s_sub_i32 s5, s3, s36
	s_cmp_ge_u32 s3, s36
	s_cselect_b32 s2, s4, s2
	s_cselect_b32 s3, s5, s3
	s_add_i32 s4, s2, 1
	s_cmp_ge_u32 s3, s36
	s_cselect_b32 s52, s4, s2
.LBB126_5:
	s_waitcnt lgkmcnt(0)
	v_cmp_lt_u64_e64 s2, s[34:35], s[30:31]
	s_mov_b64 s[26:27], 0
	s_mov_b64 s[48:49], 0
	s_delay_alu instid0(VALU_DEP_1)
	s_and_b32 vcc_lo, exec_lo, s2
	s_cbranch_vccnz .LBB126_7
; %bb.6:
	v_cvt_f32_u32_e32 v1, s30
	s_sub_i32 s3, 0, s30
	s_mov_b32 s49, 0
	s_delay_alu instid0(VALU_DEP_1) | instskip(SKIP_2) | instid1(VALU_DEP_1)
	v_rcp_iflag_f32_e32 v1, v1
	s_waitcnt_depctr 0xfff
	v_mul_f32_e32 v1, 0x4f7ffffe, v1
	v_cvt_u32_f32_e32 v1, v1
	s_delay_alu instid0(VALU_DEP_1) | instskip(NEXT) | instid1(VALU_DEP_1)
	v_readfirstlane_b32 s2, v1
	s_mul_i32 s3, s3, s2
	s_delay_alu instid0(SALU_CYCLE_1) | instskip(NEXT) | instid1(SALU_CYCLE_1)
	s_mul_hi_u32 s3, s2, s3
	s_add_i32 s2, s2, s3
	s_delay_alu instid0(SALU_CYCLE_1) | instskip(NEXT) | instid1(SALU_CYCLE_1)
	s_mul_hi_u32 s2, s34, s2
	s_mul_i32 s3, s2, s30
	s_add_i32 s4, s2, 1
	s_sub_i32 s3, s34, s3
	s_delay_alu instid0(SALU_CYCLE_1)
	s_sub_i32 s5, s3, s30
	s_cmp_ge_u32 s3, s30
	s_cselect_b32 s2, s4, s2
	s_cselect_b32 s3, s5, s3
	s_add_i32 s4, s2, 1
	s_cmp_ge_u32 s3, s30
	s_cselect_b32 s48, s4, s2
.LBB126_7:
	s_clause 0x3
	s_load_b64 s[50:51], s[0:1], 0x4f0
	s_load_b64 s[2:3], s[0:1], 0x420
	s_load_b128 s[4:7], s[0:1], 0x410
	s_load_b128 s[8:11], s[0:1], 0x350
	v_cmp_lt_u64_e64 s12, s[48:49], s[28:29]
	s_delay_alu instid0(VALU_DEP_1)
	s_and_b32 vcc_lo, exec_lo, s12
	s_cbranch_vccnz .LBB126_9
; %bb.8:
	v_cvt_f32_u32_e32 v1, s28
	s_sub_i32 s14, 0, s28
	s_delay_alu instid0(VALU_DEP_1) | instskip(SKIP_2) | instid1(VALU_DEP_1)
	v_rcp_iflag_f32_e32 v1, v1
	s_waitcnt_depctr 0xfff
	v_mul_f32_e32 v1, 0x4f7ffffe, v1
	v_cvt_u32_f32_e32 v1, v1
	s_delay_alu instid0(VALU_DEP_1) | instskip(NEXT) | instid1(VALU_DEP_1)
	v_readfirstlane_b32 s12, v1
	s_mul_i32 s14, s14, s12
	s_delay_alu instid0(SALU_CYCLE_1) | instskip(NEXT) | instid1(SALU_CYCLE_1)
	s_mul_hi_u32 s14, s12, s14
	s_add_i32 s12, s12, s14
	s_delay_alu instid0(SALU_CYCLE_1) | instskip(NEXT) | instid1(SALU_CYCLE_1)
	s_mul_hi_u32 s12, s48, s12
	s_mul_i32 s14, s12, s28
	s_add_i32 s15, s12, 1
	s_sub_i32 s14, s48, s14
	s_delay_alu instid0(SALU_CYCLE_1)
	s_sub_i32 s17, s14, s28
	s_cmp_ge_u32 s14, s28
	s_cselect_b32 s12, s15, s12
	s_cselect_b32 s14, s17, s14
	s_add_i32 s15, s12, 1
	s_cmp_ge_u32 s14, s28
	s_cselect_b32 s26, s15, s12
.LBB126_9:
	s_load_b64 s[14:15], s[0:1], 0x340
	s_waitcnt lgkmcnt(0)
	v_cmp_lt_u64_e64 s12, s[34:35], s[10:11]
	s_mov_b64 s[20:21], 0
	s_mov_b64 s[22:23], 0
	s_delay_alu instid0(VALU_DEP_1)
	s_and_b32 vcc_lo, exec_lo, s12
	s_cbranch_vccnz .LBB126_11
; %bb.10:
	v_cvt_f32_u32_e32 v1, s10
	s_sub_i32 s17, 0, s10
	s_mov_b32 s23, 0
	s_delay_alu instid0(VALU_DEP_1) | instskip(SKIP_2) | instid1(VALU_DEP_1)
	v_rcp_iflag_f32_e32 v1, v1
	s_waitcnt_depctr 0xfff
	v_mul_f32_e32 v1, 0x4f7ffffe, v1
	v_cvt_u32_f32_e32 v1, v1
	s_delay_alu instid0(VALU_DEP_1) | instskip(NEXT) | instid1(VALU_DEP_1)
	v_readfirstlane_b32 s12, v1
	s_mul_i32 s17, s17, s12
	s_delay_alu instid0(SALU_CYCLE_1) | instskip(NEXT) | instid1(SALU_CYCLE_1)
	s_mul_hi_u32 s17, s12, s17
	s_add_i32 s12, s12, s17
	s_delay_alu instid0(SALU_CYCLE_1) | instskip(NEXT) | instid1(SALU_CYCLE_1)
	s_mul_hi_u32 s12, s34, s12
	s_mul_i32 s17, s12, s10
	s_add_i32 s21, s12, 1
	s_sub_i32 s17, s34, s17
	s_delay_alu instid0(SALU_CYCLE_1)
	s_sub_i32 s22, s17, s10
	s_cmp_ge_u32 s17, s10
	s_cselect_b32 s12, s21, s12
	s_cselect_b32 s17, s22, s17
	s_add_i32 s21, s12, 1
	s_cmp_ge_u32 s17, s10
	s_cselect_b32 s22, s21, s12
.LBB126_11:
	s_clause 0x3
	s_load_b64 s[56:57], s[0:1], 0x280
	s_load_b128 s[40:43], s[0:1], 0x270
	s_load_b64 s[60:61], s[0:1], 0xe0
	s_load_b128 s[44:47], s[0:1], 0xd0
	v_cmp_lt_u64_e64 s12, s[22:23], s[8:9]
	s_delay_alu instid0(VALU_DEP_1)
	s_and_b32 vcc_lo, exec_lo, s12
	s_cbranch_vccnz .LBB126_13
; %bb.12:
	v_cvt_f32_u32_e32 v1, s8
	s_sub_i32 s17, 0, s8
	s_delay_alu instid0(VALU_DEP_1) | instskip(SKIP_2) | instid1(VALU_DEP_1)
	v_rcp_iflag_f32_e32 v1, v1
	s_waitcnt_depctr 0xfff
	v_mul_f32_e32 v1, 0x4f7ffffe, v1
	v_cvt_u32_f32_e32 v1, v1
	s_delay_alu instid0(VALU_DEP_1) | instskip(NEXT) | instid1(VALU_DEP_1)
	v_readfirstlane_b32 s12, v1
	s_mul_i32 s17, s17, s12
	s_delay_alu instid0(SALU_CYCLE_1) | instskip(NEXT) | instid1(SALU_CYCLE_1)
	s_mul_hi_u32 s17, s12, s17
	s_add_i32 s12, s12, s17
	s_delay_alu instid0(SALU_CYCLE_1) | instskip(NEXT) | instid1(SALU_CYCLE_1)
	s_mul_hi_u32 s12, s22, s12
	s_mul_i32 s17, s12, s8
	s_add_i32 s20, s12, 1
	s_sub_i32 s17, s22, s17
	s_delay_alu instid0(SALU_CYCLE_1)
	s_sub_i32 s21, s17, s8
	s_cmp_ge_u32 s17, s8
	s_cselect_b32 s12, s20, s12
	s_cselect_b32 s17, s21, s17
	s_add_i32 s20, s12, 1
	s_cmp_ge_u32 s17, s8
	s_cselect_b32 s20, s20, s12
.LBB126_13:
	s_mul_i32 s11, s22, s11
	s_mul_hi_u32 s12, s22, s10
	s_mul_i32 s10, s22, s10
	s_add_i32 s12, s12, s11
	s_sub_u32 s10, s34, s10
	s_subb_u32 s12, 0, s12
	s_mul_i32 s3, s10, s3
	s_mul_hi_u32 s11, s10, s2
	s_mul_i32 s12, s12, s2
	s_add_i32 s3, s11, s3
	s_clause 0x1
	s_load_b64 s[58:59], s[0:1], 0x1a0
	s_load_b64 s[62:63], s[0:1], 0x0
	s_add_i32 s11, s3, s12
	s_mul_i32 s3, s20, s9
	s_mul_hi_u32 s9, s20, s8
	s_mul_i32 s8, s20, s8
	s_add_i32 s9, s9, s3
	s_sub_u32 s3, s22, s8
	s_subb_u32 s9, s23, s9
	s_mul_i32 s7, s3, s7
	s_mul_hi_u32 s8, s3, s6
	s_mul_i32 s5, s20, s5
	s_add_i32 s7, s8, s7
	s_mul_hi_u32 s8, s20, s4
	s_mul_i32 s4, s20, s4
	s_add_i32 s5, s8, s5
	s_mul_i32 s9, s9, s6
	s_lshl_b64 s[4:5], s[4:5], 2
	v_dual_mov_b32 v1, 0 :: v_dual_mov_b32 v2, 0
	s_add_i32 s7, s7, s9
	s_mul_i32 s6, s3, s6
	s_add_u32 s3, s14, s4
	s_addc_u32 s8, s15, s5
	s_lshl_b64 s[4:5], s[6:7], 2
	s_mul_i32 s10, s10, s2
	s_add_u32 s3, s3, s4
	v_cmp_gt_u64_e64 s2, s[24:25], v[0:1]
	s_addc_u32 s6, s8, s5
	v_mov_b32_e32 v3, 0
	s_lshl_b64 s[4:5], s[10:11], 2
	s_delay_alu instid0(SALU_CYCLE_1)
	s_add_u32 s27, s3, s4
	s_addc_u32 s33, s6, s5
	s_and_saveexec_b32 s4, s2
	s_cbranch_execz .LBB126_17
; %bb.14:
	s_load_b32 s3, s[18:19], 0xc
	v_dual_mov_b32 v2, 0 :: v_dual_mov_b32 v5, v1
	v_dual_mov_b32 v3, 0 :: v_dual_mov_b32 v4, v0
	s_mov_b32 s5, 0
	s_waitcnt lgkmcnt(0)
	s_and_b32 s6, s3, 0xffff
	.p2align	6
.LBB126_15:                             ; =>This Inner Loop Header: Depth=1
	v_mul_lo_u32 v8, v5, s50
	v_mul_lo_u32 v9, v4, s51
	v_mad_u64_u32 v[6:7], null, v4, s50, 0
	s_delay_alu instid0(VALU_DEP_1) | instskip(NEXT) | instid1(VALU_DEP_1)
	v_add3_u32 v7, v7, v9, v8
	v_lshlrev_b64 v[6:7], 2, v[6:7]
	s_delay_alu instid0(VALU_DEP_1) | instskip(NEXT) | instid1(VALU_DEP_2)
	v_add_co_u32 v6, vcc_lo, s27, v6
	v_add_co_ci_u32_e32 v7, vcc_lo, s33, v7, vcc_lo
	v_add_co_u32 v4, vcc_lo, v4, s6
	v_add_co_ci_u32_e32 v5, vcc_lo, 0, v5, vcc_lo
	global_load_b32 v6, v[6:7], off
	s_waitcnt vmcnt(0)
	v_cmp_u_f32_e32 vcc_lo, v6, v6
	v_cndmask_b32_e64 v6, 0, 1, vcc_lo
	v_cmp_le_u64_e32 vcc_lo, s[24:25], v[4:5]
	s_delay_alu instid0(VALU_DEP_2) | instskip(NEXT) | instid1(VALU_DEP_1)
	v_add_co_u32 v2, s3, v2, v6
	v_add_co_ci_u32_e64 v3, s3, 0, v3, s3
	s_or_b32 s5, vcc_lo, s5
	s_delay_alu instid0(SALU_CYCLE_1)
	s_and_not1_b32 exec_lo, exec_lo, s5
	s_cbranch_execnz .LBB126_15
; %bb.16:
	s_or_b32 exec_lo, exec_lo, s5
.LBB126_17:
	s_delay_alu instid0(SALU_CYCLE_1) | instskip(SKIP_1) | instid1(VALU_DEP_1)
	s_or_b32 exec_lo, exec_lo, s4
	v_cmp_eq_u32_e64 s3, 0, v0
	s_and_saveexec_b32 s4, s3
	s_cbranch_execz .LBB126_19
; %bb.18:
	v_mov_b32_e32 v4, 0
	s_delay_alu instid0(VALU_DEP_1)
	v_mov_b32_e32 v5, v4
	ds_store_b64 v4, v[4:5] offset:5136
.LBB126_19:
	s_or_b32 exec_lo, exec_lo, s4
	s_mov_b64 s[4:5], 0
	s_mov_b32 s6, exec_lo
	s_waitcnt lgkmcnt(0)
	s_barrier
	buffer_gl0_inv
	v_cmpx_ne_u64_e32 0, v[2:3]
	s_cbranch_execz .LBB126_24
; %bb.20:
	s_mov_b32 s7, exec_lo
.LBB126_21:                             ; =>This Inner Loop Header: Depth=1
	s_delay_alu instid0(SALU_CYCLE_1) | instskip(NEXT) | instid1(SALU_CYCLE_1)
	s_ctz_i32_b32 s8, s7
	v_readlane_b32 s9, v2, s8
	v_readlane_b32 s10, v3, s8
	s_delay_alu instid0(VALU_DEP_2) | instskip(NEXT) | instid1(VALU_DEP_1)
	s_add_u32 s4, s4, s9
	s_addc_u32 s5, s5, s10
	s_lshl_b32 s8, 1, s8
	s_delay_alu instid0(SALU_CYCLE_1) | instskip(NEXT) | instid1(SALU_CYCLE_1)
	s_and_not1_b32 s7, s7, s8
	s_cmp_lg_u32 s7, 0
	s_cbranch_scc1 .LBB126_21
; %bb.22:
	v_mbcnt_lo_u32_b32 v2, exec_lo, 0
	s_mov_b32 s7, exec_lo
	s_delay_alu instid0(VALU_DEP_1)
	v_cmpx_eq_u32_e32 0, v2
	s_xor_b32 s7, exec_lo, s7
	s_cbranch_execz .LBB126_24
; %bb.23:
	v_mov_b32_e32 v2, s4
	v_dual_mov_b32 v4, 0 :: v_dual_mov_b32 v3, s5
	ds_add_u64 v4, v[2:3] offset:5136
.LBB126_24:
	s_or_b32 exec_lo, exec_lo, s6
	v_mov_b32_e32 v2, 0
	s_waitcnt lgkmcnt(0)
	s_barrier
	buffer_gl0_inv
	s_load_b32 s4, s[0:1], 0x4f8
	ds_load_b64 v[2:3], v2 offset:5136
	s_mov_b64 s[64:65], s[24:25]
	s_waitcnt lgkmcnt(0)
	s_bitcmp1_b32 s4, 0
	v_readfirstlane_b32 s0, v2
	v_readfirstlane_b32 s1, v3
	s_cselect_b32 s4, -1, 0
	s_delay_alu instid0(VALU_DEP_1) | instskip(NEXT) | instid1(VALU_DEP_1)
	v_cmp_lt_i64_e64 s5, s[0:1], 1
	s_or_b32 s4, s4, s5
	s_delay_alu instid0(SALU_CYCLE_1)
	s_and_not1_b32 vcc_lo, exec_lo, s4
	s_cbranch_vccnz .LBB126_26
; %bb.25:
	s_not_b64 s[0:1], s[0:1]
	s_delay_alu instid0(SALU_CYCLE_1) | instskip(SKIP_1) | instid1(SALU_CYCLE_1)
	s_add_u32 s0, s0, s24
	s_addc_u32 s1, s1, s25
	s_lshr_b64 s[0:1], s[0:1], 1
	s_delay_alu instid0(SALU_CYCLE_1)
	s_add_u32 s64, s0, 1
	s_addc_u32 s65, s1, 0
.LBB126_26:
	s_and_saveexec_b32 s0, s3
	s_cbranch_execz .LBB126_28
; %bb.27:
	v_dual_mov_b32 v2, 0 :: v_dual_mov_b32 v5, s25
	s_delay_alu instid0(VALU_DEP_1)
	v_dual_mov_b32 v4, s24 :: v_dual_mov_b32 v3, v2
	ds_store_b32 v2, v2 offset:5144
	ds_store_b128 v2, v[2:5] offset:5120
.LBB126_28:
	s_or_b32 exec_lo, exec_lo, s0
	v_mad_u64_u32 v[2:3], null, v0, s50, 0
	s_waitcnt lgkmcnt(0)
	s_barrier
	buffer_gl0_inv
	s_load_b32 s5, s[18:19], 0xc
	v_mbcnt_lo_u32_b32 v23, -1, 0
	v_cmp_gt_u32_e32 vcc_lo, 32, v0
	v_mad_u64_u32 v[4:5], null, v0, s51, v[3:4]
	v_dual_mov_b32 v13, 0 :: v_dual_lshlrev_b32 v10, 2, v0
	s_delay_alu instid0(VALU_DEP_4)
	v_cmp_gt_i32_e64 s4, 4, v23
	v_lshrrev_b32_e32 v5, 3, v0
	v_cmp_lt_u64_e64 s53, 0x300, s[24:25]
	v_cmp_gt_u32_e64 s0, 2, v0
	v_dual_mov_b32 v3, v4 :: v_dual_add_nc_u32 v24, 0xc00, v10
	s_and_b32 s82, vcc_lo, s4
	v_cmp_eq_u32_e64 s1, 0, v23
	v_dual_mov_b32 v11, v13 :: v_dual_mov_b32 v16, 1.0
	s_delay_alu instid0(VALU_DEP_3)
	v_lshlrev_b64 v[2:3], 2, v[2:3]
	v_dual_mov_b32 v18, 0 :: v_dual_and_b32 v25, 0x7c, v5
	s_waitcnt lgkmcnt(0)
	s_and_b32 s35, s5, 0xffff
	s_bfe_u32 s4, s5, 0xb0005
	s_add_u32 s83, s35, -1
	s_addc_u32 s84, 0, -1
	s_add_u32 s85, s83, s24
	s_addc_u32 s69, s84, s25
	s_cmp_lt_u32 s13, s16
	v_add_co_u32 v14, vcc_lo, s27, v2
	s_cselect_b32 s6, 12, 18
	v_add_co_ci_u32_e32 v15, vcc_lo, s33, v3, vcc_lo
	v_lshlrev_b64 v[2:3], v23, -1
	s_add_u32 s70, s18, s6
	s_addc_u32 s71, s19, 0
	s_add_i32 s6, s4, -1
	s_bfe_u32 s86, s35, 0x30005
	s_cmp_gt_u32 s6, 6
	v_not_b32_e32 v26, v2
	s_cselect_b32 s87, -1, 0
	s_and_b32 s88, s4, 0x7f8
	v_cmp_gt_u16_e64 s89, s5, 31
	v_lshlrev_b32_e32 v27, 4, v0
	v_lshl_or_b32 v28, v23, 3, 0xc00
	s_cmp_lg_u32 s86, 0
	s_mov_b32 s67, 0
	s_cselect_b32 s90, -1, 0
	s_lshl_b32 s91, s35, 2
	s_mov_b32 s96, 30
	s_mov_b32 s92, 0
	;; [unrolled: 1-line block ×5, first 2 shown]
                                        ; implicit-def: $sgpr93
                                        ; implicit-def: $sgpr95
                                        ; implicit-def: $sgpr94
                                        ; implicit-def: $sgpr98
                                        ; implicit-def: $sgpr100
                                        ; implicit-def: $sgpr97
	s_branch .LBB126_33
.LBB126_29:                             ;   in Loop: Header=BB126_33 Depth=1
	s_xor_b32 s99, s99, 1
	s_add_i32 s7, s96, -2
	s_cmp_eq_u32 s96, 0
	s_mov_b32 s5, 0
	s_cselect_b32 s6, -1, 0
	s_mov_b32 s96, s7
.LBB126_30:                             ;   in Loop: Header=BB126_33 Depth=1
	s_and_not1_b32 s7, s13, exec_lo
	s_and_b32 s5, s5, exec_lo
	s_and_not1_b32 s19, s19, exec_lo
	s_or_b32 s13, s7, s5
	s_and_not1_b32 s12, s12, exec_lo
	s_or_not1_b32 s15, s6, exec_lo
.LBB126_31:                             ;   in Loop: Header=BB126_33 Depth=1
	s_or_b32 exec_lo, exec_lo, s4
	s_delay_alu instid0(SALU_CYCLE_1)
	s_and_not1_b32 s4, s97, exec_lo
	s_and_b32 s5, s13, exec_lo
	s_and_not1_b32 s6, s98, exec_lo
	s_or_b32 s97, s4, s5
	s_and_not1_b32 s4, s100, exec_lo
	s_and_b32 s5, s19, exec_lo
	s_and_b32 s7, s12, exec_lo
	s_or_b32 s100, s4, s5
	s_or_b32 s98, s6, s7
	s_or_not1_b32 s19, s15, exec_lo
.LBB126_32:                             ;   in Loop: Header=BB126_33 Depth=1
	s_or_b32 exec_lo, exec_lo, s14
	s_delay_alu instid0(SALU_CYCLE_1)
	s_and_b32 s4, exec_lo, s19
	v_mov_b32_e32 v2, s101
	s_or_b32 s92, s4, s92
	s_and_not1_b32 s4, s94, exec_lo
	s_and_b32 s5, s97, exec_lo
	s_and_not1_b32 s6, s93, exec_lo
	s_or_b32 s94, s4, s5
	s_and_not1_b32 s4, s95, exec_lo
	s_and_b32 s5, s100, exec_lo
	s_and_b32 s7, s98, exec_lo
	s_or_b32 s95, s4, s5
	s_or_b32 s93, s6, s7
	s_and_not1_b32 exec_lo, exec_lo, s92
	s_cbranch_execz .LBB126_301
.LBB126_33:                             ; =>This Loop Header: Depth=1
                                        ;     Child Loop BB126_41 Depth 2
                                        ;     Child Loop BB126_59 Depth 2
	;; [unrolled: 1-line block ×16, first 2 shown]
	ds_load_b128 v[2:5], v13 offset:5120
	s_waitcnt lgkmcnt(0)
	v_readfirstlane_b32 s73, v3
	v_readfirstlane_b32 s72, v2
	s_delay_alu instid0(VALU_DEP_1)
	s_cmp_lg_u64 s[72:73], 0
	s_cbranch_scc1 .LBB126_66
; %bb.34:                               ;   in Loop: Header=BB126_33 Depth=1
	s_and_b32 vcc_lo, exec_lo, s53
	s_cbranch_vccz .LBB126_49
; %bb.35:                               ;   in Loop: Header=BB126_33 Depth=1
	v_cmp_gt_u64_e32 vcc_lo, 0x301, v[4:5]
	s_mov_b32 s6, 0
	s_mov_b32 s4, 0
	s_cbranch_vccz .LBB126_50
; %bb.36:                               ;   in Loop: Header=BB126_33 Depth=1
	v_mov_b32_e32 v4, 0
	s_and_saveexec_b32 s4, s2
	s_cbranch_execz .LBB126_38
; %bb.37:                               ;   in Loop: Header=BB126_33 Depth=1
	global_load_b32 v4, v[14:15], off
.LBB126_38:                             ;   in Loop: Header=BB126_33 Depth=1
	s_or_b32 exec_lo, exec_lo, s4
	s_and_saveexec_b32 s7, s2
	s_cbranch_execz .LBB126_51
; %bb.39:                               ;   in Loop: Header=BB126_33 Depth=1
	global_load_u16 v2, v13, s[70:71]
	s_mov_b32 s8, 0
	s_waitcnt vmcnt(0)
	v_and_b32_e32 v5, 0xffff, v2
	v_dual_mov_b32 v3, v1 :: v_dual_mov_b32 v2, v0
	s_branch .LBB126_41
.LBB126_40:                             ;   in Loop: Header=BB126_41 Depth=2
	s_or_b32 exec_lo, exec_lo, s5
	s_waitcnt vmcnt(0)
	v_mov_b32_e32 v4, v6
	s_and_not1_b32 exec_lo, exec_lo, s8
	s_cbranch_execz .LBB126_51
.LBB126_41:                             ;   Parent Loop BB126_33 Depth=1
                                        ; =>  This Inner Loop Header: Depth=2
	s_delay_alu instid0(VALU_DEP_1) | instskip(NEXT) | instid1(VALU_DEP_2)
	v_add_co_u32 v2, vcc_lo, v2, v5
	v_add_co_ci_u32_e32 v3, vcc_lo, 0, v3, vcc_lo
	s_waitcnt lgkmcnt(0)
	v_dual_mov_b32 v7, 0 :: v_dual_mov_b32 v6, 0
	s_mov_b32 s5, exec_lo
	s_delay_alu instid0(VALU_DEP_2)
	v_cmp_le_u64_e32 vcc_lo, s[24:25], v[2:3]
	v_cmpx_gt_u64_e64 s[24:25], v[2:3]
	s_cbranch_execz .LBB126_43
; %bb.42:                               ;   in Loop: Header=BB126_41 Depth=2
	v_mul_lo_u32 v6, v3, s50
	v_mul_lo_u32 v12, v2, s51
	v_mad_u64_u32 v[8:9], null, v2, s50, 0
	s_delay_alu instid0(VALU_DEP_1) | instskip(NEXT) | instid1(VALU_DEP_1)
	v_add3_u32 v9, v9, v12, v6
	v_lshlrev_b64 v[8:9], 2, v[8:9]
	s_delay_alu instid0(VALU_DEP_1) | instskip(NEXT) | instid1(VALU_DEP_1)
	v_add_co_u32 v8, s4, s27, v8
	v_add_co_ci_u32_e64 v9, s4, s33, v9, s4
	global_load_b32 v6, v[8:9], off
.LBB126_43:                             ;   in Loop: Header=BB126_41 Depth=2
	s_or_b32 exec_lo, exec_lo, s5
	v_cmp_lt_i32_e64 s4, -1, v4
	s_delay_alu instid0(VALU_DEP_1) | instskip(SKIP_1) | instid1(VALU_DEP_2)
	v_cndmask_b32_e64 v8, -1, 0x80000000, s4
	v_cmp_o_f32_e64 s4, v4, v4
	v_xor_b32_e32 v8, v8, v4
	s_delay_alu instid0(VALU_DEP_1) | instskip(NEXT) | instid1(VALU_DEP_1)
	v_cndmask_b32_e64 v8, -1, v8, s4
	v_and_b32_e32 v8, s102, v8
	s_delay_alu instid0(VALU_DEP_1) | instskip(NEXT) | instid1(VALU_DEP_1)
	v_cmp_eq_u32_e64 s4, s101, v8
	s_cmp_lg_u32 s4, 0
	s_cselect_b32 s5, -1, 0
	s_delay_alu instid0(SALU_CYCLE_1) | instskip(NEXT) | instid1(SALU_CYCLE_1)
	s_and_b32 s5, s1, s5
	s_and_saveexec_b32 s9, s5
	s_cbranch_execz .LBB126_47
; %bb.44:                               ;   in Loop: Header=BB126_41 Depth=2
	s_mov_b32 s12, exec_lo
	s_bcnt1_i32_b32 s10, s4
	v_mbcnt_lo_u32_b32 v7, s12, 0
	s_mov_b32 s11, exec_lo
                                        ; implicit-def: $vgpr8
	s_delay_alu instid0(VALU_DEP_1)
	v_cmpx_eq_u32_e32 0, v7
	s_cbranch_execz .LBB126_46
; %bb.45:                               ;   in Loop: Header=BB126_41 Depth=2
	s_bcnt1_i32_b32 s5, s12
	s_delay_alu instid0(SALU_CYCLE_1) | instskip(NEXT) | instid1(SALU_CYCLE_1)
	s_mul_i32 s5, s10, s5
	v_mov_b32_e32 v8, s5
	ds_add_rtn_u32 v8, v13, v8 offset:5144
.LBB126_46:                             ;   in Loop: Header=BB126_41 Depth=2
	s_or_b32 exec_lo, exec_lo, s11
	s_waitcnt lgkmcnt(0)
	v_readfirstlane_b32 s5, v8
	s_delay_alu instid0(VALU_DEP_1)
	v_mad_u32_u24 v7, s10, v7, s5
.LBB126_47:                             ;   in Loop: Header=BB126_41 Depth=2
	s_or_b32 exec_lo, exec_lo, s9
	ds_bpermute_b32 v7, v13, v7
	s_and_b32 s5, exec_lo, vcc_lo
	s_delay_alu instid0(SALU_CYCLE_1)
	s_or_b32 s8, s5, s8
	s_and_saveexec_b32 s5, s4
	s_cbranch_execz .LBB126_40
; %bb.48:                               ;   in Loop: Header=BB126_41 Depth=2
	v_and_b32_e32 v8, s4, v26
	s_delay_alu instid0(VALU_DEP_1) | instskip(NEXT) | instid1(VALU_DEP_1)
	v_bcnt_u32_b32 v8, v8, 0
	v_lshlrev_b32_e32 v8, 2, v8
	s_waitcnt lgkmcnt(0)
	s_delay_alu instid0(VALU_DEP_1)
	v_lshl_add_u32 v7, v7, 2, v8
	ds_store_b32 v7, v4
	s_branch .LBB126_40
.LBB126_49:                             ;   in Loop: Header=BB126_33 Depth=1
	s_mov_b32 s4, 0
                                        ; implicit-def: $sgpr72_sgpr73
	s_cbranch_execnz .LBB126_54
	s_branch .LBB126_64
.LBB126_50:                             ;   in Loop: Header=BB126_33 Depth=1
	s_mov_b64 s[72:73], 0
	s_and_b32 vcc_lo, exec_lo, s6
	s_cbranch_vccnz .LBB126_54
	s_branch .LBB126_64
.LBB126_51:                             ;   in Loop: Header=BB126_33 Depth=1
	s_or_b32 exec_lo, exec_lo, s7
	s_waitcnt vmcnt(0) lgkmcnt(0)
	s_barrier
	buffer_gl0_inv
	s_and_saveexec_b32 s4, s3
	s_cbranch_execz .LBB126_53
; %bb.52:                               ;   in Loop: Header=BB126_33 Depth=1
	ds_load_b32 v2, v13 offset:5144
	s_waitcnt lgkmcnt(0)
	v_ashrrev_i32_e32 v3, 31, v2
	ds_store_b64 v13, v[2:3] offset:5120
.LBB126_53:                             ;   in Loop: Header=BB126_33 Depth=1
	s_or_b32 exec_lo, exec_lo, s4
	s_waitcnt lgkmcnt(0)
	s_mov_b32 s4, -1
	s_barrier
	s_mov_b64 s[72:73], 0
	s_and_b32 vcc_lo, exec_lo, s6
	s_cbranch_vccz .LBB126_64
.LBB126_54:                             ;   in Loop: Header=BB126_33 Depth=1
	v_mov_b32_e32 v4, 0
	s_and_saveexec_b32 s4, s2
	s_cbranch_execz .LBB126_56
; %bb.55:                               ;   in Loop: Header=BB126_33 Depth=1
	global_load_b32 v4, v[14:15], off
.LBB126_56:                             ;   in Loop: Header=BB126_33 Depth=1
	s_or_b32 exec_lo, exec_lo, s4
	s_and_saveexec_b32 s5, s2
	s_cbranch_execz .LBB126_61
; %bb.57:                               ;   in Loop: Header=BB126_33 Depth=1
	global_load_u16 v2, v13, s[70:71]
	s_mov_b32 s6, 0
	s_waitcnt vmcnt(0)
	v_dual_mov_b32 v6, v10 :: v_dual_and_b32 v5, 0xffff, v2
	v_dual_mov_b32 v3, v1 :: v_dual_mov_b32 v2, v0
	s_delay_alu instid0(VALU_DEP_2)
	v_lshlrev_b32_e32 v7, 2, v5
	s_set_inst_prefetch_distance 0x1
	s_branch .LBB126_59
	.p2align	6
.LBB126_58:                             ;   in Loop: Header=BB126_59 Depth=2
	s_or_b32 exec_lo, exec_lo, s7
	ds_store_b32 v6, v4
	v_add_nc_u32_e32 v6, v6, v7
	s_waitcnt vmcnt(0)
	v_mov_b32_e32 v4, v8
	s_and_b32 s4, exec_lo, vcc_lo
	s_delay_alu instid0(SALU_CYCLE_1) | instskip(NEXT) | instid1(SALU_CYCLE_1)
	s_or_b32 s6, s4, s6
	s_and_not1_b32 exec_lo, exec_lo, s6
	s_cbranch_execz .LBB126_61
.LBB126_59:                             ;   Parent Loop BB126_33 Depth=1
                                        ; =>  This Inner Loop Header: Depth=2
	s_delay_alu instid0(VALU_DEP_2) | instskip(SKIP_3) | instid1(VALU_DEP_2)
	v_add_co_u32 v2, vcc_lo, v2, v5
	v_add_co_ci_u32_e32 v3, vcc_lo, 0, v3, vcc_lo
	v_mov_b32_e32 v8, 0
	s_mov_b32 s7, exec_lo
	v_cmp_le_u64_e32 vcc_lo, s[24:25], v[2:3]
	v_cmpx_gt_u64_e64 s[24:25], v[2:3]
	s_cbranch_execz .LBB126_58
; %bb.60:                               ;   in Loop: Header=BB126_59 Depth=2
	v_mul_lo_u32 v12, v3, s50
	v_mul_lo_u32 v17, v2, s51
	v_mad_u64_u32 v[8:9], null, v2, s50, 0
	s_delay_alu instid0(VALU_DEP_1) | instskip(NEXT) | instid1(VALU_DEP_1)
	v_add3_u32 v9, v9, v17, v12
	v_lshlrev_b64 v[8:9], 2, v[8:9]
	s_delay_alu instid0(VALU_DEP_1) | instskip(NEXT) | instid1(VALU_DEP_1)
	v_add_co_u32 v8, s4, s27, v8
	v_add_co_ci_u32_e64 v9, s4, s33, v9, s4
	global_load_b32 v8, v[8:9], off
	s_branch .LBB126_58
.LBB126_61:                             ;   in Loop: Header=BB126_33 Depth=1
	s_set_inst_prefetch_distance 0x2
	s_or_b32 exec_lo, exec_lo, s5
	s_waitcnt vmcnt(0) lgkmcnt(0)
	s_barrier
	buffer_gl0_inv
	s_and_saveexec_b32 s4, s3
	s_cbranch_execz .LBB126_63
; %bb.62:                               ;   in Loop: Header=BB126_33 Depth=1
	v_dual_mov_b32 v2, s24 :: v_dual_mov_b32 v3, s25
	ds_store_b64 v13, v[2:3] offset:5120
.LBB126_63:                             ;   in Loop: Header=BB126_33 Depth=1
	s_or_b32 exec_lo, exec_lo, s4
	s_mov_b32 s4, -1
	s_waitcnt lgkmcnt(0)
	s_barrier
                                        ; implicit-def: $sgpr72_sgpr73
.LBB126_64:                             ;   in Loop: Header=BB126_33 Depth=1
	s_and_b32 vcc_lo, exec_lo, s4
	s_cbranch_vccz .LBB126_66
; %bb.65:                               ;   in Loop: Header=BB126_33 Depth=1
	buffer_gl0_inv
	ds_load_b64 v[2:3], v13 offset:5120
	s_waitcnt lgkmcnt(0)
	v_readfirstlane_b32 s72, v2
.LBB126_66:                             ;   in Loop: Header=BB126_33 Depth=1
	s_delay_alu instid0(VALU_DEP_1)
	s_cmp_lt_i32 s72, 1
	s_cbranch_scc0 .LBB126_81
; %bb.67:                               ;   in Loop: Header=BB126_33 Depth=1
	global_load_u16 v17, v13, s[70:71]
	s_mov_b32 s5, s25
	s_waitcnt vmcnt(0)
	v_readfirstlane_b32 s4, v17
	s_delay_alu instid0(VALU_DEP_1)
	s_and_b32 s6, 0xffff, s4
	s_mov_b32 s4, s67
	s_lshl_b32 s66, s6, 2
	s_cmp_lg_u64 s[4:5], 0
	s_cbranch_scc0 .LBB126_101
; %bb.68:                               ;   in Loop: Header=BB126_33 Depth=1
	v_cvt_f32_u32_e32 v2, s66
	s_sub_u32 s6, 0, s66
	s_subb_u32 s7, 0, 0
	s_delay_alu instid0(VALU_DEP_1) | instskip(NEXT) | instid1(VALU_DEP_1)
	v_fmac_f32_e64 v2, 0, 0x4f800000
	v_rcp_f32_e32 v2, v2
	s_waitcnt_depctr 0xfff
	v_mul_f32_e32 v2, 0x5f7ffffc, v2
	s_delay_alu instid0(VALU_DEP_1) | instskip(NEXT) | instid1(VALU_DEP_1)
	v_mul_f32_e32 v3, 0x2f800000, v2
	v_trunc_f32_e32 v3, v3
	s_delay_alu instid0(VALU_DEP_1) | instskip(SKIP_1) | instid1(VALU_DEP_2)
	v_fmac_f32_e32 v2, 0xcf800000, v3
	v_cvt_u32_f32_e32 v3, v3
	v_cvt_u32_f32_e32 v2, v2
	s_delay_alu instid0(VALU_DEP_2) | instskip(NEXT) | instid1(VALU_DEP_2)
	v_readfirstlane_b32 s4, v3
	v_readfirstlane_b32 s5, v2
	s_delay_alu instid0(VALU_DEP_2) | instskip(NEXT) | instid1(VALU_DEP_1)
	s_mul_i32 s8, s6, s4
	s_mul_hi_u32 s10, s6, s5
	s_mul_i32 s9, s7, s5
	s_add_i32 s8, s10, s8
	s_mul_i32 s11, s6, s5
	s_add_i32 s8, s8, s9
	s_mul_hi_u32 s10, s5, s11
	s_mul_hi_u32 s12, s4, s11
	s_mul_i32 s9, s4, s11
	s_mul_hi_u32 s11, s5, s8
	s_mul_i32 s5, s5, s8
	s_mul_hi_u32 s13, s4, s8
	s_add_u32 s5, s10, s5
	s_addc_u32 s10, 0, s11
	s_add_u32 s5, s5, s9
	s_mul_i32 s8, s4, s8
	s_addc_u32 s5, s10, s12
	s_addc_u32 s9, s13, 0
	s_add_u32 s5, s5, s8
	s_addc_u32 s8, 0, s9
	v_add_co_u32 v2, s5, v2, s5
	s_delay_alu instid0(VALU_DEP_1) | instskip(SKIP_1) | instid1(VALU_DEP_1)
	s_cmp_lg_u32 s5, 0
	s_addc_u32 s4, s4, s8
	v_readfirstlane_b32 s5, v2
	s_mul_i32 s8, s6, s4
	s_delay_alu instid0(VALU_DEP_1)
	s_mul_hi_u32 s9, s6, s5
	s_mul_i32 s7, s7, s5
	s_add_i32 s8, s9, s8
	s_mul_i32 s6, s6, s5
	s_add_i32 s8, s8, s7
	s_mul_hi_u32 s9, s4, s6
	s_mul_i32 s10, s4, s6
	s_mul_hi_u32 s6, s5, s6
	s_mul_hi_u32 s11, s5, s8
	s_mul_i32 s5, s5, s8
	s_mul_hi_u32 s7, s4, s8
	s_add_u32 s5, s6, s5
	s_addc_u32 s6, 0, s11
	s_add_u32 s5, s5, s10
	s_mul_i32 s8, s4, s8
	s_addc_u32 s5, s6, s9
	s_addc_u32 s6, s7, 0
	s_add_u32 s5, s5, s8
	s_addc_u32 s6, 0, s6
	v_add_co_u32 v2, s5, v2, s5
	s_delay_alu instid0(VALU_DEP_1) | instskip(SKIP_1) | instid1(VALU_DEP_1)
	s_cmp_lg_u32 s5, 0
	s_addc_u32 s4, s4, s6
	v_readfirstlane_b32 s5, v2
	s_mul_i32 s7, s24, s4
	s_mul_hi_u32 s6, s24, s4
	s_mul_hi_u32 s8, s25, s4
	s_mul_i32 s4, s25, s4
	s_mul_hi_u32 s9, s24, s5
	s_mul_hi_u32 s10, s25, s5
	s_mul_i32 s5, s25, s5
	s_add_u32 s7, s9, s7
	s_addc_u32 s6, 0, s6
	s_add_u32 s5, s7, s5
	s_addc_u32 s5, s6, s10
	s_addc_u32 s6, s8, 0
	s_add_u32 s4, s5, s4
	s_addc_u32 s5, 0, s6
	s_mul_hi_u32 s6, s66, s4
	s_mul_i32 s4, s66, s4
	s_mul_i32 s5, s66, s5
	v_sub_co_u32 v2, s4, s24, s4
	s_add_i32 s6, s6, s5
	s_cmp_lg_u32 s4, 0
	s_delay_alu instid0(VALU_DEP_1) | instskip(SKIP_2) | instid1(VALU_DEP_1)
	v_sub_co_u32 v3, s4, v2, s66
	s_subb_u32 s5, s25, s6
	s_cmp_lg_u32 s4, 0
	v_cmp_le_u32_e32 vcc_lo, s66, v3
	v_sub_co_u32 v4, s4, v3, s66
	s_subb_u32 s6, s5, 0
	s_cmp_lg_u32 s4, 0
	v_cndmask_b32_e64 v5, 0, -1, vcc_lo
	s_subb_u32 s4, s6, 0
	s_cmp_eq_u32 s6, 0
	v_mov_b32_e32 v7, s4
	s_cselect_b32 vcc_lo, -1, 0
	s_cmp_eq_u32 s5, 0
	v_cndmask_b32_e32 v5, -1, v5, vcc_lo
	v_cmp_le_u32_e32 vcc_lo, s66, v2
	s_cselect_b32 s4, -1, 0
	v_cndmask_b32_e64 v6, 0, -1, vcc_lo
	s_delay_alu instid0(VALU_DEP_3) | instskip(NEXT) | instid1(VALU_DEP_2)
	v_cmp_ne_u32_e32 vcc_lo, 0, v5
	v_cndmask_b32_e64 v5, -1, v6, s4
	v_cndmask_b32_e32 v6, s6, v7, vcc_lo
	v_cndmask_b32_e32 v4, v3, v4, vcc_lo
	s_delay_alu instid0(VALU_DEP_3) | instskip(NEXT) | instid1(VALU_DEP_3)
	v_cmp_ne_u32_e32 vcc_lo, 0, v5
	v_cndmask_b32_e32 v3, s5, v6, vcc_lo
	s_delay_alu instid0(VALU_DEP_3)
	v_cndmask_b32_e32 v2, v2, v4, vcc_lo
	s_cbranch_execnz .LBB126_70
.LBB126_69:                             ;   in Loop: Header=BB126_33 Depth=1
	v_cvt_f32_u32_e32 v2, s66
	s_sub_i32 s4, 0, s66
	s_delay_alu instid0(VALU_DEP_1) | instskip(SKIP_2) | instid1(VALU_DEP_1)
	v_rcp_iflag_f32_e32 v2, v2
	s_waitcnt_depctr 0xfff
	v_mul_f32_e32 v2, 0x4f7ffffe, v2
	v_cvt_u32_f32_e32 v2, v2
	s_delay_alu instid0(VALU_DEP_1) | instskip(NEXT) | instid1(VALU_DEP_1)
	v_mul_lo_u32 v3, s4, v2
	v_mul_hi_u32 v3, v2, v3
	s_delay_alu instid0(VALU_DEP_1) | instskip(NEXT) | instid1(VALU_DEP_1)
	v_add_nc_u32_e32 v2, v2, v3
	v_mul_hi_u32 v2, s24, v2
	s_delay_alu instid0(VALU_DEP_1) | instskip(NEXT) | instid1(VALU_DEP_1)
	v_mul_lo_u32 v2, v2, s66
	v_sub_nc_u32_e32 v2, s24, v2
	s_delay_alu instid0(VALU_DEP_1) | instskip(SKIP_1) | instid1(VALU_DEP_2)
	v_subrev_nc_u32_e32 v3, s66, v2
	v_cmp_le_u32_e32 vcc_lo, s66, v2
	v_cndmask_b32_e32 v2, v2, v3, vcc_lo
	s_delay_alu instid0(VALU_DEP_1) | instskip(SKIP_1) | instid1(VALU_DEP_2)
	v_subrev_nc_u32_e32 v3, s66, v2
	v_cmp_le_u32_e32 vcc_lo, s66, v2
	v_cndmask_b32_e32 v12, v2, v3, vcc_lo
	s_delay_alu instid0(VALU_DEP_1)
	v_dual_mov_b32 v2, v12 :: v_dual_mov_b32 v3, v13
.LBB126_70:                             ;   in Loop: Header=BB126_33 Depth=1
	s_delay_alu instid0(VALU_DEP_1) | instskip(NEXT) | instid1(VALU_DEP_2)
	v_sub_co_u32 v19, vcc_lo, s24, v2
	v_sub_co_ci_u32_e32 v20, vcc_lo, s25, v3, vcc_lo
	v_mov_b32_e32 v2, 0
	v_mov_b32_e32 v3, 0
	s_mov_b64 s[22:23], 0
	s_mov_b32 s68, exec_lo
	s_delay_alu instid0(VALU_DEP_1)
	v_dual_mov_b32 v5, v3 :: v_dual_mov_b32 v4, v2
	v_dual_mov_b32 v7, v3 :: v_dual_mov_b32 v6, v2
	;; [unrolled: 1-line block ×3, first 2 shown]
	v_cmpx_gt_u64_e64 v[19:20], v[10:11]
	s_cbranch_execz .LBB126_74
; %bb.71:                               ;   in Loop: Header=BB126_33 Depth=1
	v_dual_mov_b32 v22, v11 :: v_dual_mov_b32 v21, v10
	s_and_b32 s80, s96, 0xfe
	s_mov_b32 s73, 0
	s_mov_b64 s[74:75], 0
	s_mov_b64 s[76:77], 0
	s_mov_b64 s[78:79], 0
.LBB126_72:                             ;   Parent Loop BB126_33 Depth=1
                                        ; =>  This Inner Loop Header: Depth=2
	v_mul_lo_u32 v4, v22, s50
	v_mul_lo_u32 v5, v21, s51
	v_mad_u64_u32 v[2:3], null, v21, s50, 0
	s_lshl_b64 s[4:5], s[50:51], 2
	s_delay_alu instid0(VALU_DEP_1) | instskip(NEXT) | instid1(VALU_DEP_1)
	v_add3_u32 v3, v3, v5, v4
	v_lshlrev_b64 v[2:3], 2, v[2:3]
	s_delay_alu instid0(VALU_DEP_1) | instskip(NEXT) | instid1(VALU_DEP_2)
	v_add_co_u32 v2, vcc_lo, s27, v2
	v_add_co_ci_u32_e32 v3, vcc_lo, s33, v3, vcc_lo
	s_delay_alu instid0(VALU_DEP_2) | instskip(NEXT) | instid1(VALU_DEP_2)
	v_add_co_u32 v4, vcc_lo, v2, s4
	v_add_co_ci_u32_e32 v5, vcc_lo, s5, v3, vcc_lo
	s_clause 0x1
	global_load_b32 v6, v[2:3], off
	global_load_b32 v7, v[4:5], off
	v_add_co_u32 v2, vcc_lo, v4, s4
	v_add_co_ci_u32_e32 v3, vcc_lo, s5, v5, vcc_lo
	global_load_b32 v4, v[2:3], off
	v_add_co_u32 v2, vcc_lo, v2, s4
	v_add_co_ci_u32_e32 v3, vcc_lo, s5, v3, vcc_lo
	v_add_co_u32 v21, vcc_lo, v21, s66
	v_add_co_ci_u32_e32 v22, vcc_lo, 0, v22, vcc_lo
	global_load_b32 v2, v[2:3], off
	v_cmp_ge_u64_e32 vcc_lo, v[21:22], v[19:20]
	s_waitcnt vmcnt(3)
	v_cmp_lt_i32_e64 s4, -1, v6
	s_delay_alu instid0(VALU_DEP_1)
	v_cndmask_b32_e64 v3, -1, 0x80000000, s4
	s_waitcnt vmcnt(2)
	v_cmp_lt_i32_e64 s4, -1, v7
	s_waitcnt vmcnt(1)
	v_cmp_lt_i32_e64 s5, -1, v4
	v_xor_b32_e32 v3, v3, v6
	s_delay_alu instid0(VALU_DEP_3) | instskip(SKIP_1) | instid1(VALU_DEP_4)
	v_cndmask_b32_e64 v5, -1, 0x80000000, s4
	v_cmp_o_f32_e64 s4, v6, v6
	v_cndmask_b32_e64 v6, -1, 0x80000000, s5
	s_delay_alu instid0(VALU_DEP_3) | instskip(NEXT) | instid1(VALU_DEP_3)
	v_xor_b32_e32 v5, v5, v7
	v_cndmask_b32_e64 v3, -1, v3, s4
	v_cmp_o_f32_e64 s4, v7, v7
	s_delay_alu instid0(VALU_DEP_4)
	v_xor_b32_e32 v6, v6, v4
	s_waitcnt vmcnt(0)
	v_cmp_o_f32_e64 s9, v2, v2
	v_and_b32_e32 v8, s102, v3
	v_cndmask_b32_e64 v5, -1, v5, s4
	v_cmp_lt_i32_e64 s4, -1, v2
	v_bfe_u32 v3, v3, s80, 2
	s_delay_alu instid0(VALU_DEP_2) | instskip(SKIP_1) | instid1(VALU_DEP_3)
	v_cndmask_b32_e64 v7, -1, 0x80000000, s4
	v_cmp_o_f32_e64 s4, v4, v4
	v_cmp_eq_u32_e64 s5, 0, v3
	v_cmp_eq_u32_e64 s6, 1, v3
	;; [unrolled: 1-line block ×4, first 2 shown]
	v_cndmask_b32_e64 v4, -1, v6, s4
	v_xor_b32_e32 v6, v7, v2
	v_cmp_eq_u32_e64 s4, s101, v8
	v_and_b32_e32 v7, s102, v5
	v_bfe_u32 v5, v5, s80, 2
	v_and_b32_e32 v3, s102, v4
	v_cndmask_b32_e64 v2, -1, v6, s9
	v_bfe_u32 v4, v4, s80, 2
	v_cmp_eq_u32_e64 s9, s101, v7
	v_cmp_eq_u32_e64 s10, 0, v5
	s_and_b32 s5, s4, s5
	v_cmp_eq_u32_e64 s13, s101, v3
	v_cndmask_b32_e64 v6, 0, 1, s5
	v_and_b32_e32 v3, s102, v2
	v_bfe_u32 v2, v2, s80, 2
	v_cmp_eq_u32_e64 s14, 0, v4
	s_and_b32 s10, s9, s10
	v_cmp_eq_u32_e64 s5, 1, v5
	v_cmp_eq_u32_e64 s11, 2, v5
	;; [unrolled: 1-line block ×3, first 2 shown]
	v_cmp_ne_u32_e64 s15, 0, v6
	v_cndmask_b32_e64 v5, 0, 1, s10
	v_cmp_eq_u32_e64 s18, s101, v3
	v_cmp_eq_u32_e64 s19, 0, v2
	s_and_b32 s14, s13, s14
	s_bcnt1_i32_b32 s81, s15
	v_cmp_ne_u32_e64 s15, 0, v5
	v_cndmask_b32_e64 v3, 0, 1, s14
	s_and_b32 s19, s18, s19
	v_cmp_eq_u32_e64 s14, 1, v2
	v_cmp_eq_u32_e64 s20, 2, v2
	;; [unrolled: 1-line block ×3, first 2 shown]
	v_cndmask_b32_e64 v2, 0, 1, s19
	s_bcnt1_i32_b32 s19, s15
	v_cmp_ne_u32_e64 s15, 0, v3
	s_add_i32 s81, s19, s81
	v_cmp_eq_u32_e64 s10, 1, v4
	v_cmp_ne_u32_e64 s19, 0, v2
	v_cmp_eq_u32_e64 s16, 2, v4
	s_bcnt1_i32_b32 s15, s15
	v_cmp_eq_u32_e64 s17, 3, v4
	s_add_i32 s15, s81, s15
	s_bcnt1_i32_b32 s19, s19
	s_delay_alu instid0(SALU_CYCLE_1) | instskip(NEXT) | instid1(SALU_CYCLE_1)
	s_add_i32 s15, s15, s19
	s_add_u32 s78, s78, s15
	s_addc_u32 s79, s79, 0
	s_and_b32 s6, s4, s6
	s_and_b32 s5, s9, s5
	v_cndmask_b32_e64 v2, 0, 1, s6
	v_cndmask_b32_e64 v3, 0, 1, s5
	s_and_b32 s5, s13, s10
	s_delay_alu instid0(SALU_CYCLE_1) | instskip(SKIP_1) | instid1(VALU_DEP_2)
	v_cndmask_b32_e64 v4, 0, 1, s5
	s_and_b32 s5, s18, s14
	v_cmp_ne_u32_e64 s6, 0, v3
	v_cndmask_b32_e64 v5, 0, 1, s5
	v_cmp_ne_u32_e64 s5, 0, v2
	v_cmp_ne_u32_e64 s10, 0, v4
	s_delay_alu instid0(VALU_DEP_4) | instskip(NEXT) | instid1(VALU_DEP_3)
	s_bcnt1_i32_b32 s6, s6
	v_cmp_ne_u32_e64 s14, 0, v5
	s_delay_alu instid0(VALU_DEP_3) | instskip(NEXT) | instid1(VALU_DEP_2)
	s_bcnt1_i32_b32 s5, s5
	s_bcnt1_i32_b32 s10, s10
	s_add_i32 s5, s6, s5
	s_delay_alu instid0(VALU_DEP_1) | instskip(SKIP_1) | instid1(SALU_CYCLE_1)
	s_bcnt1_i32_b32 s14, s14
	s_add_i32 s5, s5, s10
	s_add_i32 s5, s5, s14
	s_delay_alu instid0(SALU_CYCLE_1) | instskip(SKIP_2) | instid1(SALU_CYCLE_1)
	s_add_u32 s76, s76, s5
	s_addc_u32 s77, s77, 0
	s_and_b32 s5, s4, s7
	v_cndmask_b32_e64 v2, 0, 1, s5
	s_and_b32 s5, s9, s11
	s_delay_alu instid0(SALU_CYCLE_1) | instskip(SKIP_1) | instid1(SALU_CYCLE_1)
	v_cndmask_b32_e64 v3, 0, 1, s5
	s_and_b32 s5, s13, s16
	v_cndmask_b32_e64 v4, 0, 1, s5
	s_and_b32 s5, s18, s20
	s_delay_alu instid0(VALU_DEP_2) | instskip(SKIP_3) | instid1(VALU_DEP_4)
	v_cmp_ne_u32_e64 s6, 0, v3
	v_cndmask_b32_e64 v5, 0, 1, s5
	v_cmp_ne_u32_e64 s5, 0, v2
	v_cmp_ne_u32_e64 s7, 0, v4
	s_bcnt1_i32_b32 s6, s6
	s_delay_alu instid0(VALU_DEP_3) | instskip(NEXT) | instid1(VALU_DEP_3)
	v_cmp_ne_u32_e64 s10, 0, v5
	s_bcnt1_i32_b32 s5, s5
	s_delay_alu instid0(VALU_DEP_2) | instskip(SKIP_1) | instid1(VALU_DEP_1)
	s_bcnt1_i32_b32 s7, s7
	s_add_i32 s5, s6, s5
	s_bcnt1_i32_b32 s10, s10
	s_add_i32 s5, s5, s7
	s_delay_alu instid0(SALU_CYCLE_1) | instskip(NEXT) | instid1(SALU_CYCLE_1)
	s_add_i32 s5, s5, s10
	s_add_u32 s74, s74, s5
	s_addc_u32 s75, s75, 0
	v_mov_b32_e32 v6, s74
	s_and_b32 s4, s4, s8
	v_mov_b32_e32 v7, s75
	v_cndmask_b32_e64 v2, 0, 1, s4
	s_and_b32 s4, s9, s12
	s_delay_alu instid0(SALU_CYCLE_1) | instskip(SKIP_1) | instid1(SALU_CYCLE_1)
	v_cndmask_b32_e64 v3, 0, 1, s4
	s_and_b32 s4, s13, s17
	v_cndmask_b32_e64 v4, 0, 1, s4
	s_and_b32 s4, s18, s21
	s_delay_alu instid0(VALU_DEP_2)
	v_cmp_ne_u32_e64 s5, 0, v3
	v_cndmask_b32_e64 v5, 0, 1, s4
	v_cmp_ne_u32_e64 s4, 0, v2
	v_cmp_ne_u32_e64 s6, 0, v4
	v_mov_b32_e32 v2, s78
	s_bcnt1_i32_b32 s5, s5
	v_cmp_ne_u32_e64 s7, 0, v5
	s_bcnt1_i32_b32 s4, s4
	s_bcnt1_i32_b32 s6, s6
	s_add_i32 s4, s5, s4
	v_mov_b32_e32 v4, s76
	s_bcnt1_i32_b32 s5, s7
	s_add_i32 s4, s4, s6
	v_mov_b32_e32 v3, s79
	s_add_i32 s4, s4, s5
	s_delay_alu instid0(SALU_CYCLE_1) | instskip(SKIP_4) | instid1(SALU_CYCLE_1)
	s_add_u32 s22, s22, s4
	s_addc_u32 s23, s23, 0
	v_dual_mov_b32 v5, s77 :: v_dual_mov_b32 v8, s22
	v_mov_b32_e32 v9, s23
	s_or_b32 s73, vcc_lo, s73
	s_and_not1_b32 exec_lo, exec_lo, s73
	s_cbranch_execnz .LBB126_72
; %bb.73:                               ;   in Loop: Header=BB126_33 Depth=1
	s_or_b32 exec_lo, exec_lo, s73
.LBB126_74:                             ;   in Loop: Header=BB126_33 Depth=1
	s_delay_alu instid0(SALU_CYCLE_1) | instskip(SKIP_3) | instid1(VALU_DEP_2)
	s_or_b32 exec_lo, exec_lo, s68
	v_add_co_u32 v19, vcc_lo, v19, v0
	v_add_co_ci_u32_e32 v20, vcc_lo, 0, v20, vcc_lo
	v_dual_mov_b32 v21, 0 :: v_dual_and_b32 v12, 0xffff, v17
	v_cmp_gt_u64_e32 vcc_lo, s[24:25], v[19:20]
	s_and_saveexec_b32 s5, vcc_lo
	s_cbranch_execz .LBB126_76
; %bb.75:                               ;   in Loop: Header=BB126_33 Depth=1
	v_mul_lo_u32 v17, v20, s50
	v_mul_lo_u32 v29, v19, s51
	v_mad_u64_u32 v[21:22], null, v19, s50, 0
	s_delay_alu instid0(VALU_DEP_1) | instskip(NEXT) | instid1(VALU_DEP_1)
	v_add3_u32 v22, v22, v29, v17
	v_lshlrev_b64 v[21:22], 2, v[21:22]
	s_delay_alu instid0(VALU_DEP_1) | instskip(NEXT) | instid1(VALU_DEP_1)
	v_add_co_u32 v21, s4, s27, v21
	v_add_co_ci_u32_e64 v22, s4, s33, v22, s4
	global_load_b32 v21, v[21:22], off
.LBB126_76:                             ;   in Loop: Header=BB126_33 Depth=1
	s_or_b32 exec_lo, exec_lo, s5
	s_and_saveexec_b32 s8, vcc_lo
	s_cbranch_execz .LBB126_83
; %bb.77:                               ;   in Loop: Header=BB126_33 Depth=1
	s_and_b32 s10, s96, 0xfe
	s_mov_b32 s9, 0
	s_branch .LBB126_79
.LBB126_78:                             ;   in Loop: Header=BB126_79 Depth=2
	s_or_b32 exec_lo, exec_lo, s5
	s_waitcnt vmcnt(0)
	v_cmp_lt_i32_e64 s4, -1, v21
	s_and_b32 s5, exec_lo, vcc_lo
	s_delay_alu instid0(SALU_CYCLE_1) | instskip(NEXT) | instid1(VALU_DEP_1)
	s_or_b32 s9, s5, s9
	v_cndmask_b32_e64 v22, -1, 0x80000000, s4
	v_cmp_o_f32_e64 s4, v21, v21
	s_delay_alu instid0(VALU_DEP_2) | instskip(NEXT) | instid1(VALU_DEP_1)
	v_xor_b32_e32 v22, v22, v21
	v_cndmask_b32_e64 v21, -1, v22, s4
	s_delay_alu instid0(VALU_DEP_1) | instskip(SKIP_1) | instid1(VALU_DEP_2)
	v_and_b32_e32 v22, s102, v21
	v_bfe_u32 v21, v21, s10, 2
	v_cmp_eq_u32_e32 vcc_lo, s101, v22
	s_delay_alu instid0(VALU_DEP_2) | instskip(SKIP_3) | instid1(VALU_DEP_4)
	v_cmp_eq_u32_e64 s4, 0, v21
	v_cmp_eq_u32_e64 s5, 1, v21
	;; [unrolled: 1-line block ×4, first 2 shown]
	s_and_b32 s4, vcc_lo, s4
	s_delay_alu instid0(SALU_CYCLE_1) | instskip(SKIP_1) | instid1(SALU_CYCLE_1)
	v_cndmask_b32_e64 v21, 0, 1, s4
	s_and_b32 s4, vcc_lo, s5
	v_cndmask_b32_e64 v22, 0, 1, s4
	s_and_b32 s4, vcc_lo, s6
	s_delay_alu instid0(SALU_CYCLE_1)
	v_cndmask_b32_e64 v29, 0, 1, s4
	s_and_b32 s4, vcc_lo, s7
	v_cmp_ne_u32_e32 vcc_lo, 0, v21
	v_mov_b32_e32 v21, v17
	v_cndmask_b32_e64 v30, 0, 1, s4
	v_cmp_ne_u32_e64 s4, 0, v22
	v_cmp_ne_u32_e64 s5, 0, v29
	s_bcnt1_i32_b32 s7, vcc_lo
	s_delay_alu instid0(SALU_CYCLE_1) | instskip(NEXT) | instid1(VALU_DEP_3)
	v_add_co_u32 v2, vcc_lo, v2, s7
	s_bcnt1_i32_b32 s4, s4
	v_cmp_ne_u32_e64 s6, 0, v30
	v_add_co_ci_u32_e32 v3, vcc_lo, 0, v3, vcc_lo
	v_add_co_u32 v4, vcc_lo, v4, s4
	s_bcnt1_i32_b32 s5, s5
	v_add_co_ci_u32_e32 v5, vcc_lo, 0, v5, vcc_lo
	v_add_co_u32 v6, vcc_lo, v6, s5
	s_bcnt1_i32_b32 s4, s6
	v_add_co_ci_u32_e32 v7, vcc_lo, 0, v7, vcc_lo
	v_add_co_u32 v8, vcc_lo, v8, s4
	v_add_co_ci_u32_e32 v9, vcc_lo, 0, v9, vcc_lo
	s_and_not1_b32 exec_lo, exec_lo, s9
	s_cbranch_execz .LBB126_82
.LBB126_79:                             ;   Parent Loop BB126_33 Depth=1
                                        ; =>  This Inner Loop Header: Depth=2
	v_add_co_u32 v19, vcc_lo, v19, v12
	v_add_co_ci_u32_e32 v20, vcc_lo, 0, v20, vcc_lo
	v_mov_b32_e32 v17, 0
	s_mov_b32 s5, exec_lo
	s_delay_alu instid0(VALU_DEP_2)
	v_cmp_le_u64_e32 vcc_lo, s[24:25], v[19:20]
	v_cmpx_gt_u64_e64 s[24:25], v[19:20]
	s_cbranch_execz .LBB126_78
; %bb.80:                               ;   in Loop: Header=BB126_79 Depth=2
	v_mul_lo_u32 v17, v20, s50
	v_mul_lo_u32 v22, v19, s51
	v_mad_u64_u32 v[29:30], null, v19, s50, 0
	s_delay_alu instid0(VALU_DEP_1) | instskip(NEXT) | instid1(VALU_DEP_1)
	v_add3_u32 v30, v30, v22, v17
	v_lshlrev_b64 v[29:30], 2, v[29:30]
	s_delay_alu instid0(VALU_DEP_1) | instskip(NEXT) | instid1(VALU_DEP_1)
	v_add_co_u32 v29, s4, s27, v29
	v_add_co_ci_u32_e64 v30, s4, s33, v30, s4
	global_load_b32 v17, v[29:30], off
	s_branch .LBB126_78
.LBB126_81:                             ;   in Loop: Header=BB126_33 Depth=1
                                        ; implicit-def: $vgpr8_vgpr9
                                        ; implicit-def: $vgpr4_vgpr5
	s_cbranch_execnz .LBB126_84
	s_branch .LBB126_93
.LBB126_82:                             ;   in Loop: Header=BB126_33 Depth=1
	s_or_b32 exec_lo, exec_lo, s9
.LBB126_83:                             ;   in Loop: Header=BB126_33 Depth=1
	s_delay_alu instid0(SALU_CYCLE_1)
	s_or_b32 exec_lo, exec_lo, s8
	s_branch .LBB126_93
.LBB126_84:                             ;   in Loop: Header=BB126_33 Depth=1
	global_load_u16 v8, v13, s[70:71]
	s_mov_b64 s[74:75], 0
	s_mov_b32 s73, exec_lo
	s_waitcnt vmcnt(0)
	v_readfirstlane_b32 s4, v8
	v_and_b32_e32 v17, 0xffff, v8
	s_delay_alu instid0(VALU_DEP_2) | instskip(NEXT) | instid1(SALU_CYCLE_1)
	s_and_b32 s4, 0xffff, s4
	s_lshl_b32 s68, s4, 2
	s_delay_alu instid0(SALU_CYCLE_1) | instskip(SKIP_1) | instid1(VALU_DEP_1)
	v_cvt_f32_u32_e32 v2, s68
	s_sub_i32 s5, 0, s68
	v_rcp_iflag_f32_e32 v2, v2
	s_waitcnt_depctr 0xfff
	v_mul_f32_e32 v2, 0x4f7ffffe, v2
	s_delay_alu instid0(VALU_DEP_1) | instskip(NEXT) | instid1(VALU_DEP_1)
	v_cvt_u32_f32_e32 v2, v2
	v_readfirstlane_b32 s4, v2
	v_mov_b32_e32 v2, 0
	v_mov_b32_e32 v3, 0
	s_delay_alu instid0(VALU_DEP_3) | instskip(NEXT) | instid1(VALU_DEP_1)
	s_mul_i32 s5, s5, s4
	v_dual_mov_b32 v5, v3 :: v_dual_mov_b32 v4, v2
	s_mul_hi_u32 s5, s4, s5
	v_dual_mov_b32 v7, v3 :: v_dual_mov_b32 v6, v2
	s_add_i32 s4, s4, s5
	v_dual_mov_b32 v9, v3 :: v_dual_mov_b32 v8, v2
	s_mul_hi_u32 s4, s72, s4
	s_delay_alu instid0(SALU_CYCLE_1) | instskip(NEXT) | instid1(SALU_CYCLE_1)
	s_mul_i32 s4, s4, s68
	s_sub_i32 s4, s72, s4
	s_delay_alu instid0(SALU_CYCLE_1) | instskip(SKIP_2) | instid1(SALU_CYCLE_1)
	s_sub_i32 s5, s4, s68
	s_cmp_ge_u32 s4, s68
	s_cselect_b32 s4, s5, s4
	s_sub_i32 s5, s4, s68
	s_cmp_ge_u32 s4, s68
	s_cselect_b32 s4, s5, s4
	s_delay_alu instid0(SALU_CYCLE_1) | instskip(NEXT) | instid1(SALU_CYCLE_1)
	s_sub_i32 s66, s72, s4
	v_cmpx_gt_u32_e64 s66, v10
	s_cbranch_execz .LBB126_88
; %bb.85:                               ;   in Loop: Header=BB126_33 Depth=1
	v_dual_mov_b32 v21, v27 :: v_dual_lshlrev_b32 v12, 4, v17
	v_dual_mov_b32 v20, v11 :: v_dual_mov_b32 v19, v10
	s_and_b32 s103, s96, 0xfe
	s_mov_b32 s104, 0
	s_mov_b64 s[76:77], 0
	s_mov_b64 s[78:79], 0
	;; [unrolled: 1-line block ×3, first 2 shown]
.LBB126_86:                             ;   Parent Loop BB126_33 Depth=1
                                        ; =>  This Inner Loop Header: Depth=2
	ds_load_b128 v[2:5], v21
	v_add_co_u32 v19, vcc_lo, v19, s68
	v_add_co_ci_u32_e32 v20, vcc_lo, 0, v20, vcc_lo
	s_delay_alu instid0(VALU_DEP_1)
	v_cmp_le_u64_e32 vcc_lo, s[66:67], v[19:20]
	s_waitcnt lgkmcnt(0)
	v_cmp_lt_i32_e64 s4, -1, v2
	v_cmp_o_f32_e64 s7, v2, v2
	v_cmp_o_f32_e64 s5, v4, v4
	;; [unrolled: 1-line block ×3, first 2 shown]
	s_delay_alu instid0(VALU_DEP_4) | instskip(SKIP_1) | instid1(VALU_DEP_2)
	v_cndmask_b32_e64 v6, -1, 0x80000000, s4
	v_cmp_lt_i32_e64 s4, -1, v3
	v_xor_b32_e32 v6, v6, v2
	s_delay_alu instid0(VALU_DEP_2) | instskip(SKIP_1) | instid1(VALU_DEP_3)
	v_cndmask_b32_e64 v7, -1, 0x80000000, s4
	v_cmp_lt_i32_e64 s4, -1, v4
	v_cndmask_b32_e64 v2, -1, v6, s7
	s_delay_alu instid0(VALU_DEP_3) | instskip(NEXT) | instid1(VALU_DEP_3)
	v_xor_b32_e32 v7, v7, v3
	v_cndmask_b32_e64 v8, -1, 0x80000000, s4
	v_cmp_lt_i32_e64 s4, -1, v5
	s_delay_alu instid0(VALU_DEP_4) | instskip(SKIP_1) | instid1(VALU_DEP_3)
	v_and_b32_e32 v6, s102, v2
	v_bfe_u32 v2, v2, s103, 2
	v_cndmask_b32_e64 v9, -1, 0x80000000, s4
	v_cmp_o_f32_e64 s4, v3, v3
	v_xor_b32_e32 v3, v8, v4
	s_delay_alu instid0(VALU_DEP_4)
	v_cmp_eq_u32_e64 s8, 0, v2
	v_cmp_eq_u32_e64 s12, 1, v2
	v_xor_b32_e32 v4, v9, v5
	v_cndmask_b32_e64 v5, -1, v7, s4
	v_cndmask_b32_e64 v3, -1, v3, s5
	v_cmp_eq_u32_e64 s4, s101, v6
	v_cmp_eq_u32_e64 s16, 2, v2
	v_cndmask_b32_e64 v4, -1, v4, s6
	v_and_b32_e32 v7, s102, v5
	v_bfe_u32 v5, v5, s103, 2
	v_and_b32_e32 v8, s102, v3
	v_bfe_u32 v3, v3, s103, 2
	;; [unrolled: 2-line block ×3, first 2 shown]
	v_cmp_eq_u32_e64 s5, s101, v7
	v_cmp_eq_u32_e64 s9, 0, v5
	;; [unrolled: 1-line block ×4, first 2 shown]
	s_and_b32 s8, s4, s8
	v_cmp_eq_u32_e64 s7, s101, v9
	v_cmp_eq_u32_e64 s11, 0, v4
	v_cmp_eq_u32_e64 s20, 3, v2
	v_cndmask_b32_e64 v2, 0, 1, s8
	s_and_b32 s8, s5, s9
	v_cmp_eq_u32_e64 s14, 1, v3
	v_cmp_eq_u32_e64 s18, 2, v3
	v_cmp_eq_u32_e64 s22, 3, v3
	v_cndmask_b32_e64 v3, 0, 1, s8
	;; [unrolled: 5-line block ×4, first 2 shown]
	v_cmp_ne_u32_e64 s8, 0, v2
	v_cmp_ne_u32_e64 s9, 0, v3
	;; [unrolled: 1-line block ×3, first 2 shown]
	s_delay_alu instid0(VALU_DEP_4) | instskip(NEXT) | instid1(VALU_DEP_4)
	v_cmp_ne_u32_e64 s11, 0, v5
	s_bcnt1_i32_b32 s8, s8
	s_delay_alu instid0(VALU_DEP_3) | instskip(NEXT) | instid1(VALU_DEP_2)
	s_bcnt1_i32_b32 s9, s9
	s_bcnt1_i32_b32 s10, s10
	s_add_i32 s8, s9, s8
	s_bcnt1_i32_b32 s11, s11
	s_add_i32 s8, s8, s10
	s_delay_alu instid0(SALU_CYCLE_1) | instskip(NEXT) | instid1(SALU_CYCLE_1)
	s_add_i32 s8, s8, s11
	s_add_u32 s80, s80, s8
	s_addc_u32 s81, s81, 0
	s_and_b32 s8, s4, s12
	v_add_nc_u32_e32 v21, v21, v12
	v_cndmask_b32_e64 v2, 0, 1, s8
	s_and_b32 s8, s5, s13
	s_delay_alu instid0(SALU_CYCLE_1) | instskip(SKIP_1) | instid1(SALU_CYCLE_1)
	v_cndmask_b32_e64 v3, 0, 1, s8
	s_and_b32 s8, s6, s14
	v_cndmask_b32_e64 v4, 0, 1, s8
	s_and_b32 s8, s7, s15
	s_delay_alu instid0(VALU_DEP_2) | instskip(SKIP_3) | instid1(VALU_DEP_4)
	v_cmp_ne_u32_e64 s9, 0, v3
	v_cndmask_b32_e64 v5, 0, 1, s8
	v_cmp_ne_u32_e64 s8, 0, v2
	v_cmp_ne_u32_e64 s10, 0, v4
	s_bcnt1_i32_b32 s9, s9
	s_delay_alu instid0(VALU_DEP_3) | instskip(NEXT) | instid1(VALU_DEP_3)
	v_cmp_ne_u32_e64 s11, 0, v5
	s_bcnt1_i32_b32 s8, s8
	s_delay_alu instid0(VALU_DEP_2) | instskip(SKIP_1) | instid1(VALU_DEP_1)
	s_bcnt1_i32_b32 s10, s10
	s_add_i32 s8, s9, s8
	s_bcnt1_i32_b32 s11, s11
	s_add_i32 s8, s8, s10
	s_delay_alu instid0(SALU_CYCLE_1) | instskip(NEXT) | instid1(SALU_CYCLE_1)
	s_add_i32 s8, s8, s11
	s_add_u32 s78, s78, s8
	s_addc_u32 s79, s79, 0
	s_and_b32 s8, s4, s16
	s_delay_alu instid0(SALU_CYCLE_1) | instskip(SKIP_1) | instid1(SALU_CYCLE_1)
	v_cndmask_b32_e64 v2, 0, 1, s8
	s_and_b32 s8, s5, s17
	v_cndmask_b32_e64 v3, 0, 1, s8
	s_and_b32 s8, s6, s18
	s_delay_alu instid0(SALU_CYCLE_1) | instskip(SKIP_1) | instid1(VALU_DEP_2)
	v_cndmask_b32_e64 v4, 0, 1, s8
	s_and_b32 s8, s7, s19
	v_cmp_ne_u32_e64 s9, 0, v3
	v_cndmask_b32_e64 v5, 0, 1, s8
	v_cmp_ne_u32_e64 s8, 0, v2
	v_cmp_ne_u32_e64 s10, 0, v4
	s_delay_alu instid0(VALU_DEP_4) | instskip(NEXT) | instid1(VALU_DEP_3)
	s_bcnt1_i32_b32 s9, s9
	v_cmp_ne_u32_e64 s11, 0, v5
	s_delay_alu instid0(VALU_DEP_3) | instskip(NEXT) | instid1(VALU_DEP_2)
	s_bcnt1_i32_b32 s8, s8
	s_bcnt1_i32_b32 s10, s10
	s_add_i32 s8, s9, s8
	s_delay_alu instid0(VALU_DEP_1) | instskip(SKIP_1) | instid1(SALU_CYCLE_1)
	s_bcnt1_i32_b32 s11, s11
	s_add_i32 s8, s8, s10
	s_add_i32 s8, s8, s11
	s_delay_alu instid0(SALU_CYCLE_1)
	s_add_u32 s76, s76, s8
	s_addc_u32 s77, s77, 0
	s_and_b32 s4, s4, s20
	v_mov_b32_e32 v6, s76
	v_cndmask_b32_e64 v2, 0, 1, s4
	s_and_b32 s4, s5, s21
	s_delay_alu instid0(SALU_CYCLE_1) | instskip(SKIP_1) | instid1(SALU_CYCLE_1)
	v_cndmask_b32_e64 v3, 0, 1, s4
	s_and_b32 s4, s6, s22
	v_cndmask_b32_e64 v4, 0, 1, s4
	s_and_b32 s4, s7, s23
	s_delay_alu instid0(VALU_DEP_2)
	v_cmp_ne_u32_e64 s5, 0, v3
	v_cndmask_b32_e64 v5, 0, 1, s4
	v_cmp_ne_u32_e64 s4, 0, v2
	v_mov_b32_e32 v2, s80
	v_cmp_ne_u32_e64 s6, 0, v4
	s_bcnt1_i32_b32 s5, s5
	v_cmp_ne_u32_e64 s7, 0, v5
	s_bcnt1_i32_b32 s4, s4
	v_mov_b32_e32 v4, s78
	s_bcnt1_i32_b32 s6, s6
	s_add_i32 s4, s5, s4
	s_bcnt1_i32_b32 s5, s7
	s_add_i32 s4, s4, s6
	v_mov_b32_e32 v3, s81
	s_add_i32 s4, s4, s5
	v_mov_b32_e32 v5, s79
	s_add_u32 s74, s74, s4
	s_addc_u32 s75, s75, 0
	v_dual_mov_b32 v7, s77 :: v_dual_mov_b32 v8, s74
	v_mov_b32_e32 v9, s75
	s_or_b32 s104, vcc_lo, s104
	s_delay_alu instid0(SALU_CYCLE_1)
	s_and_not1_b32 exec_lo, exec_lo, s104
	s_cbranch_execnz .LBB126_86
; %bb.87:                               ;   in Loop: Header=BB126_33 Depth=1
	s_or_b32 exec_lo, exec_lo, s104
.LBB126_88:                             ;   in Loop: Header=BB126_33 Depth=1
	s_delay_alu instid0(SALU_CYCLE_1) | instskip(SKIP_2) | instid1(VALU_DEP_1)
	s_or_b32 exec_lo, exec_lo, s73
	v_add_nc_u32_e32 v12, s66, v0
	s_mov_b32 s9, exec_lo
	v_cmpx_gt_u32_e64 s72, v12
	s_cbranch_execz .LBB126_92
; %bb.89:                               ;   in Loop: Header=BB126_33 Depth=1
	v_dual_mov_b32 v20, v13 :: v_dual_lshlrev_b32 v21, 2, v12
	v_mov_b32_e32 v19, v12
	s_mov_b32 s11, 0
	s_and_b32 s10, s72, 0x7fffffff
	s_and_b32 s13, s96, 0xfe
	s_mov_b32 s12, s11
.LBB126_90:                             ;   Parent Loop BB126_33 Depth=1
                                        ; =>  This Inner Loop Header: Depth=2
	ds_load_b32 v12, v21
	v_add_co_u32 v19, vcc_lo, v19, v17
	v_add_co_ci_u32_e32 v20, vcc_lo, 0, v20, vcc_lo
	v_add_nc_u32_e32 v21, s68, v21
	s_delay_alu instid0(VALU_DEP_2) | instskip(SKIP_2) | instid1(VALU_DEP_1)
	v_cmp_le_u64_e32 vcc_lo, s[10:11], v[19:20]
	s_waitcnt lgkmcnt(0)
	v_cmp_lt_i32_e64 s4, -1, v12
	v_cndmask_b32_e64 v22, -1, 0x80000000, s4
	v_cmp_o_f32_e64 s4, v12, v12
	s_delay_alu instid0(VALU_DEP_2) | instskip(NEXT) | instid1(VALU_DEP_1)
	v_xor_b32_e32 v22, v22, v12
	v_cndmask_b32_e64 v12, -1, v22, s4
	s_delay_alu instid0(VALU_DEP_1) | instskip(SKIP_1) | instid1(VALU_DEP_2)
	v_and_b32_e32 v22, s102, v12
	v_bfe_u32 v12, v12, s13, 2
	v_cmp_eq_u32_e64 s4, s101, v22
	s_delay_alu instid0(VALU_DEP_2) | instskip(SKIP_3) | instid1(VALU_DEP_4)
	v_cmp_eq_u32_e64 s5, 0, v12
	v_cmp_eq_u32_e64 s6, 1, v12
	;; [unrolled: 1-line block ×4, first 2 shown]
	s_and_b32 s5, s4, s5
	s_delay_alu instid0(SALU_CYCLE_1) | instskip(SKIP_1) | instid1(SALU_CYCLE_1)
	v_cndmask_b32_e64 v12, 0, 1, s5
	s_and_b32 s5, s4, s6
	v_cndmask_b32_e64 v22, 0, 1, s5
	s_and_b32 s5, s4, s7
	s_and_b32 s4, s4, s8
	v_cndmask_b32_e64 v29, 0, 1, s5
	v_cndmask_b32_e64 v30, 0, 1, s4
	v_cmp_ne_u32_e64 s4, 0, v12
	v_cmp_ne_u32_e64 s5, 0, v22
	s_delay_alu instid0(VALU_DEP_4) | instskip(NEXT) | instid1(VALU_DEP_4)
	v_cmp_ne_u32_e64 s6, 0, v29
	v_cmp_ne_u32_e64 s7, 0, v30
	s_delay_alu instid0(VALU_DEP_4) | instskip(NEXT) | instid1(VALU_DEP_3)
	s_bcnt1_i32_b32 s4, s4
	s_bcnt1_i32_b32 s5, s5
	v_add_co_u32 v2, s4, v2, s4
	s_delay_alu instid0(VALU_DEP_1)
	v_add_co_ci_u32_e64 v3, s4, 0, v3, s4
	v_add_co_u32 v4, s4, v4, s5
	s_bcnt1_i32_b32 s6, s6
	v_add_co_ci_u32_e64 v5, s4, 0, v5, s4
	v_add_co_u32 v6, s4, v6, s6
	s_bcnt1_i32_b32 s7, s7
	v_add_co_ci_u32_e64 v7, s4, 0, v7, s4
	v_add_co_u32 v8, s4, v8, s7
	s_delay_alu instid0(VALU_DEP_1) | instskip(SKIP_1) | instid1(SALU_CYCLE_1)
	v_add_co_ci_u32_e64 v9, s4, 0, v9, s4
	s_or_b32 s12, vcc_lo, s12
	s_and_not1_b32 exec_lo, exec_lo, s12
	s_cbranch_execnz .LBB126_90
; %bb.91:                               ;   in Loop: Header=BB126_33 Depth=1
	s_or_b32 exec_lo, exec_lo, s12
.LBB126_92:                             ;   in Loop: Header=BB126_33 Depth=1
	s_delay_alu instid0(SALU_CYCLE_1)
	s_or_b32 exec_lo, exec_lo, s9
.LBB126_93:                             ;   in Loop: Header=BB126_33 Depth=1
	s_lshl_b32 s4, s99, 7
	s_and_saveexec_b32 s5, s1
	s_cbranch_execz .LBB126_95
; %bb.94:                               ;   in Loop: Header=BB126_33 Depth=1
	v_or_b32_e32 v12, s4, v25
	s_delay_alu instid0(VALU_DEP_1)
	v_lshlrev_b32_e32 v12, 3, v12
	ds_store_b128 v12, v[2:5] offset:3072
	ds_store_b128 v12, v[6:9] offset:3088
.LBB126_95:                             ;   in Loop: Header=BB126_33 Depth=1
	s_or_b32 exec_lo, exec_lo, s5
	s_waitcnt vmcnt(0) lgkmcnt(0)
	s_barrier
	buffer_gl0_inv
	s_and_saveexec_b32 s5, s82
	s_cbranch_execz .LBB126_106
; %bb.96:                               ;   in Loop: Header=BB126_33 Depth=1
	v_mov_b32_e32 v2, 0
	v_mov_b32_e32 v3, 0
	s_and_not1_b32 vcc_lo, exec_lo, s89
	s_cbranch_vccnz .LBB126_105
; %bb.97:                               ;   in Loop: Header=BB126_33 Depth=1
	v_mov_b32_e32 v2, 0
	v_mov_b32_e32 v3, 0
	s_and_not1_b32 vcc_lo, exec_lo, s87
	s_cbranch_vccnz .LBB126_102
; %bb.98:                               ;   in Loop: Header=BB126_33 Depth=1
	v_lshl_add_u32 v4, s99, 10, v28
	s_mov_b32 s6, 0
	s_set_inst_prefetch_distance 0x1
	.p2align	6
.LBB126_99:                             ;   Parent Loop BB126_33 Depth=1
                                        ; =>  This Inner Loop Header: Depth=2
	ds_load_2addr_b64 v[5:8], v4 offset1:4
	ds_load_2addr_b64 v[19:22], v4 offset0:8 offset1:12
	ds_load_2addr_b64 v[29:32], v4 offset0:16 offset1:20
	s_add_i32 s6, s6, 8
	s_delay_alu instid0(SALU_CYCLE_1) | instskip(SKIP_3) | instid1(VALU_DEP_2)
	s_cmp_eq_u32 s88, s6
	s_waitcnt lgkmcnt(2)
	v_add_co_u32 v2, vcc_lo, v5, v2
	v_add_co_ci_u32_e32 v3, vcc_lo, v6, v3, vcc_lo
	v_add_co_u32 v2, vcc_lo, v7, v2
	s_delay_alu instid0(VALU_DEP_2)
	v_add_co_ci_u32_e32 v3, vcc_lo, v8, v3, vcc_lo
	ds_load_2addr_b64 v[5:8], v4 offset0:24 offset1:28
	s_waitcnt lgkmcnt(2)
	v_add_co_u32 v2, vcc_lo, v19, v2
	v_add_co_ci_u32_e32 v3, vcc_lo, v20, v3, vcc_lo
	v_add_nc_u32_e32 v4, 0x100, v4
	s_delay_alu instid0(VALU_DEP_3) | instskip(NEXT) | instid1(VALU_DEP_3)
	v_add_co_u32 v2, vcc_lo, v21, v2
	v_add_co_ci_u32_e32 v3, vcc_lo, v22, v3, vcc_lo
	s_waitcnt lgkmcnt(1)
	s_delay_alu instid0(VALU_DEP_2) | instskip(NEXT) | instid1(VALU_DEP_2)
	v_add_co_u32 v2, vcc_lo, v29, v2
	v_add_co_ci_u32_e32 v3, vcc_lo, v30, v3, vcc_lo
	s_delay_alu instid0(VALU_DEP_2) | instskip(NEXT) | instid1(VALU_DEP_2)
	v_add_co_u32 v2, vcc_lo, v31, v2
	v_add_co_ci_u32_e32 v3, vcc_lo, v32, v3, vcc_lo
	s_waitcnt lgkmcnt(0)
	s_delay_alu instid0(VALU_DEP_2) | instskip(NEXT) | instid1(VALU_DEP_2)
	v_add_co_u32 v2, vcc_lo, v5, v2
	v_add_co_ci_u32_e32 v3, vcc_lo, v6, v3, vcc_lo
	s_delay_alu instid0(VALU_DEP_2) | instskip(NEXT) | instid1(VALU_DEP_2)
	v_add_co_u32 v2, vcc_lo, v7, v2
	v_add_co_ci_u32_e32 v3, vcc_lo, v8, v3, vcc_lo
	s_cbranch_scc0 .LBB126_99
; %bb.100:                              ;   in Loop: Header=BB126_33 Depth=1
	s_set_inst_prefetch_distance 0x2
	s_mov_b32 s6, s88
	s_and_not1_b32 vcc_lo, exec_lo, s90
	s_cbranch_vccz .LBB126_103
	s_branch .LBB126_105
.LBB126_101:                            ;   in Loop: Header=BB126_33 Depth=1
                                        ; implicit-def: $vgpr2_vgpr3
	s_branch .LBB126_69
.LBB126_102:                            ;   in Loop: Header=BB126_33 Depth=1
	s_mov_b32 s6, 0
	s_and_not1_b32 vcc_lo, exec_lo, s90
	s_cbranch_vccnz .LBB126_105
.LBB126_103:                            ;   in Loop: Header=BB126_33 Depth=1
	s_lshl_b32 s7, s99, 10
	s_lshl_b32 s6, s6, 5
	s_delay_alu instid0(SALU_CYCLE_1)
	v_add3_u32 v4, s7, s6, v28
	s_mov_b32 s6, s86
.LBB126_104:                            ;   Parent Loop BB126_33 Depth=1
                                        ; =>  This Inner Loop Header: Depth=2
	ds_load_b64 v[5:6], v4
	v_add_nc_u32_e32 v4, 32, v4
	s_add_i32 s6, s6, -1
	s_delay_alu instid0(SALU_CYCLE_1)
	s_cmp_lg_u32 s6, 0
	s_waitcnt lgkmcnt(0)
	v_add_co_u32 v2, vcc_lo, v5, v2
	v_add_co_ci_u32_e32 v3, vcc_lo, v6, v3, vcc_lo
	s_cbranch_scc1 .LBB126_104
.LBB126_105:                            ;   in Loop: Header=BB126_33 Depth=1
	v_add_lshl_u32 v4, s4, v23, 3
	ds_store_b64 v4, v[2:3] offset:3072
.LBB126_106:                            ;   in Loop: Header=BB126_33 Depth=1
	s_or_b32 exec_lo, exec_lo, s5
	s_lshl_b32 s4, s4, 3
	s_waitcnt lgkmcnt(0)
	v_mov_b32_e32 v6, s4
	s_barrier
	buffer_gl0_inv
	s_and_b32 s17, s96, 0xfe
	s_mov_b32 s19, -1
	ds_load_b128 v[2:5], v6 offset:3072
	ds_load_b128 v[6:9], v6 offset:3088
	s_lshl_b32 s16, 3, s17
	s_delay_alu instid0(SALU_CYCLE_1)
	s_not_b32 s18, s16
	s_waitcnt lgkmcnt(1)
	v_readfirstlane_b32 s13, v3
	v_readfirstlane_b32 s12, v2
	;; [unrolled: 1-line block ×4, first 2 shown]
	s_waitcnt lgkmcnt(0)
	v_readfirstlane_b32 s8, v6
	v_readfirstlane_b32 s9, v7
	s_cmp_eq_u64 s[12:13], 1
	v_readfirstlane_b32 s6, v8
	s_cselect_b32 s4, -1, 0
	s_cmp_eq_u64 s[64:65], 1
	v_readfirstlane_b32 s7, v9
	s_cselect_b32 s5, -1, 0
	s_delay_alu instid0(SALU_CYCLE_1) | instskip(NEXT) | instid1(SALU_CYCLE_1)
	s_and_b32 s20, s4, s5
	s_and_b32 vcc_lo, exec_lo, s20
	s_cbranch_vccz .LBB126_121
; %bb.107:                              ;   in Loop: Header=BB126_33 Depth=1
	ds_load_b64 v[2:3], v13 offset:5120
	s_waitcnt lgkmcnt(0)
	s_barrier
	buffer_gl0_inv
	v_readfirstlane_b32 s14, v2
	v_readfirstlane_b32 s15, v3
	s_and_saveexec_b32 s4, s0
	s_cbranch_execz .LBB126_109
; %bb.108:                              ;   in Loop: Header=BB126_33 Depth=1
	ds_store_b32 v24, v13
.LBB126_109:                            ;   in Loop: Header=BB126_33 Depth=1
	s_or_b32 exec_lo, exec_lo, s4
	s_and_b32 s101, s101, s18
	s_or_b32 s102, s102, s16
	s_cmp_eq_u64 s[14:15], 0
	s_waitcnt lgkmcnt(0)
	s_barrier
	buffer_gl0_inv
	s_cbranch_scc1 .LBB126_122
; %bb.110:                              ;   in Loop: Header=BB126_33 Depth=1
	s_add_u32 s21, s83, s14
	s_addc_u32 s5, s84, s15
	s_mov_b32 s4, s67
	s_delay_alu instid0(SALU_CYCLE_1)
	s_cmp_lg_u64 s[4:5], 0
	s_cbranch_scc0 .LBB126_167
; %bb.111:                              ;   in Loop: Header=BB126_33 Depth=1
	v_cvt_f32_u32_e32 v2, s35
	s_sub_u32 s23, 0, s35
	s_subb_u32 s66, 0, 0
	s_delay_alu instid0(VALU_DEP_1) | instskip(NEXT) | instid1(VALU_DEP_1)
	v_fmac_f32_e64 v2, 0, 0x4f800000
	v_rcp_f32_e32 v2, v2
	s_waitcnt_depctr 0xfff
	v_mul_f32_e32 v2, 0x5f7ffffc, v2
	s_delay_alu instid0(VALU_DEP_1) | instskip(NEXT) | instid1(VALU_DEP_1)
	v_mul_f32_e32 v3, 0x2f800000, v2
	v_trunc_f32_e32 v3, v3
	s_delay_alu instid0(VALU_DEP_1) | instskip(SKIP_1) | instid1(VALU_DEP_2)
	v_fmac_f32_e32 v2, 0xcf800000, v3
	v_cvt_u32_f32_e32 v3, v3
	v_cvt_u32_f32_e32 v2, v2
	s_delay_alu instid0(VALU_DEP_2) | instskip(NEXT) | instid1(VALU_DEP_2)
	v_readfirstlane_b32 s4, v3
	v_readfirstlane_b32 s22, v2
	s_delay_alu instid0(VALU_DEP_2) | instskip(NEXT) | instid1(VALU_DEP_1)
	s_mul_i32 s68, s23, s4
	s_mul_hi_u32 s73, s23, s22
	s_mul_i32 s72, s66, s22
	s_add_i32 s68, s73, s68
	s_mul_i32 s74, s23, s22
	s_add_i32 s68, s68, s72
	s_mul_hi_u32 s73, s22, s74
	s_mul_hi_u32 s75, s4, s74
	s_mul_i32 s72, s4, s74
	s_mul_hi_u32 s74, s22, s68
	s_mul_i32 s22, s22, s68
	s_mul_hi_u32 s76, s4, s68
	s_add_u32 s22, s73, s22
	s_addc_u32 s73, 0, s74
	s_add_u32 s22, s22, s72
	s_mul_i32 s68, s4, s68
	s_addc_u32 s22, s73, s75
	s_addc_u32 s72, s76, 0
	s_add_u32 s22, s22, s68
	s_addc_u32 s68, 0, s72
	v_add_co_u32 v2, s22, v2, s22
	s_delay_alu instid0(VALU_DEP_1) | instskip(SKIP_1) | instid1(VALU_DEP_1)
	s_cmp_lg_u32 s22, 0
	s_addc_u32 s4, s4, s68
	v_readfirstlane_b32 s22, v2
	s_mul_i32 s68, s23, s4
	s_delay_alu instid0(VALU_DEP_1)
	s_mul_hi_u32 s72, s23, s22
	s_mul_i32 s66, s66, s22
	s_add_i32 s68, s72, s68
	s_mul_i32 s23, s23, s22
	s_add_i32 s68, s68, s66
	s_mul_hi_u32 s72, s4, s23
	s_mul_i32 s73, s4, s23
	s_mul_hi_u32 s23, s22, s23
	s_mul_hi_u32 s74, s22, s68
	s_mul_i32 s22, s22, s68
	s_mul_hi_u32 s66, s4, s68
	s_add_u32 s22, s23, s22
	s_addc_u32 s23, 0, s74
	s_add_u32 s22, s22, s73
	s_mul_i32 s68, s4, s68
	s_addc_u32 s22, s23, s72
	s_addc_u32 s23, s66, 0
	s_add_u32 s22, s22, s68
	s_addc_u32 s23, 0, s23
	v_add_co_u32 v2, s22, v2, s22
	s_delay_alu instid0(VALU_DEP_1) | instskip(SKIP_1) | instid1(VALU_DEP_1)
	s_cmp_lg_u32 s22, 0
	s_addc_u32 s4, s4, s23
	v_readfirstlane_b32 s22, v2
	s_mul_i32 s66, s21, s4
	s_mul_hi_u32 s23, s21, s4
	s_mul_hi_u32 s68, s5, s4
	s_mul_i32 s4, s5, s4
	s_mul_hi_u32 s72, s21, s22
	s_mul_hi_u32 s73, s5, s22
	s_mul_i32 s22, s5, s22
	s_add_u32 s66, s72, s66
	s_addc_u32 s23, 0, s23
	s_add_u32 s22, s66, s22
	s_addc_u32 s22, s23, s73
	s_addc_u32 s23, s68, 0
	s_add_u32 s4, s22, s4
	s_addc_u32 s22, 0, s23
	s_mul_hi_u32 s23, s35, s4
	s_mul_i32 s4, s35, s4
	s_mul_i32 s22, s35, s22
	v_sub_co_u32 v2, s4, s21, s4
	s_add_i32 s23, s23, s22
	s_cmp_lg_u32 s4, 0
	s_delay_alu instid0(VALU_DEP_1) | instskip(SKIP_2) | instid1(VALU_DEP_1)
	v_sub_co_u32 v3, s4, v2, s35
	s_subb_u32 s22, s5, s23
	s_cmp_lg_u32 s4, 0
	v_cmp_le_u32_e32 vcc_lo, s35, v3
	v_sub_co_u32 v4, s4, v3, s35
	s_subb_u32 s23, s22, 0
	s_cmp_lg_u32 s4, 0
	v_cndmask_b32_e64 v5, 0, -1, vcc_lo
	s_subb_u32 s4, s23, 0
	s_cmp_eq_u32 s23, 0
	v_mov_b32_e32 v7, s4
	s_cselect_b32 vcc_lo, -1, 0
	s_cmp_eq_u32 s22, 0
	v_cndmask_b32_e32 v5, -1, v5, vcc_lo
	v_cmp_le_u32_e32 vcc_lo, s35, v2
	s_cselect_b32 s4, -1, 0
	v_cndmask_b32_e64 v6, 0, -1, vcc_lo
	s_delay_alu instid0(VALU_DEP_3) | instskip(NEXT) | instid1(VALU_DEP_2)
	v_cmp_ne_u32_e32 vcc_lo, 0, v5
	v_cndmask_b32_e64 v5, -1, v6, s4
	v_cndmask_b32_e32 v6, s23, v7, vcc_lo
	v_cndmask_b32_e32 v4, v3, v4, vcc_lo
	s_delay_alu instid0(VALU_DEP_3) | instskip(NEXT) | instid1(VALU_DEP_3)
	v_cmp_ne_u32_e32 vcc_lo, 0, v5
	v_cndmask_b32_e32 v3, s22, v6, vcc_lo
	s_delay_alu instid0(VALU_DEP_3)
	v_cndmask_b32_e32 v2, v2, v4, vcc_lo
	s_cbranch_execnz .LBB126_113
.LBB126_112:                            ;   in Loop: Header=BB126_33 Depth=1
	v_cvt_f32_u32_e32 v2, s35
	s_sub_i32 s4, 0, s35
	s_delay_alu instid0(VALU_DEP_1) | instskip(SKIP_2) | instid1(VALU_DEP_1)
	v_rcp_iflag_f32_e32 v2, v2
	s_waitcnt_depctr 0xfff
	v_mul_f32_e32 v2, 0x4f7ffffe, v2
	v_cvt_u32_f32_e32 v2, v2
	s_delay_alu instid0(VALU_DEP_1) | instskip(NEXT) | instid1(VALU_DEP_1)
	v_mul_lo_u32 v3, s4, v2
	v_mul_hi_u32 v3, v2, v3
	s_delay_alu instid0(VALU_DEP_1) | instskip(NEXT) | instid1(VALU_DEP_1)
	v_add_nc_u32_e32 v2, v2, v3
	v_mul_hi_u32 v2, s21, v2
	s_delay_alu instid0(VALU_DEP_1) | instskip(NEXT) | instid1(VALU_DEP_1)
	v_mul_lo_u32 v2, v2, s35
	v_sub_nc_u32_e32 v2, s21, v2
	s_delay_alu instid0(VALU_DEP_1) | instskip(SKIP_1) | instid1(VALU_DEP_2)
	v_subrev_nc_u32_e32 v3, s35, v2
	v_cmp_le_u32_e32 vcc_lo, s35, v2
	v_cndmask_b32_e32 v2, v2, v3, vcc_lo
	s_delay_alu instid0(VALU_DEP_1) | instskip(SKIP_1) | instid1(VALU_DEP_2)
	v_subrev_nc_u32_e32 v3, s35, v2
	v_cmp_le_u32_e32 vcc_lo, s35, v2
	v_cndmask_b32_e32 v12, v2, v3, vcc_lo
	s_delay_alu instid0(VALU_DEP_1)
	v_dual_mov_b32 v2, v12 :: v_dual_mov_b32 v3, v13
.LBB126_113:                            ;   in Loop: Header=BB126_33 Depth=1
	s_delay_alu instid0(VALU_DEP_1) | instskip(NEXT) | instid1(VALU_DEP_2)
	v_sub_co_u32 v2, vcc_lo, s21, v2
	v_sub_co_ci_u32_e32 v3, vcc_lo, s5, v3, vcc_lo
	s_mov_b32 s4, 0
	s_mov_b32 s5, exec_lo
                                        ; implicit-def: $vgpr18
	s_delay_alu instid0(VALU_DEP_1)
	v_cmpx_gt_u64_e64 v[2:3], v[0:1]
	s_cbranch_execz .LBB126_124
; %bb.114:                              ;   in Loop: Header=BB126_33 Depth=1
	v_dual_mov_b32 v6, v10 :: v_dual_mov_b32 v5, v1
	v_mov_b32_e32 v4, v0
	s_mov_b32 s21, 0
                                        ; implicit-def: $sgpr22
	s_set_inst_prefetch_distance 0x1
	s_branch .LBB126_116
	.p2align	6
.LBB126_115:                            ;   in Loop: Header=BB126_116 Depth=2
	s_or_b32 exec_lo, exec_lo, s4
	s_waitcnt lgkmcnt(0)
	s_barrier
	buffer_gl0_inv
	ds_load_b64 v[17:18], v13 offset:3072
	v_add_co_u32 v4, vcc_lo, v4, s35
	v_add_co_ci_u32_e32 v5, vcc_lo, 0, v5, vcc_lo
	v_add_nc_u32_e32 v6, s91, v6
	s_waitcnt lgkmcnt(0)
	s_barrier
	s_delay_alu instid0(VALU_DEP_2) | instskip(SKIP_2) | instid1(VALU_DEP_1)
	v_cmp_ge_u64_e32 vcc_lo, v[4:5], v[2:3]
	buffer_gl0_inv
	v_cmp_neq_f32_e64 s4, 0, v17
	s_or_b32 s23, vcc_lo, s4
	s_delay_alu instid0(SALU_CYCLE_1) | instskip(NEXT) | instid1(SALU_CYCLE_1)
	s_and_b32 s23, exec_lo, s23
	s_or_b32 s21, s23, s21
	s_and_not1_b32 s22, s22, exec_lo
	s_and_b32 s4, s4, exec_lo
	s_delay_alu instid0(SALU_CYCLE_1)
	s_or_b32 s22, s22, s4
	s_and_not1_b32 exec_lo, exec_lo, s21
	s_cbranch_execz .LBB126_123
.LBB126_116:                            ;   Parent Loop BB126_33 Depth=1
                                        ; =>  This Inner Loop Header: Depth=2
	s_delay_alu instid0(VALU_DEP_1)
	v_cmp_gt_u64_e32 vcc_lo, s[14:15], v[4:5]
	v_mov_b32_e32 v17, 0
	s_and_saveexec_b32 s4, vcc_lo
	s_cbranch_execz .LBB126_118
; %bb.117:                              ;   in Loop: Header=BB126_116 Depth=2
	ds_load_b32 v17, v6
.LBB126_118:                            ;   in Loop: Header=BB126_116 Depth=2
	s_or_b32 exec_lo, exec_lo, s4
	s_and_saveexec_b32 s4, vcc_lo
	s_cbranch_execz .LBB126_115
; %bb.119:                              ;   in Loop: Header=BB126_116 Depth=2
	s_waitcnt lgkmcnt(0)
	v_cmp_lt_i32_e32 vcc_lo, -1, v17
	v_cndmask_b32_e64 v7, -1, 0x80000000, vcc_lo
	v_cmp_o_f32_e32 vcc_lo, v17, v17
	s_delay_alu instid0(VALU_DEP_2) | instskip(NEXT) | instid1(VALU_DEP_1)
	v_xor_b32_e32 v7, v7, v17
	v_cndmask_b32_e32 v7, -1, v7, vcc_lo
	s_delay_alu instid0(VALU_DEP_1) | instskip(NEXT) | instid1(VALU_DEP_1)
	v_and_b32_e32 v7, s102, v7
	v_cmp_eq_u32_e32 vcc_lo, s101, v7
	s_and_b32 exec_lo, exec_lo, vcc_lo
	s_cbranch_execz .LBB126_115
; %bb.120:                              ;   in Loop: Header=BB126_116 Depth=2
	ds_store_b64 v13, v[16:17] offset:3072
	s_branch .LBB126_115
.LBB126_121:                            ;   in Loop: Header=BB126_33 Depth=1
	s_mov_b32 s4, -1
                                        ; implicit-def: $sgpr5
                                        ; implicit-def: $sgpr15
                                        ; implicit-def: $sgpr14
	s_branch .LBB126_138
.LBB126_122:                            ;   in Loop: Header=BB126_33 Depth=1
	s_mov_b32 s5, -1
	s_mov_b32 s4, 0
                                        ; implicit-def: $sgpr14
                                        ; implicit-def: $vgpr18
	s_mov_b32 s15, s5
	s_cbranch_execnz .LBB126_125
	s_branch .LBB126_138
.LBB126_123:                            ;   in Loop: Header=BB126_33 Depth=1
	s_set_inst_prefetch_distance 0x2
	s_or_b32 exec_lo, exec_lo, s21
	s_delay_alu instid0(SALU_CYCLE_1)
	s_and_b32 s4, s22, exec_lo
.LBB126_124:                            ;   in Loop: Header=BB126_33 Depth=1
	s_or_b32 exec_lo, exec_lo, s5
	s_mov_b32 s14, -1
	s_mov_b32 s5, 0
	s_delay_alu instid0(SALU_CYCLE_1)
	s_mov_b32 s15, s5
	s_branch .LBB126_138
.LBB126_125:                            ;   in Loop: Header=BB126_33 Depth=1
	s_mov_b32 s68, s67
	s_delay_alu instid0(SALU_CYCLE_1)
	s_cmp_lg_u64 s[68:69], 0
	s_cbranch_scc0 .LBB126_168
; %bb.126:                              ;   in Loop: Header=BB126_33 Depth=1
	v_cvt_f32_u32_e32 v2, s35
	s_sub_u32 s14, 0, s35
	s_subb_u32 s15, 0, 0
	s_delay_alu instid0(VALU_DEP_1) | instskip(NEXT) | instid1(VALU_DEP_1)
	v_fmac_f32_e64 v2, 0, 0x4f800000
	v_rcp_f32_e32 v2, v2
	s_waitcnt_depctr 0xfff
	v_mul_f32_e32 v2, 0x5f7ffffc, v2
	s_delay_alu instid0(VALU_DEP_1) | instskip(NEXT) | instid1(VALU_DEP_1)
	v_mul_f32_e32 v3, 0x2f800000, v2
	v_trunc_f32_e32 v3, v3
	s_delay_alu instid0(VALU_DEP_1) | instskip(SKIP_1) | instid1(VALU_DEP_2)
	v_fmac_f32_e32 v2, 0xcf800000, v3
	v_cvt_u32_f32_e32 v3, v3
	v_cvt_u32_f32_e32 v2, v2
	s_delay_alu instid0(VALU_DEP_2) | instskip(NEXT) | instid1(VALU_DEP_2)
	v_readfirstlane_b32 s4, v3
	v_readfirstlane_b32 s5, v2
	s_delay_alu instid0(VALU_DEP_2) | instskip(NEXT) | instid1(VALU_DEP_1)
	s_mul_i32 s21, s14, s4
	s_mul_hi_u32 s23, s14, s5
	s_mul_i32 s22, s15, s5
	s_add_i32 s21, s23, s21
	s_mul_i32 s66, s14, s5
	s_add_i32 s21, s21, s22
	s_mul_hi_u32 s23, s5, s66
	s_mul_hi_u32 s68, s4, s66
	s_mul_i32 s22, s4, s66
	s_mul_hi_u32 s66, s5, s21
	s_mul_i32 s5, s5, s21
	s_mul_hi_u32 s72, s4, s21
	s_add_u32 s5, s23, s5
	s_addc_u32 s23, 0, s66
	s_add_u32 s5, s5, s22
	s_mul_i32 s21, s4, s21
	s_addc_u32 s5, s23, s68
	s_addc_u32 s22, s72, 0
	s_add_u32 s5, s5, s21
	s_addc_u32 s21, 0, s22
	v_add_co_u32 v2, s5, v2, s5
	s_delay_alu instid0(VALU_DEP_1) | instskip(SKIP_1) | instid1(VALU_DEP_1)
	s_cmp_lg_u32 s5, 0
	s_addc_u32 s4, s4, s21
	v_readfirstlane_b32 s5, v2
	s_mul_i32 s21, s14, s4
	s_delay_alu instid0(VALU_DEP_1)
	s_mul_hi_u32 s22, s14, s5
	s_mul_i32 s15, s15, s5
	s_add_i32 s21, s22, s21
	s_mul_i32 s14, s14, s5
	s_add_i32 s21, s21, s15
	s_mul_hi_u32 s22, s4, s14
	s_mul_i32 s23, s4, s14
	s_mul_hi_u32 s14, s5, s14
	s_mul_hi_u32 s66, s5, s21
	s_mul_i32 s5, s5, s21
	s_mul_hi_u32 s15, s4, s21
	s_add_u32 s5, s14, s5
	s_addc_u32 s14, 0, s66
	s_add_u32 s5, s5, s23
	s_mul_i32 s21, s4, s21
	s_addc_u32 s5, s14, s22
	s_addc_u32 s14, s15, 0
	s_add_u32 s5, s5, s21
	s_addc_u32 s14, 0, s14
	v_add_co_u32 v2, s5, v2, s5
	s_delay_alu instid0(VALU_DEP_1) | instskip(SKIP_1) | instid1(VALU_DEP_1)
	s_cmp_lg_u32 s5, 0
	s_addc_u32 s4, s4, s14
	v_readfirstlane_b32 s5, v2
	s_mul_i32 s15, s85, s4
	s_mul_hi_u32 s14, s85, s4
	s_mul_hi_u32 s21, s69, s4
	s_mul_i32 s4, s69, s4
	s_mul_hi_u32 s22, s85, s5
	s_mul_hi_u32 s23, s69, s5
	s_mul_i32 s5, s69, s5
	s_add_u32 s15, s22, s15
	s_addc_u32 s14, 0, s14
	s_add_u32 s5, s15, s5
	s_addc_u32 s5, s14, s23
	s_addc_u32 s14, s21, 0
	s_add_u32 s4, s5, s4
	s_addc_u32 s5, 0, s14
	s_mul_hi_u32 s14, s35, s4
	s_mul_i32 s4, s35, s4
	s_mul_i32 s5, s35, s5
	v_sub_co_u32 v2, s4, s85, s4
	s_add_i32 s14, s14, s5
	s_cmp_lg_u32 s4, 0
	s_delay_alu instid0(VALU_DEP_1) | instskip(SKIP_2) | instid1(VALU_DEP_1)
	v_sub_co_u32 v3, s4, v2, s35
	s_subb_u32 s5, s69, s14
	s_cmp_lg_u32 s4, 0
	v_cmp_le_u32_e32 vcc_lo, s35, v3
	v_sub_co_u32 v4, s4, v3, s35
	s_subb_u32 s14, s5, 0
	s_cmp_lg_u32 s4, 0
	v_cndmask_b32_e64 v5, 0, -1, vcc_lo
	s_subb_u32 s4, s14, 0
	s_cmp_eq_u32 s14, 0
	v_mov_b32_e32 v7, s4
	s_cselect_b32 vcc_lo, -1, 0
	s_cmp_eq_u32 s5, 0
	v_cndmask_b32_e32 v5, -1, v5, vcc_lo
	v_cmp_le_u32_e32 vcc_lo, s35, v2
	s_cselect_b32 s4, -1, 0
	v_cndmask_b32_e64 v6, 0, -1, vcc_lo
	s_delay_alu instid0(VALU_DEP_3) | instskip(NEXT) | instid1(VALU_DEP_2)
	v_cmp_ne_u32_e32 vcc_lo, 0, v5
	v_cndmask_b32_e64 v5, -1, v6, s4
	v_cndmask_b32_e32 v6, s14, v7, vcc_lo
	v_cndmask_b32_e32 v4, v3, v4, vcc_lo
	s_delay_alu instid0(VALU_DEP_3) | instskip(NEXT) | instid1(VALU_DEP_3)
	v_cmp_ne_u32_e32 vcc_lo, 0, v5
	v_cndmask_b32_e32 v3, s5, v6, vcc_lo
	s_delay_alu instid0(VALU_DEP_3)
	v_cndmask_b32_e32 v2, v2, v4, vcc_lo
	s_cbranch_execnz .LBB126_128
.LBB126_127:                            ;   in Loop: Header=BB126_33 Depth=1
	v_cvt_f32_u32_e32 v2, s35
	s_sub_i32 s4, 0, s35
	s_delay_alu instid0(VALU_DEP_1) | instskip(SKIP_2) | instid1(VALU_DEP_1)
	v_rcp_iflag_f32_e32 v2, v2
	s_waitcnt_depctr 0xfff
	v_mul_f32_e32 v2, 0x4f7ffffe, v2
	v_cvt_u32_f32_e32 v2, v2
	s_delay_alu instid0(VALU_DEP_1) | instskip(NEXT) | instid1(VALU_DEP_1)
	v_mul_lo_u32 v3, s4, v2
	v_mul_hi_u32 v3, v2, v3
	s_delay_alu instid0(VALU_DEP_1) | instskip(NEXT) | instid1(VALU_DEP_1)
	v_add_nc_u32_e32 v2, v2, v3
	v_mul_hi_u32 v2, s85, v2
	s_delay_alu instid0(VALU_DEP_1) | instskip(NEXT) | instid1(VALU_DEP_1)
	v_mul_lo_u32 v2, v2, s35
	v_sub_nc_u32_e32 v2, s85, v2
	s_delay_alu instid0(VALU_DEP_1) | instskip(SKIP_1) | instid1(VALU_DEP_2)
	v_subrev_nc_u32_e32 v3, s35, v2
	v_cmp_le_u32_e32 vcc_lo, s35, v2
	v_cndmask_b32_e32 v2, v2, v3, vcc_lo
	s_delay_alu instid0(VALU_DEP_1) | instskip(SKIP_1) | instid1(VALU_DEP_2)
	v_subrev_nc_u32_e32 v3, s35, v2
	v_cmp_le_u32_e32 vcc_lo, s35, v2
	v_cndmask_b32_e32 v12, v2, v3, vcc_lo
	s_delay_alu instid0(VALU_DEP_1)
	v_dual_mov_b32 v2, v12 :: v_dual_mov_b32 v3, v13
.LBB126_128:                            ;   in Loop: Header=BB126_33 Depth=1
	s_delay_alu instid0(VALU_DEP_1) | instskip(NEXT) | instid1(VALU_DEP_2)
	v_sub_co_u32 v2, vcc_lo, s85, v2
	v_sub_co_ci_u32_e32 v3, vcc_lo, s69, v3, vcc_lo
	s_mov_b32 s4, 0
	s_mov_b32 s5, exec_lo
                                        ; implicit-def: $vgpr18
	s_delay_alu instid0(VALU_DEP_1)
	v_cmpx_gt_u64_e64 v[2:3], v[0:1]
	s_cbranch_execz .LBB126_137
; %bb.129:                              ;   in Loop: Header=BB126_33 Depth=1
	v_dual_mov_b32 v5, v1 :: v_dual_mov_b32 v4, v0
	s_mov_b32 s14, 0
                                        ; implicit-def: $sgpr15
	s_branch .LBB126_131
.LBB126_130:                            ;   in Loop: Header=BB126_131 Depth=2
	s_or_b32 exec_lo, exec_lo, s4
	s_waitcnt vmcnt(0) lgkmcnt(0)
	s_barrier
	buffer_gl0_inv
	ds_load_b64 v[17:18], v13 offset:3072
	v_add_co_u32 v4, vcc_lo, v4, s35
	v_add_co_ci_u32_e32 v5, vcc_lo, 0, v5, vcc_lo
	s_waitcnt lgkmcnt(0)
	s_barrier
	buffer_gl0_inv
	v_cmp_ge_u64_e32 vcc_lo, v[4:5], v[2:3]
	v_cmp_neq_f32_e64 s4, 0, v17
	s_delay_alu instid0(VALU_DEP_1) | instskip(NEXT) | instid1(SALU_CYCLE_1)
	s_or_b32 s21, vcc_lo, s4
	s_and_b32 s21, exec_lo, s21
	s_delay_alu instid0(SALU_CYCLE_1) | instskip(SKIP_2) | instid1(SALU_CYCLE_1)
	s_or_b32 s14, s21, s14
	s_and_not1_b32 s15, s15, exec_lo
	s_and_b32 s4, s4, exec_lo
	s_or_b32 s15, s15, s4
	s_and_not1_b32 exec_lo, exec_lo, s14
	s_cbranch_execz .LBB126_136
.LBB126_131:                            ;   Parent Loop BB126_33 Depth=1
                                        ; =>  This Inner Loop Header: Depth=2
	s_delay_alu instid0(VALU_DEP_1)
	v_cmp_gt_u64_e32 vcc_lo, s[24:25], v[4:5]
	v_mov_b32_e32 v17, 0
	s_and_saveexec_b32 s21, vcc_lo
	s_cbranch_execz .LBB126_133
; %bb.132:                              ;   in Loop: Header=BB126_131 Depth=2
	v_mul_lo_u32 v8, v5, s50
	v_mul_lo_u32 v9, v4, s51
	v_mad_u64_u32 v[6:7], null, v4, s50, 0
	s_delay_alu instid0(VALU_DEP_1) | instskip(NEXT) | instid1(VALU_DEP_1)
	v_add3_u32 v7, v7, v9, v8
	v_lshlrev_b64 v[6:7], 2, v[6:7]
	s_delay_alu instid0(VALU_DEP_1) | instskip(NEXT) | instid1(VALU_DEP_1)
	v_add_co_u32 v6, s4, s27, v6
	v_add_co_ci_u32_e64 v7, s4, s33, v7, s4
	global_load_b32 v17, v[6:7], off
.LBB126_133:                            ;   in Loop: Header=BB126_131 Depth=2
	s_or_b32 exec_lo, exec_lo, s21
	s_and_saveexec_b32 s4, vcc_lo
	s_cbranch_execz .LBB126_130
; %bb.134:                              ;   in Loop: Header=BB126_131 Depth=2
	s_waitcnt vmcnt(0)
	v_cmp_lt_i32_e32 vcc_lo, -1, v17
	v_cndmask_b32_e64 v6, -1, 0x80000000, vcc_lo
	v_cmp_o_f32_e32 vcc_lo, v17, v17
	s_delay_alu instid0(VALU_DEP_2) | instskip(NEXT) | instid1(VALU_DEP_1)
	v_xor_b32_e32 v6, v6, v17
	v_cndmask_b32_e32 v6, -1, v6, vcc_lo
	s_delay_alu instid0(VALU_DEP_1) | instskip(NEXT) | instid1(VALU_DEP_1)
	v_and_b32_e32 v6, s102, v6
	v_cmp_eq_u32_e32 vcc_lo, s101, v6
	s_and_b32 exec_lo, exec_lo, vcc_lo
	s_cbranch_execz .LBB126_130
; %bb.135:                              ;   in Loop: Header=BB126_131 Depth=2
	ds_store_b64 v13, v[16:17] offset:3072
	s_branch .LBB126_130
.LBB126_136:                            ;   in Loop: Header=BB126_33 Depth=1
	s_or_b32 exec_lo, exec_lo, s14
	s_delay_alu instid0(SALU_CYCLE_1)
	s_and_b32 s4, s15, exec_lo
.LBB126_137:                            ;   in Loop: Header=BB126_33 Depth=1
	s_or_b32 exec_lo, exec_lo, s5
	s_mov_b32 s15, -1
	s_mov_b32 s5, 0
	s_mov_b32 s14, 0
.LBB126_138:                            ;   in Loop: Header=BB126_33 Depth=1
	s_and_not1_b32 s21, s97, exec_lo
	s_and_b32 s5, s5, exec_lo
	s_and_b32 s15, s15, exec_lo
	s_or_b32 s97, s21, s5
	s_and_not1_b32 s5, s100, exec_lo
	s_and_not1_b32 s21, s98, exec_lo
	s_and_b32 s14, s14, exec_lo
	s_or_b32 s100, s5, s15
	s_or_b32 s98, s21, s14
	s_and_saveexec_b32 s14, s4
	s_cbranch_execz .LBB126_32
; %bb.139:                              ;   in Loop: Header=BB126_33 Depth=1
	s_xor_b32 s4, s20, -1
	s_mov_b32 s66, 1
	s_and_not1_b32 vcc_lo, exec_lo, s4
	s_cbranch_vccnz .LBB126_150
; %bb.140:                              ;   in Loop: Header=BB126_33 Depth=1
	v_cmp_gt_u64_e64 s4, s[64:65], s[12:13]
                                        ; implicit-def: $sgpr66
                                        ; implicit-def: $sgpr5
                                        ; implicit-def: $sgpr15
	s_delay_alu instid0(VALU_DEP_1)
	s_and_b32 vcc_lo, exec_lo, s4
	s_mov_b32 s4, -1
	s_cbranch_vccnz .LBB126_146
; %bb.141:                              ;   in Loop: Header=BB126_33 Depth=1
	ds_load_b64 v[2:3], v13 offset:5120
	s_waitcnt lgkmcnt(0)
	v_cmp_ne_u64_e32 vcc_lo, 0, v[2:3]
	s_cbranch_vccnz .LBB126_145
; %bb.142:                              ;   in Loop: Header=BB126_33 Depth=1
	s_and_saveexec_b32 s4, s3
	s_cbranch_execz .LBB126_144
; %bb.143:                              ;   in Loop: Header=BB126_33 Depth=1
	v_dual_mov_b32 v2, s12 :: v_dual_mov_b32 v3, s13
	ds_store_b64 v13, v[2:3] offset:5128
.LBB126_144:                            ;   in Loop: Header=BB126_33 Depth=1
	s_or_b32 exec_lo, exec_lo, s4
	s_waitcnt lgkmcnt(0)
	s_barrier
	buffer_gl0_inv
.LBB126_145:                            ;   in Loop: Header=BB126_33 Depth=1
	s_and_b32 s5, s101, s18
	s_or_b32 s15, s102, s16
	s_mov_b32 s4, 0
	s_mov_b32 s66, 8
.LBB126_146:                            ;   in Loop: Header=BB126_33 Depth=1
	s_and_not1_b32 vcc_lo, exec_lo, s4
	s_cbranch_vccnz .LBB126_148
; %bb.147:                              ;   in Loop: Header=BB126_33 Depth=1
	s_sub_u32 s64, s64, s12
	s_subb_u32 s65, s65, s13
	s_mov_b32 s4, -1
	s_mov_b32 s66, 0
	s_mov_b32 s5, s101
	;; [unrolled: 1-line block ×3, first 2 shown]
.LBB126_148:                            ;   in Loop: Header=BB126_33 Depth=1
	s_delay_alu instid0(SALU_CYCLE_1)
	s_mov_b32 s102, s15
	s_mov_b32 s101, s5
	s_and_b32 vcc_lo, exec_lo, s4
	s_mov_b32 s15, -1
	s_cbranch_vccnz .LBB126_151
.LBB126_149:                            ;   in Loop: Header=BB126_33 Depth=1
	s_mov_b32 s5, -1
                                        ; implicit-def: $sgpr12
                                        ; implicit-def: $sgpr19
                                        ; implicit-def: $sgpr13
	s_delay_alu instid0(SALU_CYCLE_1) | instskip(NEXT) | instid1(SALU_CYCLE_1)
	s_and_saveexec_b32 s4, s5
	s_xor_b32 s4, exec_lo, s4
	s_cbranch_execz .LBB126_31
	s_branch .LBB126_297
.LBB126_150:                            ;   in Loop: Header=BB126_33 Depth=1
	s_mov_b64 s[64:65], 1
	s_mov_b32 s15, -1
	s_branch .LBB126_149
.LBB126_151:                            ;   in Loop: Header=BB126_33 Depth=1
	s_cmp_eq_u64 s[10:11], 1
	s_cselect_b32 s4, -1, 0
	s_cmp_eq_u64 s[64:65], 1
	s_cselect_b32 s5, -1, 0
	s_delay_alu instid0(SALU_CYCLE_1)
	s_and_b32 s21, s4, s5
	s_mov_b32 s4, -1
	s_and_b32 vcc_lo, exec_lo, s21
	s_cbranch_vccz .LBB126_166
; %bb.152:                              ;   in Loop: Header=BB126_33 Depth=1
	ds_load_b64 v[2:3], v13 offset:5120
	s_waitcnt lgkmcnt(0)
	s_barrier
	buffer_gl0_inv
	v_readfirstlane_b32 s12, v2
	v_readfirstlane_b32 s13, v3
	s_and_saveexec_b32 s4, s0
	s_cbranch_execz .LBB126_154
; %bb.153:                              ;   in Loop: Header=BB126_33 Depth=1
	ds_store_b32 v24, v13
.LBB126_154:                            ;   in Loop: Header=BB126_33 Depth=1
	s_or_b32 exec_lo, exec_lo, s4
	s_lshl_b32 s4, 1, s17
	s_and_b32 s5, s101, s18
	s_or_b32 s102, s102, s16
	s_or_b32 s101, s5, s4
	s_cmp_eq_u64 s[12:13], 0
	s_waitcnt lgkmcnt(0)
	s_barrier
	buffer_gl0_inv
	s_cbranch_scc1 .LBB126_169
; %bb.155:                              ;   in Loop: Header=BB126_33 Depth=1
	s_add_u32 s19, s83, s12
	s_addc_u32 s5, s84, s13
	s_mov_b32 s4, s67
	s_delay_alu instid0(SALU_CYCLE_1)
	s_cmp_lg_u64 s[4:5], 0
	s_cbranch_scc0 .LBB126_214
; %bb.156:                              ;   in Loop: Header=BB126_33 Depth=1
	v_cvt_f32_u32_e32 v2, s35
	s_sub_u32 s22, 0, s35
	s_subb_u32 s23, 0, 0
	s_delay_alu instid0(VALU_DEP_1) | instskip(NEXT) | instid1(VALU_DEP_1)
	v_fmac_f32_e64 v2, 0, 0x4f800000
	v_rcp_f32_e32 v2, v2
	s_waitcnt_depctr 0xfff
	v_mul_f32_e32 v2, 0x5f7ffffc, v2
	s_delay_alu instid0(VALU_DEP_1) | instskip(NEXT) | instid1(VALU_DEP_1)
	v_mul_f32_e32 v3, 0x2f800000, v2
	v_trunc_f32_e32 v3, v3
	s_delay_alu instid0(VALU_DEP_1) | instskip(SKIP_1) | instid1(VALU_DEP_2)
	v_fmac_f32_e32 v2, 0xcf800000, v3
	v_cvt_u32_f32_e32 v3, v3
	v_cvt_u32_f32_e32 v2, v2
	s_delay_alu instid0(VALU_DEP_2) | instskip(NEXT) | instid1(VALU_DEP_2)
	v_readfirstlane_b32 s4, v3
	v_readfirstlane_b32 s20, v2
	s_delay_alu instid0(VALU_DEP_2) | instskip(NEXT) | instid1(VALU_DEP_1)
	s_mul_i32 s66, s22, s4
	s_mul_hi_u32 s72, s22, s20
	s_mul_i32 s68, s23, s20
	s_add_i32 s66, s72, s66
	s_mul_i32 s73, s22, s20
	s_add_i32 s66, s66, s68
	s_mul_hi_u32 s72, s20, s73
	s_mul_hi_u32 s74, s4, s73
	s_mul_i32 s68, s4, s73
	s_mul_hi_u32 s73, s20, s66
	s_mul_i32 s20, s20, s66
	s_mul_hi_u32 s75, s4, s66
	s_add_u32 s20, s72, s20
	s_addc_u32 s72, 0, s73
	s_add_u32 s20, s20, s68
	s_mul_i32 s66, s4, s66
	s_addc_u32 s20, s72, s74
	s_addc_u32 s68, s75, 0
	s_add_u32 s20, s20, s66
	s_addc_u32 s66, 0, s68
	v_add_co_u32 v2, s20, v2, s20
	s_delay_alu instid0(VALU_DEP_1) | instskip(SKIP_1) | instid1(VALU_DEP_1)
	s_cmp_lg_u32 s20, 0
	s_addc_u32 s4, s4, s66
	v_readfirstlane_b32 s20, v2
	s_mul_i32 s66, s22, s4
	s_delay_alu instid0(VALU_DEP_1)
	s_mul_hi_u32 s68, s22, s20
	s_mul_i32 s23, s23, s20
	s_add_i32 s66, s68, s66
	s_mul_i32 s22, s22, s20
	s_add_i32 s66, s66, s23
	s_mul_hi_u32 s68, s4, s22
	s_mul_i32 s72, s4, s22
	s_mul_hi_u32 s22, s20, s22
	s_mul_hi_u32 s73, s20, s66
	s_mul_i32 s20, s20, s66
	s_mul_hi_u32 s23, s4, s66
	s_add_u32 s20, s22, s20
	s_addc_u32 s22, 0, s73
	s_add_u32 s20, s20, s72
	s_mul_i32 s66, s4, s66
	s_addc_u32 s20, s22, s68
	s_addc_u32 s22, s23, 0
	s_add_u32 s20, s20, s66
	s_addc_u32 s22, 0, s22
	v_add_co_u32 v2, s20, v2, s20
	s_delay_alu instid0(VALU_DEP_1) | instskip(SKIP_1) | instid1(VALU_DEP_1)
	s_cmp_lg_u32 s20, 0
	s_addc_u32 s4, s4, s22
	v_readfirstlane_b32 s20, v2
	s_mul_i32 s23, s19, s4
	s_mul_hi_u32 s22, s19, s4
	s_mul_hi_u32 s66, s5, s4
	s_mul_i32 s4, s5, s4
	s_mul_hi_u32 s68, s19, s20
	s_mul_hi_u32 s72, s5, s20
	s_mul_i32 s20, s5, s20
	s_add_u32 s23, s68, s23
	s_addc_u32 s22, 0, s22
	s_add_u32 s20, s23, s20
	s_addc_u32 s20, s22, s72
	s_addc_u32 s22, s66, 0
	s_add_u32 s4, s20, s4
	s_addc_u32 s20, 0, s22
	s_mul_hi_u32 s22, s35, s4
	s_mul_i32 s4, s35, s4
	s_mul_i32 s20, s35, s20
	v_sub_co_u32 v2, s4, s19, s4
	s_add_i32 s22, s22, s20
	s_cmp_lg_u32 s4, 0
	s_delay_alu instid0(VALU_DEP_1) | instskip(SKIP_2) | instid1(VALU_DEP_1)
	v_sub_co_u32 v3, s4, v2, s35
	s_subb_u32 s20, s5, s22
	s_cmp_lg_u32 s4, 0
	v_cmp_le_u32_e32 vcc_lo, s35, v3
	v_sub_co_u32 v4, s4, v3, s35
	s_subb_u32 s22, s20, 0
	s_cmp_lg_u32 s4, 0
	v_cndmask_b32_e64 v5, 0, -1, vcc_lo
	s_subb_u32 s4, s22, 0
	s_cmp_eq_u32 s22, 0
	v_mov_b32_e32 v7, s4
	s_cselect_b32 vcc_lo, -1, 0
	s_cmp_eq_u32 s20, 0
	v_cndmask_b32_e32 v5, -1, v5, vcc_lo
	v_cmp_le_u32_e32 vcc_lo, s35, v2
	s_cselect_b32 s4, -1, 0
	v_cndmask_b32_e64 v6, 0, -1, vcc_lo
	s_delay_alu instid0(VALU_DEP_3) | instskip(NEXT) | instid1(VALU_DEP_2)
	v_cmp_ne_u32_e32 vcc_lo, 0, v5
	v_cndmask_b32_e64 v5, -1, v6, s4
	v_cndmask_b32_e32 v6, s22, v7, vcc_lo
	v_cndmask_b32_e32 v4, v3, v4, vcc_lo
	s_delay_alu instid0(VALU_DEP_3) | instskip(NEXT) | instid1(VALU_DEP_3)
	v_cmp_ne_u32_e32 vcc_lo, 0, v5
	v_cndmask_b32_e32 v3, s20, v6, vcc_lo
	s_delay_alu instid0(VALU_DEP_3)
	v_cndmask_b32_e32 v2, v2, v4, vcc_lo
	s_cbranch_execnz .LBB126_158
.LBB126_157:                            ;   in Loop: Header=BB126_33 Depth=1
	v_cvt_f32_u32_e32 v2, s35
	s_sub_i32 s4, 0, s35
	s_delay_alu instid0(VALU_DEP_1) | instskip(SKIP_2) | instid1(VALU_DEP_1)
	v_rcp_iflag_f32_e32 v2, v2
	s_waitcnt_depctr 0xfff
	v_mul_f32_e32 v2, 0x4f7ffffe, v2
	v_cvt_u32_f32_e32 v2, v2
	s_delay_alu instid0(VALU_DEP_1) | instskip(NEXT) | instid1(VALU_DEP_1)
	v_mul_lo_u32 v3, s4, v2
	v_mul_hi_u32 v3, v2, v3
	s_delay_alu instid0(VALU_DEP_1) | instskip(NEXT) | instid1(VALU_DEP_1)
	v_add_nc_u32_e32 v2, v2, v3
	v_mul_hi_u32 v2, s19, v2
	s_delay_alu instid0(VALU_DEP_1) | instskip(NEXT) | instid1(VALU_DEP_1)
	v_mul_lo_u32 v2, v2, s35
	v_sub_nc_u32_e32 v2, s19, v2
	s_delay_alu instid0(VALU_DEP_1) | instskip(SKIP_1) | instid1(VALU_DEP_2)
	v_subrev_nc_u32_e32 v3, s35, v2
	v_cmp_le_u32_e32 vcc_lo, s35, v2
	v_cndmask_b32_e32 v2, v2, v3, vcc_lo
	s_delay_alu instid0(VALU_DEP_1) | instskip(SKIP_1) | instid1(VALU_DEP_2)
	v_subrev_nc_u32_e32 v3, s35, v2
	v_cmp_le_u32_e32 vcc_lo, s35, v2
	v_cndmask_b32_e32 v12, v2, v3, vcc_lo
	s_delay_alu instid0(VALU_DEP_1)
	v_dual_mov_b32 v2, v12 :: v_dual_mov_b32 v3, v13
.LBB126_158:                            ;   in Loop: Header=BB126_33 Depth=1
	s_delay_alu instid0(VALU_DEP_1) | instskip(NEXT) | instid1(VALU_DEP_2)
	v_sub_co_u32 v2, vcc_lo, s19, v2
	v_sub_co_ci_u32_e32 v3, vcc_lo, s5, v3, vcc_lo
	s_mov_b32 s4, 0
	s_mov_b32 s5, exec_lo
                                        ; implicit-def: $vgpr18
	s_delay_alu instid0(VALU_DEP_1)
	v_cmpx_gt_u64_e64 v[2:3], v[0:1]
	s_cbranch_execz .LBB126_171
; %bb.159:                              ;   in Loop: Header=BB126_33 Depth=1
	v_dual_mov_b32 v6, v10 :: v_dual_mov_b32 v5, v1
	v_mov_b32_e32 v4, v0
	s_mov_b32 s19, 0
                                        ; implicit-def: $sgpr20
	s_set_inst_prefetch_distance 0x1
	s_branch .LBB126_161
	.p2align	6
.LBB126_160:                            ;   in Loop: Header=BB126_161 Depth=2
	s_or_b32 exec_lo, exec_lo, s4
	s_waitcnt lgkmcnt(0)
	s_barrier
	buffer_gl0_inv
	ds_load_b64 v[17:18], v13 offset:3072
	v_add_co_u32 v4, vcc_lo, v4, s35
	v_add_co_ci_u32_e32 v5, vcc_lo, 0, v5, vcc_lo
	v_add_nc_u32_e32 v6, s91, v6
	s_waitcnt lgkmcnt(0)
	s_barrier
	s_delay_alu instid0(VALU_DEP_2) | instskip(SKIP_2) | instid1(VALU_DEP_1)
	v_cmp_ge_u64_e32 vcc_lo, v[4:5], v[2:3]
	buffer_gl0_inv
	v_cmp_neq_f32_e64 s4, 0, v17
	s_or_b32 s22, vcc_lo, s4
	s_delay_alu instid0(SALU_CYCLE_1) | instskip(NEXT) | instid1(SALU_CYCLE_1)
	s_and_b32 s22, exec_lo, s22
	s_or_b32 s19, s22, s19
	s_and_not1_b32 s20, s20, exec_lo
	s_and_b32 s4, s4, exec_lo
	s_delay_alu instid0(SALU_CYCLE_1)
	s_or_b32 s20, s20, s4
	s_and_not1_b32 exec_lo, exec_lo, s19
	s_cbranch_execz .LBB126_170
.LBB126_161:                            ;   Parent Loop BB126_33 Depth=1
                                        ; =>  This Inner Loop Header: Depth=2
	s_delay_alu instid0(VALU_DEP_1)
	v_cmp_gt_u64_e32 vcc_lo, s[12:13], v[4:5]
	v_mov_b32_e32 v17, 0
	s_and_saveexec_b32 s4, vcc_lo
	s_cbranch_execz .LBB126_163
; %bb.162:                              ;   in Loop: Header=BB126_161 Depth=2
	ds_load_b32 v17, v6
.LBB126_163:                            ;   in Loop: Header=BB126_161 Depth=2
	s_or_b32 exec_lo, exec_lo, s4
	s_and_saveexec_b32 s4, vcc_lo
	s_cbranch_execz .LBB126_160
; %bb.164:                              ;   in Loop: Header=BB126_161 Depth=2
	s_waitcnt lgkmcnt(0)
	v_cmp_lt_i32_e32 vcc_lo, -1, v17
	v_cndmask_b32_e64 v7, -1, 0x80000000, vcc_lo
	v_cmp_o_f32_e32 vcc_lo, v17, v17
	s_delay_alu instid0(VALU_DEP_2) | instskip(NEXT) | instid1(VALU_DEP_1)
	v_xor_b32_e32 v7, v7, v17
	v_cndmask_b32_e32 v7, -1, v7, vcc_lo
	s_delay_alu instid0(VALU_DEP_1) | instskip(NEXT) | instid1(VALU_DEP_1)
	v_and_b32_e32 v7, s102, v7
	v_cmp_eq_u32_e32 vcc_lo, s101, v7
	s_and_b32 exec_lo, exec_lo, vcc_lo
	s_cbranch_execz .LBB126_160
; %bb.165:                              ;   in Loop: Header=BB126_161 Depth=2
	ds_store_b64 v13, v[16:17] offset:3072
	s_branch .LBB126_160
.LBB126_166:                            ;   in Loop: Header=BB126_33 Depth=1
                                        ; implicit-def: $sgpr13
                                        ; implicit-def: $sgpr19
                                        ; implicit-def: $sgpr12
	s_branch .LBB126_185
.LBB126_167:                            ;   in Loop: Header=BB126_33 Depth=1
                                        ; implicit-def: $vgpr2_vgpr3
	s_branch .LBB126_112
.LBB126_168:                            ;   in Loop: Header=BB126_33 Depth=1
                                        ; implicit-def: $vgpr2_vgpr3
	s_branch .LBB126_127
.LBB126_169:                            ;   in Loop: Header=BB126_33 Depth=1
	s_mov_b32 s13, -1
	s_mov_b32 s4, 0
                                        ; implicit-def: $sgpr12
                                        ; implicit-def: $vgpr18
	s_mov_b32 s19, s13
	s_cbranch_execnz .LBB126_172
	s_branch .LBB126_185
.LBB126_170:                            ;   in Loop: Header=BB126_33 Depth=1
	s_set_inst_prefetch_distance 0x2
	s_or_b32 exec_lo, exec_lo, s19
	s_delay_alu instid0(SALU_CYCLE_1)
	s_and_b32 s4, s20, exec_lo
.LBB126_171:                            ;   in Loop: Header=BB126_33 Depth=1
	s_or_b32 exec_lo, exec_lo, s5
	s_mov_b32 s12, -1
	s_mov_b32 s13, 0
	s_delay_alu instid0(SALU_CYCLE_1)
	s_mov_b32 s19, s13
	s_branch .LBB126_185
.LBB126_172:                            ;   in Loop: Header=BB126_33 Depth=1
	s_mov_b32 s68, s67
	s_delay_alu instid0(SALU_CYCLE_1)
	s_cmp_lg_u64 s[68:69], 0
	s_cbranch_scc0 .LBB126_215
; %bb.173:                              ;   in Loop: Header=BB126_33 Depth=1
	v_cvt_f32_u32_e32 v2, s35
	s_sub_u32 s12, 0, s35
	s_subb_u32 s13, 0, 0
	s_delay_alu instid0(VALU_DEP_1) | instskip(NEXT) | instid1(VALU_DEP_1)
	v_fmac_f32_e64 v2, 0, 0x4f800000
	v_rcp_f32_e32 v2, v2
	s_waitcnt_depctr 0xfff
	v_mul_f32_e32 v2, 0x5f7ffffc, v2
	s_delay_alu instid0(VALU_DEP_1) | instskip(NEXT) | instid1(VALU_DEP_1)
	v_mul_f32_e32 v3, 0x2f800000, v2
	v_trunc_f32_e32 v3, v3
	s_delay_alu instid0(VALU_DEP_1) | instskip(SKIP_1) | instid1(VALU_DEP_2)
	v_fmac_f32_e32 v2, 0xcf800000, v3
	v_cvt_u32_f32_e32 v3, v3
	v_cvt_u32_f32_e32 v2, v2
	s_delay_alu instid0(VALU_DEP_2) | instskip(NEXT) | instid1(VALU_DEP_2)
	v_readfirstlane_b32 s4, v3
	v_readfirstlane_b32 s5, v2
	s_delay_alu instid0(VALU_DEP_2) | instskip(NEXT) | instid1(VALU_DEP_1)
	s_mul_i32 s19, s12, s4
	s_mul_hi_u32 s22, s12, s5
	s_mul_i32 s20, s13, s5
	s_add_i32 s19, s22, s19
	s_mul_i32 s23, s12, s5
	s_add_i32 s19, s19, s20
	s_mul_hi_u32 s22, s5, s23
	s_mul_hi_u32 s66, s4, s23
	s_mul_i32 s20, s4, s23
	s_mul_hi_u32 s23, s5, s19
	s_mul_i32 s5, s5, s19
	s_mul_hi_u32 s68, s4, s19
	s_add_u32 s5, s22, s5
	s_addc_u32 s22, 0, s23
	s_add_u32 s5, s5, s20
	s_mul_i32 s19, s4, s19
	s_addc_u32 s5, s22, s66
	s_addc_u32 s20, s68, 0
	s_add_u32 s5, s5, s19
	s_addc_u32 s19, 0, s20
	v_add_co_u32 v2, s5, v2, s5
	s_delay_alu instid0(VALU_DEP_1) | instskip(SKIP_1) | instid1(VALU_DEP_1)
	s_cmp_lg_u32 s5, 0
	s_addc_u32 s4, s4, s19
	v_readfirstlane_b32 s5, v2
	s_mul_i32 s19, s12, s4
	s_delay_alu instid0(VALU_DEP_1)
	s_mul_hi_u32 s20, s12, s5
	s_mul_i32 s13, s13, s5
	s_add_i32 s19, s20, s19
	s_mul_i32 s12, s12, s5
	s_add_i32 s19, s19, s13
	s_mul_hi_u32 s20, s4, s12
	s_mul_i32 s22, s4, s12
	s_mul_hi_u32 s12, s5, s12
	s_mul_hi_u32 s23, s5, s19
	s_mul_i32 s5, s5, s19
	s_mul_hi_u32 s13, s4, s19
	s_add_u32 s5, s12, s5
	s_addc_u32 s12, 0, s23
	s_add_u32 s5, s5, s22
	s_mul_i32 s19, s4, s19
	s_addc_u32 s5, s12, s20
	s_addc_u32 s12, s13, 0
	s_add_u32 s5, s5, s19
	s_addc_u32 s12, 0, s12
	v_add_co_u32 v2, s5, v2, s5
	s_delay_alu instid0(VALU_DEP_1) | instskip(SKIP_1) | instid1(VALU_DEP_1)
	s_cmp_lg_u32 s5, 0
	s_addc_u32 s4, s4, s12
	v_readfirstlane_b32 s5, v2
	s_mul_i32 s13, s85, s4
	s_mul_hi_u32 s12, s85, s4
	s_mul_hi_u32 s19, s69, s4
	s_mul_i32 s4, s69, s4
	s_mul_hi_u32 s20, s85, s5
	s_mul_hi_u32 s22, s69, s5
	s_mul_i32 s5, s69, s5
	s_add_u32 s13, s20, s13
	s_addc_u32 s12, 0, s12
	s_add_u32 s5, s13, s5
	s_addc_u32 s5, s12, s22
	s_addc_u32 s12, s19, 0
	s_add_u32 s4, s5, s4
	s_addc_u32 s5, 0, s12
	s_mul_hi_u32 s12, s35, s4
	s_mul_i32 s4, s35, s4
	s_mul_i32 s5, s35, s5
	v_sub_co_u32 v2, s4, s85, s4
	s_add_i32 s12, s12, s5
	s_cmp_lg_u32 s4, 0
	s_delay_alu instid0(VALU_DEP_1) | instskip(SKIP_2) | instid1(VALU_DEP_1)
	v_sub_co_u32 v3, s4, v2, s35
	s_subb_u32 s5, s69, s12
	s_cmp_lg_u32 s4, 0
	v_cmp_le_u32_e32 vcc_lo, s35, v3
	v_sub_co_u32 v4, s4, v3, s35
	s_subb_u32 s12, s5, 0
	s_cmp_lg_u32 s4, 0
	v_cndmask_b32_e64 v5, 0, -1, vcc_lo
	s_subb_u32 s4, s12, 0
	s_cmp_eq_u32 s12, 0
	v_mov_b32_e32 v7, s4
	s_cselect_b32 vcc_lo, -1, 0
	s_cmp_eq_u32 s5, 0
	v_cndmask_b32_e32 v5, -1, v5, vcc_lo
	v_cmp_le_u32_e32 vcc_lo, s35, v2
	s_cselect_b32 s4, -1, 0
	v_cndmask_b32_e64 v6, 0, -1, vcc_lo
	s_delay_alu instid0(VALU_DEP_3) | instskip(NEXT) | instid1(VALU_DEP_2)
	v_cmp_ne_u32_e32 vcc_lo, 0, v5
	v_cndmask_b32_e64 v5, -1, v6, s4
	v_cndmask_b32_e32 v6, s12, v7, vcc_lo
	v_cndmask_b32_e32 v4, v3, v4, vcc_lo
	s_delay_alu instid0(VALU_DEP_3) | instskip(NEXT) | instid1(VALU_DEP_3)
	v_cmp_ne_u32_e32 vcc_lo, 0, v5
	v_cndmask_b32_e32 v3, s5, v6, vcc_lo
	s_delay_alu instid0(VALU_DEP_3)
	v_cndmask_b32_e32 v2, v2, v4, vcc_lo
	s_cbranch_execnz .LBB126_175
.LBB126_174:                            ;   in Loop: Header=BB126_33 Depth=1
	v_cvt_f32_u32_e32 v2, s35
	s_sub_i32 s4, 0, s35
	s_delay_alu instid0(VALU_DEP_1) | instskip(SKIP_2) | instid1(VALU_DEP_1)
	v_rcp_iflag_f32_e32 v2, v2
	s_waitcnt_depctr 0xfff
	v_mul_f32_e32 v2, 0x4f7ffffe, v2
	v_cvt_u32_f32_e32 v2, v2
	s_delay_alu instid0(VALU_DEP_1) | instskip(NEXT) | instid1(VALU_DEP_1)
	v_mul_lo_u32 v3, s4, v2
	v_mul_hi_u32 v3, v2, v3
	s_delay_alu instid0(VALU_DEP_1) | instskip(NEXT) | instid1(VALU_DEP_1)
	v_add_nc_u32_e32 v2, v2, v3
	v_mul_hi_u32 v2, s85, v2
	s_delay_alu instid0(VALU_DEP_1) | instskip(NEXT) | instid1(VALU_DEP_1)
	v_mul_lo_u32 v2, v2, s35
	v_sub_nc_u32_e32 v2, s85, v2
	s_delay_alu instid0(VALU_DEP_1) | instskip(SKIP_1) | instid1(VALU_DEP_2)
	v_subrev_nc_u32_e32 v3, s35, v2
	v_cmp_le_u32_e32 vcc_lo, s35, v2
	v_cndmask_b32_e32 v2, v2, v3, vcc_lo
	s_delay_alu instid0(VALU_DEP_1) | instskip(SKIP_1) | instid1(VALU_DEP_2)
	v_subrev_nc_u32_e32 v3, s35, v2
	v_cmp_le_u32_e32 vcc_lo, s35, v2
	v_cndmask_b32_e32 v12, v2, v3, vcc_lo
	s_delay_alu instid0(VALU_DEP_1)
	v_dual_mov_b32 v2, v12 :: v_dual_mov_b32 v3, v13
.LBB126_175:                            ;   in Loop: Header=BB126_33 Depth=1
	s_delay_alu instid0(VALU_DEP_1) | instskip(NEXT) | instid1(VALU_DEP_2)
	v_sub_co_u32 v2, vcc_lo, s85, v2
	v_sub_co_ci_u32_e32 v3, vcc_lo, s69, v3, vcc_lo
	s_mov_b32 s4, 0
	s_mov_b32 s5, exec_lo
                                        ; implicit-def: $vgpr18
	s_delay_alu instid0(VALU_DEP_1)
	v_cmpx_gt_u64_e64 v[2:3], v[0:1]
	s_cbranch_execz .LBB126_184
; %bb.176:                              ;   in Loop: Header=BB126_33 Depth=1
	v_dual_mov_b32 v5, v1 :: v_dual_mov_b32 v4, v0
	s_mov_b32 s12, 0
                                        ; implicit-def: $sgpr13
	s_branch .LBB126_178
.LBB126_177:                            ;   in Loop: Header=BB126_178 Depth=2
	s_or_b32 exec_lo, exec_lo, s4
	s_waitcnt vmcnt(0) lgkmcnt(0)
	s_barrier
	buffer_gl0_inv
	ds_load_b64 v[17:18], v13 offset:3072
	v_add_co_u32 v4, vcc_lo, v4, s35
	v_add_co_ci_u32_e32 v5, vcc_lo, 0, v5, vcc_lo
	s_waitcnt lgkmcnt(0)
	s_barrier
	buffer_gl0_inv
	v_cmp_ge_u64_e32 vcc_lo, v[4:5], v[2:3]
	v_cmp_neq_f32_e64 s4, 0, v17
	s_delay_alu instid0(VALU_DEP_1) | instskip(NEXT) | instid1(SALU_CYCLE_1)
	s_or_b32 s19, vcc_lo, s4
	s_and_b32 s19, exec_lo, s19
	s_delay_alu instid0(SALU_CYCLE_1) | instskip(SKIP_2) | instid1(SALU_CYCLE_1)
	s_or_b32 s12, s19, s12
	s_and_not1_b32 s13, s13, exec_lo
	s_and_b32 s4, s4, exec_lo
	s_or_b32 s13, s13, s4
	s_and_not1_b32 exec_lo, exec_lo, s12
	s_cbranch_execz .LBB126_183
.LBB126_178:                            ;   Parent Loop BB126_33 Depth=1
                                        ; =>  This Inner Loop Header: Depth=2
	s_delay_alu instid0(VALU_DEP_1)
	v_cmp_gt_u64_e32 vcc_lo, s[24:25], v[4:5]
	v_mov_b32_e32 v17, 0
	s_and_saveexec_b32 s19, vcc_lo
	s_cbranch_execz .LBB126_180
; %bb.179:                              ;   in Loop: Header=BB126_178 Depth=2
	v_mul_lo_u32 v8, v5, s50
	v_mul_lo_u32 v9, v4, s51
	v_mad_u64_u32 v[6:7], null, v4, s50, 0
	s_delay_alu instid0(VALU_DEP_1) | instskip(NEXT) | instid1(VALU_DEP_1)
	v_add3_u32 v7, v7, v9, v8
	v_lshlrev_b64 v[6:7], 2, v[6:7]
	s_delay_alu instid0(VALU_DEP_1) | instskip(NEXT) | instid1(VALU_DEP_1)
	v_add_co_u32 v6, s4, s27, v6
	v_add_co_ci_u32_e64 v7, s4, s33, v7, s4
	global_load_b32 v17, v[6:7], off
.LBB126_180:                            ;   in Loop: Header=BB126_178 Depth=2
	s_or_b32 exec_lo, exec_lo, s19
	s_and_saveexec_b32 s4, vcc_lo
	s_cbranch_execz .LBB126_177
; %bb.181:                              ;   in Loop: Header=BB126_178 Depth=2
	s_waitcnt vmcnt(0)
	v_cmp_lt_i32_e32 vcc_lo, -1, v17
	v_cndmask_b32_e64 v6, -1, 0x80000000, vcc_lo
	v_cmp_o_f32_e32 vcc_lo, v17, v17
	s_delay_alu instid0(VALU_DEP_2) | instskip(NEXT) | instid1(VALU_DEP_1)
	v_xor_b32_e32 v6, v6, v17
	v_cndmask_b32_e32 v6, -1, v6, vcc_lo
	s_delay_alu instid0(VALU_DEP_1) | instskip(NEXT) | instid1(VALU_DEP_1)
	v_and_b32_e32 v6, s102, v6
	v_cmp_eq_u32_e32 vcc_lo, s101, v6
	s_and_b32 exec_lo, exec_lo, vcc_lo
	s_cbranch_execz .LBB126_177
; %bb.182:                              ;   in Loop: Header=BB126_178 Depth=2
	ds_store_b64 v13, v[16:17] offset:3072
	s_branch .LBB126_177
.LBB126_183:                            ;   in Loop: Header=BB126_33 Depth=1
	s_or_b32 exec_lo, exec_lo, s12
	s_delay_alu instid0(SALU_CYCLE_1)
	s_and_b32 s4, s13, exec_lo
.LBB126_184:                            ;   in Loop: Header=BB126_33 Depth=1
	s_or_b32 exec_lo, exec_lo, s5
	s_mov_b32 s19, -1
	s_mov_b32 s13, 0
	s_mov_b32 s12, 0
.LBB126_185:                            ;   in Loop: Header=BB126_33 Depth=1
	s_mov_b32 s5, 0
                                        ; implicit-def: $sgpr66
	s_and_saveexec_b32 s20, s4
	s_cbranch_execz .LBB126_296
; %bb.186:                              ;   in Loop: Header=BB126_33 Depth=1
	s_xor_b32 s4, s21, -1
	s_mov_b32 s66, 1
	s_and_not1_b32 vcc_lo, exec_lo, s4
	s_cbranch_vccnz .LBB126_197
; %bb.187:                              ;   in Loop: Header=BB126_33 Depth=1
	v_cmp_gt_u64_e64 s4, s[64:65], s[10:11]
                                        ; implicit-def: $sgpr66
                                        ; implicit-def: $sgpr5
                                        ; implicit-def: $sgpr21
	s_delay_alu instid0(VALU_DEP_1)
	s_and_b32 vcc_lo, exec_lo, s4
	s_mov_b32 s4, -1
	s_cbranch_vccnz .LBB126_193
; %bb.188:                              ;   in Loop: Header=BB126_33 Depth=1
	ds_load_b64 v[2:3], v13 offset:5120
	s_waitcnt lgkmcnt(0)
	v_cmp_ne_u64_e32 vcc_lo, 0, v[2:3]
	s_cbranch_vccnz .LBB126_192
; %bb.189:                              ;   in Loop: Header=BB126_33 Depth=1
	s_and_saveexec_b32 s4, s3
	s_cbranch_execz .LBB126_191
; %bb.190:                              ;   in Loop: Header=BB126_33 Depth=1
	v_dual_mov_b32 v2, s10 :: v_dual_mov_b32 v3, s11
	ds_store_b64 v13, v[2:3] offset:5128
.LBB126_191:                            ;   in Loop: Header=BB126_33 Depth=1
	s_or_b32 exec_lo, exec_lo, s4
	s_waitcnt lgkmcnt(0)
	s_barrier
	buffer_gl0_inv
.LBB126_192:                            ;   in Loop: Header=BB126_33 Depth=1
	s_lshl_b32 s4, 1, s17
	s_and_b32 s5, s101, s18
	s_or_b32 s21, s102, s16
	s_or_b32 s5, s5, s4
	s_mov_b32 s4, 0
	s_mov_b32 s66, 8
.LBB126_193:                            ;   in Loop: Header=BB126_33 Depth=1
	s_and_not1_b32 vcc_lo, exec_lo, s4
	s_cbranch_vccnz .LBB126_195
; %bb.194:                              ;   in Loop: Header=BB126_33 Depth=1
	s_sub_u32 s64, s64, s10
	s_subb_u32 s65, s65, s11
	s_mov_b32 s4, -1
	s_mov_b32 s66, 0
	s_mov_b32 s5, s101
	;; [unrolled: 1-line block ×3, first 2 shown]
.LBB126_195:                            ;   in Loop: Header=BB126_33 Depth=1
	s_delay_alu instid0(SALU_CYCLE_1)
	s_mov_b32 s102, s21
	s_mov_b32 s101, s5
	s_and_not1_b32 vcc_lo, exec_lo, s4
	s_mov_b32 s5, -1
	s_cbranch_vccz .LBB126_198
.LBB126_196:                            ;   in Loop: Header=BB126_33 Depth=1
                                        ; implicit-def: $sgpr11
                                        ; implicit-def: $sgpr21
                                        ; implicit-def: $sgpr10
	s_branch .LBB126_295
.LBB126_197:                            ;   in Loop: Header=BB126_33 Depth=1
	s_mov_b64 s[64:65], 1
	s_mov_b32 s5, -1
	s_cbranch_execnz .LBB126_196
.LBB126_198:                            ;   in Loop: Header=BB126_33 Depth=1
	s_cmp_eq_u64 s[8:9], 1
	s_cselect_b32 s4, -1, 0
	s_cmp_eq_u64 s[64:65], 1
	s_cselect_b32 s5, -1, 0
	s_delay_alu instid0(SALU_CYCLE_1)
	s_and_b32 s23, s4, s5
	s_mov_b32 s4, -1
	s_and_b32 vcc_lo, exec_lo, s23
	s_cbranch_vccz .LBB126_213
; %bb.199:                              ;   in Loop: Header=BB126_33 Depth=1
	ds_load_b64 v[2:3], v13 offset:5120
	s_waitcnt lgkmcnt(0)
	s_barrier
	buffer_gl0_inv
	v_readfirstlane_b32 s10, v2
	v_readfirstlane_b32 s11, v3
	s_and_saveexec_b32 s4, s0
	s_cbranch_execz .LBB126_201
; %bb.200:                              ;   in Loop: Header=BB126_33 Depth=1
	ds_store_b32 v24, v13
.LBB126_201:                            ;   in Loop: Header=BB126_33 Depth=1
	s_or_b32 exec_lo, exec_lo, s4
	s_lshl_b32 s4, 2, s17
	s_and_b32 s5, s101, s18
	s_or_b32 s102, s102, s16
	s_or_b32 s101, s5, s4
	s_cmp_eq_u64 s[10:11], 0
	s_waitcnt lgkmcnt(0)
	s_barrier
	buffer_gl0_inv
	s_cbranch_scc1 .LBB126_216
; %bb.202:                              ;   in Loop: Header=BB126_33 Depth=1
	s_add_u32 s21, s83, s10
	s_addc_u32 s5, s84, s11
	s_mov_b32 s4, s67
	s_delay_alu instid0(SALU_CYCLE_1)
	s_cmp_lg_u64 s[4:5], 0
	s_cbranch_scc0 .LBB126_261
; %bb.203:                              ;   in Loop: Header=BB126_33 Depth=1
	v_cvt_f32_u32_e32 v2, s35
	s_sub_u32 s66, 0, s35
	s_subb_u32 s68, 0, 0
	s_delay_alu instid0(VALU_DEP_1) | instskip(NEXT) | instid1(VALU_DEP_1)
	v_fmac_f32_e64 v2, 0, 0x4f800000
	v_rcp_f32_e32 v2, v2
	s_waitcnt_depctr 0xfff
	v_mul_f32_e32 v2, 0x5f7ffffc, v2
	s_delay_alu instid0(VALU_DEP_1) | instskip(NEXT) | instid1(VALU_DEP_1)
	v_mul_f32_e32 v3, 0x2f800000, v2
	v_trunc_f32_e32 v3, v3
	s_delay_alu instid0(VALU_DEP_1) | instskip(SKIP_1) | instid1(VALU_DEP_2)
	v_fmac_f32_e32 v2, 0xcf800000, v3
	v_cvt_u32_f32_e32 v3, v3
	v_cvt_u32_f32_e32 v2, v2
	s_delay_alu instid0(VALU_DEP_2) | instskip(NEXT) | instid1(VALU_DEP_2)
	v_readfirstlane_b32 s4, v3
	v_readfirstlane_b32 s22, v2
	s_delay_alu instid0(VALU_DEP_2) | instskip(NEXT) | instid1(VALU_DEP_1)
	s_mul_i32 s72, s66, s4
	s_mul_hi_u32 s74, s66, s22
	s_mul_i32 s73, s68, s22
	s_add_i32 s72, s74, s72
	s_mul_i32 s75, s66, s22
	s_add_i32 s72, s72, s73
	s_mul_hi_u32 s74, s22, s75
	s_mul_hi_u32 s76, s4, s75
	s_mul_i32 s73, s4, s75
	s_mul_hi_u32 s75, s22, s72
	s_mul_i32 s22, s22, s72
	s_mul_hi_u32 s77, s4, s72
	s_add_u32 s22, s74, s22
	s_addc_u32 s74, 0, s75
	s_add_u32 s22, s22, s73
	s_mul_i32 s72, s4, s72
	s_addc_u32 s22, s74, s76
	s_addc_u32 s73, s77, 0
	s_add_u32 s22, s22, s72
	s_addc_u32 s72, 0, s73
	v_add_co_u32 v2, s22, v2, s22
	s_delay_alu instid0(VALU_DEP_1) | instskip(SKIP_1) | instid1(VALU_DEP_1)
	s_cmp_lg_u32 s22, 0
	s_addc_u32 s4, s4, s72
	v_readfirstlane_b32 s22, v2
	s_mul_i32 s72, s66, s4
	s_delay_alu instid0(VALU_DEP_1)
	s_mul_hi_u32 s73, s66, s22
	s_mul_i32 s68, s68, s22
	s_add_i32 s72, s73, s72
	s_mul_i32 s66, s66, s22
	s_add_i32 s72, s72, s68
	s_mul_hi_u32 s73, s4, s66
	s_mul_i32 s74, s4, s66
	s_mul_hi_u32 s66, s22, s66
	s_mul_hi_u32 s75, s22, s72
	s_mul_i32 s22, s22, s72
	s_mul_hi_u32 s68, s4, s72
	s_add_u32 s22, s66, s22
	s_addc_u32 s66, 0, s75
	s_add_u32 s22, s22, s74
	s_mul_i32 s72, s4, s72
	s_addc_u32 s22, s66, s73
	s_addc_u32 s66, s68, 0
	s_add_u32 s22, s22, s72
	s_addc_u32 s66, 0, s66
	v_add_co_u32 v2, s22, v2, s22
	s_delay_alu instid0(VALU_DEP_1) | instskip(SKIP_1) | instid1(VALU_DEP_1)
	s_cmp_lg_u32 s22, 0
	s_addc_u32 s4, s4, s66
	v_readfirstlane_b32 s22, v2
	s_mul_i32 s68, s21, s4
	s_mul_hi_u32 s66, s21, s4
	s_mul_hi_u32 s72, s5, s4
	s_mul_i32 s4, s5, s4
	s_mul_hi_u32 s73, s21, s22
	s_mul_hi_u32 s74, s5, s22
	s_mul_i32 s22, s5, s22
	s_add_u32 s68, s73, s68
	s_addc_u32 s66, 0, s66
	s_add_u32 s22, s68, s22
	s_addc_u32 s22, s66, s74
	s_addc_u32 s66, s72, 0
	s_add_u32 s4, s22, s4
	s_addc_u32 s22, 0, s66
	s_mul_hi_u32 s66, s35, s4
	s_mul_i32 s4, s35, s4
	s_mul_i32 s22, s35, s22
	v_sub_co_u32 v2, s4, s21, s4
	s_add_i32 s66, s66, s22
	s_cmp_lg_u32 s4, 0
	s_delay_alu instid0(VALU_DEP_1) | instskip(SKIP_2) | instid1(VALU_DEP_1)
	v_sub_co_u32 v3, s4, v2, s35
	s_subb_u32 s22, s5, s66
	s_cmp_lg_u32 s4, 0
	v_cmp_le_u32_e32 vcc_lo, s35, v3
	v_sub_co_u32 v4, s4, v3, s35
	s_subb_u32 s66, s22, 0
	s_cmp_lg_u32 s4, 0
	v_cndmask_b32_e64 v5, 0, -1, vcc_lo
	s_subb_u32 s4, s66, 0
	s_cmp_eq_u32 s66, 0
	v_mov_b32_e32 v7, s4
	s_cselect_b32 vcc_lo, -1, 0
	s_cmp_eq_u32 s22, 0
	v_cndmask_b32_e32 v5, -1, v5, vcc_lo
	v_cmp_le_u32_e32 vcc_lo, s35, v2
	s_cselect_b32 s4, -1, 0
	v_cndmask_b32_e64 v6, 0, -1, vcc_lo
	s_delay_alu instid0(VALU_DEP_3) | instskip(NEXT) | instid1(VALU_DEP_2)
	v_cmp_ne_u32_e32 vcc_lo, 0, v5
	v_cndmask_b32_e64 v5, -1, v6, s4
	v_cndmask_b32_e32 v6, s66, v7, vcc_lo
	v_cndmask_b32_e32 v4, v3, v4, vcc_lo
	s_delay_alu instid0(VALU_DEP_3) | instskip(NEXT) | instid1(VALU_DEP_3)
	v_cmp_ne_u32_e32 vcc_lo, 0, v5
	v_cndmask_b32_e32 v3, s22, v6, vcc_lo
	s_delay_alu instid0(VALU_DEP_3)
	v_cndmask_b32_e32 v2, v2, v4, vcc_lo
	s_cbranch_execnz .LBB126_205
.LBB126_204:                            ;   in Loop: Header=BB126_33 Depth=1
	v_cvt_f32_u32_e32 v2, s35
	s_sub_i32 s4, 0, s35
	s_delay_alu instid0(VALU_DEP_1) | instskip(SKIP_2) | instid1(VALU_DEP_1)
	v_rcp_iflag_f32_e32 v2, v2
	s_waitcnt_depctr 0xfff
	v_mul_f32_e32 v2, 0x4f7ffffe, v2
	v_cvt_u32_f32_e32 v2, v2
	s_delay_alu instid0(VALU_DEP_1) | instskip(NEXT) | instid1(VALU_DEP_1)
	v_mul_lo_u32 v3, s4, v2
	v_mul_hi_u32 v3, v2, v3
	s_delay_alu instid0(VALU_DEP_1) | instskip(NEXT) | instid1(VALU_DEP_1)
	v_add_nc_u32_e32 v2, v2, v3
	v_mul_hi_u32 v2, s21, v2
	s_delay_alu instid0(VALU_DEP_1) | instskip(NEXT) | instid1(VALU_DEP_1)
	v_mul_lo_u32 v2, v2, s35
	v_sub_nc_u32_e32 v2, s21, v2
	s_delay_alu instid0(VALU_DEP_1) | instskip(SKIP_1) | instid1(VALU_DEP_2)
	v_subrev_nc_u32_e32 v3, s35, v2
	v_cmp_le_u32_e32 vcc_lo, s35, v2
	v_cndmask_b32_e32 v2, v2, v3, vcc_lo
	s_delay_alu instid0(VALU_DEP_1) | instskip(SKIP_1) | instid1(VALU_DEP_2)
	v_subrev_nc_u32_e32 v3, s35, v2
	v_cmp_le_u32_e32 vcc_lo, s35, v2
	v_cndmask_b32_e32 v12, v2, v3, vcc_lo
	s_delay_alu instid0(VALU_DEP_1)
	v_dual_mov_b32 v2, v12 :: v_dual_mov_b32 v3, v13
.LBB126_205:                            ;   in Loop: Header=BB126_33 Depth=1
	s_delay_alu instid0(VALU_DEP_1) | instskip(NEXT) | instid1(VALU_DEP_2)
	v_sub_co_u32 v2, vcc_lo, s21, v2
	v_sub_co_ci_u32_e32 v3, vcc_lo, s5, v3, vcc_lo
	s_mov_b32 s4, 0
	s_mov_b32 s5, exec_lo
                                        ; implicit-def: $vgpr18
	s_delay_alu instid0(VALU_DEP_1)
	v_cmpx_gt_u64_e64 v[2:3], v[0:1]
	s_cbranch_execz .LBB126_218
; %bb.206:                              ;   in Loop: Header=BB126_33 Depth=1
	v_dual_mov_b32 v6, v10 :: v_dual_mov_b32 v5, v1
	v_mov_b32_e32 v4, v0
	s_mov_b32 s21, 0
                                        ; implicit-def: $sgpr22
	s_set_inst_prefetch_distance 0x1
	s_branch .LBB126_208
	.p2align	6
.LBB126_207:                            ;   in Loop: Header=BB126_208 Depth=2
	s_or_b32 exec_lo, exec_lo, s4
	s_waitcnt lgkmcnt(0)
	s_barrier
	buffer_gl0_inv
	ds_load_b64 v[17:18], v13 offset:3072
	v_add_co_u32 v4, vcc_lo, v4, s35
	v_add_co_ci_u32_e32 v5, vcc_lo, 0, v5, vcc_lo
	v_add_nc_u32_e32 v6, s91, v6
	s_waitcnt lgkmcnt(0)
	s_barrier
	s_delay_alu instid0(VALU_DEP_2) | instskip(SKIP_2) | instid1(VALU_DEP_1)
	v_cmp_ge_u64_e32 vcc_lo, v[4:5], v[2:3]
	buffer_gl0_inv
	v_cmp_neq_f32_e64 s4, 0, v17
	s_or_b32 s66, vcc_lo, s4
	s_delay_alu instid0(SALU_CYCLE_1) | instskip(NEXT) | instid1(SALU_CYCLE_1)
	s_and_b32 s66, exec_lo, s66
	s_or_b32 s21, s66, s21
	s_and_not1_b32 s22, s22, exec_lo
	s_and_b32 s4, s4, exec_lo
	s_delay_alu instid0(SALU_CYCLE_1)
	s_or_b32 s22, s22, s4
	s_and_not1_b32 exec_lo, exec_lo, s21
	s_cbranch_execz .LBB126_217
.LBB126_208:                            ;   Parent Loop BB126_33 Depth=1
                                        ; =>  This Inner Loop Header: Depth=2
	s_delay_alu instid0(VALU_DEP_1)
	v_cmp_gt_u64_e32 vcc_lo, s[10:11], v[4:5]
	v_mov_b32_e32 v17, 0
	s_and_saveexec_b32 s4, vcc_lo
	s_cbranch_execz .LBB126_210
; %bb.209:                              ;   in Loop: Header=BB126_208 Depth=2
	ds_load_b32 v17, v6
.LBB126_210:                            ;   in Loop: Header=BB126_208 Depth=2
	s_or_b32 exec_lo, exec_lo, s4
	s_and_saveexec_b32 s4, vcc_lo
	s_cbranch_execz .LBB126_207
; %bb.211:                              ;   in Loop: Header=BB126_208 Depth=2
	s_waitcnt lgkmcnt(0)
	v_cmp_lt_i32_e32 vcc_lo, -1, v17
	v_cndmask_b32_e64 v7, -1, 0x80000000, vcc_lo
	v_cmp_o_f32_e32 vcc_lo, v17, v17
	s_delay_alu instid0(VALU_DEP_2) | instskip(NEXT) | instid1(VALU_DEP_1)
	v_xor_b32_e32 v7, v7, v17
	v_cndmask_b32_e32 v7, -1, v7, vcc_lo
	s_delay_alu instid0(VALU_DEP_1) | instskip(NEXT) | instid1(VALU_DEP_1)
	v_and_b32_e32 v7, s102, v7
	v_cmp_eq_u32_e32 vcc_lo, s101, v7
	s_and_b32 exec_lo, exec_lo, vcc_lo
	s_cbranch_execz .LBB126_207
; %bb.212:                              ;   in Loop: Header=BB126_208 Depth=2
	ds_store_b64 v13, v[16:17] offset:3072
	s_branch .LBB126_207
.LBB126_213:                            ;   in Loop: Header=BB126_33 Depth=1
                                        ; implicit-def: $sgpr10
                                        ; implicit-def: $sgpr21
                                        ; implicit-def: $sgpr11
	s_branch .LBB126_232
.LBB126_214:                            ;   in Loop: Header=BB126_33 Depth=1
                                        ; implicit-def: $vgpr2_vgpr3
	s_branch .LBB126_157
.LBB126_215:                            ;   in Loop: Header=BB126_33 Depth=1
                                        ; implicit-def: $vgpr2_vgpr3
	s_branch .LBB126_174
.LBB126_216:                            ;   in Loop: Header=BB126_33 Depth=1
	s_mov_b32 s10, -1
	s_mov_b32 s4, 0
                                        ; implicit-def: $sgpr11
                                        ; implicit-def: $vgpr18
	s_mov_b32 s21, s10
	s_cbranch_execnz .LBB126_219
	s_branch .LBB126_232
.LBB126_217:                            ;   in Loop: Header=BB126_33 Depth=1
	s_set_inst_prefetch_distance 0x2
	s_or_b32 exec_lo, exec_lo, s21
	s_delay_alu instid0(SALU_CYCLE_1)
	s_and_b32 s4, s22, exec_lo
.LBB126_218:                            ;   in Loop: Header=BB126_33 Depth=1
	s_or_b32 exec_lo, exec_lo, s5
	s_mov_b32 s11, -1
	s_mov_b32 s10, 0
	s_delay_alu instid0(SALU_CYCLE_1)
	s_mov_b32 s21, s10
	s_branch .LBB126_232
.LBB126_219:                            ;   in Loop: Header=BB126_33 Depth=1
	s_mov_b32 s68, s67
	s_delay_alu instid0(SALU_CYCLE_1)
	s_cmp_lg_u64 s[68:69], 0
	s_cbranch_scc0 .LBB126_262
; %bb.220:                              ;   in Loop: Header=BB126_33 Depth=1
	v_cvt_f32_u32_e32 v2, s35
	s_sub_u32 s10, 0, s35
	s_subb_u32 s11, 0, 0
	s_delay_alu instid0(VALU_DEP_1) | instskip(NEXT) | instid1(VALU_DEP_1)
	v_fmac_f32_e64 v2, 0, 0x4f800000
	v_rcp_f32_e32 v2, v2
	s_waitcnt_depctr 0xfff
	v_mul_f32_e32 v2, 0x5f7ffffc, v2
	s_delay_alu instid0(VALU_DEP_1) | instskip(NEXT) | instid1(VALU_DEP_1)
	v_mul_f32_e32 v3, 0x2f800000, v2
	v_trunc_f32_e32 v3, v3
	s_delay_alu instid0(VALU_DEP_1) | instskip(SKIP_1) | instid1(VALU_DEP_2)
	v_fmac_f32_e32 v2, 0xcf800000, v3
	v_cvt_u32_f32_e32 v3, v3
	v_cvt_u32_f32_e32 v2, v2
	s_delay_alu instid0(VALU_DEP_2) | instskip(NEXT) | instid1(VALU_DEP_2)
	v_readfirstlane_b32 s4, v3
	v_readfirstlane_b32 s5, v2
	s_delay_alu instid0(VALU_DEP_2) | instskip(NEXT) | instid1(VALU_DEP_1)
	s_mul_i32 s21, s10, s4
	s_mul_hi_u32 s66, s10, s5
	s_mul_i32 s22, s11, s5
	s_add_i32 s21, s66, s21
	s_mul_i32 s68, s10, s5
	s_add_i32 s21, s21, s22
	s_mul_hi_u32 s66, s5, s68
	s_mul_hi_u32 s72, s4, s68
	s_mul_i32 s22, s4, s68
	s_mul_hi_u32 s68, s5, s21
	s_mul_i32 s5, s5, s21
	s_mul_hi_u32 s73, s4, s21
	s_add_u32 s5, s66, s5
	s_addc_u32 s66, 0, s68
	s_add_u32 s5, s5, s22
	s_mul_i32 s21, s4, s21
	s_addc_u32 s5, s66, s72
	s_addc_u32 s22, s73, 0
	s_add_u32 s5, s5, s21
	s_addc_u32 s21, 0, s22
	v_add_co_u32 v2, s5, v2, s5
	s_delay_alu instid0(VALU_DEP_1) | instskip(SKIP_1) | instid1(VALU_DEP_1)
	s_cmp_lg_u32 s5, 0
	s_addc_u32 s4, s4, s21
	v_readfirstlane_b32 s5, v2
	s_mul_i32 s21, s10, s4
	s_delay_alu instid0(VALU_DEP_1)
	s_mul_hi_u32 s22, s10, s5
	s_mul_i32 s11, s11, s5
	s_add_i32 s21, s22, s21
	s_mul_i32 s10, s10, s5
	s_add_i32 s21, s21, s11
	s_mul_hi_u32 s22, s4, s10
	s_mul_i32 s66, s4, s10
	s_mul_hi_u32 s10, s5, s10
	s_mul_hi_u32 s68, s5, s21
	s_mul_i32 s5, s5, s21
	s_mul_hi_u32 s11, s4, s21
	s_add_u32 s5, s10, s5
	s_addc_u32 s10, 0, s68
	s_add_u32 s5, s5, s66
	s_mul_i32 s21, s4, s21
	s_addc_u32 s5, s10, s22
	s_addc_u32 s10, s11, 0
	s_add_u32 s5, s5, s21
	s_addc_u32 s10, 0, s10
	v_add_co_u32 v2, s5, v2, s5
	s_delay_alu instid0(VALU_DEP_1) | instskip(SKIP_1) | instid1(VALU_DEP_1)
	s_cmp_lg_u32 s5, 0
	s_addc_u32 s4, s4, s10
	v_readfirstlane_b32 s5, v2
	s_mul_i32 s11, s85, s4
	s_mul_hi_u32 s10, s85, s4
	s_mul_hi_u32 s21, s69, s4
	s_mul_i32 s4, s69, s4
	s_mul_hi_u32 s22, s85, s5
	s_mul_hi_u32 s66, s69, s5
	s_mul_i32 s5, s69, s5
	s_add_u32 s11, s22, s11
	s_addc_u32 s10, 0, s10
	s_add_u32 s5, s11, s5
	s_addc_u32 s5, s10, s66
	s_addc_u32 s10, s21, 0
	s_add_u32 s4, s5, s4
	s_addc_u32 s5, 0, s10
	s_mul_hi_u32 s10, s35, s4
	s_mul_i32 s4, s35, s4
	s_mul_i32 s5, s35, s5
	v_sub_co_u32 v2, s4, s85, s4
	s_add_i32 s10, s10, s5
	s_cmp_lg_u32 s4, 0
	s_delay_alu instid0(VALU_DEP_1) | instskip(SKIP_2) | instid1(VALU_DEP_1)
	v_sub_co_u32 v3, s4, v2, s35
	s_subb_u32 s5, s69, s10
	s_cmp_lg_u32 s4, 0
	v_cmp_le_u32_e32 vcc_lo, s35, v3
	v_sub_co_u32 v4, s4, v3, s35
	s_subb_u32 s10, s5, 0
	s_cmp_lg_u32 s4, 0
	v_cndmask_b32_e64 v5, 0, -1, vcc_lo
	s_subb_u32 s4, s10, 0
	s_cmp_eq_u32 s10, 0
	v_mov_b32_e32 v7, s4
	s_cselect_b32 vcc_lo, -1, 0
	s_cmp_eq_u32 s5, 0
	v_cndmask_b32_e32 v5, -1, v5, vcc_lo
	v_cmp_le_u32_e32 vcc_lo, s35, v2
	s_cselect_b32 s4, -1, 0
	v_cndmask_b32_e64 v6, 0, -1, vcc_lo
	s_delay_alu instid0(VALU_DEP_3) | instskip(NEXT) | instid1(VALU_DEP_2)
	v_cmp_ne_u32_e32 vcc_lo, 0, v5
	v_cndmask_b32_e64 v5, -1, v6, s4
	v_cndmask_b32_e32 v6, s10, v7, vcc_lo
	v_cndmask_b32_e32 v4, v3, v4, vcc_lo
	s_delay_alu instid0(VALU_DEP_3) | instskip(NEXT) | instid1(VALU_DEP_3)
	v_cmp_ne_u32_e32 vcc_lo, 0, v5
	v_cndmask_b32_e32 v3, s5, v6, vcc_lo
	s_delay_alu instid0(VALU_DEP_3)
	v_cndmask_b32_e32 v2, v2, v4, vcc_lo
	s_cbranch_execnz .LBB126_222
.LBB126_221:                            ;   in Loop: Header=BB126_33 Depth=1
	v_cvt_f32_u32_e32 v2, s35
	s_sub_i32 s4, 0, s35
	s_delay_alu instid0(VALU_DEP_1) | instskip(SKIP_2) | instid1(VALU_DEP_1)
	v_rcp_iflag_f32_e32 v2, v2
	s_waitcnt_depctr 0xfff
	v_mul_f32_e32 v2, 0x4f7ffffe, v2
	v_cvt_u32_f32_e32 v2, v2
	s_delay_alu instid0(VALU_DEP_1) | instskip(NEXT) | instid1(VALU_DEP_1)
	v_mul_lo_u32 v3, s4, v2
	v_mul_hi_u32 v3, v2, v3
	s_delay_alu instid0(VALU_DEP_1) | instskip(NEXT) | instid1(VALU_DEP_1)
	v_add_nc_u32_e32 v2, v2, v3
	v_mul_hi_u32 v2, s85, v2
	s_delay_alu instid0(VALU_DEP_1) | instskip(NEXT) | instid1(VALU_DEP_1)
	v_mul_lo_u32 v2, v2, s35
	v_sub_nc_u32_e32 v2, s85, v2
	s_delay_alu instid0(VALU_DEP_1) | instskip(SKIP_1) | instid1(VALU_DEP_2)
	v_subrev_nc_u32_e32 v3, s35, v2
	v_cmp_le_u32_e32 vcc_lo, s35, v2
	v_cndmask_b32_e32 v2, v2, v3, vcc_lo
	s_delay_alu instid0(VALU_DEP_1) | instskip(SKIP_1) | instid1(VALU_DEP_2)
	v_subrev_nc_u32_e32 v3, s35, v2
	v_cmp_le_u32_e32 vcc_lo, s35, v2
	v_cndmask_b32_e32 v12, v2, v3, vcc_lo
	s_delay_alu instid0(VALU_DEP_1)
	v_dual_mov_b32 v2, v12 :: v_dual_mov_b32 v3, v13
.LBB126_222:                            ;   in Loop: Header=BB126_33 Depth=1
	s_delay_alu instid0(VALU_DEP_1) | instskip(NEXT) | instid1(VALU_DEP_2)
	v_sub_co_u32 v2, vcc_lo, s85, v2
	v_sub_co_ci_u32_e32 v3, vcc_lo, s69, v3, vcc_lo
	s_mov_b32 s4, 0
	s_mov_b32 s5, exec_lo
                                        ; implicit-def: $vgpr18
	s_delay_alu instid0(VALU_DEP_1)
	v_cmpx_gt_u64_e64 v[2:3], v[0:1]
	s_cbranch_execz .LBB126_231
; %bb.223:                              ;   in Loop: Header=BB126_33 Depth=1
	v_dual_mov_b32 v5, v1 :: v_dual_mov_b32 v4, v0
	s_mov_b32 s10, 0
                                        ; implicit-def: $sgpr11
	s_branch .LBB126_225
.LBB126_224:                            ;   in Loop: Header=BB126_225 Depth=2
	s_or_b32 exec_lo, exec_lo, s4
	s_waitcnt vmcnt(0) lgkmcnt(0)
	s_barrier
	buffer_gl0_inv
	ds_load_b64 v[17:18], v13 offset:3072
	v_add_co_u32 v4, vcc_lo, v4, s35
	v_add_co_ci_u32_e32 v5, vcc_lo, 0, v5, vcc_lo
	s_waitcnt lgkmcnt(0)
	s_barrier
	buffer_gl0_inv
	v_cmp_ge_u64_e32 vcc_lo, v[4:5], v[2:3]
	v_cmp_neq_f32_e64 s4, 0, v17
	s_delay_alu instid0(VALU_DEP_1) | instskip(NEXT) | instid1(SALU_CYCLE_1)
	s_or_b32 s21, vcc_lo, s4
	s_and_b32 s21, exec_lo, s21
	s_delay_alu instid0(SALU_CYCLE_1) | instskip(SKIP_2) | instid1(SALU_CYCLE_1)
	s_or_b32 s10, s21, s10
	s_and_not1_b32 s11, s11, exec_lo
	s_and_b32 s4, s4, exec_lo
	s_or_b32 s11, s11, s4
	s_and_not1_b32 exec_lo, exec_lo, s10
	s_cbranch_execz .LBB126_230
.LBB126_225:                            ;   Parent Loop BB126_33 Depth=1
                                        ; =>  This Inner Loop Header: Depth=2
	s_delay_alu instid0(VALU_DEP_1)
	v_cmp_gt_u64_e32 vcc_lo, s[24:25], v[4:5]
	v_mov_b32_e32 v17, 0
	s_and_saveexec_b32 s21, vcc_lo
	s_cbranch_execz .LBB126_227
; %bb.226:                              ;   in Loop: Header=BB126_225 Depth=2
	v_mul_lo_u32 v8, v5, s50
	v_mul_lo_u32 v9, v4, s51
	v_mad_u64_u32 v[6:7], null, v4, s50, 0
	s_delay_alu instid0(VALU_DEP_1) | instskip(NEXT) | instid1(VALU_DEP_1)
	v_add3_u32 v7, v7, v9, v8
	v_lshlrev_b64 v[6:7], 2, v[6:7]
	s_delay_alu instid0(VALU_DEP_1) | instskip(NEXT) | instid1(VALU_DEP_1)
	v_add_co_u32 v6, s4, s27, v6
	v_add_co_ci_u32_e64 v7, s4, s33, v7, s4
	global_load_b32 v17, v[6:7], off
.LBB126_227:                            ;   in Loop: Header=BB126_225 Depth=2
	s_or_b32 exec_lo, exec_lo, s21
	s_and_saveexec_b32 s4, vcc_lo
	s_cbranch_execz .LBB126_224
; %bb.228:                              ;   in Loop: Header=BB126_225 Depth=2
	s_waitcnt vmcnt(0)
	v_cmp_lt_i32_e32 vcc_lo, -1, v17
	v_cndmask_b32_e64 v6, -1, 0x80000000, vcc_lo
	v_cmp_o_f32_e32 vcc_lo, v17, v17
	s_delay_alu instid0(VALU_DEP_2) | instskip(NEXT) | instid1(VALU_DEP_1)
	v_xor_b32_e32 v6, v6, v17
	v_cndmask_b32_e32 v6, -1, v6, vcc_lo
	s_delay_alu instid0(VALU_DEP_1) | instskip(NEXT) | instid1(VALU_DEP_1)
	v_and_b32_e32 v6, s102, v6
	v_cmp_eq_u32_e32 vcc_lo, s101, v6
	s_and_b32 exec_lo, exec_lo, vcc_lo
	s_cbranch_execz .LBB126_224
; %bb.229:                              ;   in Loop: Header=BB126_225 Depth=2
	ds_store_b64 v13, v[16:17] offset:3072
	s_branch .LBB126_224
.LBB126_230:                            ;   in Loop: Header=BB126_33 Depth=1
	s_or_b32 exec_lo, exec_lo, s10
	s_delay_alu instid0(SALU_CYCLE_1)
	s_and_b32 s4, s11, exec_lo
.LBB126_231:                            ;   in Loop: Header=BB126_33 Depth=1
	s_or_b32 exec_lo, exec_lo, s5
	s_mov_b32 s21, -1
	s_mov_b32 s10, 0
	s_mov_b32 s11, 0
.LBB126_232:                            ;   in Loop: Header=BB126_33 Depth=1
	s_mov_b32 s5, 0
                                        ; implicit-def: $sgpr66
	s_and_saveexec_b32 s22, s4
	s_cbranch_execz .LBB126_294
; %bb.233:                              ;   in Loop: Header=BB126_33 Depth=1
	s_xor_b32 s4, s23, -1
	s_mov_b32 s66, 1
	s_and_not1_b32 vcc_lo, exec_lo, s4
	s_cbranch_vccnz .LBB126_244
; %bb.234:                              ;   in Loop: Header=BB126_33 Depth=1
	v_cmp_gt_u64_e64 s4, s[64:65], s[8:9]
                                        ; implicit-def: $sgpr66
                                        ; implicit-def: $sgpr5
                                        ; implicit-def: $sgpr23
	s_delay_alu instid0(VALU_DEP_1)
	s_and_b32 vcc_lo, exec_lo, s4
	s_mov_b32 s4, -1
	s_cbranch_vccnz .LBB126_240
; %bb.235:                              ;   in Loop: Header=BB126_33 Depth=1
	ds_load_b64 v[2:3], v13 offset:5120
	s_waitcnt lgkmcnt(0)
	v_cmp_ne_u64_e32 vcc_lo, 0, v[2:3]
	s_cbranch_vccnz .LBB126_239
; %bb.236:                              ;   in Loop: Header=BB126_33 Depth=1
	s_and_saveexec_b32 s4, s3
	s_cbranch_execz .LBB126_238
; %bb.237:                              ;   in Loop: Header=BB126_33 Depth=1
	v_dual_mov_b32 v2, s8 :: v_dual_mov_b32 v3, s9
	ds_store_b64 v13, v[2:3] offset:5128
.LBB126_238:                            ;   in Loop: Header=BB126_33 Depth=1
	s_or_b32 exec_lo, exec_lo, s4
	s_waitcnt lgkmcnt(0)
	s_barrier
	buffer_gl0_inv
.LBB126_239:                            ;   in Loop: Header=BB126_33 Depth=1
	s_lshl_b32 s4, 2, s17
	s_and_b32 s5, s101, s18
	s_or_b32 s23, s102, s16
	s_or_b32 s5, s5, s4
	s_mov_b32 s4, 0
	s_mov_b32 s66, 8
.LBB126_240:                            ;   in Loop: Header=BB126_33 Depth=1
	s_and_not1_b32 vcc_lo, exec_lo, s4
	s_cbranch_vccnz .LBB126_242
; %bb.241:                              ;   in Loop: Header=BB126_33 Depth=1
	s_sub_u32 s64, s64, s8
	s_subb_u32 s65, s65, s9
	s_mov_b32 s4, -1
	s_mov_b32 s66, 0
	s_mov_b32 s5, s101
	s_mov_b32 s23, s102
.LBB126_242:                            ;   in Loop: Header=BB126_33 Depth=1
	s_delay_alu instid0(SALU_CYCLE_1)
	s_mov_b32 s102, s23
	s_mov_b32 s101, s5
	s_and_not1_b32 vcc_lo, exec_lo, s4
	s_mov_b32 s72, -1
	s_cbranch_vccz .LBB126_245
.LBB126_243:                            ;   in Loop: Header=BB126_33 Depth=1
                                        ; implicit-def: $sgpr8
                                        ; implicit-def: $sgpr18
                                        ; implicit-def: $sgpr9
	s_branch .LBB126_293
.LBB126_244:                            ;   in Loop: Header=BB126_33 Depth=1
	s_mov_b64 s[64:65], 1
	s_mov_b32 s72, -1
	s_cbranch_execnz .LBB126_243
.LBB126_245:                            ;   in Loop: Header=BB126_33 Depth=1
	s_cmp_eq_u64 s[6:7], 1
	s_mov_b32 s23, -1
	s_cselect_b32 s4, -1, 0
	s_cmp_eq_u64 s[64:65], 1
	s_cselect_b32 s5, -1, 0
	s_delay_alu instid0(SALU_CYCLE_1) | instskip(NEXT) | instid1(SALU_CYCLE_1)
	s_and_b32 s17, s4, s5
	s_and_b32 vcc_lo, exec_lo, s17
	s_cbranch_vccz .LBB126_260
; %bb.246:                              ;   in Loop: Header=BB126_33 Depth=1
	ds_load_b64 v[2:3], v13 offset:5120
	s_waitcnt lgkmcnt(0)
	s_barrier
	buffer_gl0_inv
	v_readfirstlane_b32 s8, v2
	v_readfirstlane_b32 s9, v3
	s_and_saveexec_b32 s4, s0
	s_cbranch_execz .LBB126_248
; %bb.247:                              ;   in Loop: Header=BB126_33 Depth=1
	ds_store_b32 v24, v13
.LBB126_248:                            ;   in Loop: Header=BB126_33 Depth=1
	s_or_b32 exec_lo, exec_lo, s4
	s_or_b32 s101, s101, s16
	s_or_b32 s102, s102, s16
	s_cmp_eq_u64 s[8:9], 0
	s_waitcnt lgkmcnt(0)
	s_barrier
	buffer_gl0_inv
	s_cbranch_scc1 .LBB126_263
; %bb.249:                              ;   in Loop: Header=BB126_33 Depth=1
	s_add_u32 s18, s83, s8
	s_addc_u32 s5, s84, s9
	s_mov_b32 s4, s67
	s_delay_alu instid0(SALU_CYCLE_1)
	s_cmp_lg_u64 s[4:5], 0
	s_cbranch_scc0 .LBB126_299
; %bb.250:                              ;   in Loop: Header=BB126_33 Depth=1
	v_cvt_f32_u32_e32 v2, s35
	s_sub_u32 s66, 0, s35
	s_subb_u32 s68, 0, 0
	s_delay_alu instid0(VALU_DEP_1) | instskip(NEXT) | instid1(VALU_DEP_1)
	v_fmac_f32_e64 v2, 0, 0x4f800000
	v_rcp_f32_e32 v2, v2
	s_waitcnt_depctr 0xfff
	v_mul_f32_e32 v2, 0x5f7ffffc, v2
	s_delay_alu instid0(VALU_DEP_1) | instskip(NEXT) | instid1(VALU_DEP_1)
	v_mul_f32_e32 v3, 0x2f800000, v2
	v_trunc_f32_e32 v3, v3
	s_delay_alu instid0(VALU_DEP_1) | instskip(SKIP_1) | instid1(VALU_DEP_2)
	v_fmac_f32_e32 v2, 0xcf800000, v3
	v_cvt_u32_f32_e32 v3, v3
	v_cvt_u32_f32_e32 v2, v2
	s_delay_alu instid0(VALU_DEP_2) | instskip(NEXT) | instid1(VALU_DEP_2)
	v_readfirstlane_b32 s4, v3
	v_readfirstlane_b32 s23, v2
	s_delay_alu instid0(VALU_DEP_2) | instskip(NEXT) | instid1(VALU_DEP_1)
	s_mul_i32 s72, s66, s4
	s_mul_hi_u32 s74, s66, s23
	s_mul_i32 s73, s68, s23
	s_add_i32 s72, s74, s72
	s_mul_i32 s75, s66, s23
	s_add_i32 s72, s72, s73
	s_mul_hi_u32 s74, s23, s75
	s_mul_hi_u32 s76, s4, s75
	s_mul_i32 s73, s4, s75
	s_mul_hi_u32 s75, s23, s72
	s_mul_i32 s23, s23, s72
	s_mul_hi_u32 s77, s4, s72
	s_add_u32 s23, s74, s23
	s_addc_u32 s74, 0, s75
	s_add_u32 s23, s23, s73
	s_mul_i32 s72, s4, s72
	s_addc_u32 s23, s74, s76
	s_addc_u32 s73, s77, 0
	s_add_u32 s23, s23, s72
	s_addc_u32 s72, 0, s73
	v_add_co_u32 v2, s23, v2, s23
	s_delay_alu instid0(VALU_DEP_1) | instskip(SKIP_1) | instid1(VALU_DEP_1)
	s_cmp_lg_u32 s23, 0
	s_addc_u32 s4, s4, s72
	v_readfirstlane_b32 s23, v2
	s_mul_i32 s72, s66, s4
	s_delay_alu instid0(VALU_DEP_1)
	s_mul_hi_u32 s73, s66, s23
	s_mul_i32 s68, s68, s23
	s_add_i32 s72, s73, s72
	s_mul_i32 s66, s66, s23
	s_add_i32 s72, s72, s68
	s_mul_hi_u32 s73, s4, s66
	s_mul_i32 s74, s4, s66
	s_mul_hi_u32 s66, s23, s66
	s_mul_hi_u32 s75, s23, s72
	s_mul_i32 s23, s23, s72
	s_mul_hi_u32 s68, s4, s72
	s_add_u32 s23, s66, s23
	s_addc_u32 s66, 0, s75
	s_add_u32 s23, s23, s74
	s_mul_i32 s72, s4, s72
	s_addc_u32 s23, s66, s73
	s_addc_u32 s66, s68, 0
	s_add_u32 s23, s23, s72
	s_addc_u32 s66, 0, s66
	v_add_co_u32 v2, s23, v2, s23
	s_delay_alu instid0(VALU_DEP_1) | instskip(SKIP_1) | instid1(VALU_DEP_1)
	s_cmp_lg_u32 s23, 0
	s_addc_u32 s4, s4, s66
	v_readfirstlane_b32 s23, v2
	s_mul_i32 s68, s18, s4
	s_mul_hi_u32 s66, s18, s4
	s_mul_hi_u32 s72, s5, s4
	s_mul_i32 s4, s5, s4
	s_mul_hi_u32 s73, s18, s23
	s_mul_hi_u32 s74, s5, s23
	s_mul_i32 s23, s5, s23
	s_add_u32 s68, s73, s68
	s_addc_u32 s66, 0, s66
	s_add_u32 s23, s68, s23
	s_addc_u32 s23, s66, s74
	s_addc_u32 s66, s72, 0
	s_add_u32 s4, s23, s4
	s_addc_u32 s23, 0, s66
	s_mul_hi_u32 s66, s35, s4
	s_mul_i32 s4, s35, s4
	s_mul_i32 s23, s35, s23
	v_sub_co_u32 v2, s4, s18, s4
	s_add_i32 s66, s66, s23
	s_cmp_lg_u32 s4, 0
	s_delay_alu instid0(VALU_DEP_1) | instskip(SKIP_2) | instid1(VALU_DEP_1)
	v_sub_co_u32 v3, s4, v2, s35
	s_subb_u32 s23, s5, s66
	s_cmp_lg_u32 s4, 0
	v_cmp_le_u32_e32 vcc_lo, s35, v3
	v_sub_co_u32 v4, s4, v3, s35
	s_subb_u32 s66, s23, 0
	s_cmp_lg_u32 s4, 0
	v_cndmask_b32_e64 v5, 0, -1, vcc_lo
	s_subb_u32 s4, s66, 0
	s_cmp_eq_u32 s66, 0
	v_mov_b32_e32 v7, s4
	s_cselect_b32 vcc_lo, -1, 0
	s_cmp_eq_u32 s23, 0
	v_cndmask_b32_e32 v5, -1, v5, vcc_lo
	v_cmp_le_u32_e32 vcc_lo, s35, v2
	s_cselect_b32 s4, -1, 0
	v_cndmask_b32_e64 v6, 0, -1, vcc_lo
	s_delay_alu instid0(VALU_DEP_3) | instskip(NEXT) | instid1(VALU_DEP_2)
	v_cmp_ne_u32_e32 vcc_lo, 0, v5
	v_cndmask_b32_e64 v5, -1, v6, s4
	v_cndmask_b32_e32 v6, s66, v7, vcc_lo
	v_cndmask_b32_e32 v4, v3, v4, vcc_lo
	s_delay_alu instid0(VALU_DEP_3) | instskip(NEXT) | instid1(VALU_DEP_3)
	v_cmp_ne_u32_e32 vcc_lo, 0, v5
	v_cndmask_b32_e32 v3, s23, v6, vcc_lo
	s_delay_alu instid0(VALU_DEP_3)
	v_cndmask_b32_e32 v2, v2, v4, vcc_lo
	s_cbranch_execnz .LBB126_252
.LBB126_251:                            ;   in Loop: Header=BB126_33 Depth=1
	v_cvt_f32_u32_e32 v2, s35
	s_sub_i32 s4, 0, s35
	s_delay_alu instid0(VALU_DEP_1) | instskip(SKIP_2) | instid1(VALU_DEP_1)
	v_rcp_iflag_f32_e32 v2, v2
	s_waitcnt_depctr 0xfff
	v_mul_f32_e32 v2, 0x4f7ffffe, v2
	v_cvt_u32_f32_e32 v2, v2
	s_delay_alu instid0(VALU_DEP_1) | instskip(NEXT) | instid1(VALU_DEP_1)
	v_mul_lo_u32 v3, s4, v2
	v_mul_hi_u32 v3, v2, v3
	s_delay_alu instid0(VALU_DEP_1) | instskip(NEXT) | instid1(VALU_DEP_1)
	v_add_nc_u32_e32 v2, v2, v3
	v_mul_hi_u32 v2, s18, v2
	s_delay_alu instid0(VALU_DEP_1) | instskip(NEXT) | instid1(VALU_DEP_1)
	v_mul_lo_u32 v2, v2, s35
	v_sub_nc_u32_e32 v2, s18, v2
	s_delay_alu instid0(VALU_DEP_1) | instskip(SKIP_1) | instid1(VALU_DEP_2)
	v_subrev_nc_u32_e32 v3, s35, v2
	v_cmp_le_u32_e32 vcc_lo, s35, v2
	v_cndmask_b32_e32 v2, v2, v3, vcc_lo
	s_delay_alu instid0(VALU_DEP_1) | instskip(SKIP_1) | instid1(VALU_DEP_2)
	v_subrev_nc_u32_e32 v3, s35, v2
	v_cmp_le_u32_e32 vcc_lo, s35, v2
	v_cndmask_b32_e32 v12, v2, v3, vcc_lo
	s_delay_alu instid0(VALU_DEP_1)
	v_dual_mov_b32 v2, v12 :: v_dual_mov_b32 v3, v13
.LBB126_252:                            ;   in Loop: Header=BB126_33 Depth=1
	s_delay_alu instid0(VALU_DEP_1) | instskip(NEXT) | instid1(VALU_DEP_2)
	v_sub_co_u32 v2, vcc_lo, s18, v2
	v_sub_co_ci_u32_e32 v3, vcc_lo, s5, v3, vcc_lo
	s_mov_b32 s23, 0
	s_mov_b32 s5, exec_lo
                                        ; implicit-def: $vgpr18
	s_delay_alu instid0(VALU_DEP_1)
	v_cmpx_gt_u64_e64 v[2:3], v[0:1]
	s_cbranch_execz .LBB126_265
; %bb.253:                              ;   in Loop: Header=BB126_33 Depth=1
	v_dual_mov_b32 v6, v10 :: v_dual_mov_b32 v5, v1
	v_mov_b32_e32 v4, v0
	s_mov_b32 s18, 0
                                        ; implicit-def: $sgpr23
	s_set_inst_prefetch_distance 0x1
	s_branch .LBB126_255
	.p2align	6
.LBB126_254:                            ;   in Loop: Header=BB126_255 Depth=2
	s_or_b32 exec_lo, exec_lo, s4
	s_waitcnt lgkmcnt(0)
	s_barrier
	buffer_gl0_inv
	ds_load_b64 v[17:18], v13 offset:3072
	v_add_co_u32 v4, vcc_lo, v4, s35
	v_add_co_ci_u32_e32 v5, vcc_lo, 0, v5, vcc_lo
	v_add_nc_u32_e32 v6, s91, v6
	s_waitcnt lgkmcnt(0)
	s_barrier
	s_delay_alu instid0(VALU_DEP_2) | instskip(SKIP_2) | instid1(VALU_DEP_1)
	v_cmp_ge_u64_e32 vcc_lo, v[4:5], v[2:3]
	buffer_gl0_inv
	v_cmp_neq_f32_e64 s4, 0, v17
	s_or_b32 s66, vcc_lo, s4
	s_delay_alu instid0(SALU_CYCLE_1) | instskip(NEXT) | instid1(SALU_CYCLE_1)
	s_and_b32 s66, exec_lo, s66
	s_or_b32 s18, s66, s18
	s_and_not1_b32 s23, s23, exec_lo
	s_and_b32 s4, s4, exec_lo
	s_delay_alu instid0(SALU_CYCLE_1)
	s_or_b32 s23, s23, s4
	s_and_not1_b32 exec_lo, exec_lo, s18
	s_cbranch_execz .LBB126_264
.LBB126_255:                            ;   Parent Loop BB126_33 Depth=1
                                        ; =>  This Inner Loop Header: Depth=2
	s_delay_alu instid0(VALU_DEP_1)
	v_cmp_gt_u64_e32 vcc_lo, s[8:9], v[4:5]
	v_mov_b32_e32 v17, 0
	s_and_saveexec_b32 s4, vcc_lo
	s_cbranch_execz .LBB126_257
; %bb.256:                              ;   in Loop: Header=BB126_255 Depth=2
	ds_load_b32 v17, v6
.LBB126_257:                            ;   in Loop: Header=BB126_255 Depth=2
	s_or_b32 exec_lo, exec_lo, s4
	s_and_saveexec_b32 s4, vcc_lo
	s_cbranch_execz .LBB126_254
; %bb.258:                              ;   in Loop: Header=BB126_255 Depth=2
	s_waitcnt lgkmcnt(0)
	v_cmp_lt_i32_e32 vcc_lo, -1, v17
	v_cndmask_b32_e64 v7, -1, 0x80000000, vcc_lo
	v_cmp_o_f32_e32 vcc_lo, v17, v17
	s_delay_alu instid0(VALU_DEP_2) | instskip(NEXT) | instid1(VALU_DEP_1)
	v_xor_b32_e32 v7, v7, v17
	v_cndmask_b32_e32 v7, -1, v7, vcc_lo
	s_delay_alu instid0(VALU_DEP_1) | instskip(NEXT) | instid1(VALU_DEP_1)
	v_and_b32_e32 v7, s102, v7
	v_cmp_eq_u32_e32 vcc_lo, s101, v7
	s_and_b32 exec_lo, exec_lo, vcc_lo
	s_cbranch_execz .LBB126_254
; %bb.259:                              ;   in Loop: Header=BB126_255 Depth=2
	ds_store_b64 v13, v[16:17] offset:3072
	s_branch .LBB126_254
.LBB126_260:                            ;   in Loop: Header=BB126_33 Depth=1
                                        ; implicit-def: $sgpr8
                                        ; implicit-def: $sgpr18
                                        ; implicit-def: $sgpr9
	s_branch .LBB126_279
.LBB126_261:                            ;   in Loop: Header=BB126_33 Depth=1
                                        ; implicit-def: $vgpr2_vgpr3
	s_branch .LBB126_204
.LBB126_262:                            ;   in Loop: Header=BB126_33 Depth=1
                                        ; implicit-def: $vgpr2_vgpr3
	s_branch .LBB126_221
.LBB126_263:                            ;   in Loop: Header=BB126_33 Depth=1
	s_mov_b32 s8, -1
	s_mov_b32 s23, 0
                                        ; implicit-def: $sgpr9
                                        ; implicit-def: $vgpr18
	s_mov_b32 s18, s8
	s_cbranch_execnz .LBB126_266
	s_branch .LBB126_279
.LBB126_264:                            ;   in Loop: Header=BB126_33 Depth=1
	s_set_inst_prefetch_distance 0x2
	s_or_b32 exec_lo, exec_lo, s18
	s_delay_alu instid0(SALU_CYCLE_1)
	s_and_b32 s23, s23, exec_lo
.LBB126_265:                            ;   in Loop: Header=BB126_33 Depth=1
	s_or_b32 exec_lo, exec_lo, s5
	s_mov_b32 s9, -1
	s_mov_b32 s8, 0
	s_delay_alu instid0(SALU_CYCLE_1)
	s_mov_b32 s18, s8
	s_branch .LBB126_279
.LBB126_266:                            ;   in Loop: Header=BB126_33 Depth=1
	s_mov_b32 s68, s67
	s_delay_alu instid0(SALU_CYCLE_1)
	s_cmp_lg_u64 s[68:69], 0
	s_cbranch_scc0 .LBB126_300
; %bb.267:                              ;   in Loop: Header=BB126_33 Depth=1
	v_cvt_f32_u32_e32 v2, s35
	s_sub_u32 s8, 0, s35
	s_subb_u32 s9, 0, 0
	s_delay_alu instid0(VALU_DEP_1) | instskip(NEXT) | instid1(VALU_DEP_1)
	v_fmac_f32_e64 v2, 0, 0x4f800000
	v_rcp_f32_e32 v2, v2
	s_waitcnt_depctr 0xfff
	v_mul_f32_e32 v2, 0x5f7ffffc, v2
	s_delay_alu instid0(VALU_DEP_1) | instskip(NEXT) | instid1(VALU_DEP_1)
	v_mul_f32_e32 v3, 0x2f800000, v2
	v_trunc_f32_e32 v3, v3
	s_delay_alu instid0(VALU_DEP_1) | instskip(SKIP_1) | instid1(VALU_DEP_2)
	v_fmac_f32_e32 v2, 0xcf800000, v3
	v_cvt_u32_f32_e32 v3, v3
	v_cvt_u32_f32_e32 v2, v2
	s_delay_alu instid0(VALU_DEP_2) | instskip(NEXT) | instid1(VALU_DEP_2)
	v_readfirstlane_b32 s4, v3
	v_readfirstlane_b32 s5, v2
	s_delay_alu instid0(VALU_DEP_2) | instskip(NEXT) | instid1(VALU_DEP_1)
	s_mul_i32 s18, s8, s4
	s_mul_hi_u32 s66, s8, s5
	s_mul_i32 s23, s9, s5
	s_add_i32 s18, s66, s18
	s_mul_i32 s68, s8, s5
	s_add_i32 s18, s18, s23
	s_mul_hi_u32 s66, s5, s68
	s_mul_hi_u32 s72, s4, s68
	s_mul_i32 s23, s4, s68
	s_mul_hi_u32 s68, s5, s18
	s_mul_i32 s5, s5, s18
	s_mul_hi_u32 s73, s4, s18
	s_add_u32 s5, s66, s5
	s_addc_u32 s66, 0, s68
	s_add_u32 s5, s5, s23
	s_mul_i32 s18, s4, s18
	s_addc_u32 s5, s66, s72
	s_addc_u32 s23, s73, 0
	s_add_u32 s5, s5, s18
	s_addc_u32 s18, 0, s23
	v_add_co_u32 v2, s5, v2, s5
	s_delay_alu instid0(VALU_DEP_1) | instskip(SKIP_1) | instid1(VALU_DEP_1)
	s_cmp_lg_u32 s5, 0
	s_addc_u32 s4, s4, s18
	v_readfirstlane_b32 s5, v2
	s_mul_i32 s18, s8, s4
	s_delay_alu instid0(VALU_DEP_1)
	s_mul_hi_u32 s23, s8, s5
	s_mul_i32 s9, s9, s5
	s_add_i32 s18, s23, s18
	s_mul_i32 s8, s8, s5
	s_add_i32 s18, s18, s9
	s_mul_hi_u32 s23, s4, s8
	s_mul_i32 s66, s4, s8
	s_mul_hi_u32 s8, s5, s8
	s_mul_hi_u32 s68, s5, s18
	s_mul_i32 s5, s5, s18
	s_mul_hi_u32 s9, s4, s18
	s_add_u32 s5, s8, s5
	s_addc_u32 s8, 0, s68
	s_add_u32 s5, s5, s66
	s_mul_i32 s18, s4, s18
	s_addc_u32 s5, s8, s23
	s_addc_u32 s8, s9, 0
	s_add_u32 s5, s5, s18
	s_addc_u32 s8, 0, s8
	v_add_co_u32 v2, s5, v2, s5
	s_delay_alu instid0(VALU_DEP_1) | instskip(SKIP_1) | instid1(VALU_DEP_1)
	s_cmp_lg_u32 s5, 0
	s_addc_u32 s4, s4, s8
	v_readfirstlane_b32 s5, v2
	s_mul_i32 s9, s85, s4
	s_mul_hi_u32 s8, s85, s4
	s_mul_hi_u32 s18, s69, s4
	s_mul_i32 s4, s69, s4
	s_mul_hi_u32 s23, s85, s5
	s_mul_hi_u32 s66, s69, s5
	s_mul_i32 s5, s69, s5
	s_add_u32 s9, s23, s9
	s_addc_u32 s8, 0, s8
	s_add_u32 s5, s9, s5
	s_addc_u32 s5, s8, s66
	s_addc_u32 s8, s18, 0
	s_add_u32 s4, s5, s4
	s_addc_u32 s5, 0, s8
	s_mul_hi_u32 s8, s35, s4
	s_mul_i32 s4, s35, s4
	s_mul_i32 s5, s35, s5
	v_sub_co_u32 v2, s4, s85, s4
	s_add_i32 s8, s8, s5
	s_cmp_lg_u32 s4, 0
	s_delay_alu instid0(VALU_DEP_1) | instskip(SKIP_2) | instid1(VALU_DEP_1)
	v_sub_co_u32 v3, s4, v2, s35
	s_subb_u32 s5, s69, s8
	s_cmp_lg_u32 s4, 0
	v_cmp_le_u32_e32 vcc_lo, s35, v3
	v_sub_co_u32 v4, s4, v3, s35
	s_subb_u32 s8, s5, 0
	s_cmp_lg_u32 s4, 0
	v_cndmask_b32_e64 v5, 0, -1, vcc_lo
	s_subb_u32 s4, s8, 0
	s_cmp_eq_u32 s8, 0
	v_mov_b32_e32 v7, s4
	s_cselect_b32 vcc_lo, -1, 0
	s_cmp_eq_u32 s5, 0
	v_cndmask_b32_e32 v5, -1, v5, vcc_lo
	v_cmp_le_u32_e32 vcc_lo, s35, v2
	s_cselect_b32 s4, -1, 0
	v_cndmask_b32_e64 v6, 0, -1, vcc_lo
	s_delay_alu instid0(VALU_DEP_3) | instskip(NEXT) | instid1(VALU_DEP_2)
	v_cmp_ne_u32_e32 vcc_lo, 0, v5
	v_cndmask_b32_e64 v5, -1, v6, s4
	v_cndmask_b32_e32 v6, s8, v7, vcc_lo
	v_cndmask_b32_e32 v4, v3, v4, vcc_lo
	s_delay_alu instid0(VALU_DEP_3) | instskip(NEXT) | instid1(VALU_DEP_3)
	v_cmp_ne_u32_e32 vcc_lo, 0, v5
	v_cndmask_b32_e32 v3, s5, v6, vcc_lo
	s_delay_alu instid0(VALU_DEP_3)
	v_cndmask_b32_e32 v2, v2, v4, vcc_lo
	s_cbranch_execnz .LBB126_269
.LBB126_268:                            ;   in Loop: Header=BB126_33 Depth=1
	v_cvt_f32_u32_e32 v2, s35
	s_sub_i32 s4, 0, s35
	s_delay_alu instid0(VALU_DEP_1) | instskip(SKIP_2) | instid1(VALU_DEP_1)
	v_rcp_iflag_f32_e32 v2, v2
	s_waitcnt_depctr 0xfff
	v_mul_f32_e32 v2, 0x4f7ffffe, v2
	v_cvt_u32_f32_e32 v2, v2
	s_delay_alu instid0(VALU_DEP_1) | instskip(NEXT) | instid1(VALU_DEP_1)
	v_mul_lo_u32 v3, s4, v2
	v_mul_hi_u32 v3, v2, v3
	s_delay_alu instid0(VALU_DEP_1) | instskip(NEXT) | instid1(VALU_DEP_1)
	v_add_nc_u32_e32 v2, v2, v3
	v_mul_hi_u32 v2, s85, v2
	s_delay_alu instid0(VALU_DEP_1) | instskip(NEXT) | instid1(VALU_DEP_1)
	v_mul_lo_u32 v2, v2, s35
	v_sub_nc_u32_e32 v2, s85, v2
	s_delay_alu instid0(VALU_DEP_1) | instskip(SKIP_1) | instid1(VALU_DEP_2)
	v_subrev_nc_u32_e32 v3, s35, v2
	v_cmp_le_u32_e32 vcc_lo, s35, v2
	v_cndmask_b32_e32 v2, v2, v3, vcc_lo
	s_delay_alu instid0(VALU_DEP_1) | instskip(SKIP_1) | instid1(VALU_DEP_2)
	v_subrev_nc_u32_e32 v3, s35, v2
	v_cmp_le_u32_e32 vcc_lo, s35, v2
	v_cndmask_b32_e32 v12, v2, v3, vcc_lo
	s_delay_alu instid0(VALU_DEP_1)
	v_dual_mov_b32 v2, v12 :: v_dual_mov_b32 v3, v13
.LBB126_269:                            ;   in Loop: Header=BB126_33 Depth=1
	s_delay_alu instid0(VALU_DEP_1) | instskip(NEXT) | instid1(VALU_DEP_2)
	v_sub_co_u32 v2, vcc_lo, s85, v2
	v_sub_co_ci_u32_e32 v3, vcc_lo, s69, v3, vcc_lo
	s_mov_b32 s23, 0
	s_mov_b32 s5, exec_lo
                                        ; implicit-def: $vgpr18
	s_delay_alu instid0(VALU_DEP_1)
	v_cmpx_gt_u64_e64 v[2:3], v[0:1]
	s_cbranch_execz .LBB126_278
; %bb.270:                              ;   in Loop: Header=BB126_33 Depth=1
	v_dual_mov_b32 v5, v1 :: v_dual_mov_b32 v4, v0
	s_mov_b32 s8, 0
                                        ; implicit-def: $sgpr9
	s_branch .LBB126_272
.LBB126_271:                            ;   in Loop: Header=BB126_272 Depth=2
	s_or_b32 exec_lo, exec_lo, s4
	s_waitcnt vmcnt(0) lgkmcnt(0)
	s_barrier
	buffer_gl0_inv
	ds_load_b64 v[17:18], v13 offset:3072
	v_add_co_u32 v4, vcc_lo, v4, s35
	v_add_co_ci_u32_e32 v5, vcc_lo, 0, v5, vcc_lo
	s_waitcnt lgkmcnt(0)
	s_barrier
	buffer_gl0_inv
	v_cmp_ge_u64_e32 vcc_lo, v[4:5], v[2:3]
	v_cmp_neq_f32_e64 s4, 0, v17
	s_delay_alu instid0(VALU_DEP_1) | instskip(NEXT) | instid1(SALU_CYCLE_1)
	s_or_b32 s18, vcc_lo, s4
	s_and_b32 s18, exec_lo, s18
	s_delay_alu instid0(SALU_CYCLE_1) | instskip(SKIP_2) | instid1(SALU_CYCLE_1)
	s_or_b32 s8, s18, s8
	s_and_not1_b32 s9, s9, exec_lo
	s_and_b32 s4, s4, exec_lo
	s_or_b32 s9, s9, s4
	s_and_not1_b32 exec_lo, exec_lo, s8
	s_cbranch_execz .LBB126_277
.LBB126_272:                            ;   Parent Loop BB126_33 Depth=1
                                        ; =>  This Inner Loop Header: Depth=2
	s_delay_alu instid0(VALU_DEP_1)
	v_cmp_gt_u64_e32 vcc_lo, s[24:25], v[4:5]
	v_mov_b32_e32 v17, 0
	s_and_saveexec_b32 s18, vcc_lo
	s_cbranch_execz .LBB126_274
; %bb.273:                              ;   in Loop: Header=BB126_272 Depth=2
	v_mul_lo_u32 v8, v5, s50
	v_mul_lo_u32 v9, v4, s51
	v_mad_u64_u32 v[6:7], null, v4, s50, 0
	s_delay_alu instid0(VALU_DEP_1) | instskip(NEXT) | instid1(VALU_DEP_1)
	v_add3_u32 v7, v7, v9, v8
	v_lshlrev_b64 v[6:7], 2, v[6:7]
	s_delay_alu instid0(VALU_DEP_1) | instskip(NEXT) | instid1(VALU_DEP_1)
	v_add_co_u32 v6, s4, s27, v6
	v_add_co_ci_u32_e64 v7, s4, s33, v7, s4
	global_load_b32 v17, v[6:7], off
.LBB126_274:                            ;   in Loop: Header=BB126_272 Depth=2
	s_or_b32 exec_lo, exec_lo, s18
	s_and_saveexec_b32 s4, vcc_lo
	s_cbranch_execz .LBB126_271
; %bb.275:                              ;   in Loop: Header=BB126_272 Depth=2
	s_waitcnt vmcnt(0)
	v_cmp_lt_i32_e32 vcc_lo, -1, v17
	v_cndmask_b32_e64 v6, -1, 0x80000000, vcc_lo
	v_cmp_o_f32_e32 vcc_lo, v17, v17
	s_delay_alu instid0(VALU_DEP_2) | instskip(NEXT) | instid1(VALU_DEP_1)
	v_xor_b32_e32 v6, v6, v17
	v_cndmask_b32_e32 v6, -1, v6, vcc_lo
	s_delay_alu instid0(VALU_DEP_1) | instskip(NEXT) | instid1(VALU_DEP_1)
	v_and_b32_e32 v6, s102, v6
	v_cmp_eq_u32_e32 vcc_lo, s101, v6
	s_and_b32 exec_lo, exec_lo, vcc_lo
	s_cbranch_execz .LBB126_271
; %bb.276:                              ;   in Loop: Header=BB126_272 Depth=2
	ds_store_b64 v13, v[16:17] offset:3072
	s_branch .LBB126_271
.LBB126_277:                            ;   in Loop: Header=BB126_33 Depth=1
	s_or_b32 exec_lo, exec_lo, s8
	s_delay_alu instid0(SALU_CYCLE_1)
	s_and_b32 s23, s9, exec_lo
.LBB126_278:                            ;   in Loop: Header=BB126_33 Depth=1
	s_or_b32 exec_lo, exec_lo, s5
	s_mov_b32 s18, -1
	s_mov_b32 s8, 0
	s_mov_b32 s9, 0
.LBB126_279:                            ;   in Loop: Header=BB126_33 Depth=1
	s_mov_b32 s72, 0
                                        ; implicit-def: $sgpr66
                                        ; implicit-def: $sgpr4_sgpr5
	s_and_saveexec_b32 s68, s23
	s_cbranch_execz .LBB126_292
; %bb.280:                              ;   in Loop: Header=BB126_33 Depth=1
	s_xor_b32 s17, s17, -1
	s_mov_b64 s[4:5], 1
	s_and_not1_b32 vcc_lo, exec_lo, s17
	s_mov_b32 s66, 1
	s_cbranch_vccnz .LBB126_291
; %bb.281:                              ;   in Loop: Header=BB126_33 Depth=1
	v_cmp_gt_u64_e64 s4, s[64:65], s[6:7]
	s_delay_alu instid0(VALU_DEP_1)
	s_and_b32 vcc_lo, exec_lo, s4
	s_cbranch_vccnz .LBB126_287
; %bb.282:                              ;   in Loop: Header=BB126_33 Depth=1
	ds_load_b64 v[2:3], v13 offset:5120
	s_waitcnt lgkmcnt(0)
	v_cmp_ne_u64_e32 vcc_lo, 0, v[2:3]
	s_cbranch_vccnz .LBB126_286
; %bb.283:                              ;   in Loop: Header=BB126_33 Depth=1
	s_and_saveexec_b32 s4, s3
	s_cbranch_execz .LBB126_285
; %bb.284:                              ;   in Loop: Header=BB126_33 Depth=1
	v_dual_mov_b32 v2, s6 :: v_dual_mov_b32 v3, s7
	ds_store_b64 v13, v[2:3] offset:5128
.LBB126_285:                            ;   in Loop: Header=BB126_33 Depth=1
	s_or_b32 exec_lo, exec_lo, s4
	s_waitcnt lgkmcnt(0)
	s_barrier
	buffer_gl0_inv
.LBB126_286:                            ;   in Loop: Header=BB126_33 Depth=1
	s_or_b32 s17, s101, s16
	s_or_b32 s16, s102, s16
	s_mov_b32 s4, 0
	s_mov_b32 s66, 8
	s_branch .LBB126_288
.LBB126_287:                            ;   in Loop: Header=BB126_33 Depth=1
	s_mov_b32 s4, -1
                                        ; implicit-def: $sgpr66
                                        ; implicit-def: $sgpr17
                                        ; implicit-def: $sgpr16
.LBB126_288:                            ;   in Loop: Header=BB126_33 Depth=1
	s_delay_alu instid0(SALU_CYCLE_1)
	s_and_not1_b32 vcc_lo, exec_lo, s4
	s_cbranch_vccnz .LBB126_290
; %bb.289:                              ;   in Loop: Header=BB126_33 Depth=1
	s_sub_u32 s64, s64, s6
	s_subb_u32 s65, s65, s7
	s_mov_b32 s66, 8
	s_mov_b32 s17, s101
	;; [unrolled: 1-line block ×3, first 2 shown]
.LBB126_290:                            ;   in Loop: Header=BB126_33 Depth=1
	s_mov_b64 s[4:5], s[64:65]
	s_mov_b32 s101, s17
	s_mov_b32 s102, s16
.LBB126_291:                            ;   in Loop: Header=BB126_33 Depth=1
	s_mov_b32 s72, exec_lo
.LBB126_292:                            ;   in Loop: Header=BB126_33 Depth=1
	s_or_b32 exec_lo, exec_lo, s68
	s_mov_b64 s[64:65], s[4:5]
.LBB126_293:                            ;   in Loop: Header=BB126_33 Depth=1
	s_and_not1_b32 s4, s10, exec_lo
	s_and_b32 s5, s8, exec_lo
	s_and_not1_b32 s6, s11, exec_lo
	s_or_b32 s10, s4, s5
	s_and_not1_b32 s4, s21, exec_lo
	s_and_b32 s5, s18, exec_lo
	s_and_b32 s7, s9, exec_lo
	s_or_b32 s21, s4, s5
	s_or_b32 s11, s6, s7
	s_and_b32 s5, s72, exec_lo
.LBB126_294:                            ;   in Loop: Header=BB126_33 Depth=1
	s_or_b32 exec_lo, exec_lo, s22
.LBB126_295:                            ;   in Loop: Header=BB126_33 Depth=1
	s_delay_alu instid0(SALU_CYCLE_1)
	s_and_not1_b32 s4, s13, exec_lo
	s_and_b32 s6, s10, exec_lo
	s_and_not1_b32 s7, s12, exec_lo
	s_or_b32 s13, s4, s6
	s_and_not1_b32 s4, s19, exec_lo
	s_and_b32 s6, s21, exec_lo
	s_and_b32 s8, s11, exec_lo
	s_or_b32 s19, s4, s6
	s_or_b32 s12, s7, s8
	s_and_b32 s5, s5, exec_lo
.LBB126_296:                            ;   in Loop: Header=BB126_33 Depth=1
	s_or_b32 exec_lo, exec_lo, s20
	s_and_saveexec_b32 s4, s5
	s_delay_alu instid0(SALU_CYCLE_1)
	s_xor_b32 s4, exec_lo, s4
	s_cbranch_execz .LBB126_31
.LBB126_297:                            ;   in Loop: Header=BB126_33 Depth=1
	s_and_b32 s5, s66, -9
	s_delay_alu instid0(SALU_CYCLE_1)
	s_cmp_eq_u32 s5, 0
	s_cbranch_scc1 .LBB126_29
; %bb.298:                              ;   in Loop: Header=BB126_33 Depth=1
	s_mov_b32 s5, -1
	s_mov_b32 s6, -1
                                        ; implicit-def: $sgpr102
                                        ; implicit-def: $sgpr64_sgpr65
                                        ; implicit-def: $sgpr96
                                        ; implicit-def: $sgpr99
	s_branch .LBB126_30
.LBB126_299:                            ;   in Loop: Header=BB126_33 Depth=1
                                        ; implicit-def: $vgpr2_vgpr3
	s_branch .LBB126_251
.LBB126_300:                            ;   in Loop: Header=BB126_33 Depth=1
                                        ; implicit-def: $vgpr2_vgpr3
	s_branch .LBB126_268
.LBB126_301:
	s_or_b32 exec_lo, exec_lo, s92
	s_xor_b32 s3, s95, -1
	s_xor_b32 s1, s93, -1
	;; [unrolled: 1-line block ×3, first 2 shown]
	s_mov_b32 s0, 0
	s_and_saveexec_b32 s5, s1
	s_delay_alu instid0(SALU_CYCLE_1)
	s_xor_b32 s1, exec_lo, s5
	s_cbranch_execz .LBB126_315
; %bb.302:
	s_and_saveexec_b32 s0, s3
	s_delay_alu instid0(SALU_CYCLE_1)
	s_xor_b32 s3, exec_lo, s0
	s_cbranch_execz .LBB126_313
; %bb.303:
	s_and_saveexec_b32 s0, s4
	s_delay_alu instid0(SALU_CYCLE_1)
	s_xor_b32 s0, exec_lo, s0
; %bb.304:
	v_cmp_lt_i32_e32 vcc_lo, -1, v2
	v_cndmask_b32_e64 v3, 0x80000000, -1, vcc_lo
	s_delay_alu instid0(VALU_DEP_1)
	v_xor_b32_e32 v18, v3, v2
; %bb.305:
	s_or_b32 exec_lo, exec_lo, s0
	s_mul_i32 s0, s52, s37
	s_mul_hi_u32 s4, s52, s36
	s_mul_i32 s5, s52, s36
	s_add_i32 s4, s4, s0
	s_sub_u32 s0, s54, s5
	s_subb_u32 s4, s55, s4
	s_mul_i32 s5, s0, s47
	s_mul_hi_u32 s6, s0, s46
	s_mul_i32 s4, s4, s46
	s_add_i32 s5, s6, s5
	s_mul_i32 s6, s52, s45
	s_mul_hi_u32 s7, s52, s44
	s_add_i32 s5, s5, s4
	s_mul_i32 s4, s0, s46
	s_add_i32 s7, s7, s6
	s_mul_i32 s0, s54, s39
	s_mul_hi_u32 s6, s54, s38
	s_mul_i32 s8, s54, s38
	s_add_i32 s0, s6, s0
	s_sub_u32 s8, s34, s8
	s_subb_u32 s0, 0, s0
	s_mul_i32 s9, s8, s61
	s_mul_hi_u32 s10, s8, s60
	s_mul_i32 s6, s52, s44
	s_add_i32 s9, s10, s9
	s_mul_i32 s0, s0, s60
	s_lshl_b64 s[6:7], s[6:7], 2
	s_add_i32 s9, s9, s0
	s_add_u32 s0, s62, s6
	s_addc_u32 s6, s63, s7
	s_lshl_b64 s[4:5], s[4:5], 2
	s_mul_i32 s8, s8, s60
	s_add_u32 s0, s0, s4
	s_addc_u32 s6, s6, s5
	s_lshl_b64 s[4:5], s[8:9], 2
	v_mov_b32_e32 v2, 0
	s_add_u32 s4, s0, s4
	s_addc_u32 s5, s6, s5
	global_store_b32 v2, v18, s[4:5]
	s_and_saveexec_b32 s4, s2
	s_cbranch_execz .LBB126_312
; %bb.306:
	v_cmp_u_f32_e32 vcc_lo, v18, v18
	s_mov_b32 s2, 0
                                        ; implicit-def: $sgpr5
                                        ; implicit-def: $sgpr8
                                        ; implicit-def: $sgpr7
	s_xor_b32 s6, vcc_lo, -1
	s_set_inst_prefetch_distance 0x1
	s_branch .LBB126_308
	.p2align	6
.LBB126_307:                            ;   in Loop: Header=BB126_308 Depth=1
	s_or_b32 exec_lo, exec_lo, s0
	s_delay_alu instid0(SALU_CYCLE_1) | instskip(NEXT) | instid1(SALU_CYCLE_1)
	s_and_b32 s0, exec_lo, s8
	s_or_b32 s2, s0, s2
	s_and_not1_b32 s0, s5, exec_lo
	s_and_b32 s5, s7, exec_lo
	s_delay_alu instid0(SALU_CYCLE_1)
	s_or_b32 s5, s0, s5
	s_and_not1_b32 exec_lo, exec_lo, s2
	s_cbranch_execz .LBB126_310
.LBB126_308:                            ; =>This Inner Loop Header: Depth=1
	v_dual_mov_b32 v3, v1 :: v_dual_mov_b32 v2, v0
	s_or_b32 s7, s7, exec_lo
	s_or_b32 s8, s8, exec_lo
	s_delay_alu instid0(VALU_DEP_1) | instskip(NEXT) | instid1(VALU_DEP_2)
	v_mul_lo_u32 v4, v3, s50
	v_mul_lo_u32 v5, v2, s51
	v_mad_u64_u32 v[0:1], null, v2, s50, 0
	s_delay_alu instid0(VALU_DEP_1) | instskip(NEXT) | instid1(VALU_DEP_1)
	v_add3_u32 v1, v1, v5, v4
	v_lshlrev_b64 v[0:1], 2, v[0:1]
	s_delay_alu instid0(VALU_DEP_1) | instskip(NEXT) | instid1(VALU_DEP_2)
	v_add_co_u32 v0, vcc_lo, s27, v0
	v_add_co_ci_u32_e32 v1, vcc_lo, s33, v1, vcc_lo
	global_load_b32 v0, v[0:1], off
	s_waitcnt vmcnt(0)
	v_cmp_o_f32_e32 vcc_lo, v0, v0
	v_cmp_neq_f32_e64 s0, v0, v18
                                        ; implicit-def: $vgpr0_vgpr1
	s_or_b32 s9, vcc_lo, s6
	s_delay_alu instid0(VALU_DEP_1) | instid1(SALU_CYCLE_1)
	s_and_b32 s9, s0, s9
	s_delay_alu instid0(SALU_CYCLE_1)
	s_and_saveexec_b32 s0, s9
	s_cbranch_execz .LBB126_307
; %bb.309:                              ;   in Loop: Header=BB126_308 Depth=1
	v_add_co_u32 v0, vcc_lo, v2, s35
	v_add_co_ci_u32_e32 v1, vcc_lo, 0, v3, vcc_lo
	s_and_not1_b32 s8, s8, exec_lo
	s_and_not1_b32 s7, s7, exec_lo
	s_delay_alu instid0(VALU_DEP_1) | instskip(SKIP_1) | instid1(SALU_CYCLE_1)
	v_cmp_le_u64_e32 vcc_lo, s[24:25], v[0:1]
	s_and_b32 s9, vcc_lo, exec_lo
	s_or_b32 s8, s8, s9
	s_branch .LBB126_307
.LBB126_310:
	s_set_inst_prefetch_distance 0x2
	s_or_b32 exec_lo, exec_lo, s2
	s_and_saveexec_b32 s0, s5
	s_delay_alu instid0(SALU_CYCLE_1)
	s_xor_b32 s0, exec_lo, s0
	s_cbranch_execz .LBB126_312
; %bb.311:
	s_mul_i32 s0, s26, s29
	s_mul_hi_u32 s2, s26, s28
	s_mul_i32 s5, s26, s28
	s_add_i32 s2, s2, s0
	s_sub_u32 s0, s48, s5
	s_subb_u32 s2, s49, s2
	s_mul_i32 s5, s0, s43
	s_mul_hi_u32 s6, s0, s42
	s_mul_i32 s2, s2, s42
	s_add_i32 s5, s6, s5
	s_mul_i32 s6, s0, s42
	s_add_i32 s7, s5, s2
	s_mul_i32 s2, s26, s41
	s_mul_hi_u32 s5, s26, s40
	s_mul_i32 s0, s48, s31
	s_add_i32 s9, s5, s2
	s_mul_hi_u32 s2, s48, s30
	s_mul_i32 s5, s48, s30
	s_add_i32 s2, s2, s0
	s_sub_u32 s0, s34, s5
	s_subb_u32 s2, 0, s2
	s_mul_i32 s5, s0, s57
	s_mul_hi_u32 s10, s0, s56
	s_mul_i32 s8, s26, s40
	s_add_i32 s5, s10, s5
	s_mul_i32 s2, s2, s56
	s_lshl_b64 s[8:9], s[8:9], 3
	s_add_i32 s11, s5, s2
	s_add_u32 s2, s58, s8
	s_addc_u32 s5, s59, s9
	s_lshl_b64 s[6:7], s[6:7], 3
	s_mul_i32 s10, s0, s56
	s_add_u32 s0, s2, s6
	s_addc_u32 s2, s5, s7
	s_lshl_b64 s[6:7], s[10:11], 3
	v_mov_b32_e32 v0, 0
	s_add_u32 s6, s0, s6
	s_addc_u32 s7, s2, s7
	global_store_b64 v0, v[2:3], s[6:7]
.LBB126_312:
	s_or_b32 exec_lo, exec_lo, s4
.LBB126_313:
	s_or_saveexec_b32 s0, s3
	s_mov_b32 s2, 0
	s_xor_b32 exec_lo, exec_lo, s0
	s_cbranch_execnz .LBB126_321
.LBB126_314:
	s_or_b32 exec_lo, exec_lo, s0
	s_delay_alu instid0(SALU_CYCLE_1)
	s_and_b32 s0, s2, exec_lo
.LBB126_315:
	s_and_not1_saveexec_b32 s1, s1
	s_cbranch_execnz .LBB126_319
; %bb.316:
	s_or_b32 exec_lo, exec_lo, s1
	s_and_saveexec_b32 s1, s0
.LBB126_317:
	; divergent unreachable
.LBB126_318:
	s_nop 0
	s_sendmsg sendmsg(MSG_DEALLOC_VGPRS)
	s_endpgm
.LBB126_319:
	s_cbranch_execnz .LBB126_323
; %bb.320:
	s_or_b32 s0, s0, exec_lo
	s_or_b32 exec_lo, exec_lo, s1
	s_and_saveexec_b32 s1, s0
	s_cbranch_execnz .LBB126_317
	s_branch .LBB126_318
.LBB126_321:
	s_cbranch_execnz .LBB126_325
; %bb.322:
	s_mov_b32 s2, exec_lo
	s_branch .LBB126_314
.LBB126_323:
	s_trap 2
	s_sendmsg_rtn_b32 s0, sendmsg(MSG_RTN_GET_DOORBELL)
	s_mov_b32 ttmp2, m0
	s_waitcnt lgkmcnt(0)
	s_and_b32 s0, s0, 0x3ff
	s_delay_alu instid0(SALU_CYCLE_1) | instskip(NEXT) | instid1(SALU_CYCLE_1)
	s_bitset1_b32 s0, 10
	s_mov_b32 m0, s0
	s_sendmsg sendmsg(MSG_INTERRUPT)
	s_mov_b32 m0, ttmp2
.LBB126_324:                            ; =>This Inner Loop Header: Depth=1
	s_sethalt 5
	s_branch .LBB126_324
.LBB126_325:
	s_trap 2
	s_sendmsg_rtn_b32 s0, sendmsg(MSG_RTN_GET_DOORBELL)
	s_mov_b32 ttmp2, m0
	s_waitcnt lgkmcnt(0)
	s_and_b32 s0, s0, 0x3ff
	s_delay_alu instid0(SALU_CYCLE_1) | instskip(NEXT) | instid1(SALU_CYCLE_1)
	s_bitset1_b32 s0, 10
	s_mov_b32 m0, s0
	s_sendmsg sendmsg(MSG_INTERRUPT)
	s_mov_b32 m0, ttmp2
.LBB126_326:                            ; =>This Inner Loop Header: Depth=1
	s_sethalt 5
	s_branch .LBB126_326
	.section	.rodata,"a",@progbits
	.p2align	6, 0x0
	.amdhsa_kernel _ZN2at6native12_GLOBAL__N_112gatherMedianIfmLi3EEEvNS_4cuda6detail10TensorInfoIT_T0_EENS5_IlS7_EENS5_IKS6_S7_EES7_S7_S7_b
		.amdhsa_group_segment_fixed_size 5152
		.amdhsa_private_segment_fixed_size 0
		.amdhsa_kernarg_size 1536
		.amdhsa_user_sgpr_count 13
		.amdhsa_user_sgpr_dispatch_ptr 0
		.amdhsa_user_sgpr_queue_ptr 0
		.amdhsa_user_sgpr_kernarg_segment_ptr 1
		.amdhsa_user_sgpr_dispatch_id 0
		.amdhsa_user_sgpr_private_segment_size 0
		.amdhsa_wavefront_size32 1
		.amdhsa_uses_dynamic_stack 0
		.amdhsa_enable_private_segment 0
		.amdhsa_system_sgpr_workgroup_id_x 1
		.amdhsa_system_sgpr_workgroup_id_y 1
		.amdhsa_system_sgpr_workgroup_id_z 1
		.amdhsa_system_sgpr_workgroup_info 0
		.amdhsa_system_vgpr_workitem_id 0
		.amdhsa_next_free_vgpr 33
		.amdhsa_next_free_sgpr 105
		.amdhsa_reserve_vcc 1
		.amdhsa_float_round_mode_32 0
		.amdhsa_float_round_mode_16_64 0
		.amdhsa_float_denorm_mode_32 3
		.amdhsa_float_denorm_mode_16_64 3
		.amdhsa_dx10_clamp 1
		.amdhsa_ieee_mode 1
		.amdhsa_fp16_overflow 0
		.amdhsa_workgroup_processor_mode 1
		.amdhsa_memory_ordered 1
		.amdhsa_forward_progress 0
		.amdhsa_shared_vgpr_count 0
		.amdhsa_exception_fp_ieee_invalid_op 0
		.amdhsa_exception_fp_denorm_src 0
		.amdhsa_exception_fp_ieee_div_zero 0
		.amdhsa_exception_fp_ieee_overflow 0
		.amdhsa_exception_fp_ieee_underflow 0
		.amdhsa_exception_fp_ieee_inexact 0
		.amdhsa_exception_int_div_zero 0
	.end_amdhsa_kernel
	.section	.text._ZN2at6native12_GLOBAL__N_112gatherMedianIfmLi3EEEvNS_4cuda6detail10TensorInfoIT_T0_EENS5_IlS7_EENS5_IKS6_S7_EES7_S7_S7_b,"axG",@progbits,_ZN2at6native12_GLOBAL__N_112gatherMedianIfmLi3EEEvNS_4cuda6detail10TensorInfoIT_T0_EENS5_IlS7_EENS5_IKS6_S7_EES7_S7_S7_b,comdat
.Lfunc_end126:
	.size	_ZN2at6native12_GLOBAL__N_112gatherMedianIfmLi3EEEvNS_4cuda6detail10TensorInfoIT_T0_EENS5_IlS7_EENS5_IKS6_S7_EES7_S7_S7_b, .Lfunc_end126-_ZN2at6native12_GLOBAL__N_112gatherMedianIfmLi3EEEvNS_4cuda6detail10TensorInfoIT_T0_EENS5_IlS7_EENS5_IKS6_S7_EES7_S7_S7_b
                                        ; -- End function
	.section	.AMDGPU.csdata,"",@progbits
; Kernel info:
; codeLenInByte = 18576
; NumSgprs: 107
; NumVgprs: 33
; ScratchSize: 0
; MemoryBound: 0
; FloatMode: 240
; IeeeMode: 1
; LDSByteSize: 5152 bytes/workgroup (compile time only)
; SGPRBlocks: 13
; VGPRBlocks: 4
; NumSGPRsForWavesPerEU: 107
; NumVGPRsForWavesPerEU: 33
; Occupancy: 16
; WaveLimiterHint : 1
; COMPUTE_PGM_RSRC2:SCRATCH_EN: 0
; COMPUTE_PGM_RSRC2:USER_SGPR: 13
; COMPUTE_PGM_RSRC2:TRAP_HANDLER: 0
; COMPUTE_PGM_RSRC2:TGID_X_EN: 1
; COMPUTE_PGM_RSRC2:TGID_Y_EN: 1
; COMPUTE_PGM_RSRC2:TGID_Z_EN: 1
; COMPUTE_PGM_RSRC2:TIDIG_COMP_CNT: 0
	.section	.text._ZN2at6native12_GLOBAL__N_112gatherMedianIfmLin1EEEvNS_4cuda6detail10TensorInfoIT_T0_EENS5_IlS7_EENS5_IKS6_S7_EES7_S7_S7_b,"axG",@progbits,_ZN2at6native12_GLOBAL__N_112gatherMedianIfmLin1EEEvNS_4cuda6detail10TensorInfoIT_T0_EENS5_IlS7_EENS5_IKS6_S7_EES7_S7_S7_b,comdat
	.globl	_ZN2at6native12_GLOBAL__N_112gatherMedianIfmLin1EEEvNS_4cuda6detail10TensorInfoIT_T0_EENS5_IlS7_EENS5_IKS6_S7_EES7_S7_S7_b ; -- Begin function _ZN2at6native12_GLOBAL__N_112gatherMedianIfmLin1EEEvNS_4cuda6detail10TensorInfoIT_T0_EENS5_IlS7_EENS5_IKS6_S7_EES7_S7_S7_b
	.p2align	8
	.type	_ZN2at6native12_GLOBAL__N_112gatherMedianIfmLin1EEEvNS_4cuda6detail10TensorInfoIT_T0_EENS5_IlS7_EENS5_IKS6_S7_EES7_S7_S7_b,@function
_ZN2at6native12_GLOBAL__N_112gatherMedianIfmLin1EEEvNS_4cuda6detail10TensorInfoIT_T0_EENS5_IlS7_EENS5_IKS6_S7_EES7_S7_S7_b: ; @_ZN2at6native12_GLOBAL__N_112gatherMedianIfmLin1EEEvNS_4cuda6detail10TensorInfoIT_T0_EENS5_IlS7_EENS5_IKS6_S7_EES7_S7_S7_b
; %bb.0:
	s_clause 0x1
	s_load_b64 s[6:7], s[0:1], 0x500
	s_load_b128 s[24:27], s[0:1], 0x4e0
	s_add_u32 s8, s0, 0x500
	s_addc_u32 s9, s1, 0
	s_mov_b32 s3, 0
	s_waitcnt lgkmcnt(0)
	s_mul_i32 s2, s7, s15
	s_delay_alu instid0(SALU_CYCLE_1) | instskip(NEXT) | instid1(SALU_CYCLE_1)
	s_add_i32 s2, s2, s14
	s_mul_i32 s2, s2, s6
	s_delay_alu instid0(SALU_CYCLE_1) | instskip(NEXT) | instid1(SALU_CYCLE_1)
	s_add_i32 s2, s2, s13
	v_cmp_ge_u64_e64 s4, s[2:3], s[26:27]
	s_delay_alu instid0(VALU_DEP_1)
	s_and_b32 vcc_lo, exec_lo, s4
	s_cbranch_vccnz .LBB127_331
; %bb.1:
	s_clause 0x1
	s_load_b32 s5, s[0:1], 0x198
	s_load_b64 s[28:29], s[0:1], 0x4f0
	s_mov_b64 s[26:27], 0
	s_mov_b64 s[34:35], s[2:3]
	s_waitcnt lgkmcnt(0)
	s_cmp_lt_i32 s5, 2
	s_cbranch_scc1 .LBB127_9
; %bb.2:
	s_mov_b32 s4, 0
	s_add_i32 s10, s5, -1
	s_mov_b32 s11, s4
	s_add_i32 s7, s5, 1
	s_lshl_b64 s[10:11], s[10:11], 3
	s_mov_b64 s[14:15], s[2:3]
	s_add_u32 s5, s10, s0
	s_addc_u32 s11, s11, s1
	s_add_u32 s10, s5, 8
	s_addc_u32 s11, s11, 0
.LBB127_3:                              ; =>This Inner Loop Header: Depth=1
	s_load_b64 s[16:17], s[10:11], 0x0
                                        ; implicit-def: $sgpr34_sgpr35
	s_waitcnt lgkmcnt(0)
	s_or_b64 s[18:19], s[14:15], s[16:17]
	s_delay_alu instid0(SALU_CYCLE_1) | instskip(NEXT) | instid1(SALU_CYCLE_1)
	s_mov_b32 s5, s19
	s_cmp_lg_u64 s[4:5], 0
	s_mov_b32 s5, -1
	s_cbranch_scc0 .LBB127_5
; %bb.4:                                ;   in Loop: Header=BB127_3 Depth=1
	v_cvt_f32_u32_e32 v1, s16
	v_cvt_f32_u32_e32 v2, s17
	s_sub_u32 s18, 0, s16
	s_subb_u32 s19, 0, s17
	s_waitcnt_depctr 0xfff
	v_fmac_f32_e32 v1, 0x4f800000, v2
	s_delay_alu instid0(VALU_DEP_1) | instskip(SKIP_2) | instid1(VALU_DEP_1)
	v_rcp_f32_e32 v1, v1
	s_waitcnt_depctr 0xfff
	v_mul_f32_e32 v1, 0x5f7ffffc, v1
	v_mul_f32_e32 v2, 0x2f800000, v1
	s_delay_alu instid0(VALU_DEP_1) | instskip(NEXT) | instid1(VALU_DEP_1)
	v_trunc_f32_e32 v2, v2
	v_fmac_f32_e32 v1, 0xcf800000, v2
	v_cvt_u32_f32_e32 v2, v2
	s_delay_alu instid0(VALU_DEP_2) | instskip(NEXT) | instid1(VALU_DEP_2)
	v_cvt_u32_f32_e32 v1, v1
	v_readfirstlane_b32 s5, v2
	s_delay_alu instid0(VALU_DEP_2) | instskip(NEXT) | instid1(VALU_DEP_2)
	v_readfirstlane_b32 s12, v1
	s_mul_i32 s20, s18, s5
	s_delay_alu instid0(VALU_DEP_1)
	s_mul_hi_u32 s22, s18, s12
	s_mul_i32 s21, s19, s12
	s_add_i32 s20, s22, s20
	s_mul_i32 s23, s18, s12
	s_add_i32 s20, s20, s21
	s_mul_hi_u32 s22, s12, s23
	s_mul_hi_u32 s30, s5, s23
	s_mul_i32 s21, s5, s23
	s_mul_hi_u32 s23, s12, s20
	s_mul_i32 s12, s12, s20
	s_mul_hi_u32 s31, s5, s20
	s_add_u32 s12, s22, s12
	s_addc_u32 s22, 0, s23
	s_add_u32 s12, s12, s21
	s_mul_i32 s20, s5, s20
	s_addc_u32 s12, s22, s30
	s_addc_u32 s21, s31, 0
	s_add_u32 s12, s12, s20
	s_addc_u32 s20, 0, s21
	v_add_co_u32 v1, s12, v1, s12
	s_delay_alu instid0(VALU_DEP_1) | instskip(SKIP_1) | instid1(VALU_DEP_1)
	s_cmp_lg_u32 s12, 0
	s_addc_u32 s5, s5, s20
	v_readfirstlane_b32 s12, v1
	s_mul_i32 s20, s18, s5
	s_delay_alu instid0(VALU_DEP_1)
	s_mul_hi_u32 s21, s18, s12
	s_mul_i32 s19, s19, s12
	s_add_i32 s20, s21, s20
	s_mul_i32 s18, s18, s12
	s_add_i32 s20, s20, s19
	s_mul_hi_u32 s21, s5, s18
	s_mul_i32 s22, s5, s18
	s_mul_hi_u32 s18, s12, s18
	s_mul_hi_u32 s23, s12, s20
	s_mul_i32 s12, s12, s20
	s_mul_hi_u32 s19, s5, s20
	s_add_u32 s12, s18, s12
	s_addc_u32 s18, 0, s23
	s_add_u32 s12, s12, s22
	s_mul_i32 s20, s5, s20
	s_addc_u32 s12, s18, s21
	s_addc_u32 s18, s19, 0
	s_add_u32 s12, s12, s20
	s_addc_u32 s18, 0, s18
	v_add_co_u32 v1, s12, v1, s12
	s_delay_alu instid0(VALU_DEP_1) | instskip(SKIP_1) | instid1(VALU_DEP_1)
	s_cmp_lg_u32 s12, 0
	s_addc_u32 s5, s5, s18
	v_readfirstlane_b32 s12, v1
	s_mul_i32 s19, s14, s5
	s_mul_hi_u32 s18, s14, s5
	s_mul_hi_u32 s20, s15, s5
	s_mul_i32 s5, s15, s5
	s_mul_hi_u32 s21, s14, s12
	s_mul_hi_u32 s22, s15, s12
	s_mul_i32 s12, s15, s12
	s_add_u32 s19, s21, s19
	s_addc_u32 s18, 0, s18
	s_add_u32 s12, s19, s12
	s_addc_u32 s12, s18, s22
	s_addc_u32 s18, s20, 0
	s_add_u32 s12, s12, s5
	s_addc_u32 s18, 0, s18
	s_mul_hi_u32 s5, s16, s12
	s_mul_i32 s20, s16, s18
	s_mul_i32 s21, s16, s12
	s_add_i32 s5, s5, s20
	v_sub_co_u32 v1, s20, s14, s21
	s_mul_i32 s19, s17, s12
	s_delay_alu instid0(SALU_CYCLE_1) | instskip(NEXT) | instid1(VALU_DEP_1)
	s_add_i32 s5, s5, s19
	v_sub_co_u32 v2, s21, v1, s16
	s_sub_i32 s19, s15, s5
	s_cmp_lg_u32 s20, 0
	s_subb_u32 s19, s19, s17
	s_cmp_lg_u32 s21, 0
	v_readfirstlane_b32 s21, v2
	s_subb_u32 s19, s19, 0
	s_delay_alu instid0(SALU_CYCLE_1) | instskip(SKIP_1) | instid1(VALU_DEP_1)
	s_cmp_ge_u32 s19, s17
	s_cselect_b32 s22, -1, 0
	s_cmp_ge_u32 s21, s16
	s_cselect_b32 s21, -1, 0
	s_cmp_eq_u32 s19, s17
	s_cselect_b32 s19, s21, s22
	s_add_u32 s21, s12, 1
	s_addc_u32 s22, s18, 0
	s_add_u32 s23, s12, 2
	s_addc_u32 s30, s18, 0
	s_cmp_lg_u32 s19, 0
	s_cselect_b32 s19, s23, s21
	s_cselect_b32 s21, s30, s22
	s_cmp_lg_u32 s20, 0
	v_readfirstlane_b32 s20, v1
	s_subb_u32 s5, s15, s5
	s_delay_alu instid0(SALU_CYCLE_1) | instskip(SKIP_1) | instid1(VALU_DEP_1)
	s_cmp_ge_u32 s5, s17
	s_cselect_b32 s22, -1, 0
	s_cmp_ge_u32 s20, s16
	s_cselect_b32 s20, -1, 0
	s_cmp_eq_u32 s5, s17
	s_cselect_b32 s5, s20, s22
	s_delay_alu instid0(SALU_CYCLE_1)
	s_cmp_lg_u32 s5, 0
	s_mov_b32 s5, 0
	s_cselect_b32 s35, s21, s18
	s_cselect_b32 s34, s19, s12
.LBB127_5:                              ;   in Loop: Header=BB127_3 Depth=1
	s_and_not1_b32 vcc_lo, exec_lo, s5
	s_cbranch_vccnz .LBB127_7
; %bb.6:                                ;   in Loop: Header=BB127_3 Depth=1
	v_cvt_f32_u32_e32 v1, s16
	s_sub_i32 s12, 0, s16
	s_mov_b32 s35, s4
	s_waitcnt_depctr 0xfff
	v_rcp_iflag_f32_e32 v1, v1
	s_waitcnt_depctr 0xfff
	v_mul_f32_e32 v1, 0x4f7ffffe, v1
	s_delay_alu instid0(VALU_DEP_1) | instskip(NEXT) | instid1(VALU_DEP_1)
	v_cvt_u32_f32_e32 v1, v1
	v_readfirstlane_b32 s5, v1
	s_delay_alu instid0(VALU_DEP_1) | instskip(NEXT) | instid1(SALU_CYCLE_1)
	s_mul_i32 s12, s12, s5
	s_mul_hi_u32 s12, s5, s12
	s_delay_alu instid0(SALU_CYCLE_1) | instskip(NEXT) | instid1(SALU_CYCLE_1)
	s_add_i32 s5, s5, s12
	s_mul_hi_u32 s5, s14, s5
	s_delay_alu instid0(SALU_CYCLE_1) | instskip(SKIP_2) | instid1(SALU_CYCLE_1)
	s_mul_i32 s12, s5, s16
	s_add_i32 s18, s5, 1
	s_sub_i32 s12, s14, s12
	s_sub_i32 s19, s12, s16
	s_cmp_ge_u32 s12, s16
	s_cselect_b32 s5, s18, s5
	s_cselect_b32 s12, s19, s12
	s_add_i32 s18, s5, 1
	s_cmp_ge_u32 s12, s16
	s_cselect_b32 s34, s18, s5
.LBB127_7:                              ;   in Loop: Header=BB127_3 Depth=1
	s_load_b64 s[18:19], s[10:11], 0xc8
	s_mul_i32 s5, s34, s17
	s_mul_hi_u32 s12, s34, s16
	s_mul_i32 s17, s35, s16
	s_add_i32 s5, s12, s5
	s_mul_i32 s12, s34, s16
	s_add_i32 s5, s5, s17
	s_sub_u32 s12, s14, s12
	s_subb_u32 s5, s15, s5
	s_waitcnt lgkmcnt(0)
	s_mul_i32 s5, s18, s5
	s_mul_hi_u32 s14, s18, s12
	s_mul_i32 s15, s19, s12
	s_add_i32 s5, s14, s5
	s_mul_i32 s12, s18, s12
	s_add_i32 s5, s5, s15
	s_add_u32 s26, s12, s26
	s_addc_u32 s27, s5, s27
	s_add_i32 s7, s7, -1
	s_add_u32 s10, s10, -8
	s_addc_u32 s11, s11, -1
	s_cmp_gt_u32 s7, 2
	s_cbranch_scc0 .LBB127_9
; %bb.8:                                ;   in Loop: Header=BB127_3 Depth=1
	s_mov_b64 s[14:15], s[34:35]
	s_branch .LBB127_3
.LBB127_9:
	s_clause 0x1
	s_load_b32 s7, s[0:1], 0x338
	s_load_b64 s[36:37], s[0:1], 0xd0
	s_add_u32 s4, s0, 0x1a0
	s_addc_u32 s5, s1, 0
	s_mov_b64 s[30:31], 0
	s_mov_b64 s[38:39], s[2:3]
	s_waitcnt lgkmcnt(0)
	s_cmp_lt_i32 s7, 2
	s_cbranch_scc1 .LBB127_17
; %bb.10:
	s_mov_b32 s10, 0
	s_add_i32 s14, s7, -1
	s_mov_b32 s15, s10
	s_add_i32 s7, s7, 1
	s_lshl_b64 s[14:15], s[14:15], 3
	s_mov_b64 s[16:17], s[2:3]
	s_add_u32 s11, s14, s4
	s_addc_u32 s12, s15, s5
	s_add_u32 s14, s11, 8
	s_addc_u32 s15, s12, 0
.LBB127_11:                             ; =>This Inner Loop Header: Depth=1
	s_load_b64 s[18:19], s[14:15], 0x0
                                        ; implicit-def: $sgpr38_sgpr39
	s_waitcnt lgkmcnt(0)
	s_or_b64 s[20:21], s[16:17], s[18:19]
	s_delay_alu instid0(SALU_CYCLE_1) | instskip(NEXT) | instid1(SALU_CYCLE_1)
	s_mov_b32 s11, s21
	s_cmp_lg_u64 s[10:11], 0
	s_mov_b32 s11, -1
	s_cbranch_scc0 .LBB127_13
; %bb.12:                               ;   in Loop: Header=BB127_11 Depth=1
	v_cvt_f32_u32_e32 v1, s18
	v_cvt_f32_u32_e32 v2, s19
	s_sub_u32 s20, 0, s18
	s_subb_u32 s21, 0, s19
	s_waitcnt_depctr 0xfff
	v_fmac_f32_e32 v1, 0x4f800000, v2
	s_delay_alu instid0(VALU_DEP_1) | instskip(SKIP_2) | instid1(VALU_DEP_1)
	v_rcp_f32_e32 v1, v1
	s_waitcnt_depctr 0xfff
	v_mul_f32_e32 v1, 0x5f7ffffc, v1
	v_mul_f32_e32 v2, 0x2f800000, v1
	s_delay_alu instid0(VALU_DEP_1) | instskip(NEXT) | instid1(VALU_DEP_1)
	v_trunc_f32_e32 v2, v2
	v_fmac_f32_e32 v1, 0xcf800000, v2
	v_cvt_u32_f32_e32 v2, v2
	s_delay_alu instid0(VALU_DEP_2) | instskip(NEXT) | instid1(VALU_DEP_2)
	v_cvt_u32_f32_e32 v1, v1
	v_readfirstlane_b32 s11, v2
	s_delay_alu instid0(VALU_DEP_2) | instskip(NEXT) | instid1(VALU_DEP_2)
	v_readfirstlane_b32 s12, v1
	s_mul_i32 s22, s20, s11
	s_delay_alu instid0(VALU_DEP_1)
	s_mul_hi_u32 s33, s20, s12
	s_mul_i32 s23, s21, s12
	s_add_i32 s22, s33, s22
	s_mul_i32 s38, s20, s12
	s_add_i32 s22, s22, s23
	s_mul_hi_u32 s33, s12, s38
	s_mul_hi_u32 s39, s11, s38
	s_mul_i32 s23, s11, s38
	s_mul_hi_u32 s38, s12, s22
	s_mul_i32 s12, s12, s22
	s_mul_hi_u32 s40, s11, s22
	s_add_u32 s12, s33, s12
	s_addc_u32 s33, 0, s38
	s_add_u32 s12, s12, s23
	s_mul_i32 s22, s11, s22
	s_addc_u32 s12, s33, s39
	s_addc_u32 s23, s40, 0
	s_add_u32 s12, s12, s22
	s_addc_u32 s22, 0, s23
	v_add_co_u32 v1, s12, v1, s12
	s_delay_alu instid0(VALU_DEP_1) | instskip(SKIP_1) | instid1(VALU_DEP_1)
	s_cmp_lg_u32 s12, 0
	s_addc_u32 s11, s11, s22
	v_readfirstlane_b32 s12, v1
	s_mul_i32 s22, s20, s11
	s_delay_alu instid0(VALU_DEP_1)
	s_mul_hi_u32 s23, s20, s12
	s_mul_i32 s21, s21, s12
	s_add_i32 s22, s23, s22
	s_mul_i32 s20, s20, s12
	s_add_i32 s22, s22, s21
	s_mul_hi_u32 s23, s11, s20
	s_mul_i32 s33, s11, s20
	s_mul_hi_u32 s20, s12, s20
	s_mul_hi_u32 s38, s12, s22
	s_mul_i32 s12, s12, s22
	s_mul_hi_u32 s21, s11, s22
	s_add_u32 s12, s20, s12
	s_addc_u32 s20, 0, s38
	s_add_u32 s12, s12, s33
	s_mul_i32 s22, s11, s22
	s_addc_u32 s12, s20, s23
	s_addc_u32 s20, s21, 0
	s_add_u32 s12, s12, s22
	s_addc_u32 s20, 0, s20
	v_add_co_u32 v1, s12, v1, s12
	s_delay_alu instid0(VALU_DEP_1) | instskip(SKIP_1) | instid1(VALU_DEP_1)
	s_cmp_lg_u32 s12, 0
	s_addc_u32 s11, s11, s20
	v_readfirstlane_b32 s12, v1
	s_mul_i32 s21, s16, s11
	s_mul_hi_u32 s20, s16, s11
	s_mul_hi_u32 s22, s17, s11
	s_mul_i32 s11, s17, s11
	s_mul_hi_u32 s23, s16, s12
	s_mul_hi_u32 s33, s17, s12
	s_mul_i32 s12, s17, s12
	s_add_u32 s21, s23, s21
	s_addc_u32 s20, 0, s20
	s_add_u32 s12, s21, s12
	s_addc_u32 s12, s20, s33
	s_addc_u32 s20, s22, 0
	s_add_u32 s12, s12, s11
	s_addc_u32 s20, 0, s20
	s_mul_hi_u32 s11, s18, s12
	s_mul_i32 s22, s18, s20
	s_mul_i32 s23, s18, s12
	s_add_i32 s11, s11, s22
	v_sub_co_u32 v1, s22, s16, s23
	s_mul_i32 s21, s19, s12
	s_delay_alu instid0(SALU_CYCLE_1) | instskip(NEXT) | instid1(VALU_DEP_1)
	s_add_i32 s11, s11, s21
	v_sub_co_u32 v2, s23, v1, s18
	s_sub_i32 s21, s17, s11
	s_cmp_lg_u32 s22, 0
	s_subb_u32 s21, s21, s19
	s_cmp_lg_u32 s23, 0
	v_readfirstlane_b32 s23, v2
	s_subb_u32 s21, s21, 0
	s_delay_alu instid0(SALU_CYCLE_1) | instskip(SKIP_1) | instid1(VALU_DEP_1)
	s_cmp_ge_u32 s21, s19
	s_cselect_b32 s33, -1, 0
	s_cmp_ge_u32 s23, s18
	s_cselect_b32 s23, -1, 0
	s_cmp_eq_u32 s21, s19
	s_cselect_b32 s21, s23, s33
	s_add_u32 s23, s12, 1
	s_addc_u32 s33, s20, 0
	s_add_u32 s38, s12, 2
	s_addc_u32 s39, s20, 0
	s_cmp_lg_u32 s21, 0
	s_cselect_b32 s21, s38, s23
	s_cselect_b32 s23, s39, s33
	s_cmp_lg_u32 s22, 0
	v_readfirstlane_b32 s22, v1
	s_subb_u32 s11, s17, s11
	s_delay_alu instid0(SALU_CYCLE_1) | instskip(SKIP_1) | instid1(VALU_DEP_1)
	s_cmp_ge_u32 s11, s19
	s_cselect_b32 s33, -1, 0
	s_cmp_ge_u32 s22, s18
	s_cselect_b32 s22, -1, 0
	s_cmp_eq_u32 s11, s19
	s_cselect_b32 s11, s22, s33
	s_delay_alu instid0(SALU_CYCLE_1)
	s_cmp_lg_u32 s11, 0
	s_mov_b32 s11, 0
	s_cselect_b32 s39, s23, s20
	s_cselect_b32 s38, s21, s12
.LBB127_13:                             ;   in Loop: Header=BB127_11 Depth=1
	s_and_not1_b32 vcc_lo, exec_lo, s11
	s_cbranch_vccnz .LBB127_15
; %bb.14:                               ;   in Loop: Header=BB127_11 Depth=1
	v_cvt_f32_u32_e32 v1, s18
	s_sub_i32 s12, 0, s18
	s_mov_b32 s39, s10
	s_waitcnt_depctr 0xfff
	v_rcp_iflag_f32_e32 v1, v1
	s_waitcnt_depctr 0xfff
	v_mul_f32_e32 v1, 0x4f7ffffe, v1
	s_delay_alu instid0(VALU_DEP_1) | instskip(NEXT) | instid1(VALU_DEP_1)
	v_cvt_u32_f32_e32 v1, v1
	v_readfirstlane_b32 s11, v1
	s_delay_alu instid0(VALU_DEP_1) | instskip(NEXT) | instid1(SALU_CYCLE_1)
	s_mul_i32 s12, s12, s11
	s_mul_hi_u32 s12, s11, s12
	s_delay_alu instid0(SALU_CYCLE_1) | instskip(NEXT) | instid1(SALU_CYCLE_1)
	s_add_i32 s11, s11, s12
	s_mul_hi_u32 s11, s16, s11
	s_delay_alu instid0(SALU_CYCLE_1) | instskip(SKIP_2) | instid1(SALU_CYCLE_1)
	s_mul_i32 s12, s11, s18
	s_add_i32 s20, s11, 1
	s_sub_i32 s12, s16, s12
	s_sub_i32 s21, s12, s18
	s_cmp_ge_u32 s12, s18
	s_cselect_b32 s11, s20, s11
	s_cselect_b32 s12, s21, s12
	s_add_i32 s20, s11, 1
	s_cmp_ge_u32 s12, s18
	s_cselect_b32 s38, s20, s11
.LBB127_15:                             ;   in Loop: Header=BB127_11 Depth=1
	s_load_b64 s[20:21], s[14:15], 0xc8
	s_mul_i32 s11, s38, s19
	s_mul_hi_u32 s12, s38, s18
	s_mul_i32 s19, s39, s18
	s_add_i32 s11, s12, s11
	s_mul_i32 s12, s38, s18
	s_add_i32 s11, s11, s19
	s_sub_u32 s12, s16, s12
	s_subb_u32 s11, s17, s11
	s_waitcnt lgkmcnt(0)
	s_mul_i32 s11, s20, s11
	s_mul_hi_u32 s16, s20, s12
	s_mul_i32 s17, s21, s12
	s_add_i32 s11, s16, s11
	s_mul_i32 s12, s20, s12
	s_add_i32 s11, s11, s17
	s_add_u32 s30, s12, s30
	s_addc_u32 s31, s11, s31
	s_add_i32 s7, s7, -1
	s_add_u32 s14, s14, -8
	s_addc_u32 s15, s15, -1
	s_cmp_gt_u32 s7, 2
	s_cbranch_scc0 .LBB127_17
; %bb.16:                               ;   in Loop: Header=BB127_11 Depth=1
	s_mov_b64 s[16:17], s[38:39]
	s_branch .LBB127_11
.LBB127_17:
	s_clause 0x1
	s_load_b32 s7, s[0:1], 0x4d8
	s_load_b64 s[40:41], s[4:5], 0xd0
	s_add_u32 s11, s0, 0x340
	s_addc_u32 s12, s1, 0
	s_mov_b64 s[4:5], 0
	s_waitcnt lgkmcnt(0)
	s_cmp_lt_i32 s7, 2
	s_cbranch_scc1 .LBB127_25
; %bb.18:
	s_mov_b32 s10, 0
	s_add_i32 s4, s7, -1
	s_mov_b32 s5, s10
	s_add_i32 s7, s7, 1
	s_lshl_b64 s[4:5], s[4:5], 3
	s_delay_alu instid0(SALU_CYCLE_1)
	s_add_u32 s4, s4, s11
	s_addc_u32 s5, s5, s12
	s_add_u32 s14, s4, 8
	s_addc_u32 s15, s5, 0
	s_mov_b64 s[4:5], 0
.LBB127_19:                             ; =>This Inner Loop Header: Depth=1
	s_load_b64 s[16:17], s[14:15], 0x0
	s_waitcnt lgkmcnt(0)
	s_or_b64 s[18:19], s[2:3], s[16:17]
	s_delay_alu instid0(SALU_CYCLE_1) | instskip(NEXT) | instid1(SALU_CYCLE_1)
	s_mov_b32 s11, s19
                                        ; implicit-def: $sgpr18_sgpr19
	s_cmp_lg_u64 s[10:11], 0
	s_mov_b32 s11, -1
	s_cbranch_scc0 .LBB127_21
; %bb.20:                               ;   in Loop: Header=BB127_19 Depth=1
	v_cvt_f32_u32_e32 v1, s16
	v_cvt_f32_u32_e32 v2, s17
	s_sub_u32 s18, 0, s16
	s_subb_u32 s19, 0, s17
	s_waitcnt_depctr 0xfff
	v_fmac_f32_e32 v1, 0x4f800000, v2
	s_delay_alu instid0(VALU_DEP_1) | instskip(SKIP_2) | instid1(VALU_DEP_1)
	v_rcp_f32_e32 v1, v1
	s_waitcnt_depctr 0xfff
	v_mul_f32_e32 v1, 0x5f7ffffc, v1
	v_mul_f32_e32 v2, 0x2f800000, v1
	s_delay_alu instid0(VALU_DEP_1) | instskip(NEXT) | instid1(VALU_DEP_1)
	v_trunc_f32_e32 v2, v2
	v_fmac_f32_e32 v1, 0xcf800000, v2
	v_cvt_u32_f32_e32 v2, v2
	s_delay_alu instid0(VALU_DEP_2) | instskip(NEXT) | instid1(VALU_DEP_2)
	v_cvt_u32_f32_e32 v1, v1
	v_readfirstlane_b32 s11, v2
	s_delay_alu instid0(VALU_DEP_2) | instskip(NEXT) | instid1(VALU_DEP_2)
	v_readfirstlane_b32 s12, v1
	s_mul_i32 s20, s18, s11
	s_delay_alu instid0(VALU_DEP_1)
	s_mul_hi_u32 s22, s18, s12
	s_mul_i32 s21, s19, s12
	s_add_i32 s20, s22, s20
	s_mul_i32 s23, s18, s12
	s_add_i32 s20, s20, s21
	s_mul_hi_u32 s22, s12, s23
	s_mul_hi_u32 s33, s11, s23
	s_mul_i32 s21, s11, s23
	s_mul_hi_u32 s23, s12, s20
	s_mul_i32 s12, s12, s20
	s_mul_hi_u32 s42, s11, s20
	s_add_u32 s12, s22, s12
	s_addc_u32 s22, 0, s23
	s_add_u32 s12, s12, s21
	s_mul_i32 s20, s11, s20
	s_addc_u32 s12, s22, s33
	s_addc_u32 s21, s42, 0
	s_add_u32 s12, s12, s20
	s_addc_u32 s20, 0, s21
	v_add_co_u32 v1, s12, v1, s12
	s_delay_alu instid0(VALU_DEP_1) | instskip(SKIP_1) | instid1(VALU_DEP_1)
	s_cmp_lg_u32 s12, 0
	s_addc_u32 s11, s11, s20
	v_readfirstlane_b32 s12, v1
	s_mul_i32 s20, s18, s11
	s_delay_alu instid0(VALU_DEP_1)
	s_mul_hi_u32 s21, s18, s12
	s_mul_i32 s19, s19, s12
	s_add_i32 s20, s21, s20
	s_mul_i32 s18, s18, s12
	s_add_i32 s20, s20, s19
	s_mul_hi_u32 s21, s11, s18
	s_mul_i32 s22, s11, s18
	s_mul_hi_u32 s18, s12, s18
	s_mul_hi_u32 s23, s12, s20
	s_mul_i32 s12, s12, s20
	s_mul_hi_u32 s19, s11, s20
	s_add_u32 s12, s18, s12
	s_addc_u32 s18, 0, s23
	s_add_u32 s12, s12, s22
	s_mul_i32 s20, s11, s20
	s_addc_u32 s12, s18, s21
	s_addc_u32 s18, s19, 0
	s_add_u32 s12, s12, s20
	s_addc_u32 s18, 0, s18
	v_add_co_u32 v1, s12, v1, s12
	s_delay_alu instid0(VALU_DEP_1) | instskip(SKIP_1) | instid1(VALU_DEP_1)
	s_cmp_lg_u32 s12, 0
	s_addc_u32 s11, s11, s18
	v_readfirstlane_b32 s12, v1
	s_mul_i32 s19, s2, s11
	s_mul_hi_u32 s18, s2, s11
	s_mul_hi_u32 s20, s3, s11
	s_mul_i32 s11, s3, s11
	s_mul_hi_u32 s21, s2, s12
	s_mul_hi_u32 s22, s3, s12
	s_mul_i32 s12, s3, s12
	s_add_u32 s19, s21, s19
	s_addc_u32 s18, 0, s18
	s_add_u32 s12, s19, s12
	s_addc_u32 s12, s18, s22
	s_addc_u32 s18, s20, 0
	s_add_u32 s12, s12, s11
	s_addc_u32 s18, 0, s18
	s_mul_hi_u32 s11, s16, s12
	s_mul_i32 s20, s16, s18
	s_mul_i32 s21, s16, s12
	s_add_i32 s11, s11, s20
	v_sub_co_u32 v1, s20, s2, s21
	s_mul_i32 s19, s17, s12
	s_delay_alu instid0(SALU_CYCLE_1) | instskip(NEXT) | instid1(VALU_DEP_1)
	s_add_i32 s11, s11, s19
	v_sub_co_u32 v2, s21, v1, s16
	s_sub_i32 s19, s3, s11
	s_cmp_lg_u32 s20, 0
	s_subb_u32 s19, s19, s17
	s_cmp_lg_u32 s21, 0
	v_readfirstlane_b32 s21, v2
	s_subb_u32 s19, s19, 0
	s_delay_alu instid0(SALU_CYCLE_1) | instskip(SKIP_1) | instid1(VALU_DEP_1)
	s_cmp_ge_u32 s19, s17
	s_cselect_b32 s22, -1, 0
	s_cmp_ge_u32 s21, s16
	s_cselect_b32 s21, -1, 0
	s_cmp_eq_u32 s19, s17
	s_cselect_b32 s19, s21, s22
	s_add_u32 s21, s12, 1
	s_addc_u32 s22, s18, 0
	s_add_u32 s23, s12, 2
	s_addc_u32 s33, s18, 0
	s_cmp_lg_u32 s19, 0
	s_cselect_b32 s21, s23, s21
	s_cselect_b32 s19, s33, s22
	s_cmp_lg_u32 s20, 0
	v_readfirstlane_b32 s20, v1
	s_subb_u32 s11, s3, s11
	s_delay_alu instid0(SALU_CYCLE_1) | instskip(SKIP_1) | instid1(VALU_DEP_1)
	s_cmp_ge_u32 s11, s17
	s_cselect_b32 s22, -1, 0
	s_cmp_ge_u32 s20, s16
	s_cselect_b32 s20, -1, 0
	s_cmp_eq_u32 s11, s17
	s_cselect_b32 s11, s20, s22
	s_delay_alu instid0(SALU_CYCLE_1)
	s_cmp_lg_u32 s11, 0
	s_mov_b32 s11, 0
	s_cselect_b32 s19, s19, s18
	s_cselect_b32 s18, s21, s12
.LBB127_21:                             ;   in Loop: Header=BB127_19 Depth=1
	s_and_not1_b32 vcc_lo, exec_lo, s11
	s_cbranch_vccnz .LBB127_23
; %bb.22:                               ;   in Loop: Header=BB127_19 Depth=1
	v_cvt_f32_u32_e32 v1, s16
	s_sub_i32 s12, 0, s16
	s_waitcnt_depctr 0xfff
	v_rcp_iflag_f32_e32 v1, v1
	s_waitcnt_depctr 0xfff
	v_mul_f32_e32 v1, 0x4f7ffffe, v1
	s_delay_alu instid0(VALU_DEP_1) | instskip(NEXT) | instid1(VALU_DEP_1)
	v_cvt_u32_f32_e32 v1, v1
	v_readfirstlane_b32 s11, v1
	s_delay_alu instid0(VALU_DEP_1) | instskip(NEXT) | instid1(SALU_CYCLE_1)
	s_mul_i32 s12, s12, s11
	s_mul_hi_u32 s12, s11, s12
	s_delay_alu instid0(SALU_CYCLE_1) | instskip(NEXT) | instid1(SALU_CYCLE_1)
	s_add_i32 s11, s11, s12
	s_mul_hi_u32 s11, s2, s11
	s_delay_alu instid0(SALU_CYCLE_1) | instskip(SKIP_2) | instid1(SALU_CYCLE_1)
	s_mul_i32 s12, s11, s16
	s_add_i32 s18, s11, 1
	s_sub_i32 s12, s2, s12
	s_sub_i32 s19, s12, s16
	s_cmp_ge_u32 s12, s16
	s_cselect_b32 s11, s18, s11
	s_cselect_b32 s12, s19, s12
	s_add_i32 s18, s11, 1
	s_cmp_ge_u32 s12, s16
	s_mov_b32 s19, s10
	s_cselect_b32 s18, s18, s11
.LBB127_23:                             ;   in Loop: Header=BB127_19 Depth=1
	s_load_b64 s[20:21], s[14:15], 0xc8
	s_mul_i32 s11, s18, s17
	s_mul_hi_u32 s12, s18, s16
	s_mul_i32 s17, s19, s16
	s_add_i32 s11, s12, s11
	s_mul_i32 s12, s18, s16
	s_add_i32 s11, s11, s17
	s_sub_u32 s2, s2, s12
	s_subb_u32 s3, s3, s11
	s_waitcnt lgkmcnt(0)
	s_mul_i32 s3, s20, s3
	s_mul_hi_u32 s11, s20, s2
	s_mul_i32 s12, s21, s2
	s_add_i32 s3, s11, s3
	s_mul_i32 s2, s20, s2
	s_add_i32 s3, s3, s12
	s_add_u32 s4, s2, s4
	s_addc_u32 s5, s3, s5
	s_add_i32 s7, s7, -1
	s_add_u32 s14, s14, -8
	s_addc_u32 s15, s15, -1
	s_cmp_gt_u32 s7, 2
	s_cbranch_scc0 .LBB127_26
; %bb.24:                               ;   in Loop: Header=BB127_19 Depth=1
	s_mov_b64 s[2:3], s[18:19]
	s_branch .LBB127_19
.LBB127_25:
	s_mov_b64 s[18:19], s[2:3]
.LBB127_26:
	s_clause 0x3
	s_load_b64 s[14:15], s[0:1], 0x410
	s_load_b64 s[44:45], s[0:1], 0x0
	;; [unrolled: 1-line block ×4, first 2 shown]
	v_dual_mov_b32 v1, 0 :: v_dual_mov_b32 v2, 0
	v_mov_b32_e32 v3, 0
	s_delay_alu instid0(VALU_DEP_2)
	v_cmp_gt_u64_e64 s2, s[24:25], v[0:1]
	s_waitcnt lgkmcnt(0)
	s_mul_i32 s3, s14, s19
	s_mul_hi_u32 s7, s14, s18
	s_mul_i32 s12, s15, s18
	s_add_i32 s3, s7, s3
	s_mul_i32 s14, s14, s18
	s_add_i32 s15, s3, s12
	s_and_saveexec_b32 s7, s2
	s_cbranch_execz .LBB127_30
; %bb.27:
	v_mad_u64_u32 v[4:5], null, s28, v0, 0
	s_load_b32 s3, s[8:9], 0xc
	s_lshl_b64 s[18:19], s[4:5], 2
	s_lshl_b64 s[16:17], s[14:15], 2
	s_delay_alu instid0(VALU_DEP_1) | instskip(NEXT) | instid1(VALU_DEP_1)
	v_mov_b32_e32 v2, v5
	v_mad_u64_u32 v[5:6], null, s29, v0, v[2:3]
	v_dual_mov_b32 v2, 0 :: v_dual_mov_b32 v7, v1
	v_dual_mov_b32 v3, 0 :: v_dual_mov_b32 v6, v0
	s_delay_alu instid0(VALU_DEP_3)
	v_lshlrev_b64 v[4:5], 2, v[4:5]
	s_waitcnt lgkmcnt(0)
	s_and_b32 s12, s3, 0xffff
	s_add_u32 s3, s10, s18
	s_addc_u32 s18, s11, s19
	s_add_u32 s3, s3, s16
	s_addc_u32 s16, s18, s17
	v_add_co_u32 v4, vcc_lo, s3, v4
	s_mul_i32 s19, s29, s12
	s_mul_hi_u32 s20, s28, s12
	v_add_co_ci_u32_e32 v5, vcc_lo, s16, v5, vcc_lo
	s_add_i32 s17, s20, s19
	s_mul_i32 s16, s28, s12
	s_mov_b32 s18, 0
	s_lshl_b64 s[16:17], s[16:17], 2
	.p2align	6
.LBB127_28:                             ; =>This Inner Loop Header: Depth=1
	global_load_b32 v8, v[4:5], off
	v_add_co_u32 v6, vcc_lo, v6, s12
	v_add_co_ci_u32_e32 v7, vcc_lo, 0, v7, vcc_lo
	v_add_co_u32 v4, vcc_lo, v4, s16
	v_add_co_ci_u32_e32 v5, vcc_lo, s17, v5, vcc_lo
	s_waitcnt vmcnt(0)
	v_cmp_u_f32_e32 vcc_lo, v8, v8
	v_cndmask_b32_e64 v8, 0, 1, vcc_lo
	v_cmp_le_u64_e32 vcc_lo, s[24:25], v[6:7]
	s_delay_alu instid0(VALU_DEP_2) | instskip(NEXT) | instid1(VALU_DEP_1)
	v_add_co_u32 v2, s3, v2, v8
	v_add_co_ci_u32_e64 v3, s3, 0, v3, s3
	s_or_b32 s18, vcc_lo, s18
	s_delay_alu instid0(SALU_CYCLE_1)
	s_and_not1_b32 exec_lo, exec_lo, s18
	s_cbranch_execnz .LBB127_28
; %bb.29:
	s_or_b32 exec_lo, exec_lo, s18
.LBB127_30:
	s_delay_alu instid0(SALU_CYCLE_1) | instskip(SKIP_1) | instid1(VALU_DEP_1)
	s_or_b32 exec_lo, exec_lo, s7
	v_cmp_eq_u32_e64 s3, 0, v0
	s_and_saveexec_b32 s7, s3
	s_cbranch_execz .LBB127_32
; %bb.31:
	v_mov_b32_e32 v4, 0
	s_delay_alu instid0(VALU_DEP_1)
	v_mov_b32_e32 v5, v4
	ds_store_b64 v4, v[4:5] offset:5136
.LBB127_32:
	s_or_b32 exec_lo, exec_lo, s7
	s_mov_b64 s[16:17], 0
	s_mov_b32 s7, exec_lo
	s_waitcnt lgkmcnt(0)
	s_barrier
	buffer_gl0_inv
	v_cmpx_ne_u64_e32 0, v[2:3]
	s_cbranch_execz .LBB127_37
; %bb.33:
	s_mov_b32 s12, exec_lo
.LBB127_34:                             ; =>This Inner Loop Header: Depth=1
	s_delay_alu instid0(SALU_CYCLE_1) | instskip(NEXT) | instid1(SALU_CYCLE_1)
	s_ctz_i32_b32 s18, s12
	v_readlane_b32 s19, v2, s18
	v_readlane_b32 s20, v3, s18
	s_delay_alu instid0(VALU_DEP_2) | instskip(NEXT) | instid1(VALU_DEP_1)
	s_add_u32 s16, s16, s19
	s_addc_u32 s17, s17, s20
	s_lshl_b32 s18, 1, s18
	s_delay_alu instid0(SALU_CYCLE_1) | instskip(NEXT) | instid1(SALU_CYCLE_1)
	s_and_not1_b32 s12, s12, s18
	s_cmp_lg_u32 s12, 0
	s_cbranch_scc1 .LBB127_34
; %bb.35:
	v_mbcnt_lo_u32_b32 v2, exec_lo, 0
	s_mov_b32 s12, exec_lo
	s_delay_alu instid0(VALU_DEP_1)
	v_cmpx_eq_u32_e32 0, v2
	s_xor_b32 s12, exec_lo, s12
	s_cbranch_execz .LBB127_37
; %bb.36:
	v_mov_b32_e32 v2, s16
	v_dual_mov_b32 v4, 0 :: v_dual_mov_b32 v3, s17
	ds_add_u64 v4, v[2:3] offset:5136
.LBB127_37:
	s_or_b32 exec_lo, exec_lo, s7
	v_mov_b32_e32 v2, 0
	s_waitcnt lgkmcnt(0)
	s_barrier
	buffer_gl0_inv
	s_load_b32 s7, s[0:1], 0x4f8
	ds_load_b64 v[2:3], v2 offset:5136
	s_mov_b64 s[50:51], s[24:25]
	s_waitcnt lgkmcnt(0)
	s_bitcmp1_b32 s7, 0
	v_readfirstlane_b32 s0, v2
	v_readfirstlane_b32 s1, v3
	s_cselect_b32 s7, -1, 0
	s_delay_alu instid0(VALU_DEP_1) | instskip(NEXT) | instid1(VALU_DEP_1)
	v_cmp_lt_i64_e64 s12, s[0:1], 1
	s_or_b32 s7, s7, s12
	s_delay_alu instid0(SALU_CYCLE_1)
	s_and_not1_b32 vcc_lo, exec_lo, s7
	s_cbranch_vccnz .LBB127_39
; %bb.38:
	s_not_b64 s[0:1], s[0:1]
	s_delay_alu instid0(SALU_CYCLE_1) | instskip(SKIP_1) | instid1(SALU_CYCLE_1)
	s_add_u32 s0, s0, s24
	s_addc_u32 s1, s1, s25
	s_lshr_b64 s[0:1], s[0:1], 1
	s_delay_alu instid0(SALU_CYCLE_1)
	s_add_u32 s50, s0, 1
	s_addc_u32 s51, s1, 0
.LBB127_39:
	s_and_saveexec_b32 s0, s3
	s_cbranch_execz .LBB127_41
; %bb.40:
	v_dual_mov_b32 v2, 0 :: v_dual_mov_b32 v5, s25
	s_delay_alu instid0(VALU_DEP_1)
	v_dual_mov_b32 v4, s24 :: v_dual_mov_b32 v3, v2
	ds_store_b32 v2, v2 offset:5144
	ds_store_b128 v2, v[2:5] offset:5120
.LBB127_41:
	s_or_b32 exec_lo, exec_lo, s0
	s_lshl_b64 s[46:47], s[4:5], 2
	s_waitcnt lgkmcnt(0)
	s_barrier
	buffer_gl0_inv
	s_load_b32 s5, s[8:9], 0xc
	v_dual_mov_b32 v15, 0 :: v_dual_lshlrev_b32 v12, 2, v0
	v_lshlrev_b32_e32 v44, 4, v0
	v_mbcnt_lo_u32_b32 v41, -1, 0
	v_mad_u64_u32 v[2:3], null, v0, s28, 0
	s_delay_alu instid0(VALU_DEP_4)
	v_mov_b32_e32 v13, v15
	s_lshl_b64 s[14:15], s[14:15], 2
	v_or_b32_e32 v11, 12, v44
	v_or_b32_e32 v14, 8, v44
	v_cmp_gt_u32_e32 vcc_lo, 32, v0
	s_add_u32 s16, s10, s14
	v_cmp_gt_i32_e64 s4, 4, v41
	v_lshrrev_b32_e32 v6, 3, v0
	s_addc_u32 s17, s11, s15
	s_add_u32 s75, s16, s46
	v_or_b32_e32 v24, 4, v44
	v_mad_u64_u32 v[18:19], null, s28, v11, s[16:17]
	v_mad_u64_u32 v[20:21], null, s28, v14, s[16:17]
	s_addc_u32 s76, s17, s47
	s_waitcnt lgkmcnt(0)
	s_and_b32 s33, s5, 0xffff
	v_mad_u64_u32 v[4:5], null, v0, s29, v[3:4]
	s_and_b32 s77, vcc_lo, s4
	s_bfe_u32 s4, s5, 0xb0005
	v_and_b32_e32 v43, 0x7c, v6
	v_lshlrev_b64 v[6:7], v41, -1
	s_add_u32 s78, s33, -1
	s_addc_u32 s79, 0, -1
	s_add_u32 s80, s78, s24
	v_mad_u64_u32 v[22:23], null, s28, v24, s[16:17]
	s_addc_u32 s55, s79, s25
	s_cmp_lt_u32 s13, s6
	v_not_b32_e32 v45, v6
	v_dual_mov_b32 v6, v19 :: v_dual_mov_b32 v7, v21
	s_cselect_b32 s6, 12, 18
	s_delay_alu instid0(VALU_DEP_3)
	v_dual_mov_b32 v8, v23 :: v_dual_mov_b32 v3, v4
	v_add_nc_u32_e32 v42, 0xc00, v12
	s_add_u32 s56, s8, s6
	s_addc_u32 s57, s9, 0
	s_add_i32 s6, s4, -1
	s_bfe_u32 s81, s33, 0x30005
	v_mad_u64_u32 v[9:10], null, s29, v11, v[6:7]
	s_cmp_gt_u32 s6, 6
	v_lshlrev_b64 v[4:5], 2, v[2:3]
	s_cselect_b32 s82, -1, 0
	s_and_b32 s83, s4, 0x7f8
	s_cmp_lg_u32 s81, 0
	v_lshlrev_b64 v[2:3], 4, v[2:3]
	s_cselect_b32 s85, -1, 0
	s_add_u32 s4, s14, s46
	v_mad_u64_u32 v[10:11], null, s29, v14, v[7:8]
	v_cmp_gt_u16_e64 s84, s5, 31
	s_addc_u32 s5, s15, s47
	v_add_co_u32 v16, vcc_lo, s75, v4
	v_mad_u64_u32 v[6:7], null, s29, v24, v[8:9]
	s_add_u32 s58, s10, s4
	s_addc_u32 s59, s11, s5
	s_lshl_b64 s[60:61], s[28:29], 2
	s_lshl_b64 s[62:63], s[28:29], 4
	s_lshl_b32 s86, s33, 2
	v_add_co_ci_u32_e32 v17, vcc_lo, s76, v5, vcc_lo
	s_add_u32 s4, s10, s46
	v_add_co_u32 v24, vcc_lo, s16, v2
	s_addc_u32 s5, s11, s47
	s_add_u32 s6, s4, s14
	v_add_co_ci_u32_e32 v25, vcc_lo, s17, v3, vcc_lo
	v_dual_mov_b32 v21, v10 :: v_dual_mov_b32 v28, 0
	s_addc_u32 s8, s5, s15
	v_add_co_u32 v10, vcc_lo, s6, v4
	v_cmp_lt_u64_e64 s74, 0x300, s[24:25]
	s_mul_i32 s4, s29, s33
	s_mul_hi_u32 s7, s28, s33
	v_cmp_gt_u32_e64 s0, 2, v0
	v_cmp_eq_u32_e64 s1, 0, v41
	v_dual_mov_b32 v19, v9 :: v_dual_mov_b32 v26, 1.0
	v_mov_b32_e32 v23, v6
	v_lshl_or_b32 v46, v41, 3, 0xc00
	v_add_co_ci_u32_e32 v11, vcc_lo, s8, v5, vcc_lo
	s_add_i32 s5, s7, s4
	s_mul_i32 s4, s28, s33
	s_mov_b32 s53, 0
	s_lshl_b64 s[48:49], s[4:5], 2
	s_mov_b32 s91, 30
	s_mov_b32 s87, 0
	;; [unrolled: 1-line block ×5, first 2 shown]
                                        ; implicit-def: $sgpr88
                                        ; implicit-def: $sgpr90
                                        ; implicit-def: $sgpr89
                                        ; implicit-def: $sgpr93
                                        ; implicit-def: $sgpr95
                                        ; implicit-def: $sgpr92
	s_branch .LBB127_46
.LBB127_42:                             ;   in Loop: Header=BB127_46 Depth=1
	s_xor_b32 s94, s94, 1
	s_add_i32 s7, s91, -2
	s_cmp_eq_u32 s91, 0
	s_mov_b32 s5, 0
	s_cselect_b32 s6, -1, 0
	s_mov_b32 s91, s7
.LBB127_43:                             ;   in Loop: Header=BB127_46 Depth=1
	s_and_not1_b32 s7, s13, exec_lo
	s_and_b32 s5, s5, exec_lo
	s_and_not1_b32 s19, s19, exec_lo
	s_or_b32 s13, s7, s5
	s_and_not1_b32 s12, s12, exec_lo
	s_or_not1_b32 s15, s6, exec_lo
.LBB127_44:                             ;   in Loop: Header=BB127_46 Depth=1
	s_or_b32 exec_lo, exec_lo, s4
	s_delay_alu instid0(SALU_CYCLE_1)
	s_and_not1_b32 s4, s92, exec_lo
	s_and_b32 s5, s13, exec_lo
	s_and_not1_b32 s6, s93, exec_lo
	s_or_b32 s92, s4, s5
	s_and_not1_b32 s4, s95, exec_lo
	s_and_b32 s5, s19, exec_lo
	s_and_b32 s7, s12, exec_lo
	s_or_b32 s95, s4, s5
	s_or_b32 s93, s6, s7
	s_or_not1_b32 s19, s15, exec_lo
.LBB127_45:                             ;   in Loop: Header=BB127_46 Depth=1
	s_or_b32 exec_lo, exec_lo, s14
	s_delay_alu instid0(SALU_CYCLE_1)
	s_and_b32 s4, exec_lo, s19
	v_mov_b32_e32 v2, s96
	s_or_b32 s87, s4, s87
	s_and_not1_b32 s4, s89, exec_lo
	s_and_b32 s5, s92, exec_lo
	s_and_not1_b32 s6, s88, exec_lo
	s_or_b32 s89, s4, s5
	s_and_not1_b32 s4, s90, exec_lo
	s_and_b32 s5, s95, exec_lo
	s_and_b32 s7, s93, exec_lo
	s_or_b32 s90, s4, s5
	s_or_b32 s88, s6, s7
	s_and_not1_b32 exec_lo, exec_lo, s87
	s_cbranch_execz .LBB127_314
.LBB127_46:                             ; =>This Loop Header: Depth=1
                                        ;     Child Loop BB127_54 Depth 2
                                        ;     Child Loop BB127_72 Depth 2
	;; [unrolled: 1-line block ×16, first 2 shown]
	ds_load_b128 v[2:5], v15 offset:5120
	s_waitcnt lgkmcnt(0)
	v_readfirstlane_b32 s65, v3
	v_readfirstlane_b32 s64, v2
	s_delay_alu instid0(VALU_DEP_1)
	s_cmp_lg_u64 s[64:65], 0
	s_cbranch_scc1 .LBB127_79
; %bb.47:                               ;   in Loop: Header=BB127_46 Depth=1
	s_and_b32 vcc_lo, exec_lo, s74
	s_cbranch_vccz .LBB127_62
; %bb.48:                               ;   in Loop: Header=BB127_46 Depth=1
	v_cmp_gt_u64_e32 vcc_lo, 0x301, v[4:5]
	s_mov_b32 s6, 0
	s_mov_b32 s4, 0
	s_cbranch_vccz .LBB127_63
; %bb.49:                               ;   in Loop: Header=BB127_46 Depth=1
	v_mov_b32_e32 v6, 0
	s_and_saveexec_b32 s4, s2
	s_cbranch_execz .LBB127_51
; %bb.50:                               ;   in Loop: Header=BB127_46 Depth=1
	global_load_b32 v6, v[16:17], off
.LBB127_51:                             ;   in Loop: Header=BB127_46 Depth=1
	s_or_b32 exec_lo, exec_lo, s4
	s_and_saveexec_b32 s7, s2
	s_cbranch_execz .LBB127_64
; %bb.52:                               ;   in Loop: Header=BB127_46 Depth=1
	global_load_u16 v7, v15, s[56:57]
	s_mov_b32 s10, 0
	s_waitcnt vmcnt(0)
	v_readfirstlane_b32 s4, v7
	v_and_b32_e32 v7, 0xffff, v7
	s_delay_alu instid0(VALU_DEP_2) | instskip(NEXT) | instid1(SALU_CYCLE_1)
	s_and_b32 s4, 0xffff, s4
	v_add_nc_u32_e32 v8, s4, v0
	s_mul_i32 s5, s61, s4
	s_mul_hi_u32 s8, s60, s4
	s_mul_i32 s9, s60, s4
	s_add_i32 s8, s8, s5
	v_mad_u64_u32 v[2:3], null, s60, v8, s[58:59]
	s_delay_alu instid0(VALU_DEP_1) | instskip(NEXT) | instid1(VALU_DEP_1)
	v_mad_u64_u32 v[4:5], null, s61, v8, v[3:4]
	v_mov_b32_e32 v3, v4
	v_dual_mov_b32 v5, v1 :: v_dual_mov_b32 v4, v0
	s_branch .LBB127_54
.LBB127_53:                             ;   in Loop: Header=BB127_54 Depth=2
	s_or_b32 exec_lo, exec_lo, s5
	v_add_co_u32 v2, vcc_lo, v2, s9
	v_add_co_ci_u32_e32 v3, vcc_lo, s8, v3, vcc_lo
	s_waitcnt vmcnt(0)
	v_mov_b32_e32 v6, v8
	s_and_not1_b32 exec_lo, exec_lo, s10
	s_cbranch_execz .LBB127_64
.LBB127_54:                             ;   Parent Loop BB127_46 Depth=1
                                        ; =>  This Inner Loop Header: Depth=2
	s_delay_alu instid0(VALU_DEP_1) | instskip(NEXT) | instid1(VALU_DEP_2)
	v_add_co_u32 v4, vcc_lo, v4, v7
	v_add_co_ci_u32_e32 v5, vcc_lo, 0, v5, vcc_lo
	s_waitcnt lgkmcnt(0)
	v_dual_mov_b32 v9, 0 :: v_dual_mov_b32 v8, 0
	s_mov_b32 s5, exec_lo
	s_delay_alu instid0(VALU_DEP_2)
	v_cmp_le_u64_e32 vcc_lo, s[24:25], v[4:5]
	v_cmpx_gt_u64_e64 s[24:25], v[4:5]
	s_cbranch_execz .LBB127_56
; %bb.55:                               ;   in Loop: Header=BB127_54 Depth=2
	global_load_b32 v8, v[2:3], off
.LBB127_56:                             ;   in Loop: Header=BB127_54 Depth=2
	s_or_b32 exec_lo, exec_lo, s5
	v_cmp_lt_i32_e64 s4, -1, v6
	s_delay_alu instid0(VALU_DEP_1) | instskip(SKIP_1) | instid1(VALU_DEP_2)
	v_cndmask_b32_e64 v14, -1, 0x80000000, s4
	v_cmp_o_f32_e64 s4, v6, v6
	v_xor_b32_e32 v14, v14, v6
	s_delay_alu instid0(VALU_DEP_1) | instskip(NEXT) | instid1(VALU_DEP_1)
	v_cndmask_b32_e64 v14, -1, v14, s4
	v_and_b32_e32 v14, s97, v14
	s_delay_alu instid0(VALU_DEP_1) | instskip(NEXT) | instid1(VALU_DEP_1)
	v_cmp_eq_u32_e64 s4, s96, v14
	s_cmp_lg_u32 s4, 0
	s_cselect_b32 s5, -1, 0
	s_delay_alu instid0(SALU_CYCLE_1) | instskip(NEXT) | instid1(SALU_CYCLE_1)
	s_and_b32 s5, s1, s5
	s_and_saveexec_b32 s11, s5
	s_cbranch_execz .LBB127_60
; %bb.57:                               ;   in Loop: Header=BB127_54 Depth=2
	s_mov_b32 s14, exec_lo
	s_bcnt1_i32_b32 s12, s4
	v_mbcnt_lo_u32_b32 v9, s14, 0
	s_mov_b32 s13, exec_lo
                                        ; implicit-def: $vgpr14
	s_delay_alu instid0(VALU_DEP_1)
	v_cmpx_eq_u32_e32 0, v9
	s_cbranch_execz .LBB127_59
; %bb.58:                               ;   in Loop: Header=BB127_54 Depth=2
	s_bcnt1_i32_b32 s5, s14
	s_delay_alu instid0(SALU_CYCLE_1) | instskip(NEXT) | instid1(SALU_CYCLE_1)
	s_mul_i32 s5, s12, s5
	v_mov_b32_e32 v14, s5
	ds_add_rtn_u32 v14, v15, v14 offset:5144
.LBB127_59:                             ;   in Loop: Header=BB127_54 Depth=2
	s_or_b32 exec_lo, exec_lo, s13
	s_waitcnt lgkmcnt(0)
	v_readfirstlane_b32 s5, v14
	s_delay_alu instid0(VALU_DEP_1)
	v_mad_u32_u24 v9, s12, v9, s5
.LBB127_60:                             ;   in Loop: Header=BB127_54 Depth=2
	s_or_b32 exec_lo, exec_lo, s11
	ds_bpermute_b32 v9, v15, v9
	s_and_b32 s5, exec_lo, vcc_lo
	s_delay_alu instid0(SALU_CYCLE_1)
	s_or_b32 s10, s5, s10
	s_and_saveexec_b32 s5, s4
	s_cbranch_execz .LBB127_53
; %bb.61:                               ;   in Loop: Header=BB127_54 Depth=2
	v_and_b32_e32 v14, s4, v45
	s_delay_alu instid0(VALU_DEP_1) | instskip(NEXT) | instid1(VALU_DEP_1)
	v_bcnt_u32_b32 v14, v14, 0
	v_lshlrev_b32_e32 v14, 2, v14
	s_waitcnt lgkmcnt(0)
	s_delay_alu instid0(VALU_DEP_1)
	v_lshl_add_u32 v9, v9, 2, v14
	ds_store_b32 v9, v6
	s_branch .LBB127_53
.LBB127_62:                             ;   in Loop: Header=BB127_46 Depth=1
	s_mov_b32 s4, 0
                                        ; implicit-def: $sgpr64_sgpr65
	s_cbranch_execnz .LBB127_67
	s_branch .LBB127_77
.LBB127_63:                             ;   in Loop: Header=BB127_46 Depth=1
	s_mov_b64 s[64:65], 0
	s_and_b32 vcc_lo, exec_lo, s6
	s_cbranch_vccnz .LBB127_67
	s_branch .LBB127_77
.LBB127_64:                             ;   in Loop: Header=BB127_46 Depth=1
	s_or_b32 exec_lo, exec_lo, s7
	s_waitcnt vmcnt(0) lgkmcnt(0)
	s_barrier
	buffer_gl0_inv
	s_and_saveexec_b32 s4, s3
	s_cbranch_execz .LBB127_66
; %bb.65:                               ;   in Loop: Header=BB127_46 Depth=1
	ds_load_b32 v2, v15 offset:5144
	s_waitcnt lgkmcnt(0)
	v_ashrrev_i32_e32 v3, 31, v2
	ds_store_b64 v15, v[2:3] offset:5120
.LBB127_66:                             ;   in Loop: Header=BB127_46 Depth=1
	s_or_b32 exec_lo, exec_lo, s4
	s_waitcnt lgkmcnt(0)
	s_mov_b32 s4, -1
	s_barrier
	s_mov_b64 s[64:65], 0
	s_and_b32 vcc_lo, exec_lo, s6
	s_cbranch_vccz .LBB127_77
.LBB127_67:                             ;   in Loop: Header=BB127_46 Depth=1
	v_mov_b32_e32 v6, 0
	s_and_saveexec_b32 s4, s2
	s_cbranch_execz .LBB127_69
; %bb.68:                               ;   in Loop: Header=BB127_46 Depth=1
	global_load_b32 v6, v[16:17], off
.LBB127_69:                             ;   in Loop: Header=BB127_46 Depth=1
	s_or_b32 exec_lo, exec_lo, s4
	s_and_saveexec_b32 s5, s2
	s_cbranch_execz .LBB127_74
; %bb.70:                               ;   in Loop: Header=BB127_46 Depth=1
	global_load_u16 v8, v15, s[56:57]
	s_mov_b32 s9, 0
	s_waitcnt vmcnt(0)
	v_readfirstlane_b32 s4, v8
	v_and_b32_e32 v8, 0xffff, v8
	s_delay_alu instid0(VALU_DEP_2) | instskip(NEXT) | instid1(SALU_CYCLE_1)
	s_and_b32 s4, 0xffff, s4
	v_add_nc_u32_e32 v7, s4, v0
	s_mul_i32 s7, s61, s4
	s_mul_hi_u32 s8, s60, s4
	s_lshl_b32 s6, s4, 2
	s_add_i32 s7, s8, s7
	v_mad_u64_u32 v[2:3], null, s60, v7, s[58:59]
	s_mul_i32 s8, s60, s4
	s_delay_alu instid0(VALU_DEP_1) | instskip(SKIP_1) | instid1(VALU_DEP_2)
	v_mad_u64_u32 v[4:5], null, s61, v7, v[3:4]
	v_mov_b32_e32 v7, v12
	v_mov_b32_e32 v3, v4
	v_dual_mov_b32 v5, v1 :: v_dual_mov_b32 v4, v0
	s_branch .LBB127_72
	.p2align	6
.LBB127_71:                             ;   in Loop: Header=BB127_72 Depth=2
	s_or_b32 exec_lo, exec_lo, s10
	s_delay_alu instid0(SALU_CYCLE_1)
	s_and_b32 s4, exec_lo, vcc_lo
	v_add_co_u32 v2, vcc_lo, v2, s8
	ds_store_b32 v7, v6
	s_waitcnt vmcnt(0)
	v_dual_mov_b32 v6, v9 :: v_dual_add_nc_u32 v7, s6, v7
	v_add_co_ci_u32_e32 v3, vcc_lo, s7, v3, vcc_lo
	s_or_b32 s9, s4, s9
	s_delay_alu instid0(SALU_CYCLE_1)
	s_and_not1_b32 exec_lo, exec_lo, s9
	s_cbranch_execz .LBB127_74
.LBB127_72:                             ;   Parent Loop BB127_46 Depth=1
                                        ; =>  This Inner Loop Header: Depth=2
	s_delay_alu instid0(VALU_DEP_1) | instskip(NEXT) | instid1(VALU_DEP_2)
	v_add_co_u32 v4, vcc_lo, v4, v8
	v_add_co_ci_u32_e32 v5, vcc_lo, 0, v5, vcc_lo
	v_mov_b32_e32 v9, 0
	s_mov_b32 s10, exec_lo
	s_delay_alu instid0(VALU_DEP_2)
	v_cmp_le_u64_e32 vcc_lo, s[24:25], v[4:5]
	v_cmpx_gt_u64_e64 s[24:25], v[4:5]
	s_cbranch_execz .LBB127_71
; %bb.73:                               ;   in Loop: Header=BB127_72 Depth=2
	global_load_b32 v9, v[2:3], off
	s_branch .LBB127_71
.LBB127_74:                             ;   in Loop: Header=BB127_46 Depth=1
	s_or_b32 exec_lo, exec_lo, s5
	s_waitcnt vmcnt(0) lgkmcnt(0)
	s_barrier
	buffer_gl0_inv
	s_and_saveexec_b32 s4, s3
	s_cbranch_execz .LBB127_76
; %bb.75:                               ;   in Loop: Header=BB127_46 Depth=1
	v_dual_mov_b32 v2, s24 :: v_dual_mov_b32 v3, s25
	ds_store_b64 v15, v[2:3] offset:5120
.LBB127_76:                             ;   in Loop: Header=BB127_46 Depth=1
	s_or_b32 exec_lo, exec_lo, s4
	s_mov_b32 s4, -1
	s_waitcnt lgkmcnt(0)
	s_barrier
                                        ; implicit-def: $sgpr64_sgpr65
.LBB127_77:                             ;   in Loop: Header=BB127_46 Depth=1
	s_and_b32 vcc_lo, exec_lo, s4
	s_cbranch_vccz .LBB127_79
; %bb.78:                               ;   in Loop: Header=BB127_46 Depth=1
	buffer_gl0_inv
	ds_load_b64 v[2:3], v15 offset:5120
	s_waitcnt lgkmcnt(0)
	v_readfirstlane_b32 s64, v2
.LBB127_79:                             ;   in Loop: Header=BB127_46 Depth=1
	s_delay_alu instid0(VALU_DEP_1)
	s_cmp_lt_i32 s64, 1
	s_cbranch_scc0 .LBB127_94
; %bb.80:                               ;   in Loop: Header=BB127_46 Depth=1
	global_load_u16 v2, v15, s[56:57]
	s_mov_b32 s5, s25
	s_waitcnt vmcnt(0)
	v_readfirstlane_b32 s4, v2
	s_delay_alu instid0(VALU_DEP_1)
	s_and_b32 s52, s4, 0xffff
	s_mov_b32 s4, s53
	s_lshl_b32 s54, s52, 2
	s_cmp_lg_u64 s[4:5], 0
	s_cbranch_scc0 .LBB127_114
; %bb.81:                               ;   in Loop: Header=BB127_46 Depth=1
	v_cvt_f32_u32_e32 v2, s54
	s_sub_u32 s6, 0, s54
	s_subb_u32 s7, 0, 0
	s_delay_alu instid0(VALU_DEP_1) | instskip(NEXT) | instid1(VALU_DEP_1)
	v_fmac_f32_e64 v2, 0, 0x4f800000
	v_rcp_f32_e32 v2, v2
	s_waitcnt_depctr 0xfff
	v_mul_f32_e32 v2, 0x5f7ffffc, v2
	s_delay_alu instid0(VALU_DEP_1) | instskip(NEXT) | instid1(VALU_DEP_1)
	v_mul_f32_e32 v3, 0x2f800000, v2
	v_trunc_f32_e32 v3, v3
	s_delay_alu instid0(VALU_DEP_1) | instskip(SKIP_1) | instid1(VALU_DEP_2)
	v_fmac_f32_e32 v2, 0xcf800000, v3
	v_cvt_u32_f32_e32 v3, v3
	v_cvt_u32_f32_e32 v2, v2
	s_delay_alu instid0(VALU_DEP_2) | instskip(NEXT) | instid1(VALU_DEP_2)
	v_readfirstlane_b32 s4, v3
	v_readfirstlane_b32 s5, v2
	s_delay_alu instid0(VALU_DEP_2) | instskip(NEXT) | instid1(VALU_DEP_1)
	s_mul_i32 s8, s6, s4
	s_mul_hi_u32 s10, s6, s5
	s_mul_i32 s9, s7, s5
	s_add_i32 s8, s10, s8
	s_mul_i32 s11, s6, s5
	s_add_i32 s8, s8, s9
	s_mul_hi_u32 s10, s5, s11
	s_mul_hi_u32 s12, s4, s11
	s_mul_i32 s9, s4, s11
	s_mul_hi_u32 s11, s5, s8
	s_mul_i32 s5, s5, s8
	s_mul_hi_u32 s13, s4, s8
	s_add_u32 s5, s10, s5
	s_addc_u32 s10, 0, s11
	s_add_u32 s5, s5, s9
	s_mul_i32 s8, s4, s8
	s_addc_u32 s5, s10, s12
	s_addc_u32 s9, s13, 0
	s_add_u32 s5, s5, s8
	s_addc_u32 s8, 0, s9
	v_add_co_u32 v2, s5, v2, s5
	s_delay_alu instid0(VALU_DEP_1) | instskip(SKIP_1) | instid1(VALU_DEP_1)
	s_cmp_lg_u32 s5, 0
	s_addc_u32 s4, s4, s8
	v_readfirstlane_b32 s5, v2
	s_mul_i32 s8, s6, s4
	s_delay_alu instid0(VALU_DEP_1)
	s_mul_hi_u32 s9, s6, s5
	s_mul_i32 s7, s7, s5
	s_add_i32 s8, s9, s8
	s_mul_i32 s6, s6, s5
	s_add_i32 s8, s8, s7
	s_mul_hi_u32 s9, s4, s6
	s_mul_i32 s10, s4, s6
	s_mul_hi_u32 s6, s5, s6
	s_mul_hi_u32 s11, s5, s8
	s_mul_i32 s5, s5, s8
	s_mul_hi_u32 s7, s4, s8
	s_add_u32 s5, s6, s5
	s_addc_u32 s6, 0, s11
	s_add_u32 s5, s5, s10
	s_mul_i32 s8, s4, s8
	s_addc_u32 s5, s6, s9
	s_addc_u32 s6, s7, 0
	s_add_u32 s5, s5, s8
	s_addc_u32 s6, 0, s6
	v_add_co_u32 v2, s5, v2, s5
	s_delay_alu instid0(VALU_DEP_1) | instskip(SKIP_1) | instid1(VALU_DEP_1)
	s_cmp_lg_u32 s5, 0
	s_addc_u32 s4, s4, s6
	v_readfirstlane_b32 s5, v2
	s_mul_i32 s7, s24, s4
	s_mul_hi_u32 s6, s24, s4
	s_mul_hi_u32 s8, s25, s4
	s_mul_i32 s4, s25, s4
	s_mul_hi_u32 s9, s24, s5
	s_mul_hi_u32 s10, s25, s5
	s_mul_i32 s5, s25, s5
	s_add_u32 s7, s9, s7
	s_addc_u32 s6, 0, s6
	s_add_u32 s5, s7, s5
	s_addc_u32 s5, s6, s10
	s_addc_u32 s6, s8, 0
	s_add_u32 s4, s5, s4
	s_addc_u32 s5, 0, s6
	s_mul_hi_u32 s6, s54, s4
	s_mul_i32 s4, s54, s4
	s_mul_i32 s5, s54, s5
	v_sub_co_u32 v2, s4, s24, s4
	s_add_i32 s6, s6, s5
	s_cmp_lg_u32 s4, 0
	s_delay_alu instid0(VALU_DEP_1) | instskip(SKIP_2) | instid1(VALU_DEP_1)
	v_sub_co_u32 v3, s4, v2, s54
	s_subb_u32 s5, s25, s6
	s_cmp_lg_u32 s4, 0
	v_cmp_le_u32_e32 vcc_lo, s54, v3
	v_sub_co_u32 v4, s4, v3, s54
	s_subb_u32 s6, s5, 0
	s_cmp_lg_u32 s4, 0
	v_cndmask_b32_e64 v5, 0, -1, vcc_lo
	s_subb_u32 s4, s6, 0
	s_cmp_eq_u32 s6, 0
	v_mov_b32_e32 v7, s4
	s_cselect_b32 vcc_lo, -1, 0
	s_cmp_eq_u32 s5, 0
	v_cndmask_b32_e32 v5, -1, v5, vcc_lo
	v_cmp_le_u32_e32 vcc_lo, s54, v2
	s_cselect_b32 s4, -1, 0
	v_cndmask_b32_e64 v6, 0, -1, vcc_lo
	s_delay_alu instid0(VALU_DEP_3) | instskip(NEXT) | instid1(VALU_DEP_2)
	v_cmp_ne_u32_e32 vcc_lo, 0, v5
	v_cndmask_b32_e64 v5, -1, v6, s4
	v_cndmask_b32_e32 v6, s6, v7, vcc_lo
	v_cndmask_b32_e32 v4, v3, v4, vcc_lo
	s_delay_alu instid0(VALU_DEP_3) | instskip(NEXT) | instid1(VALU_DEP_3)
	v_cmp_ne_u32_e32 vcc_lo, 0, v5
	v_cndmask_b32_e32 v3, s5, v6, vcc_lo
	s_delay_alu instid0(VALU_DEP_3)
	v_cndmask_b32_e32 v2, v2, v4, vcc_lo
	s_cbranch_execnz .LBB127_83
.LBB127_82:                             ;   in Loop: Header=BB127_46 Depth=1
	v_cvt_f32_u32_e32 v2, s54
	s_sub_i32 s4, 0, s54
	s_delay_alu instid0(VALU_DEP_1) | instskip(SKIP_2) | instid1(VALU_DEP_1)
	v_rcp_iflag_f32_e32 v2, v2
	s_waitcnt_depctr 0xfff
	v_mul_f32_e32 v2, 0x4f7ffffe, v2
	v_cvt_u32_f32_e32 v2, v2
	s_delay_alu instid0(VALU_DEP_1) | instskip(NEXT) | instid1(VALU_DEP_1)
	v_mul_lo_u32 v3, s4, v2
	v_mul_hi_u32 v3, v2, v3
	s_delay_alu instid0(VALU_DEP_1) | instskip(NEXT) | instid1(VALU_DEP_1)
	v_add_nc_u32_e32 v2, v2, v3
	v_mul_hi_u32 v2, s24, v2
	s_delay_alu instid0(VALU_DEP_1) | instskip(NEXT) | instid1(VALU_DEP_1)
	v_mul_lo_u32 v2, v2, s54
	v_sub_nc_u32_e32 v2, s24, v2
	s_delay_alu instid0(VALU_DEP_1) | instskip(SKIP_1) | instid1(VALU_DEP_2)
	v_subrev_nc_u32_e32 v3, s54, v2
	v_cmp_le_u32_e32 vcc_lo, s54, v2
	v_cndmask_b32_e32 v2, v2, v3, vcc_lo
	s_delay_alu instid0(VALU_DEP_1) | instskip(SKIP_1) | instid1(VALU_DEP_2)
	v_subrev_nc_u32_e32 v3, s54, v2
	v_cmp_le_u32_e32 vcc_lo, s54, v2
	v_cndmask_b32_e32 v14, v2, v3, vcc_lo
	s_delay_alu instid0(VALU_DEP_1)
	v_dual_mov_b32 v2, v14 :: v_dual_mov_b32 v3, v15
.LBB127_83:                             ;   in Loop: Header=BB127_46 Depth=1
	s_delay_alu instid0(VALU_DEP_1) | instskip(NEXT) | instid1(VALU_DEP_2)
	v_sub_co_u32 v29, vcc_lo, s24, v2
	v_sub_co_ci_u32_e32 v30, vcc_lo, s25, v3, vcc_lo
	v_mov_b32_e32 v2, 0
	v_mov_b32_e32 v3, 0
	s_mov_b64 s[66:67], 0
	s_mov_b32 s65, exec_lo
	s_delay_alu instid0(VALU_DEP_1)
	v_dual_mov_b32 v5, v3 :: v_dual_mov_b32 v4, v2
	v_dual_mov_b32 v7, v3 :: v_dual_mov_b32 v6, v2
	;; [unrolled: 1-line block ×3, first 2 shown]
	v_cmpx_gt_u64_e64 v[29:30], v[12:13]
	s_cbranch_execz .LBB127_87
; %bb.84:                               ;   in Loop: Header=BB127_46 Depth=1
	v_dual_mov_b32 v32, v25 :: v_dual_mov_b32 v31, v24
	v_dual_mov_b32 v34, v23 :: v_dual_mov_b32 v33, v22
	;; [unrolled: 1-line block ×5, first 2 shown]
	s_mul_i32 s4, s63, s52
	s_mul_hi_u32 s5, s62, s52
	s_and_b32 s98, s91, 0xfe
	s_add_i32 s99, s5, s4
	s_mul_i32 s100, s62, s52
	s_mov_b32 s101, 0
	s_mov_b64 s[68:69], 0
	s_mov_b64 s[70:71], 0
	;; [unrolled: 1-line block ×3, first 2 shown]
.LBB127_85:                             ;   Parent Loop BB127_46 Depth=1
                                        ; =>  This Inner Loop Header: Depth=2
	v_add_co_u32 v2, vcc_lo, v31, s46
	v_add_co_ci_u32_e32 v3, vcc_lo, s47, v32, vcc_lo
	v_add_co_u32 v4, vcc_lo, v33, s46
	v_add_co_ci_u32_e32 v5, vcc_lo, s47, v34, vcc_lo
	v_add_co_u32 v6, vcc_lo, v35, s46
	v_add_co_ci_u32_e32 v7, vcc_lo, s47, v36, vcc_lo
	v_add_co_u32 v8, vcc_lo, v37, s46
	v_add_co_ci_u32_e32 v9, vcc_lo, s47, v38, vcc_lo
	global_load_b32 v2, v[2:3], off
	global_load_b32 v3, v[4:5], off
	;; [unrolled: 1-line block ×4, first 2 shown]
	v_add_co_u32 v39, vcc_lo, v39, s54
	v_add_co_ci_u32_e32 v40, vcc_lo, 0, v40, vcc_lo
	v_add_co_u32 v37, vcc_lo, v37, s100
	v_add_co_ci_u32_e32 v38, vcc_lo, s99, v38, vcc_lo
	;; [unrolled: 2-line block ×5, first 2 shown]
	v_cmp_ge_u64_e32 vcc_lo, v[39:40], v[29:30]
	s_waitcnt vmcnt(3)
	v_cmp_lt_i32_e64 s4, -1, v2
	v_cmp_o_f32_e64 s7, v2, v2
	s_waitcnt vmcnt(1)
	v_cmp_o_f32_e64 s5, v4, v4
	s_waitcnt vmcnt(0)
	v_cmp_o_f32_e64 s6, v5, v5
	v_cndmask_b32_e64 v6, -1, 0x80000000, s4
	v_cmp_lt_i32_e64 s4, -1, v3
	s_delay_alu instid0(VALU_DEP_2) | instskip(NEXT) | instid1(VALU_DEP_2)
	v_xor_b32_e32 v6, v6, v2
	v_cndmask_b32_e64 v7, -1, 0x80000000, s4
	v_cmp_lt_i32_e64 s4, -1, v4
	s_delay_alu instid0(VALU_DEP_3) | instskip(NEXT) | instid1(VALU_DEP_3)
	v_cndmask_b32_e64 v2, -1, v6, s7
	v_xor_b32_e32 v7, v7, v3
	s_delay_alu instid0(VALU_DEP_3) | instskip(SKIP_1) | instid1(VALU_DEP_4)
	v_cndmask_b32_e64 v8, -1, 0x80000000, s4
	v_cmp_lt_i32_e64 s4, -1, v5
	v_and_b32_e32 v6, s97, v2
	v_bfe_u32 v2, v2, s98, 2
	s_delay_alu instid0(VALU_DEP_3) | instskip(SKIP_2) | instid1(VALU_DEP_4)
	v_cndmask_b32_e64 v9, -1, 0x80000000, s4
	v_cmp_o_f32_e64 s4, v3, v3
	v_xor_b32_e32 v3, v8, v4
	v_cmp_eq_u32_e64 s8, 0, v2
	v_cmp_eq_u32_e64 s12, 1, v2
	v_xor_b32_e32 v4, v9, v5
	v_cndmask_b32_e64 v5, -1, v7, s4
	v_cndmask_b32_e64 v3, -1, v3, s5
	v_cmp_eq_u32_e64 s4, s96, v6
	v_cmp_eq_u32_e64 s16, 2, v2
	v_cndmask_b32_e64 v4, -1, v4, s6
	v_and_b32_e32 v7, s97, v5
	v_bfe_u32 v5, v5, s98, 2
	v_and_b32_e32 v8, s97, v3
	v_bfe_u32 v3, v3, s98, 2
	;; [unrolled: 2-line block ×3, first 2 shown]
	v_cmp_eq_u32_e64 s5, s96, v7
	v_cmp_eq_u32_e64 s9, 0, v5
	;; [unrolled: 1-line block ×4, first 2 shown]
	s_and_b32 s8, s4, s8
	v_cmp_eq_u32_e64 s7, s96, v9
	v_cmp_eq_u32_e64 s11, 0, v4
	v_cmp_eq_u32_e64 s20, 3, v2
	v_cndmask_b32_e64 v2, 0, 1, s8
	s_and_b32 s8, s5, s9
	v_cmp_eq_u32_e64 s14, 1, v3
	v_cmp_eq_u32_e64 s18, 2, v3
	v_cmp_eq_u32_e64 s22, 3, v3
	v_cndmask_b32_e64 v3, 0, 1, s8
	;; [unrolled: 5-line block ×4, first 2 shown]
	v_cmp_ne_u32_e64 s8, 0, v2
	v_cmp_ne_u32_e64 s9, 0, v3
	;; [unrolled: 1-line block ×3, first 2 shown]
	s_delay_alu instid0(VALU_DEP_4) | instskip(NEXT) | instid1(VALU_DEP_4)
	v_cmp_ne_u32_e64 s11, 0, v5
	s_bcnt1_i32_b32 s8, s8
	s_delay_alu instid0(VALU_DEP_3) | instskip(NEXT) | instid1(VALU_DEP_2)
	s_bcnt1_i32_b32 s9, s9
	s_bcnt1_i32_b32 s10, s10
	s_add_i32 s8, s9, s8
	s_bcnt1_i32_b32 s11, s11
	s_add_i32 s8, s8, s10
	s_delay_alu instid0(SALU_CYCLE_1) | instskip(NEXT) | instid1(SALU_CYCLE_1)
	s_add_i32 s8, s8, s11
	s_add_u32 s72, s72, s8
	s_addc_u32 s73, s73, 0
	s_and_b32 s8, s4, s12
	s_delay_alu instid0(SALU_CYCLE_1) | instskip(SKIP_1) | instid1(SALU_CYCLE_1)
	v_cndmask_b32_e64 v2, 0, 1, s8
	s_and_b32 s8, s5, s13
	v_cndmask_b32_e64 v3, 0, 1, s8
	s_and_b32 s8, s6, s14
	s_delay_alu instid0(SALU_CYCLE_1) | instskip(SKIP_1) | instid1(VALU_DEP_2)
	v_cndmask_b32_e64 v4, 0, 1, s8
	s_and_b32 s8, s7, s15
	v_cmp_ne_u32_e64 s9, 0, v3
	v_cndmask_b32_e64 v5, 0, 1, s8
	v_cmp_ne_u32_e64 s8, 0, v2
	v_cmp_ne_u32_e64 s10, 0, v4
	s_delay_alu instid0(VALU_DEP_4) | instskip(NEXT) | instid1(VALU_DEP_3)
	s_bcnt1_i32_b32 s9, s9
	v_cmp_ne_u32_e64 s11, 0, v5
	s_delay_alu instid0(VALU_DEP_3) | instskip(NEXT) | instid1(VALU_DEP_2)
	s_bcnt1_i32_b32 s8, s8
	s_bcnt1_i32_b32 s10, s10
	s_add_i32 s8, s9, s8
	s_delay_alu instid0(VALU_DEP_1) | instskip(SKIP_1) | instid1(SALU_CYCLE_1)
	s_bcnt1_i32_b32 s11, s11
	s_add_i32 s8, s8, s10
	s_add_i32 s8, s8, s11
	s_delay_alu instid0(SALU_CYCLE_1) | instskip(SKIP_2) | instid1(SALU_CYCLE_1)
	s_add_u32 s70, s70, s8
	s_addc_u32 s71, s71, 0
	s_and_b32 s8, s4, s16
	v_cndmask_b32_e64 v2, 0, 1, s8
	s_and_b32 s8, s5, s17
	s_delay_alu instid0(SALU_CYCLE_1) | instskip(SKIP_1) | instid1(SALU_CYCLE_1)
	v_cndmask_b32_e64 v3, 0, 1, s8
	s_and_b32 s8, s6, s18
	v_cndmask_b32_e64 v4, 0, 1, s8
	s_and_b32 s8, s7, s19
	s_delay_alu instid0(VALU_DEP_2) | instskip(SKIP_3) | instid1(VALU_DEP_4)
	v_cmp_ne_u32_e64 s9, 0, v3
	v_cndmask_b32_e64 v5, 0, 1, s8
	v_cmp_ne_u32_e64 s8, 0, v2
	v_cmp_ne_u32_e64 s10, 0, v4
	s_bcnt1_i32_b32 s9, s9
	s_delay_alu instid0(VALU_DEP_3) | instskip(NEXT) | instid1(VALU_DEP_3)
	v_cmp_ne_u32_e64 s11, 0, v5
	s_bcnt1_i32_b32 s8, s8
	s_delay_alu instid0(VALU_DEP_2) | instskip(SKIP_1) | instid1(VALU_DEP_1)
	s_bcnt1_i32_b32 s10, s10
	s_add_i32 s8, s9, s8
	s_bcnt1_i32_b32 s11, s11
	s_add_i32 s8, s8, s10
	s_delay_alu instid0(SALU_CYCLE_1) | instskip(NEXT) | instid1(SALU_CYCLE_1)
	s_add_i32 s8, s8, s11
	s_add_u32 s68, s68, s8
	s_addc_u32 s69, s69, 0
	s_and_b32 s4, s4, s20
	v_dual_mov_b32 v6, s68 :: v_dual_mov_b32 v7, s69
	v_cndmask_b32_e64 v2, 0, 1, s4
	s_and_b32 s4, s5, s21
	s_delay_alu instid0(SALU_CYCLE_1) | instskip(SKIP_1) | instid1(SALU_CYCLE_1)
	v_cndmask_b32_e64 v3, 0, 1, s4
	s_and_b32 s4, s6, s22
	v_cndmask_b32_e64 v4, 0, 1, s4
	s_and_b32 s4, s7, s23
	s_delay_alu instid0(VALU_DEP_2)
	v_cmp_ne_u32_e64 s5, 0, v3
	v_cndmask_b32_e64 v5, 0, 1, s4
	v_cmp_ne_u32_e64 s4, 0, v2
	v_cmp_ne_u32_e64 s6, 0, v4
	v_mov_b32_e32 v2, s72
	s_bcnt1_i32_b32 s5, s5
	v_cmp_ne_u32_e64 s7, 0, v5
	s_bcnt1_i32_b32 s4, s4
	s_bcnt1_i32_b32 s6, s6
	s_add_i32 s4, s5, s4
	v_mov_b32_e32 v4, s70
	s_bcnt1_i32_b32 s5, s7
	s_add_i32 s4, s4, s6
	v_mov_b32_e32 v3, s73
	s_add_i32 s4, s4, s5
	v_mov_b32_e32 v5, s71
	s_add_u32 s66, s66, s4
	s_addc_u32 s67, s67, 0
	s_delay_alu instid0(SALU_CYCLE_1) | instskip(SKIP_1) | instid1(SALU_CYCLE_1)
	v_dual_mov_b32 v8, s66 :: v_dual_mov_b32 v9, s67
	s_or_b32 s101, vcc_lo, s101
	s_and_not1_b32 exec_lo, exec_lo, s101
	s_cbranch_execnz .LBB127_85
; %bb.86:                               ;   in Loop: Header=BB127_46 Depth=1
	s_or_b32 exec_lo, exec_lo, s101
.LBB127_87:                             ;   in Loop: Header=BB127_46 Depth=1
	s_delay_alu instid0(SALU_CYCLE_1) | instskip(SKIP_3) | instid1(VALU_DEP_2)
	s_or_b32 exec_lo, exec_lo, s65
	v_add_co_u32 v29, vcc_lo, v29, v0
	v_add_co_ci_u32_e32 v30, vcc_lo, 0, v30, vcc_lo
	v_mov_b32_e32 v27, 0
	v_cmp_gt_u64_e32 vcc_lo, s[24:25], v[29:30]
	s_and_saveexec_b32 s5, vcc_lo
	s_cbranch_execz .LBB127_89
; %bb.88:                               ;   in Loop: Header=BB127_46 Depth=1
	v_mul_lo_u32 v14, v30, s28
	v_mul_lo_u32 v27, v29, s29
	v_mad_u64_u32 v[31:32], null, v29, s28, 0
	s_delay_alu instid0(VALU_DEP_1) | instskip(NEXT) | instid1(VALU_DEP_1)
	v_add3_u32 v32, v32, v27, v14
	v_lshlrev_b64 v[31:32], 2, v[31:32]
	s_delay_alu instid0(VALU_DEP_1) | instskip(NEXT) | instid1(VALU_DEP_1)
	v_add_co_u32 v31, s4, s75, v31
	v_add_co_ci_u32_e64 v32, s4, s76, v32, s4
	global_load_b32 v27, v[31:32], off
.LBB127_89:                             ;   in Loop: Header=BB127_46 Depth=1
	s_or_b32 exec_lo, exec_lo, s5
	s_and_saveexec_b32 s8, vcc_lo
	s_cbranch_execz .LBB127_96
; %bb.90:                               ;   in Loop: Header=BB127_46 Depth=1
	s_and_b32 s10, s91, 0xfe
	s_mov_b32 s9, 0
	s_branch .LBB127_92
.LBB127_91:                             ;   in Loop: Header=BB127_92 Depth=2
	s_or_b32 exec_lo, exec_lo, s5
	s_waitcnt vmcnt(0)
	v_cmp_lt_i32_e64 s4, -1, v27
	s_and_b32 s5, exec_lo, vcc_lo
	s_delay_alu instid0(SALU_CYCLE_1) | instskip(NEXT) | instid1(VALU_DEP_1)
	s_or_b32 s9, s5, s9
	v_cndmask_b32_e64 v31, -1, 0x80000000, s4
	v_cmp_o_f32_e64 s4, v27, v27
	s_delay_alu instid0(VALU_DEP_2) | instskip(NEXT) | instid1(VALU_DEP_1)
	v_xor_b32_e32 v31, v31, v27
	v_cndmask_b32_e64 v27, -1, v31, s4
	s_delay_alu instid0(VALU_DEP_1) | instskip(SKIP_1) | instid1(VALU_DEP_2)
	v_and_b32_e32 v31, s97, v27
	v_bfe_u32 v27, v27, s10, 2
	v_cmp_eq_u32_e32 vcc_lo, s96, v31
	s_delay_alu instid0(VALU_DEP_2) | instskip(SKIP_3) | instid1(VALU_DEP_4)
	v_cmp_eq_u32_e64 s4, 0, v27
	v_cmp_eq_u32_e64 s5, 1, v27
	;; [unrolled: 1-line block ×4, first 2 shown]
	s_and_b32 s4, vcc_lo, s4
	s_delay_alu instid0(SALU_CYCLE_1) | instskip(SKIP_1) | instid1(SALU_CYCLE_1)
	v_cndmask_b32_e64 v27, 0, 1, s4
	s_and_b32 s4, vcc_lo, s5
	v_cndmask_b32_e64 v31, 0, 1, s4
	s_and_b32 s4, vcc_lo, s6
	s_delay_alu instid0(SALU_CYCLE_1)
	v_cndmask_b32_e64 v32, 0, 1, s4
	s_and_b32 s4, vcc_lo, s7
	v_cmp_ne_u32_e32 vcc_lo, 0, v27
	v_cndmask_b32_e64 v33, 0, 1, s4
	v_cmp_ne_u32_e64 s4, 0, v31
	v_cmp_ne_u32_e64 s5, 0, v32
	v_mov_b32_e32 v27, v14
	s_bcnt1_i32_b32 s7, vcc_lo
	v_cmp_ne_u32_e64 s6, 0, v33
	v_add_co_u32 v2, vcc_lo, v2, s7
	s_bcnt1_i32_b32 s4, s4
	v_add_co_ci_u32_e32 v3, vcc_lo, 0, v3, vcc_lo
	v_add_co_u32 v4, vcc_lo, v4, s4
	s_bcnt1_i32_b32 s5, s5
	v_add_co_ci_u32_e32 v5, vcc_lo, 0, v5, vcc_lo
	;; [unrolled: 3-line block ×3, first 2 shown]
	v_add_co_u32 v8, vcc_lo, v8, s4
	v_add_co_ci_u32_e32 v9, vcc_lo, 0, v9, vcc_lo
	s_and_not1_b32 exec_lo, exec_lo, s9
	s_cbranch_execz .LBB127_95
.LBB127_92:                             ;   Parent Loop BB127_46 Depth=1
                                        ; =>  This Inner Loop Header: Depth=2
	v_add_co_u32 v29, vcc_lo, v29, s52
	v_add_co_ci_u32_e32 v30, vcc_lo, 0, v30, vcc_lo
	v_mov_b32_e32 v14, 0
	s_mov_b32 s5, exec_lo
	s_delay_alu instid0(VALU_DEP_2)
	v_cmp_le_u64_e32 vcc_lo, s[24:25], v[29:30]
	v_cmpx_gt_u64_e64 s[24:25], v[29:30]
	s_cbranch_execz .LBB127_91
; %bb.93:                               ;   in Loop: Header=BB127_92 Depth=2
	v_mul_lo_u32 v14, v30, s28
	v_mul_lo_u32 v33, v29, s29
	v_mad_u64_u32 v[31:32], null, v29, s28, 0
	s_delay_alu instid0(VALU_DEP_1) | instskip(NEXT) | instid1(VALU_DEP_1)
	v_add3_u32 v32, v32, v33, v14
	v_lshlrev_b64 v[31:32], 2, v[31:32]
	s_delay_alu instid0(VALU_DEP_1) | instskip(NEXT) | instid1(VALU_DEP_1)
	v_add_co_u32 v31, s4, s75, v31
	v_add_co_ci_u32_e64 v32, s4, s76, v32, s4
	global_load_b32 v14, v[31:32], off
	s_branch .LBB127_91
.LBB127_94:                             ;   in Loop: Header=BB127_46 Depth=1
                                        ; implicit-def: $vgpr8_vgpr9
                                        ; implicit-def: $vgpr4_vgpr5
	s_cbranch_execnz .LBB127_97
	s_branch .LBB127_106
.LBB127_95:                             ;   in Loop: Header=BB127_46 Depth=1
	s_or_b32 exec_lo, exec_lo, s9
.LBB127_96:                             ;   in Loop: Header=BB127_46 Depth=1
	s_delay_alu instid0(SALU_CYCLE_1)
	s_or_b32 exec_lo, exec_lo, s8
	s_branch .LBB127_106
.LBB127_97:                             ;   in Loop: Header=BB127_46 Depth=1
	global_load_u16 v8, v15, s[56:57]
	s_mov_b64 s[66:67], 0
	s_mov_b32 s65, exec_lo
	s_waitcnt vmcnt(0)
	v_readfirstlane_b32 s4, v8
	v_and_b32_e32 v27, 0xffff, v8
	s_delay_alu instid0(VALU_DEP_2) | instskip(NEXT) | instid1(SALU_CYCLE_1)
	s_and_b32 s4, 0xffff, s4
	s_lshl_b32 s54, s4, 2
	s_delay_alu instid0(SALU_CYCLE_1) | instskip(SKIP_1) | instid1(VALU_DEP_1)
	v_cvt_f32_u32_e32 v2, s54
	s_sub_i32 s5, 0, s54
	v_rcp_iflag_f32_e32 v2, v2
	s_waitcnt_depctr 0xfff
	v_mul_f32_e32 v2, 0x4f7ffffe, v2
	s_delay_alu instid0(VALU_DEP_1) | instskip(NEXT) | instid1(VALU_DEP_1)
	v_cvt_u32_f32_e32 v2, v2
	v_readfirstlane_b32 s4, v2
	v_mov_b32_e32 v2, 0
	v_mov_b32_e32 v3, 0
	s_delay_alu instid0(VALU_DEP_3) | instskip(NEXT) | instid1(VALU_DEP_1)
	s_mul_i32 s5, s5, s4
	v_dual_mov_b32 v5, v3 :: v_dual_mov_b32 v4, v2
	s_mul_hi_u32 s5, s4, s5
	v_dual_mov_b32 v7, v3 :: v_dual_mov_b32 v6, v2
	s_add_i32 s4, s4, s5
	v_dual_mov_b32 v9, v3 :: v_dual_mov_b32 v8, v2
	s_mul_hi_u32 s4, s64, s4
	s_delay_alu instid0(SALU_CYCLE_1) | instskip(NEXT) | instid1(SALU_CYCLE_1)
	s_mul_i32 s4, s4, s54
	s_sub_i32 s4, s64, s4
	s_delay_alu instid0(SALU_CYCLE_1) | instskip(SKIP_2) | instid1(SALU_CYCLE_1)
	s_sub_i32 s5, s4, s54
	s_cmp_ge_u32 s4, s54
	s_cselect_b32 s4, s5, s4
	s_sub_i32 s5, s4, s54
	s_cmp_ge_u32 s4, s54
	s_cselect_b32 s4, s5, s4
	s_delay_alu instid0(SALU_CYCLE_1) | instskip(NEXT) | instid1(SALU_CYCLE_1)
	s_sub_i32 s52, s64, s4
	v_cmpx_gt_u32_e64 s52, v12
	s_cbranch_execz .LBB127_101
; %bb.98:                               ;   in Loop: Header=BB127_46 Depth=1
	v_dual_mov_b32 v31, v44 :: v_dual_lshlrev_b32 v14, 4, v27
	v_dual_mov_b32 v30, v13 :: v_dual_mov_b32 v29, v12
	s_and_b32 s98, s91, 0xfe
	s_mov_b32 s99, 0
	s_mov_b64 s[68:69], 0
	s_mov_b64 s[70:71], 0
	;; [unrolled: 1-line block ×3, first 2 shown]
.LBB127_99:                             ;   Parent Loop BB127_46 Depth=1
                                        ; =>  This Inner Loop Header: Depth=2
	ds_load_b128 v[2:5], v31
	v_add_co_u32 v29, vcc_lo, v29, s54
	v_add_co_ci_u32_e32 v30, vcc_lo, 0, v30, vcc_lo
	s_delay_alu instid0(VALU_DEP_1)
	v_cmp_le_u64_e32 vcc_lo, s[52:53], v[29:30]
	s_waitcnt lgkmcnt(0)
	v_cmp_lt_i32_e64 s4, -1, v2
	v_cmp_o_f32_e64 s7, v2, v2
	v_cmp_o_f32_e64 s5, v4, v4
	;; [unrolled: 1-line block ×3, first 2 shown]
	s_delay_alu instid0(VALU_DEP_4) | instskip(SKIP_1) | instid1(VALU_DEP_2)
	v_cndmask_b32_e64 v6, -1, 0x80000000, s4
	v_cmp_lt_i32_e64 s4, -1, v3
	v_xor_b32_e32 v6, v6, v2
	s_delay_alu instid0(VALU_DEP_2) | instskip(SKIP_1) | instid1(VALU_DEP_3)
	v_cndmask_b32_e64 v7, -1, 0x80000000, s4
	v_cmp_lt_i32_e64 s4, -1, v4
	v_cndmask_b32_e64 v2, -1, v6, s7
	s_delay_alu instid0(VALU_DEP_3) | instskip(NEXT) | instid1(VALU_DEP_3)
	v_xor_b32_e32 v7, v7, v3
	v_cndmask_b32_e64 v8, -1, 0x80000000, s4
	v_cmp_lt_i32_e64 s4, -1, v5
	s_delay_alu instid0(VALU_DEP_4) | instskip(SKIP_1) | instid1(VALU_DEP_3)
	v_and_b32_e32 v6, s97, v2
	v_bfe_u32 v2, v2, s98, 2
	v_cndmask_b32_e64 v9, -1, 0x80000000, s4
	v_cmp_o_f32_e64 s4, v3, v3
	v_xor_b32_e32 v3, v8, v4
	s_delay_alu instid0(VALU_DEP_4)
	v_cmp_eq_u32_e64 s8, 0, v2
	v_cmp_eq_u32_e64 s12, 1, v2
	v_xor_b32_e32 v4, v9, v5
	v_cndmask_b32_e64 v5, -1, v7, s4
	v_cndmask_b32_e64 v3, -1, v3, s5
	v_cmp_eq_u32_e64 s4, s96, v6
	v_cmp_eq_u32_e64 s16, 2, v2
	v_cndmask_b32_e64 v4, -1, v4, s6
	v_and_b32_e32 v7, s97, v5
	v_bfe_u32 v5, v5, s98, 2
	v_and_b32_e32 v8, s97, v3
	v_bfe_u32 v3, v3, s98, 2
	;; [unrolled: 2-line block ×3, first 2 shown]
	v_cmp_eq_u32_e64 s5, s96, v7
	v_cmp_eq_u32_e64 s9, 0, v5
	;; [unrolled: 1-line block ×4, first 2 shown]
	s_and_b32 s8, s4, s8
	v_cmp_eq_u32_e64 s7, s96, v9
	v_cmp_eq_u32_e64 s11, 0, v4
	v_cmp_eq_u32_e64 s20, 3, v2
	v_cndmask_b32_e64 v2, 0, 1, s8
	s_and_b32 s8, s5, s9
	v_cmp_eq_u32_e64 s14, 1, v3
	v_cmp_eq_u32_e64 s18, 2, v3
	v_cmp_eq_u32_e64 s22, 3, v3
	v_cndmask_b32_e64 v3, 0, 1, s8
	;; [unrolled: 5-line block ×4, first 2 shown]
	v_cmp_ne_u32_e64 s8, 0, v2
	v_cmp_ne_u32_e64 s9, 0, v3
	;; [unrolled: 1-line block ×3, first 2 shown]
	s_delay_alu instid0(VALU_DEP_4) | instskip(NEXT) | instid1(VALU_DEP_4)
	v_cmp_ne_u32_e64 s11, 0, v5
	s_bcnt1_i32_b32 s8, s8
	s_delay_alu instid0(VALU_DEP_3) | instskip(NEXT) | instid1(VALU_DEP_2)
	s_bcnt1_i32_b32 s9, s9
	s_bcnt1_i32_b32 s10, s10
	s_add_i32 s8, s9, s8
	s_bcnt1_i32_b32 s11, s11
	s_add_i32 s8, s8, s10
	s_delay_alu instid0(SALU_CYCLE_1) | instskip(NEXT) | instid1(SALU_CYCLE_1)
	s_add_i32 s8, s8, s11
	s_add_u32 s72, s72, s8
	s_addc_u32 s73, s73, 0
	s_and_b32 s8, s4, s12
	v_add_nc_u32_e32 v31, v31, v14
	v_cndmask_b32_e64 v2, 0, 1, s8
	s_and_b32 s8, s5, s13
	s_delay_alu instid0(SALU_CYCLE_1) | instskip(SKIP_1) | instid1(SALU_CYCLE_1)
	v_cndmask_b32_e64 v3, 0, 1, s8
	s_and_b32 s8, s6, s14
	v_cndmask_b32_e64 v4, 0, 1, s8
	s_and_b32 s8, s7, s15
	s_delay_alu instid0(VALU_DEP_2) | instskip(SKIP_3) | instid1(VALU_DEP_4)
	v_cmp_ne_u32_e64 s9, 0, v3
	v_cndmask_b32_e64 v5, 0, 1, s8
	v_cmp_ne_u32_e64 s8, 0, v2
	v_cmp_ne_u32_e64 s10, 0, v4
	s_bcnt1_i32_b32 s9, s9
	s_delay_alu instid0(VALU_DEP_3) | instskip(NEXT) | instid1(VALU_DEP_3)
	v_cmp_ne_u32_e64 s11, 0, v5
	s_bcnt1_i32_b32 s8, s8
	s_delay_alu instid0(VALU_DEP_2) | instskip(SKIP_1) | instid1(VALU_DEP_1)
	s_bcnt1_i32_b32 s10, s10
	s_add_i32 s8, s9, s8
	s_bcnt1_i32_b32 s11, s11
	s_add_i32 s8, s8, s10
	s_delay_alu instid0(SALU_CYCLE_1) | instskip(NEXT) | instid1(SALU_CYCLE_1)
	s_add_i32 s8, s8, s11
	s_add_u32 s70, s70, s8
	s_addc_u32 s71, s71, 0
	s_and_b32 s8, s4, s16
	s_delay_alu instid0(SALU_CYCLE_1) | instskip(SKIP_1) | instid1(SALU_CYCLE_1)
	v_cndmask_b32_e64 v2, 0, 1, s8
	s_and_b32 s8, s5, s17
	v_cndmask_b32_e64 v3, 0, 1, s8
	s_and_b32 s8, s6, s18
	s_delay_alu instid0(SALU_CYCLE_1) | instskip(SKIP_1) | instid1(VALU_DEP_2)
	v_cndmask_b32_e64 v4, 0, 1, s8
	s_and_b32 s8, s7, s19
	v_cmp_ne_u32_e64 s9, 0, v3
	v_cndmask_b32_e64 v5, 0, 1, s8
	v_cmp_ne_u32_e64 s8, 0, v2
	v_cmp_ne_u32_e64 s10, 0, v4
	s_delay_alu instid0(VALU_DEP_4) | instskip(NEXT) | instid1(VALU_DEP_3)
	s_bcnt1_i32_b32 s9, s9
	v_cmp_ne_u32_e64 s11, 0, v5
	s_delay_alu instid0(VALU_DEP_3) | instskip(NEXT) | instid1(VALU_DEP_2)
	s_bcnt1_i32_b32 s8, s8
	s_bcnt1_i32_b32 s10, s10
	s_add_i32 s8, s9, s8
	s_delay_alu instid0(VALU_DEP_1) | instskip(SKIP_1) | instid1(SALU_CYCLE_1)
	s_bcnt1_i32_b32 s11, s11
	s_add_i32 s8, s8, s10
	s_add_i32 s8, s8, s11
	s_delay_alu instid0(SALU_CYCLE_1)
	s_add_u32 s68, s68, s8
	s_addc_u32 s69, s69, 0
	s_and_b32 s4, s4, s20
	v_mov_b32_e32 v6, s68
	v_cndmask_b32_e64 v2, 0, 1, s4
	s_and_b32 s4, s5, s21
	s_delay_alu instid0(SALU_CYCLE_1) | instskip(SKIP_1) | instid1(SALU_CYCLE_1)
	v_cndmask_b32_e64 v3, 0, 1, s4
	s_and_b32 s4, s6, s22
	v_cndmask_b32_e64 v4, 0, 1, s4
	s_and_b32 s4, s7, s23
	s_delay_alu instid0(VALU_DEP_2)
	v_cmp_ne_u32_e64 s5, 0, v3
	v_cndmask_b32_e64 v5, 0, 1, s4
	v_cmp_ne_u32_e64 s4, 0, v2
	v_mov_b32_e32 v2, s72
	v_cmp_ne_u32_e64 s6, 0, v4
	s_bcnt1_i32_b32 s5, s5
	v_cmp_ne_u32_e64 s7, 0, v5
	s_bcnt1_i32_b32 s4, s4
	v_mov_b32_e32 v4, s70
	s_bcnt1_i32_b32 s6, s6
	s_add_i32 s4, s5, s4
	s_bcnt1_i32_b32 s5, s7
	s_add_i32 s4, s4, s6
	v_mov_b32_e32 v3, s73
	s_add_i32 s4, s4, s5
	v_mov_b32_e32 v5, s71
	s_add_u32 s66, s66, s4
	s_addc_u32 s67, s67, 0
	v_dual_mov_b32 v7, s69 :: v_dual_mov_b32 v8, s66
	v_mov_b32_e32 v9, s67
	s_or_b32 s99, vcc_lo, s99
	s_delay_alu instid0(SALU_CYCLE_1)
	s_and_not1_b32 exec_lo, exec_lo, s99
	s_cbranch_execnz .LBB127_99
; %bb.100:                              ;   in Loop: Header=BB127_46 Depth=1
	s_or_b32 exec_lo, exec_lo, s99
.LBB127_101:                            ;   in Loop: Header=BB127_46 Depth=1
	s_delay_alu instid0(SALU_CYCLE_1) | instskip(SKIP_2) | instid1(VALU_DEP_1)
	s_or_b32 exec_lo, exec_lo, s65
	v_add_nc_u32_e32 v14, s52, v0
	s_mov_b32 s9, exec_lo
	v_cmpx_gt_u32_e64 s64, v14
	s_cbranch_execz .LBB127_105
; %bb.102:                              ;   in Loop: Header=BB127_46 Depth=1
	v_dual_mov_b32 v30, v15 :: v_dual_lshlrev_b32 v31, 2, v14
	v_mov_b32_e32 v29, v14
	s_mov_b32 s11, 0
	s_and_b32 s10, s64, 0x7fffffff
	s_and_b32 s13, s91, 0xfe
	s_mov_b32 s12, s11
.LBB127_103:                            ;   Parent Loop BB127_46 Depth=1
                                        ; =>  This Inner Loop Header: Depth=2
	ds_load_b32 v14, v31
	v_add_co_u32 v29, vcc_lo, v29, v27
	v_add_co_ci_u32_e32 v30, vcc_lo, 0, v30, vcc_lo
	v_add_nc_u32_e32 v31, s54, v31
	s_delay_alu instid0(VALU_DEP_2) | instskip(SKIP_2) | instid1(VALU_DEP_1)
	v_cmp_le_u64_e32 vcc_lo, s[10:11], v[29:30]
	s_waitcnt lgkmcnt(0)
	v_cmp_lt_i32_e64 s4, -1, v14
	v_cndmask_b32_e64 v32, -1, 0x80000000, s4
	v_cmp_o_f32_e64 s4, v14, v14
	s_delay_alu instid0(VALU_DEP_2) | instskip(NEXT) | instid1(VALU_DEP_1)
	v_xor_b32_e32 v32, v32, v14
	v_cndmask_b32_e64 v14, -1, v32, s4
	s_delay_alu instid0(VALU_DEP_1) | instskip(SKIP_1) | instid1(VALU_DEP_2)
	v_and_b32_e32 v32, s97, v14
	v_bfe_u32 v14, v14, s13, 2
	v_cmp_eq_u32_e64 s4, s96, v32
	s_delay_alu instid0(VALU_DEP_2) | instskip(SKIP_3) | instid1(VALU_DEP_4)
	v_cmp_eq_u32_e64 s5, 0, v14
	v_cmp_eq_u32_e64 s6, 1, v14
	;; [unrolled: 1-line block ×4, first 2 shown]
	s_and_b32 s5, s4, s5
	s_delay_alu instid0(SALU_CYCLE_1) | instskip(SKIP_1) | instid1(SALU_CYCLE_1)
	v_cndmask_b32_e64 v14, 0, 1, s5
	s_and_b32 s5, s4, s6
	v_cndmask_b32_e64 v32, 0, 1, s5
	s_and_b32 s5, s4, s7
	s_and_b32 s4, s4, s8
	v_cndmask_b32_e64 v33, 0, 1, s5
	v_cndmask_b32_e64 v34, 0, 1, s4
	v_cmp_ne_u32_e64 s4, 0, v14
	v_cmp_ne_u32_e64 s5, 0, v32
	s_delay_alu instid0(VALU_DEP_4) | instskip(NEXT) | instid1(VALU_DEP_4)
	v_cmp_ne_u32_e64 s6, 0, v33
	v_cmp_ne_u32_e64 s7, 0, v34
	s_delay_alu instid0(VALU_DEP_4) | instskip(NEXT) | instid1(VALU_DEP_3)
	s_bcnt1_i32_b32 s4, s4
	s_bcnt1_i32_b32 s5, s5
	v_add_co_u32 v2, s4, v2, s4
	s_delay_alu instid0(VALU_DEP_1)
	v_add_co_ci_u32_e64 v3, s4, 0, v3, s4
	v_add_co_u32 v4, s4, v4, s5
	s_bcnt1_i32_b32 s6, s6
	v_add_co_ci_u32_e64 v5, s4, 0, v5, s4
	v_add_co_u32 v6, s4, v6, s6
	s_bcnt1_i32_b32 s7, s7
	v_add_co_ci_u32_e64 v7, s4, 0, v7, s4
	v_add_co_u32 v8, s4, v8, s7
	s_delay_alu instid0(VALU_DEP_1) | instskip(SKIP_1) | instid1(SALU_CYCLE_1)
	v_add_co_ci_u32_e64 v9, s4, 0, v9, s4
	s_or_b32 s12, vcc_lo, s12
	s_and_not1_b32 exec_lo, exec_lo, s12
	s_cbranch_execnz .LBB127_103
; %bb.104:                              ;   in Loop: Header=BB127_46 Depth=1
	s_or_b32 exec_lo, exec_lo, s12
.LBB127_105:                            ;   in Loop: Header=BB127_46 Depth=1
	s_delay_alu instid0(SALU_CYCLE_1)
	s_or_b32 exec_lo, exec_lo, s9
.LBB127_106:                            ;   in Loop: Header=BB127_46 Depth=1
	s_lshl_b32 s4, s94, 7
	s_and_saveexec_b32 s5, s1
	s_cbranch_execz .LBB127_108
; %bb.107:                              ;   in Loop: Header=BB127_46 Depth=1
	v_or_b32_e32 v14, s4, v43
	s_delay_alu instid0(VALU_DEP_1)
	v_lshlrev_b32_e32 v14, 3, v14
	ds_store_b128 v14, v[2:5] offset:3072
	ds_store_b128 v14, v[6:9] offset:3088
.LBB127_108:                            ;   in Loop: Header=BB127_46 Depth=1
	s_or_b32 exec_lo, exec_lo, s5
	s_waitcnt vmcnt(0) lgkmcnt(0)
	s_barrier
	buffer_gl0_inv
	s_and_saveexec_b32 s5, s77
	s_cbranch_execz .LBB127_119
; %bb.109:                              ;   in Loop: Header=BB127_46 Depth=1
	v_mov_b32_e32 v2, 0
	v_mov_b32_e32 v3, 0
	s_and_not1_b32 vcc_lo, exec_lo, s84
	s_cbranch_vccnz .LBB127_118
; %bb.110:                              ;   in Loop: Header=BB127_46 Depth=1
	v_mov_b32_e32 v2, 0
	v_mov_b32_e32 v3, 0
	s_and_not1_b32 vcc_lo, exec_lo, s82
	s_cbranch_vccnz .LBB127_115
; %bb.111:                              ;   in Loop: Header=BB127_46 Depth=1
	v_lshl_add_u32 v4, s94, 10, v46
	s_mov_b32 s6, 0
	s_set_inst_prefetch_distance 0x1
	.p2align	6
.LBB127_112:                            ;   Parent Loop BB127_46 Depth=1
                                        ; =>  This Inner Loop Header: Depth=2
	ds_load_2addr_b64 v[5:8], v4 offset1:4
	ds_load_2addr_b64 v[29:32], v4 offset0:8 offset1:12
	ds_load_2addr_b64 v[33:36], v4 offset0:16 offset1:20
	s_add_i32 s6, s6, 8
	s_delay_alu instid0(SALU_CYCLE_1) | instskip(SKIP_3) | instid1(VALU_DEP_2)
	s_cmp_eq_u32 s83, s6
	s_waitcnt lgkmcnt(2)
	v_add_co_u32 v2, vcc_lo, v5, v2
	v_add_co_ci_u32_e32 v3, vcc_lo, v6, v3, vcc_lo
	v_add_co_u32 v2, vcc_lo, v7, v2
	s_delay_alu instid0(VALU_DEP_2)
	v_add_co_ci_u32_e32 v3, vcc_lo, v8, v3, vcc_lo
	ds_load_2addr_b64 v[5:8], v4 offset0:24 offset1:28
	s_waitcnt lgkmcnt(2)
	v_add_co_u32 v2, vcc_lo, v29, v2
	v_add_co_ci_u32_e32 v3, vcc_lo, v30, v3, vcc_lo
	v_add_nc_u32_e32 v4, 0x100, v4
	s_delay_alu instid0(VALU_DEP_3) | instskip(NEXT) | instid1(VALU_DEP_3)
	v_add_co_u32 v2, vcc_lo, v31, v2
	v_add_co_ci_u32_e32 v3, vcc_lo, v32, v3, vcc_lo
	s_waitcnt lgkmcnt(1)
	s_delay_alu instid0(VALU_DEP_2) | instskip(NEXT) | instid1(VALU_DEP_2)
	v_add_co_u32 v2, vcc_lo, v33, v2
	v_add_co_ci_u32_e32 v3, vcc_lo, v34, v3, vcc_lo
	s_delay_alu instid0(VALU_DEP_2) | instskip(NEXT) | instid1(VALU_DEP_2)
	v_add_co_u32 v2, vcc_lo, v35, v2
	v_add_co_ci_u32_e32 v3, vcc_lo, v36, v3, vcc_lo
	s_waitcnt lgkmcnt(0)
	s_delay_alu instid0(VALU_DEP_2) | instskip(NEXT) | instid1(VALU_DEP_2)
	v_add_co_u32 v2, vcc_lo, v5, v2
	v_add_co_ci_u32_e32 v3, vcc_lo, v6, v3, vcc_lo
	s_delay_alu instid0(VALU_DEP_2) | instskip(NEXT) | instid1(VALU_DEP_2)
	v_add_co_u32 v2, vcc_lo, v7, v2
	v_add_co_ci_u32_e32 v3, vcc_lo, v8, v3, vcc_lo
	s_cbranch_scc0 .LBB127_112
; %bb.113:                              ;   in Loop: Header=BB127_46 Depth=1
	s_set_inst_prefetch_distance 0x2
	s_mov_b32 s6, s83
	s_and_not1_b32 vcc_lo, exec_lo, s85
	s_cbranch_vccz .LBB127_116
	s_branch .LBB127_118
.LBB127_114:                            ;   in Loop: Header=BB127_46 Depth=1
                                        ; implicit-def: $vgpr2_vgpr3
	s_branch .LBB127_82
.LBB127_115:                            ;   in Loop: Header=BB127_46 Depth=1
	s_mov_b32 s6, 0
	s_and_not1_b32 vcc_lo, exec_lo, s85
	s_cbranch_vccnz .LBB127_118
.LBB127_116:                            ;   in Loop: Header=BB127_46 Depth=1
	s_lshl_b32 s7, s94, 10
	s_lshl_b32 s6, s6, 5
	s_delay_alu instid0(SALU_CYCLE_1)
	v_add3_u32 v4, s7, s6, v46
	s_mov_b32 s6, s81
.LBB127_117:                            ;   Parent Loop BB127_46 Depth=1
                                        ; =>  This Inner Loop Header: Depth=2
	ds_load_b64 v[5:6], v4
	v_add_nc_u32_e32 v4, 32, v4
	s_add_i32 s6, s6, -1
	s_delay_alu instid0(SALU_CYCLE_1)
	s_cmp_lg_u32 s6, 0
	s_waitcnt lgkmcnt(0)
	v_add_co_u32 v2, vcc_lo, v5, v2
	v_add_co_ci_u32_e32 v3, vcc_lo, v6, v3, vcc_lo
	s_cbranch_scc1 .LBB127_117
.LBB127_118:                            ;   in Loop: Header=BB127_46 Depth=1
	v_add_lshl_u32 v4, s4, v41, 3
	ds_store_b64 v4, v[2:3] offset:3072
.LBB127_119:                            ;   in Loop: Header=BB127_46 Depth=1
	s_or_b32 exec_lo, exec_lo, s5
	s_lshl_b32 s4, s4, 3
	s_waitcnt lgkmcnt(0)
	v_mov_b32_e32 v6, s4
	s_barrier
	buffer_gl0_inv
	s_and_b32 s17, s91, 0xfe
	s_mov_b32 s19, -1
	ds_load_b128 v[2:5], v6 offset:3072
	ds_load_b128 v[6:9], v6 offset:3088
	s_lshl_b32 s16, 3, s17
	s_delay_alu instid0(SALU_CYCLE_1)
	s_not_b32 s18, s16
	s_waitcnt lgkmcnt(1)
	v_readfirstlane_b32 s13, v3
	v_readfirstlane_b32 s12, v2
	;; [unrolled: 1-line block ×4, first 2 shown]
	s_waitcnt lgkmcnt(0)
	v_readfirstlane_b32 s8, v6
	v_readfirstlane_b32 s9, v7
	s_cmp_eq_u64 s[12:13], 1
	v_readfirstlane_b32 s6, v8
	s_cselect_b32 s4, -1, 0
	s_cmp_eq_u64 s[50:51], 1
	v_readfirstlane_b32 s7, v9
	s_cselect_b32 s5, -1, 0
	s_delay_alu instid0(SALU_CYCLE_1) | instskip(NEXT) | instid1(SALU_CYCLE_1)
	s_and_b32 s20, s4, s5
	s_and_b32 vcc_lo, exec_lo, s20
	s_cbranch_vccz .LBB127_134
; %bb.120:                              ;   in Loop: Header=BB127_46 Depth=1
	ds_load_b64 v[2:3], v15 offset:5120
	s_waitcnt lgkmcnt(0)
	s_barrier
	buffer_gl0_inv
	v_readfirstlane_b32 s14, v2
	v_readfirstlane_b32 s15, v3
	s_and_saveexec_b32 s4, s0
	s_cbranch_execz .LBB127_122
; %bb.121:                              ;   in Loop: Header=BB127_46 Depth=1
	ds_store_b32 v42, v15
.LBB127_122:                            ;   in Loop: Header=BB127_46 Depth=1
	s_or_b32 exec_lo, exec_lo, s4
	s_and_b32 s96, s96, s18
	s_or_b32 s97, s97, s16
	s_cmp_eq_u64 s[14:15], 0
	s_waitcnt lgkmcnt(0)
	s_barrier
	buffer_gl0_inv
	s_cbranch_scc1 .LBB127_135
; %bb.123:                              ;   in Loop: Header=BB127_46 Depth=1
	s_add_u32 s21, s78, s14
	s_addc_u32 s5, s79, s15
	s_mov_b32 s4, s53
	s_delay_alu instid0(SALU_CYCLE_1)
	s_cmp_lg_u64 s[4:5], 0
	s_cbranch_scc0 .LBB127_180
; %bb.124:                              ;   in Loop: Header=BB127_46 Depth=1
	v_cvt_f32_u32_e32 v2, s33
	s_sub_u32 s23, 0, s33
	s_subb_u32 s52, 0, 0
	s_delay_alu instid0(VALU_DEP_1) | instskip(NEXT) | instid1(VALU_DEP_1)
	v_fmac_f32_e64 v2, 0, 0x4f800000
	v_rcp_f32_e32 v2, v2
	s_waitcnt_depctr 0xfff
	v_mul_f32_e32 v2, 0x5f7ffffc, v2
	s_delay_alu instid0(VALU_DEP_1) | instskip(NEXT) | instid1(VALU_DEP_1)
	v_mul_f32_e32 v3, 0x2f800000, v2
	v_trunc_f32_e32 v3, v3
	s_delay_alu instid0(VALU_DEP_1) | instskip(SKIP_1) | instid1(VALU_DEP_2)
	v_fmac_f32_e32 v2, 0xcf800000, v3
	v_cvt_u32_f32_e32 v3, v3
	v_cvt_u32_f32_e32 v2, v2
	s_delay_alu instid0(VALU_DEP_2) | instskip(NEXT) | instid1(VALU_DEP_2)
	v_readfirstlane_b32 s4, v3
	v_readfirstlane_b32 s22, v2
	s_delay_alu instid0(VALU_DEP_2) | instskip(NEXT) | instid1(VALU_DEP_1)
	s_mul_i32 s54, s23, s4
	s_mul_hi_u32 s65, s23, s22
	s_mul_i32 s64, s52, s22
	s_add_i32 s54, s65, s54
	s_mul_i32 s66, s23, s22
	s_add_i32 s54, s54, s64
	s_mul_hi_u32 s65, s22, s66
	s_mul_hi_u32 s67, s4, s66
	s_mul_i32 s64, s4, s66
	s_mul_hi_u32 s66, s22, s54
	s_mul_i32 s22, s22, s54
	s_mul_hi_u32 s68, s4, s54
	s_add_u32 s22, s65, s22
	s_addc_u32 s65, 0, s66
	s_add_u32 s22, s22, s64
	s_mul_i32 s54, s4, s54
	s_addc_u32 s22, s65, s67
	s_addc_u32 s64, s68, 0
	s_add_u32 s22, s22, s54
	s_addc_u32 s54, 0, s64
	v_add_co_u32 v2, s22, v2, s22
	s_delay_alu instid0(VALU_DEP_1) | instskip(SKIP_1) | instid1(VALU_DEP_1)
	s_cmp_lg_u32 s22, 0
	s_addc_u32 s4, s4, s54
	v_readfirstlane_b32 s22, v2
	s_mul_i32 s54, s23, s4
	s_delay_alu instid0(VALU_DEP_1)
	s_mul_hi_u32 s64, s23, s22
	s_mul_i32 s52, s52, s22
	s_add_i32 s54, s64, s54
	s_mul_i32 s23, s23, s22
	s_add_i32 s54, s54, s52
	s_mul_hi_u32 s64, s4, s23
	s_mul_i32 s65, s4, s23
	s_mul_hi_u32 s23, s22, s23
	s_mul_hi_u32 s66, s22, s54
	s_mul_i32 s22, s22, s54
	s_mul_hi_u32 s52, s4, s54
	s_add_u32 s22, s23, s22
	s_addc_u32 s23, 0, s66
	s_add_u32 s22, s22, s65
	s_mul_i32 s54, s4, s54
	s_addc_u32 s22, s23, s64
	s_addc_u32 s23, s52, 0
	s_add_u32 s22, s22, s54
	s_addc_u32 s23, 0, s23
	v_add_co_u32 v2, s22, v2, s22
	s_delay_alu instid0(VALU_DEP_1) | instskip(SKIP_1) | instid1(VALU_DEP_1)
	s_cmp_lg_u32 s22, 0
	s_addc_u32 s4, s4, s23
	v_readfirstlane_b32 s22, v2
	s_mul_i32 s52, s21, s4
	s_mul_hi_u32 s23, s21, s4
	s_mul_hi_u32 s54, s5, s4
	s_mul_i32 s4, s5, s4
	s_mul_hi_u32 s64, s21, s22
	s_mul_hi_u32 s65, s5, s22
	s_mul_i32 s22, s5, s22
	s_add_u32 s52, s64, s52
	s_addc_u32 s23, 0, s23
	s_add_u32 s22, s52, s22
	s_addc_u32 s22, s23, s65
	s_addc_u32 s23, s54, 0
	s_add_u32 s4, s22, s4
	s_addc_u32 s22, 0, s23
	s_mul_hi_u32 s23, s33, s4
	s_mul_i32 s4, s33, s4
	s_mul_i32 s22, s33, s22
	v_sub_co_u32 v2, s4, s21, s4
	s_add_i32 s23, s23, s22
	s_cmp_lg_u32 s4, 0
	s_delay_alu instid0(VALU_DEP_1) | instskip(SKIP_2) | instid1(VALU_DEP_1)
	v_sub_co_u32 v3, s4, v2, s33
	s_subb_u32 s22, s5, s23
	s_cmp_lg_u32 s4, 0
	v_cmp_le_u32_e32 vcc_lo, s33, v3
	v_sub_co_u32 v4, s4, v3, s33
	s_subb_u32 s23, s22, 0
	s_cmp_lg_u32 s4, 0
	v_cndmask_b32_e64 v5, 0, -1, vcc_lo
	s_subb_u32 s4, s23, 0
	s_cmp_eq_u32 s23, 0
	v_mov_b32_e32 v7, s4
	s_cselect_b32 vcc_lo, -1, 0
	s_cmp_eq_u32 s22, 0
	v_cndmask_b32_e32 v5, -1, v5, vcc_lo
	v_cmp_le_u32_e32 vcc_lo, s33, v2
	s_cselect_b32 s4, -1, 0
	v_cndmask_b32_e64 v6, 0, -1, vcc_lo
	s_delay_alu instid0(VALU_DEP_3) | instskip(NEXT) | instid1(VALU_DEP_2)
	v_cmp_ne_u32_e32 vcc_lo, 0, v5
	v_cndmask_b32_e64 v5, -1, v6, s4
	v_cndmask_b32_e32 v6, s23, v7, vcc_lo
	v_cndmask_b32_e32 v4, v3, v4, vcc_lo
	s_delay_alu instid0(VALU_DEP_3) | instskip(NEXT) | instid1(VALU_DEP_3)
	v_cmp_ne_u32_e32 vcc_lo, 0, v5
	v_cndmask_b32_e32 v3, s22, v6, vcc_lo
	s_delay_alu instid0(VALU_DEP_3)
	v_cndmask_b32_e32 v2, v2, v4, vcc_lo
	s_cbranch_execnz .LBB127_126
.LBB127_125:                            ;   in Loop: Header=BB127_46 Depth=1
	v_cvt_f32_u32_e32 v2, s33
	s_sub_i32 s4, 0, s33
	s_delay_alu instid0(VALU_DEP_1) | instskip(SKIP_2) | instid1(VALU_DEP_1)
	v_rcp_iflag_f32_e32 v2, v2
	s_waitcnt_depctr 0xfff
	v_mul_f32_e32 v2, 0x4f7ffffe, v2
	v_cvt_u32_f32_e32 v2, v2
	s_delay_alu instid0(VALU_DEP_1) | instskip(NEXT) | instid1(VALU_DEP_1)
	v_mul_lo_u32 v3, s4, v2
	v_mul_hi_u32 v3, v2, v3
	s_delay_alu instid0(VALU_DEP_1) | instskip(NEXT) | instid1(VALU_DEP_1)
	v_add_nc_u32_e32 v2, v2, v3
	v_mul_hi_u32 v2, s21, v2
	s_delay_alu instid0(VALU_DEP_1) | instskip(NEXT) | instid1(VALU_DEP_1)
	v_mul_lo_u32 v2, v2, s33
	v_sub_nc_u32_e32 v2, s21, v2
	s_delay_alu instid0(VALU_DEP_1) | instskip(SKIP_1) | instid1(VALU_DEP_2)
	v_subrev_nc_u32_e32 v3, s33, v2
	v_cmp_le_u32_e32 vcc_lo, s33, v2
	v_cndmask_b32_e32 v2, v2, v3, vcc_lo
	s_delay_alu instid0(VALU_DEP_1) | instskip(SKIP_1) | instid1(VALU_DEP_2)
	v_subrev_nc_u32_e32 v3, s33, v2
	v_cmp_le_u32_e32 vcc_lo, s33, v2
	v_cndmask_b32_e32 v14, v2, v3, vcc_lo
	s_delay_alu instid0(VALU_DEP_1)
	v_dual_mov_b32 v2, v14 :: v_dual_mov_b32 v3, v15
.LBB127_126:                            ;   in Loop: Header=BB127_46 Depth=1
	s_delay_alu instid0(VALU_DEP_1) | instskip(NEXT) | instid1(VALU_DEP_2)
	v_sub_co_u32 v2, vcc_lo, s21, v2
	v_sub_co_ci_u32_e32 v3, vcc_lo, s5, v3, vcc_lo
	s_mov_b32 s4, 0
	s_mov_b32 s5, exec_lo
                                        ; implicit-def: $vgpr28
	s_delay_alu instid0(VALU_DEP_1)
	v_cmpx_gt_u64_e64 v[2:3], v[0:1]
	s_cbranch_execz .LBB127_137
; %bb.127:                              ;   in Loop: Header=BB127_46 Depth=1
	v_dual_mov_b32 v6, v12 :: v_dual_mov_b32 v5, v1
	v_mov_b32_e32 v4, v0
	s_mov_b32 s21, 0
                                        ; implicit-def: $sgpr22
	s_set_inst_prefetch_distance 0x1
	s_branch .LBB127_129
	.p2align	6
.LBB127_128:                            ;   in Loop: Header=BB127_129 Depth=2
	s_or_b32 exec_lo, exec_lo, s4
	s_waitcnt lgkmcnt(0)
	s_barrier
	buffer_gl0_inv
	ds_load_b64 v[27:28], v15 offset:3072
	v_add_co_u32 v4, vcc_lo, v4, s33
	v_add_co_ci_u32_e32 v5, vcc_lo, 0, v5, vcc_lo
	v_add_nc_u32_e32 v6, s86, v6
	s_waitcnt lgkmcnt(0)
	s_barrier
	s_delay_alu instid0(VALU_DEP_2) | instskip(SKIP_2) | instid1(VALU_DEP_1)
	v_cmp_ge_u64_e32 vcc_lo, v[4:5], v[2:3]
	buffer_gl0_inv
	v_cmp_neq_f32_e64 s4, 0, v27
	s_or_b32 s23, vcc_lo, s4
	s_delay_alu instid0(SALU_CYCLE_1) | instskip(NEXT) | instid1(SALU_CYCLE_1)
	s_and_b32 s23, exec_lo, s23
	s_or_b32 s21, s23, s21
	s_and_not1_b32 s22, s22, exec_lo
	s_and_b32 s4, s4, exec_lo
	s_delay_alu instid0(SALU_CYCLE_1)
	s_or_b32 s22, s22, s4
	s_and_not1_b32 exec_lo, exec_lo, s21
	s_cbranch_execz .LBB127_136
.LBB127_129:                            ;   Parent Loop BB127_46 Depth=1
                                        ; =>  This Inner Loop Header: Depth=2
	s_delay_alu instid0(VALU_DEP_1)
	v_cmp_gt_u64_e32 vcc_lo, s[14:15], v[4:5]
	v_mov_b32_e32 v27, 0
	s_and_saveexec_b32 s4, vcc_lo
	s_cbranch_execz .LBB127_131
; %bb.130:                              ;   in Loop: Header=BB127_129 Depth=2
	ds_load_b32 v27, v6
.LBB127_131:                            ;   in Loop: Header=BB127_129 Depth=2
	s_or_b32 exec_lo, exec_lo, s4
	s_and_saveexec_b32 s4, vcc_lo
	s_cbranch_execz .LBB127_128
; %bb.132:                              ;   in Loop: Header=BB127_129 Depth=2
	s_waitcnt lgkmcnt(0)
	v_cmp_lt_i32_e32 vcc_lo, -1, v27
	v_cndmask_b32_e64 v7, -1, 0x80000000, vcc_lo
	v_cmp_o_f32_e32 vcc_lo, v27, v27
	s_delay_alu instid0(VALU_DEP_2) | instskip(NEXT) | instid1(VALU_DEP_1)
	v_xor_b32_e32 v7, v7, v27
	v_cndmask_b32_e32 v7, -1, v7, vcc_lo
	s_delay_alu instid0(VALU_DEP_1) | instskip(NEXT) | instid1(VALU_DEP_1)
	v_and_b32_e32 v7, s97, v7
	v_cmp_eq_u32_e32 vcc_lo, s96, v7
	s_and_b32 exec_lo, exec_lo, vcc_lo
	s_cbranch_execz .LBB127_128
; %bb.133:                              ;   in Loop: Header=BB127_129 Depth=2
	ds_store_b64 v15, v[26:27] offset:3072
	s_branch .LBB127_128
.LBB127_134:                            ;   in Loop: Header=BB127_46 Depth=1
	s_mov_b32 s4, -1
                                        ; implicit-def: $sgpr5
                                        ; implicit-def: $sgpr15
                                        ; implicit-def: $sgpr14
	s_branch .LBB127_151
.LBB127_135:                            ;   in Loop: Header=BB127_46 Depth=1
	s_mov_b32 s5, -1
	s_mov_b32 s4, 0
                                        ; implicit-def: $sgpr14
                                        ; implicit-def: $vgpr28
	s_mov_b32 s15, s5
	s_cbranch_execnz .LBB127_138
	s_branch .LBB127_151
.LBB127_136:                            ;   in Loop: Header=BB127_46 Depth=1
	s_set_inst_prefetch_distance 0x2
	s_or_b32 exec_lo, exec_lo, s21
	s_delay_alu instid0(SALU_CYCLE_1)
	s_and_b32 s4, s22, exec_lo
.LBB127_137:                            ;   in Loop: Header=BB127_46 Depth=1
	s_or_b32 exec_lo, exec_lo, s5
	s_mov_b32 s14, -1
	s_mov_b32 s5, 0
	s_delay_alu instid0(SALU_CYCLE_1)
	s_mov_b32 s15, s5
	s_branch .LBB127_151
.LBB127_138:                            ;   in Loop: Header=BB127_46 Depth=1
	s_mov_b32 s54, s53
	s_delay_alu instid0(SALU_CYCLE_1)
	s_cmp_lg_u64 s[54:55], 0
	s_cbranch_scc0 .LBB127_181
; %bb.139:                              ;   in Loop: Header=BB127_46 Depth=1
	v_cvt_f32_u32_e32 v2, s33
	s_sub_u32 s14, 0, s33
	s_subb_u32 s15, 0, 0
	s_delay_alu instid0(VALU_DEP_1) | instskip(NEXT) | instid1(VALU_DEP_1)
	v_fmac_f32_e64 v2, 0, 0x4f800000
	v_rcp_f32_e32 v2, v2
	s_waitcnt_depctr 0xfff
	v_mul_f32_e32 v2, 0x5f7ffffc, v2
	s_delay_alu instid0(VALU_DEP_1) | instskip(NEXT) | instid1(VALU_DEP_1)
	v_mul_f32_e32 v3, 0x2f800000, v2
	v_trunc_f32_e32 v3, v3
	s_delay_alu instid0(VALU_DEP_1) | instskip(SKIP_1) | instid1(VALU_DEP_2)
	v_fmac_f32_e32 v2, 0xcf800000, v3
	v_cvt_u32_f32_e32 v3, v3
	v_cvt_u32_f32_e32 v2, v2
	s_delay_alu instid0(VALU_DEP_2) | instskip(NEXT) | instid1(VALU_DEP_2)
	v_readfirstlane_b32 s4, v3
	v_readfirstlane_b32 s5, v2
	s_delay_alu instid0(VALU_DEP_2) | instskip(NEXT) | instid1(VALU_DEP_1)
	s_mul_i32 s21, s14, s4
	s_mul_hi_u32 s23, s14, s5
	s_mul_i32 s22, s15, s5
	s_add_i32 s21, s23, s21
	s_mul_i32 s52, s14, s5
	s_add_i32 s21, s21, s22
	s_mul_hi_u32 s23, s5, s52
	s_mul_hi_u32 s54, s4, s52
	s_mul_i32 s22, s4, s52
	s_mul_hi_u32 s52, s5, s21
	s_mul_i32 s5, s5, s21
	s_mul_hi_u32 s64, s4, s21
	s_add_u32 s5, s23, s5
	s_addc_u32 s23, 0, s52
	s_add_u32 s5, s5, s22
	s_mul_i32 s21, s4, s21
	s_addc_u32 s5, s23, s54
	s_addc_u32 s22, s64, 0
	s_add_u32 s5, s5, s21
	s_addc_u32 s21, 0, s22
	v_add_co_u32 v2, s5, v2, s5
	s_delay_alu instid0(VALU_DEP_1) | instskip(SKIP_1) | instid1(VALU_DEP_1)
	s_cmp_lg_u32 s5, 0
	s_addc_u32 s4, s4, s21
	v_readfirstlane_b32 s5, v2
	s_mul_i32 s21, s14, s4
	s_delay_alu instid0(VALU_DEP_1)
	s_mul_hi_u32 s22, s14, s5
	s_mul_i32 s15, s15, s5
	s_add_i32 s21, s22, s21
	s_mul_i32 s14, s14, s5
	s_add_i32 s21, s21, s15
	s_mul_hi_u32 s22, s4, s14
	s_mul_i32 s23, s4, s14
	s_mul_hi_u32 s14, s5, s14
	s_mul_hi_u32 s52, s5, s21
	s_mul_i32 s5, s5, s21
	s_mul_hi_u32 s15, s4, s21
	s_add_u32 s5, s14, s5
	s_addc_u32 s14, 0, s52
	s_add_u32 s5, s5, s23
	s_mul_i32 s21, s4, s21
	s_addc_u32 s5, s14, s22
	s_addc_u32 s14, s15, 0
	s_add_u32 s5, s5, s21
	s_addc_u32 s14, 0, s14
	v_add_co_u32 v2, s5, v2, s5
	s_delay_alu instid0(VALU_DEP_1) | instskip(SKIP_1) | instid1(VALU_DEP_1)
	s_cmp_lg_u32 s5, 0
	s_addc_u32 s4, s4, s14
	v_readfirstlane_b32 s5, v2
	s_mul_i32 s15, s80, s4
	s_mul_hi_u32 s14, s80, s4
	s_mul_hi_u32 s21, s55, s4
	s_mul_i32 s4, s55, s4
	s_mul_hi_u32 s22, s80, s5
	s_mul_hi_u32 s23, s55, s5
	s_mul_i32 s5, s55, s5
	s_add_u32 s15, s22, s15
	s_addc_u32 s14, 0, s14
	s_add_u32 s5, s15, s5
	s_addc_u32 s5, s14, s23
	s_addc_u32 s14, s21, 0
	s_add_u32 s4, s5, s4
	s_addc_u32 s5, 0, s14
	s_mul_hi_u32 s14, s33, s4
	s_mul_i32 s4, s33, s4
	s_mul_i32 s5, s33, s5
	v_sub_co_u32 v2, s4, s80, s4
	s_add_i32 s14, s14, s5
	s_cmp_lg_u32 s4, 0
	s_delay_alu instid0(VALU_DEP_1) | instskip(SKIP_2) | instid1(VALU_DEP_1)
	v_sub_co_u32 v3, s4, v2, s33
	s_subb_u32 s5, s55, s14
	s_cmp_lg_u32 s4, 0
	v_cmp_le_u32_e32 vcc_lo, s33, v3
	v_sub_co_u32 v4, s4, v3, s33
	s_subb_u32 s14, s5, 0
	s_cmp_lg_u32 s4, 0
	v_cndmask_b32_e64 v5, 0, -1, vcc_lo
	s_subb_u32 s4, s14, 0
	s_cmp_eq_u32 s14, 0
	v_mov_b32_e32 v7, s4
	s_cselect_b32 vcc_lo, -1, 0
	s_cmp_eq_u32 s5, 0
	v_cndmask_b32_e32 v5, -1, v5, vcc_lo
	v_cmp_le_u32_e32 vcc_lo, s33, v2
	s_cselect_b32 s4, -1, 0
	v_cndmask_b32_e64 v6, 0, -1, vcc_lo
	s_delay_alu instid0(VALU_DEP_3) | instskip(NEXT) | instid1(VALU_DEP_2)
	v_cmp_ne_u32_e32 vcc_lo, 0, v5
	v_cndmask_b32_e64 v5, -1, v6, s4
	v_cndmask_b32_e32 v6, s14, v7, vcc_lo
	v_cndmask_b32_e32 v4, v3, v4, vcc_lo
	s_delay_alu instid0(VALU_DEP_3) | instskip(NEXT) | instid1(VALU_DEP_3)
	v_cmp_ne_u32_e32 vcc_lo, 0, v5
	v_cndmask_b32_e32 v3, s5, v6, vcc_lo
	s_delay_alu instid0(VALU_DEP_3)
	v_cndmask_b32_e32 v2, v2, v4, vcc_lo
	s_cbranch_execnz .LBB127_141
.LBB127_140:                            ;   in Loop: Header=BB127_46 Depth=1
	v_cvt_f32_u32_e32 v2, s33
	s_sub_i32 s4, 0, s33
	s_delay_alu instid0(VALU_DEP_1) | instskip(SKIP_2) | instid1(VALU_DEP_1)
	v_rcp_iflag_f32_e32 v2, v2
	s_waitcnt_depctr 0xfff
	v_mul_f32_e32 v2, 0x4f7ffffe, v2
	v_cvt_u32_f32_e32 v2, v2
	s_delay_alu instid0(VALU_DEP_1) | instskip(NEXT) | instid1(VALU_DEP_1)
	v_mul_lo_u32 v3, s4, v2
	v_mul_hi_u32 v3, v2, v3
	s_delay_alu instid0(VALU_DEP_1) | instskip(NEXT) | instid1(VALU_DEP_1)
	v_add_nc_u32_e32 v2, v2, v3
	v_mul_hi_u32 v2, s80, v2
	s_delay_alu instid0(VALU_DEP_1) | instskip(NEXT) | instid1(VALU_DEP_1)
	v_mul_lo_u32 v2, v2, s33
	v_sub_nc_u32_e32 v2, s80, v2
	s_delay_alu instid0(VALU_DEP_1) | instskip(SKIP_1) | instid1(VALU_DEP_2)
	v_subrev_nc_u32_e32 v3, s33, v2
	v_cmp_le_u32_e32 vcc_lo, s33, v2
	v_cndmask_b32_e32 v2, v2, v3, vcc_lo
	s_delay_alu instid0(VALU_DEP_1) | instskip(SKIP_1) | instid1(VALU_DEP_2)
	v_subrev_nc_u32_e32 v3, s33, v2
	v_cmp_le_u32_e32 vcc_lo, s33, v2
	v_cndmask_b32_e32 v14, v2, v3, vcc_lo
	s_delay_alu instid0(VALU_DEP_1)
	v_dual_mov_b32 v2, v14 :: v_dual_mov_b32 v3, v15
.LBB127_141:                            ;   in Loop: Header=BB127_46 Depth=1
	s_delay_alu instid0(VALU_DEP_1) | instskip(NEXT) | instid1(VALU_DEP_2)
	v_sub_co_u32 v2, vcc_lo, s80, v2
	v_sub_co_ci_u32_e32 v3, vcc_lo, s55, v3, vcc_lo
	s_mov_b32 s4, 0
	s_mov_b32 s5, exec_lo
                                        ; implicit-def: $vgpr28
	s_delay_alu instid0(VALU_DEP_1)
	v_cmpx_gt_u64_e64 v[2:3], v[0:1]
	s_cbranch_execz .LBB127_150
; %bb.142:                              ;   in Loop: Header=BB127_46 Depth=1
	v_dual_mov_b32 v4, v10 :: v_dual_mov_b32 v5, v11
	v_dual_mov_b32 v7, v1 :: v_dual_mov_b32 v6, v0
	s_mov_b32 s14, 0
                                        ; implicit-def: $sgpr15
	s_set_inst_prefetch_distance 0x1
	s_branch .LBB127_144
	.p2align	6
.LBB127_143:                            ;   in Loop: Header=BB127_144 Depth=2
	s_or_b32 exec_lo, exec_lo, s4
	s_waitcnt vmcnt(0) lgkmcnt(0)
	s_barrier
	buffer_gl0_inv
	ds_load_b64 v[27:28], v15 offset:3072
	v_add_co_u32 v6, vcc_lo, v6, s33
	v_add_co_ci_u32_e32 v7, vcc_lo, 0, v7, vcc_lo
	s_waitcnt lgkmcnt(0)
	s_barrier
	buffer_gl0_inv
	v_cmp_ge_u64_e32 vcc_lo, v[6:7], v[2:3]
	v_cmp_neq_f32_e64 s4, 0, v27
	s_delay_alu instid0(VALU_DEP_1)
	s_or_b32 s21, vcc_lo, s4
	v_add_co_u32 v4, vcc_lo, v4, s48
	s_and_b32 s21, exec_lo, s21
	v_add_co_ci_u32_e32 v5, vcc_lo, s49, v5, vcc_lo
	s_or_b32 s14, s21, s14
	s_and_not1_b32 s15, s15, exec_lo
	s_and_b32 s4, s4, exec_lo
	s_delay_alu instid0(SALU_CYCLE_1)
	s_or_b32 s15, s15, s4
	s_and_not1_b32 exec_lo, exec_lo, s14
	s_cbranch_execz .LBB127_149
.LBB127_144:                            ;   Parent Loop BB127_46 Depth=1
                                        ; =>  This Inner Loop Header: Depth=2
	s_delay_alu instid0(VALU_DEP_1)
	v_cmp_gt_u64_e32 vcc_lo, s[24:25], v[6:7]
	v_mov_b32_e32 v27, 0
	s_and_saveexec_b32 s4, vcc_lo
	s_cbranch_execz .LBB127_146
; %bb.145:                              ;   in Loop: Header=BB127_144 Depth=2
	global_load_b32 v27, v[4:5], off
.LBB127_146:                            ;   in Loop: Header=BB127_144 Depth=2
	s_or_b32 exec_lo, exec_lo, s4
	s_and_saveexec_b32 s4, vcc_lo
	s_cbranch_execz .LBB127_143
; %bb.147:                              ;   in Loop: Header=BB127_144 Depth=2
	s_waitcnt vmcnt(0)
	v_cmp_lt_i32_e32 vcc_lo, -1, v27
	v_cndmask_b32_e64 v8, -1, 0x80000000, vcc_lo
	v_cmp_o_f32_e32 vcc_lo, v27, v27
	s_delay_alu instid0(VALU_DEP_2) | instskip(NEXT) | instid1(VALU_DEP_1)
	v_xor_b32_e32 v8, v8, v27
	v_cndmask_b32_e32 v8, -1, v8, vcc_lo
	s_delay_alu instid0(VALU_DEP_1) | instskip(NEXT) | instid1(VALU_DEP_1)
	v_and_b32_e32 v8, s97, v8
	v_cmp_eq_u32_e32 vcc_lo, s96, v8
	s_and_b32 exec_lo, exec_lo, vcc_lo
	s_cbranch_execz .LBB127_143
; %bb.148:                              ;   in Loop: Header=BB127_144 Depth=2
	ds_store_b64 v15, v[26:27] offset:3072
	s_branch .LBB127_143
.LBB127_149:                            ;   in Loop: Header=BB127_46 Depth=1
	s_set_inst_prefetch_distance 0x2
	s_or_b32 exec_lo, exec_lo, s14
	s_delay_alu instid0(SALU_CYCLE_1)
	s_and_b32 s4, s15, exec_lo
.LBB127_150:                            ;   in Loop: Header=BB127_46 Depth=1
	s_or_b32 exec_lo, exec_lo, s5
	s_mov_b32 s15, -1
	s_mov_b32 s5, 0
	s_mov_b32 s14, 0
.LBB127_151:                            ;   in Loop: Header=BB127_46 Depth=1
	s_and_not1_b32 s21, s92, exec_lo
	s_and_b32 s5, s5, exec_lo
	s_and_b32 s15, s15, exec_lo
	s_or_b32 s92, s21, s5
	s_and_not1_b32 s5, s95, exec_lo
	s_and_not1_b32 s21, s93, exec_lo
	s_and_b32 s14, s14, exec_lo
	s_or_b32 s95, s5, s15
	s_or_b32 s93, s21, s14
	s_and_saveexec_b32 s14, s4
	s_cbranch_execz .LBB127_45
; %bb.152:                              ;   in Loop: Header=BB127_46 Depth=1
	s_xor_b32 s4, s20, -1
	s_mov_b32 s52, 1
	s_and_not1_b32 vcc_lo, exec_lo, s4
	s_cbranch_vccnz .LBB127_163
; %bb.153:                              ;   in Loop: Header=BB127_46 Depth=1
	v_cmp_gt_u64_e64 s4, s[50:51], s[12:13]
                                        ; implicit-def: $sgpr52
                                        ; implicit-def: $sgpr5
                                        ; implicit-def: $sgpr15
	s_delay_alu instid0(VALU_DEP_1)
	s_and_b32 vcc_lo, exec_lo, s4
	s_mov_b32 s4, -1
	s_cbranch_vccnz .LBB127_159
; %bb.154:                              ;   in Loop: Header=BB127_46 Depth=1
	ds_load_b64 v[2:3], v15 offset:5120
	s_waitcnt lgkmcnt(0)
	v_cmp_ne_u64_e32 vcc_lo, 0, v[2:3]
	s_cbranch_vccnz .LBB127_158
; %bb.155:                              ;   in Loop: Header=BB127_46 Depth=1
	s_and_saveexec_b32 s4, s3
	s_cbranch_execz .LBB127_157
; %bb.156:                              ;   in Loop: Header=BB127_46 Depth=1
	v_dual_mov_b32 v2, s12 :: v_dual_mov_b32 v3, s13
	ds_store_b64 v15, v[2:3] offset:5128
.LBB127_157:                            ;   in Loop: Header=BB127_46 Depth=1
	s_or_b32 exec_lo, exec_lo, s4
	s_waitcnt lgkmcnt(0)
	s_barrier
	buffer_gl0_inv
.LBB127_158:                            ;   in Loop: Header=BB127_46 Depth=1
	s_and_b32 s5, s96, s18
	s_or_b32 s15, s97, s16
	s_mov_b32 s4, 0
	s_mov_b32 s52, 8
.LBB127_159:                            ;   in Loop: Header=BB127_46 Depth=1
	s_and_not1_b32 vcc_lo, exec_lo, s4
	s_cbranch_vccnz .LBB127_161
; %bb.160:                              ;   in Loop: Header=BB127_46 Depth=1
	s_sub_u32 s50, s50, s12
	s_subb_u32 s51, s51, s13
	s_mov_b32 s4, -1
	s_mov_b32 s52, 0
	s_mov_b32 s5, s96
	;; [unrolled: 1-line block ×3, first 2 shown]
.LBB127_161:                            ;   in Loop: Header=BB127_46 Depth=1
	s_delay_alu instid0(SALU_CYCLE_1)
	s_mov_b32 s97, s15
	s_mov_b32 s96, s5
	s_and_b32 vcc_lo, exec_lo, s4
	s_mov_b32 s15, -1
	s_cbranch_vccnz .LBB127_164
.LBB127_162:                            ;   in Loop: Header=BB127_46 Depth=1
	s_mov_b32 s5, -1
                                        ; implicit-def: $sgpr12
                                        ; implicit-def: $sgpr19
                                        ; implicit-def: $sgpr13
	s_delay_alu instid0(SALU_CYCLE_1) | instskip(NEXT) | instid1(SALU_CYCLE_1)
	s_and_saveexec_b32 s4, s5
	s_xor_b32 s4, exec_lo, s4
	s_cbranch_execz .LBB127_44
	s_branch .LBB127_310
.LBB127_163:                            ;   in Loop: Header=BB127_46 Depth=1
	s_mov_b64 s[50:51], 1
	s_mov_b32 s15, -1
	s_branch .LBB127_162
.LBB127_164:                            ;   in Loop: Header=BB127_46 Depth=1
	s_cmp_eq_u64 s[10:11], 1
	s_cselect_b32 s4, -1, 0
	s_cmp_eq_u64 s[50:51], 1
	s_cselect_b32 s5, -1, 0
	s_delay_alu instid0(SALU_CYCLE_1)
	s_and_b32 s21, s4, s5
	s_mov_b32 s4, -1
	s_and_b32 vcc_lo, exec_lo, s21
	s_cbranch_vccz .LBB127_179
; %bb.165:                              ;   in Loop: Header=BB127_46 Depth=1
	ds_load_b64 v[2:3], v15 offset:5120
	s_waitcnt lgkmcnt(0)
	s_barrier
	buffer_gl0_inv
	v_readfirstlane_b32 s12, v2
	v_readfirstlane_b32 s13, v3
	s_and_saveexec_b32 s4, s0
	s_cbranch_execz .LBB127_167
; %bb.166:                              ;   in Loop: Header=BB127_46 Depth=1
	ds_store_b32 v42, v15
.LBB127_167:                            ;   in Loop: Header=BB127_46 Depth=1
	s_or_b32 exec_lo, exec_lo, s4
	s_lshl_b32 s4, 1, s17
	s_and_b32 s5, s96, s18
	s_or_b32 s97, s97, s16
	s_or_b32 s96, s5, s4
	s_cmp_eq_u64 s[12:13], 0
	s_waitcnt lgkmcnt(0)
	s_barrier
	buffer_gl0_inv
	s_cbranch_scc1 .LBB127_182
; %bb.168:                              ;   in Loop: Header=BB127_46 Depth=1
	s_add_u32 s19, s78, s12
	s_addc_u32 s5, s79, s13
	s_mov_b32 s4, s53
	s_delay_alu instid0(SALU_CYCLE_1)
	s_cmp_lg_u64 s[4:5], 0
	s_cbranch_scc0 .LBB127_227
; %bb.169:                              ;   in Loop: Header=BB127_46 Depth=1
	v_cvt_f32_u32_e32 v2, s33
	s_sub_u32 s22, 0, s33
	s_subb_u32 s23, 0, 0
	s_delay_alu instid0(VALU_DEP_1) | instskip(NEXT) | instid1(VALU_DEP_1)
	v_fmac_f32_e64 v2, 0, 0x4f800000
	v_rcp_f32_e32 v2, v2
	s_waitcnt_depctr 0xfff
	v_mul_f32_e32 v2, 0x5f7ffffc, v2
	s_delay_alu instid0(VALU_DEP_1) | instskip(NEXT) | instid1(VALU_DEP_1)
	v_mul_f32_e32 v3, 0x2f800000, v2
	v_trunc_f32_e32 v3, v3
	s_delay_alu instid0(VALU_DEP_1) | instskip(SKIP_1) | instid1(VALU_DEP_2)
	v_fmac_f32_e32 v2, 0xcf800000, v3
	v_cvt_u32_f32_e32 v3, v3
	v_cvt_u32_f32_e32 v2, v2
	s_delay_alu instid0(VALU_DEP_2) | instskip(NEXT) | instid1(VALU_DEP_2)
	v_readfirstlane_b32 s4, v3
	v_readfirstlane_b32 s20, v2
	s_delay_alu instid0(VALU_DEP_2) | instskip(NEXT) | instid1(VALU_DEP_1)
	s_mul_i32 s52, s22, s4
	s_mul_hi_u32 s64, s22, s20
	s_mul_i32 s54, s23, s20
	s_add_i32 s52, s64, s52
	s_mul_i32 s65, s22, s20
	s_add_i32 s52, s52, s54
	s_mul_hi_u32 s64, s20, s65
	s_mul_hi_u32 s66, s4, s65
	s_mul_i32 s54, s4, s65
	s_mul_hi_u32 s65, s20, s52
	s_mul_i32 s20, s20, s52
	s_mul_hi_u32 s67, s4, s52
	s_add_u32 s20, s64, s20
	s_addc_u32 s64, 0, s65
	s_add_u32 s20, s20, s54
	s_mul_i32 s52, s4, s52
	s_addc_u32 s20, s64, s66
	s_addc_u32 s54, s67, 0
	s_add_u32 s20, s20, s52
	s_addc_u32 s52, 0, s54
	v_add_co_u32 v2, s20, v2, s20
	s_delay_alu instid0(VALU_DEP_1) | instskip(SKIP_1) | instid1(VALU_DEP_1)
	s_cmp_lg_u32 s20, 0
	s_addc_u32 s4, s4, s52
	v_readfirstlane_b32 s20, v2
	s_mul_i32 s52, s22, s4
	s_delay_alu instid0(VALU_DEP_1)
	s_mul_hi_u32 s54, s22, s20
	s_mul_i32 s23, s23, s20
	s_add_i32 s52, s54, s52
	s_mul_i32 s22, s22, s20
	s_add_i32 s52, s52, s23
	s_mul_hi_u32 s54, s4, s22
	s_mul_i32 s64, s4, s22
	s_mul_hi_u32 s22, s20, s22
	s_mul_hi_u32 s65, s20, s52
	s_mul_i32 s20, s20, s52
	s_mul_hi_u32 s23, s4, s52
	s_add_u32 s20, s22, s20
	s_addc_u32 s22, 0, s65
	s_add_u32 s20, s20, s64
	s_mul_i32 s52, s4, s52
	s_addc_u32 s20, s22, s54
	s_addc_u32 s22, s23, 0
	s_add_u32 s20, s20, s52
	s_addc_u32 s22, 0, s22
	v_add_co_u32 v2, s20, v2, s20
	s_delay_alu instid0(VALU_DEP_1) | instskip(SKIP_1) | instid1(VALU_DEP_1)
	s_cmp_lg_u32 s20, 0
	s_addc_u32 s4, s4, s22
	v_readfirstlane_b32 s20, v2
	s_mul_i32 s23, s19, s4
	s_mul_hi_u32 s22, s19, s4
	s_mul_hi_u32 s52, s5, s4
	s_mul_i32 s4, s5, s4
	s_mul_hi_u32 s54, s19, s20
	s_mul_hi_u32 s64, s5, s20
	s_mul_i32 s20, s5, s20
	s_add_u32 s23, s54, s23
	s_addc_u32 s22, 0, s22
	s_add_u32 s20, s23, s20
	s_addc_u32 s20, s22, s64
	s_addc_u32 s22, s52, 0
	s_add_u32 s4, s20, s4
	s_addc_u32 s20, 0, s22
	s_mul_hi_u32 s22, s33, s4
	s_mul_i32 s4, s33, s4
	s_mul_i32 s20, s33, s20
	v_sub_co_u32 v2, s4, s19, s4
	s_add_i32 s22, s22, s20
	s_cmp_lg_u32 s4, 0
	s_delay_alu instid0(VALU_DEP_1) | instskip(SKIP_2) | instid1(VALU_DEP_1)
	v_sub_co_u32 v3, s4, v2, s33
	s_subb_u32 s20, s5, s22
	s_cmp_lg_u32 s4, 0
	v_cmp_le_u32_e32 vcc_lo, s33, v3
	v_sub_co_u32 v4, s4, v3, s33
	s_subb_u32 s22, s20, 0
	s_cmp_lg_u32 s4, 0
	v_cndmask_b32_e64 v5, 0, -1, vcc_lo
	s_subb_u32 s4, s22, 0
	s_cmp_eq_u32 s22, 0
	v_mov_b32_e32 v7, s4
	s_cselect_b32 vcc_lo, -1, 0
	s_cmp_eq_u32 s20, 0
	v_cndmask_b32_e32 v5, -1, v5, vcc_lo
	v_cmp_le_u32_e32 vcc_lo, s33, v2
	s_cselect_b32 s4, -1, 0
	v_cndmask_b32_e64 v6, 0, -1, vcc_lo
	s_delay_alu instid0(VALU_DEP_3) | instskip(NEXT) | instid1(VALU_DEP_2)
	v_cmp_ne_u32_e32 vcc_lo, 0, v5
	v_cndmask_b32_e64 v5, -1, v6, s4
	v_cndmask_b32_e32 v6, s22, v7, vcc_lo
	v_cndmask_b32_e32 v4, v3, v4, vcc_lo
	s_delay_alu instid0(VALU_DEP_3) | instskip(NEXT) | instid1(VALU_DEP_3)
	v_cmp_ne_u32_e32 vcc_lo, 0, v5
	v_cndmask_b32_e32 v3, s20, v6, vcc_lo
	s_delay_alu instid0(VALU_DEP_3)
	v_cndmask_b32_e32 v2, v2, v4, vcc_lo
	s_cbranch_execnz .LBB127_171
.LBB127_170:                            ;   in Loop: Header=BB127_46 Depth=1
	v_cvt_f32_u32_e32 v2, s33
	s_sub_i32 s4, 0, s33
	s_delay_alu instid0(VALU_DEP_1) | instskip(SKIP_2) | instid1(VALU_DEP_1)
	v_rcp_iflag_f32_e32 v2, v2
	s_waitcnt_depctr 0xfff
	v_mul_f32_e32 v2, 0x4f7ffffe, v2
	v_cvt_u32_f32_e32 v2, v2
	s_delay_alu instid0(VALU_DEP_1) | instskip(NEXT) | instid1(VALU_DEP_1)
	v_mul_lo_u32 v3, s4, v2
	v_mul_hi_u32 v3, v2, v3
	s_delay_alu instid0(VALU_DEP_1) | instskip(NEXT) | instid1(VALU_DEP_1)
	v_add_nc_u32_e32 v2, v2, v3
	v_mul_hi_u32 v2, s19, v2
	s_delay_alu instid0(VALU_DEP_1) | instskip(NEXT) | instid1(VALU_DEP_1)
	v_mul_lo_u32 v2, v2, s33
	v_sub_nc_u32_e32 v2, s19, v2
	s_delay_alu instid0(VALU_DEP_1) | instskip(SKIP_1) | instid1(VALU_DEP_2)
	v_subrev_nc_u32_e32 v3, s33, v2
	v_cmp_le_u32_e32 vcc_lo, s33, v2
	v_cndmask_b32_e32 v2, v2, v3, vcc_lo
	s_delay_alu instid0(VALU_DEP_1) | instskip(SKIP_1) | instid1(VALU_DEP_2)
	v_subrev_nc_u32_e32 v3, s33, v2
	v_cmp_le_u32_e32 vcc_lo, s33, v2
	v_cndmask_b32_e32 v14, v2, v3, vcc_lo
	s_delay_alu instid0(VALU_DEP_1)
	v_dual_mov_b32 v2, v14 :: v_dual_mov_b32 v3, v15
.LBB127_171:                            ;   in Loop: Header=BB127_46 Depth=1
	s_delay_alu instid0(VALU_DEP_1) | instskip(NEXT) | instid1(VALU_DEP_2)
	v_sub_co_u32 v2, vcc_lo, s19, v2
	v_sub_co_ci_u32_e32 v3, vcc_lo, s5, v3, vcc_lo
	s_mov_b32 s4, 0
	s_mov_b32 s5, exec_lo
                                        ; implicit-def: $vgpr28
	s_delay_alu instid0(VALU_DEP_1)
	v_cmpx_gt_u64_e64 v[2:3], v[0:1]
	s_cbranch_execz .LBB127_184
; %bb.172:                              ;   in Loop: Header=BB127_46 Depth=1
	v_dual_mov_b32 v6, v12 :: v_dual_mov_b32 v5, v1
	v_mov_b32_e32 v4, v0
	s_mov_b32 s19, 0
                                        ; implicit-def: $sgpr20
	s_set_inst_prefetch_distance 0x1
	s_branch .LBB127_174
	.p2align	6
.LBB127_173:                            ;   in Loop: Header=BB127_174 Depth=2
	s_or_b32 exec_lo, exec_lo, s4
	s_waitcnt lgkmcnt(0)
	s_barrier
	buffer_gl0_inv
	ds_load_b64 v[27:28], v15 offset:3072
	v_add_co_u32 v4, vcc_lo, v4, s33
	v_add_co_ci_u32_e32 v5, vcc_lo, 0, v5, vcc_lo
	v_add_nc_u32_e32 v6, s86, v6
	s_waitcnt lgkmcnt(0)
	s_barrier
	s_delay_alu instid0(VALU_DEP_2) | instskip(SKIP_2) | instid1(VALU_DEP_1)
	v_cmp_ge_u64_e32 vcc_lo, v[4:5], v[2:3]
	buffer_gl0_inv
	v_cmp_neq_f32_e64 s4, 0, v27
	s_or_b32 s22, vcc_lo, s4
	s_delay_alu instid0(SALU_CYCLE_1) | instskip(NEXT) | instid1(SALU_CYCLE_1)
	s_and_b32 s22, exec_lo, s22
	s_or_b32 s19, s22, s19
	s_and_not1_b32 s20, s20, exec_lo
	s_and_b32 s4, s4, exec_lo
	s_delay_alu instid0(SALU_CYCLE_1)
	s_or_b32 s20, s20, s4
	s_and_not1_b32 exec_lo, exec_lo, s19
	s_cbranch_execz .LBB127_183
.LBB127_174:                            ;   Parent Loop BB127_46 Depth=1
                                        ; =>  This Inner Loop Header: Depth=2
	s_delay_alu instid0(VALU_DEP_1)
	v_cmp_gt_u64_e32 vcc_lo, s[12:13], v[4:5]
	v_mov_b32_e32 v27, 0
	s_and_saveexec_b32 s4, vcc_lo
	s_cbranch_execz .LBB127_176
; %bb.175:                              ;   in Loop: Header=BB127_174 Depth=2
	ds_load_b32 v27, v6
.LBB127_176:                            ;   in Loop: Header=BB127_174 Depth=2
	s_or_b32 exec_lo, exec_lo, s4
	s_and_saveexec_b32 s4, vcc_lo
	s_cbranch_execz .LBB127_173
; %bb.177:                              ;   in Loop: Header=BB127_174 Depth=2
	s_waitcnt lgkmcnt(0)
	v_cmp_lt_i32_e32 vcc_lo, -1, v27
	v_cndmask_b32_e64 v7, -1, 0x80000000, vcc_lo
	v_cmp_o_f32_e32 vcc_lo, v27, v27
	s_delay_alu instid0(VALU_DEP_2) | instskip(NEXT) | instid1(VALU_DEP_1)
	v_xor_b32_e32 v7, v7, v27
	v_cndmask_b32_e32 v7, -1, v7, vcc_lo
	s_delay_alu instid0(VALU_DEP_1) | instskip(NEXT) | instid1(VALU_DEP_1)
	v_and_b32_e32 v7, s97, v7
	v_cmp_eq_u32_e32 vcc_lo, s96, v7
	s_and_b32 exec_lo, exec_lo, vcc_lo
	s_cbranch_execz .LBB127_173
; %bb.178:                              ;   in Loop: Header=BB127_174 Depth=2
	ds_store_b64 v15, v[26:27] offset:3072
	s_branch .LBB127_173
.LBB127_179:                            ;   in Loop: Header=BB127_46 Depth=1
                                        ; implicit-def: $sgpr13
                                        ; implicit-def: $sgpr19
                                        ; implicit-def: $sgpr12
	s_branch .LBB127_198
.LBB127_180:                            ;   in Loop: Header=BB127_46 Depth=1
                                        ; implicit-def: $vgpr2_vgpr3
	s_branch .LBB127_125
.LBB127_181:                            ;   in Loop: Header=BB127_46 Depth=1
                                        ; implicit-def: $vgpr2_vgpr3
	s_branch .LBB127_140
.LBB127_182:                            ;   in Loop: Header=BB127_46 Depth=1
	s_mov_b32 s13, -1
	s_mov_b32 s4, 0
                                        ; implicit-def: $sgpr12
                                        ; implicit-def: $vgpr28
	s_mov_b32 s19, s13
	s_cbranch_execnz .LBB127_185
	s_branch .LBB127_198
.LBB127_183:                            ;   in Loop: Header=BB127_46 Depth=1
	s_set_inst_prefetch_distance 0x2
	s_or_b32 exec_lo, exec_lo, s19
	s_delay_alu instid0(SALU_CYCLE_1)
	s_and_b32 s4, s20, exec_lo
.LBB127_184:                            ;   in Loop: Header=BB127_46 Depth=1
	s_or_b32 exec_lo, exec_lo, s5
	s_mov_b32 s12, -1
	s_mov_b32 s13, 0
	s_delay_alu instid0(SALU_CYCLE_1)
	s_mov_b32 s19, s13
	s_branch .LBB127_198
.LBB127_185:                            ;   in Loop: Header=BB127_46 Depth=1
	s_mov_b32 s54, s53
	s_delay_alu instid0(SALU_CYCLE_1)
	s_cmp_lg_u64 s[54:55], 0
	s_cbranch_scc0 .LBB127_228
; %bb.186:                              ;   in Loop: Header=BB127_46 Depth=1
	v_cvt_f32_u32_e32 v2, s33
	s_sub_u32 s12, 0, s33
	s_subb_u32 s13, 0, 0
	s_delay_alu instid0(VALU_DEP_1) | instskip(NEXT) | instid1(VALU_DEP_1)
	v_fmac_f32_e64 v2, 0, 0x4f800000
	v_rcp_f32_e32 v2, v2
	s_waitcnt_depctr 0xfff
	v_mul_f32_e32 v2, 0x5f7ffffc, v2
	s_delay_alu instid0(VALU_DEP_1) | instskip(NEXT) | instid1(VALU_DEP_1)
	v_mul_f32_e32 v3, 0x2f800000, v2
	v_trunc_f32_e32 v3, v3
	s_delay_alu instid0(VALU_DEP_1) | instskip(SKIP_1) | instid1(VALU_DEP_2)
	v_fmac_f32_e32 v2, 0xcf800000, v3
	v_cvt_u32_f32_e32 v3, v3
	v_cvt_u32_f32_e32 v2, v2
	s_delay_alu instid0(VALU_DEP_2) | instskip(NEXT) | instid1(VALU_DEP_2)
	v_readfirstlane_b32 s4, v3
	v_readfirstlane_b32 s5, v2
	s_delay_alu instid0(VALU_DEP_2) | instskip(NEXT) | instid1(VALU_DEP_1)
	s_mul_i32 s19, s12, s4
	s_mul_hi_u32 s22, s12, s5
	s_mul_i32 s20, s13, s5
	s_add_i32 s19, s22, s19
	s_mul_i32 s23, s12, s5
	s_add_i32 s19, s19, s20
	s_mul_hi_u32 s22, s5, s23
	s_mul_hi_u32 s52, s4, s23
	s_mul_i32 s20, s4, s23
	s_mul_hi_u32 s23, s5, s19
	s_mul_i32 s5, s5, s19
	s_mul_hi_u32 s54, s4, s19
	s_add_u32 s5, s22, s5
	s_addc_u32 s22, 0, s23
	s_add_u32 s5, s5, s20
	s_mul_i32 s19, s4, s19
	s_addc_u32 s5, s22, s52
	s_addc_u32 s20, s54, 0
	s_add_u32 s5, s5, s19
	s_addc_u32 s19, 0, s20
	v_add_co_u32 v2, s5, v2, s5
	s_delay_alu instid0(VALU_DEP_1) | instskip(SKIP_1) | instid1(VALU_DEP_1)
	s_cmp_lg_u32 s5, 0
	s_addc_u32 s4, s4, s19
	v_readfirstlane_b32 s5, v2
	s_mul_i32 s19, s12, s4
	s_delay_alu instid0(VALU_DEP_1)
	s_mul_hi_u32 s20, s12, s5
	s_mul_i32 s13, s13, s5
	s_add_i32 s19, s20, s19
	s_mul_i32 s12, s12, s5
	s_add_i32 s19, s19, s13
	s_mul_hi_u32 s20, s4, s12
	s_mul_i32 s22, s4, s12
	s_mul_hi_u32 s12, s5, s12
	s_mul_hi_u32 s23, s5, s19
	s_mul_i32 s5, s5, s19
	s_mul_hi_u32 s13, s4, s19
	s_add_u32 s5, s12, s5
	s_addc_u32 s12, 0, s23
	s_add_u32 s5, s5, s22
	s_mul_i32 s19, s4, s19
	s_addc_u32 s5, s12, s20
	s_addc_u32 s12, s13, 0
	s_add_u32 s5, s5, s19
	s_addc_u32 s12, 0, s12
	v_add_co_u32 v2, s5, v2, s5
	s_delay_alu instid0(VALU_DEP_1) | instskip(SKIP_1) | instid1(VALU_DEP_1)
	s_cmp_lg_u32 s5, 0
	s_addc_u32 s4, s4, s12
	v_readfirstlane_b32 s5, v2
	s_mul_i32 s13, s80, s4
	s_mul_hi_u32 s12, s80, s4
	s_mul_hi_u32 s19, s55, s4
	s_mul_i32 s4, s55, s4
	s_mul_hi_u32 s20, s80, s5
	s_mul_hi_u32 s22, s55, s5
	s_mul_i32 s5, s55, s5
	s_add_u32 s13, s20, s13
	s_addc_u32 s12, 0, s12
	s_add_u32 s5, s13, s5
	s_addc_u32 s5, s12, s22
	s_addc_u32 s12, s19, 0
	s_add_u32 s4, s5, s4
	s_addc_u32 s5, 0, s12
	s_mul_hi_u32 s12, s33, s4
	s_mul_i32 s4, s33, s4
	s_mul_i32 s5, s33, s5
	v_sub_co_u32 v2, s4, s80, s4
	s_add_i32 s12, s12, s5
	s_cmp_lg_u32 s4, 0
	s_delay_alu instid0(VALU_DEP_1) | instskip(SKIP_2) | instid1(VALU_DEP_1)
	v_sub_co_u32 v3, s4, v2, s33
	s_subb_u32 s5, s55, s12
	s_cmp_lg_u32 s4, 0
	v_cmp_le_u32_e32 vcc_lo, s33, v3
	v_sub_co_u32 v4, s4, v3, s33
	s_subb_u32 s12, s5, 0
	s_cmp_lg_u32 s4, 0
	v_cndmask_b32_e64 v5, 0, -1, vcc_lo
	s_subb_u32 s4, s12, 0
	s_cmp_eq_u32 s12, 0
	v_mov_b32_e32 v7, s4
	s_cselect_b32 vcc_lo, -1, 0
	s_cmp_eq_u32 s5, 0
	v_cndmask_b32_e32 v5, -1, v5, vcc_lo
	v_cmp_le_u32_e32 vcc_lo, s33, v2
	s_cselect_b32 s4, -1, 0
	v_cndmask_b32_e64 v6, 0, -1, vcc_lo
	s_delay_alu instid0(VALU_DEP_3) | instskip(NEXT) | instid1(VALU_DEP_2)
	v_cmp_ne_u32_e32 vcc_lo, 0, v5
	v_cndmask_b32_e64 v5, -1, v6, s4
	v_cndmask_b32_e32 v6, s12, v7, vcc_lo
	v_cndmask_b32_e32 v4, v3, v4, vcc_lo
	s_delay_alu instid0(VALU_DEP_3) | instskip(NEXT) | instid1(VALU_DEP_3)
	v_cmp_ne_u32_e32 vcc_lo, 0, v5
	v_cndmask_b32_e32 v3, s5, v6, vcc_lo
	s_delay_alu instid0(VALU_DEP_3)
	v_cndmask_b32_e32 v2, v2, v4, vcc_lo
	s_cbranch_execnz .LBB127_188
.LBB127_187:                            ;   in Loop: Header=BB127_46 Depth=1
	v_cvt_f32_u32_e32 v2, s33
	s_sub_i32 s4, 0, s33
	s_delay_alu instid0(VALU_DEP_1) | instskip(SKIP_2) | instid1(VALU_DEP_1)
	v_rcp_iflag_f32_e32 v2, v2
	s_waitcnt_depctr 0xfff
	v_mul_f32_e32 v2, 0x4f7ffffe, v2
	v_cvt_u32_f32_e32 v2, v2
	s_delay_alu instid0(VALU_DEP_1) | instskip(NEXT) | instid1(VALU_DEP_1)
	v_mul_lo_u32 v3, s4, v2
	v_mul_hi_u32 v3, v2, v3
	s_delay_alu instid0(VALU_DEP_1) | instskip(NEXT) | instid1(VALU_DEP_1)
	v_add_nc_u32_e32 v2, v2, v3
	v_mul_hi_u32 v2, s80, v2
	s_delay_alu instid0(VALU_DEP_1) | instskip(NEXT) | instid1(VALU_DEP_1)
	v_mul_lo_u32 v2, v2, s33
	v_sub_nc_u32_e32 v2, s80, v2
	s_delay_alu instid0(VALU_DEP_1) | instskip(SKIP_1) | instid1(VALU_DEP_2)
	v_subrev_nc_u32_e32 v3, s33, v2
	v_cmp_le_u32_e32 vcc_lo, s33, v2
	v_cndmask_b32_e32 v2, v2, v3, vcc_lo
	s_delay_alu instid0(VALU_DEP_1) | instskip(SKIP_1) | instid1(VALU_DEP_2)
	v_subrev_nc_u32_e32 v3, s33, v2
	v_cmp_le_u32_e32 vcc_lo, s33, v2
	v_cndmask_b32_e32 v14, v2, v3, vcc_lo
	s_delay_alu instid0(VALU_DEP_1)
	v_dual_mov_b32 v2, v14 :: v_dual_mov_b32 v3, v15
.LBB127_188:                            ;   in Loop: Header=BB127_46 Depth=1
	s_delay_alu instid0(VALU_DEP_1) | instskip(NEXT) | instid1(VALU_DEP_2)
	v_sub_co_u32 v2, vcc_lo, s80, v2
	v_sub_co_ci_u32_e32 v3, vcc_lo, s55, v3, vcc_lo
	s_mov_b32 s4, 0
	s_mov_b32 s5, exec_lo
                                        ; implicit-def: $vgpr28
	s_delay_alu instid0(VALU_DEP_1)
	v_cmpx_gt_u64_e64 v[2:3], v[0:1]
	s_cbranch_execz .LBB127_197
; %bb.189:                              ;   in Loop: Header=BB127_46 Depth=1
	v_dual_mov_b32 v4, v10 :: v_dual_mov_b32 v5, v11
	v_dual_mov_b32 v7, v1 :: v_dual_mov_b32 v6, v0
	s_mov_b32 s12, 0
                                        ; implicit-def: $sgpr13
	s_set_inst_prefetch_distance 0x1
	s_branch .LBB127_191
	.p2align	6
.LBB127_190:                            ;   in Loop: Header=BB127_191 Depth=2
	s_or_b32 exec_lo, exec_lo, s4
	s_waitcnt vmcnt(0) lgkmcnt(0)
	s_barrier
	buffer_gl0_inv
	ds_load_b64 v[27:28], v15 offset:3072
	v_add_co_u32 v6, vcc_lo, v6, s33
	v_add_co_ci_u32_e32 v7, vcc_lo, 0, v7, vcc_lo
	s_waitcnt lgkmcnt(0)
	s_barrier
	buffer_gl0_inv
	v_cmp_ge_u64_e32 vcc_lo, v[6:7], v[2:3]
	v_cmp_neq_f32_e64 s4, 0, v27
	s_delay_alu instid0(VALU_DEP_1)
	s_or_b32 s19, vcc_lo, s4
	v_add_co_u32 v4, vcc_lo, v4, s48
	s_and_b32 s19, exec_lo, s19
	v_add_co_ci_u32_e32 v5, vcc_lo, s49, v5, vcc_lo
	s_or_b32 s12, s19, s12
	s_and_not1_b32 s13, s13, exec_lo
	s_and_b32 s4, s4, exec_lo
	s_delay_alu instid0(SALU_CYCLE_1)
	s_or_b32 s13, s13, s4
	s_and_not1_b32 exec_lo, exec_lo, s12
	s_cbranch_execz .LBB127_196
.LBB127_191:                            ;   Parent Loop BB127_46 Depth=1
                                        ; =>  This Inner Loop Header: Depth=2
	s_delay_alu instid0(VALU_DEP_1)
	v_cmp_gt_u64_e32 vcc_lo, s[24:25], v[6:7]
	v_mov_b32_e32 v27, 0
	s_and_saveexec_b32 s4, vcc_lo
	s_cbranch_execz .LBB127_193
; %bb.192:                              ;   in Loop: Header=BB127_191 Depth=2
	global_load_b32 v27, v[4:5], off
.LBB127_193:                            ;   in Loop: Header=BB127_191 Depth=2
	s_or_b32 exec_lo, exec_lo, s4
	s_and_saveexec_b32 s4, vcc_lo
	s_cbranch_execz .LBB127_190
; %bb.194:                              ;   in Loop: Header=BB127_191 Depth=2
	s_waitcnt vmcnt(0)
	v_cmp_lt_i32_e32 vcc_lo, -1, v27
	v_cndmask_b32_e64 v8, -1, 0x80000000, vcc_lo
	v_cmp_o_f32_e32 vcc_lo, v27, v27
	s_delay_alu instid0(VALU_DEP_2) | instskip(NEXT) | instid1(VALU_DEP_1)
	v_xor_b32_e32 v8, v8, v27
	v_cndmask_b32_e32 v8, -1, v8, vcc_lo
	s_delay_alu instid0(VALU_DEP_1) | instskip(NEXT) | instid1(VALU_DEP_1)
	v_and_b32_e32 v8, s97, v8
	v_cmp_eq_u32_e32 vcc_lo, s96, v8
	s_and_b32 exec_lo, exec_lo, vcc_lo
	s_cbranch_execz .LBB127_190
; %bb.195:                              ;   in Loop: Header=BB127_191 Depth=2
	ds_store_b64 v15, v[26:27] offset:3072
	s_branch .LBB127_190
.LBB127_196:                            ;   in Loop: Header=BB127_46 Depth=1
	s_set_inst_prefetch_distance 0x2
	s_or_b32 exec_lo, exec_lo, s12
	s_delay_alu instid0(SALU_CYCLE_1)
	s_and_b32 s4, s13, exec_lo
.LBB127_197:                            ;   in Loop: Header=BB127_46 Depth=1
	s_or_b32 exec_lo, exec_lo, s5
	s_mov_b32 s19, -1
	s_mov_b32 s13, 0
	s_mov_b32 s12, 0
.LBB127_198:                            ;   in Loop: Header=BB127_46 Depth=1
	s_mov_b32 s5, 0
                                        ; implicit-def: $sgpr52
	s_and_saveexec_b32 s20, s4
	s_cbranch_execz .LBB127_309
; %bb.199:                              ;   in Loop: Header=BB127_46 Depth=1
	s_xor_b32 s4, s21, -1
	s_mov_b32 s52, 1
	s_and_not1_b32 vcc_lo, exec_lo, s4
	s_cbranch_vccnz .LBB127_210
; %bb.200:                              ;   in Loop: Header=BB127_46 Depth=1
	v_cmp_gt_u64_e64 s4, s[50:51], s[10:11]
                                        ; implicit-def: $sgpr52
                                        ; implicit-def: $sgpr5
                                        ; implicit-def: $sgpr21
	s_delay_alu instid0(VALU_DEP_1)
	s_and_b32 vcc_lo, exec_lo, s4
	s_mov_b32 s4, -1
	s_cbranch_vccnz .LBB127_206
; %bb.201:                              ;   in Loop: Header=BB127_46 Depth=1
	ds_load_b64 v[2:3], v15 offset:5120
	s_waitcnt lgkmcnt(0)
	v_cmp_ne_u64_e32 vcc_lo, 0, v[2:3]
	s_cbranch_vccnz .LBB127_205
; %bb.202:                              ;   in Loop: Header=BB127_46 Depth=1
	s_and_saveexec_b32 s4, s3
	s_cbranch_execz .LBB127_204
; %bb.203:                              ;   in Loop: Header=BB127_46 Depth=1
	v_dual_mov_b32 v2, s10 :: v_dual_mov_b32 v3, s11
	ds_store_b64 v15, v[2:3] offset:5128
.LBB127_204:                            ;   in Loop: Header=BB127_46 Depth=1
	s_or_b32 exec_lo, exec_lo, s4
	s_waitcnt lgkmcnt(0)
	s_barrier
	buffer_gl0_inv
.LBB127_205:                            ;   in Loop: Header=BB127_46 Depth=1
	s_lshl_b32 s4, 1, s17
	s_and_b32 s5, s96, s18
	s_or_b32 s21, s97, s16
	s_or_b32 s5, s5, s4
	s_mov_b32 s4, 0
	s_mov_b32 s52, 8
.LBB127_206:                            ;   in Loop: Header=BB127_46 Depth=1
	s_and_not1_b32 vcc_lo, exec_lo, s4
	s_cbranch_vccnz .LBB127_208
; %bb.207:                              ;   in Loop: Header=BB127_46 Depth=1
	s_sub_u32 s50, s50, s10
	s_subb_u32 s51, s51, s11
	s_mov_b32 s4, -1
	s_mov_b32 s52, 0
	s_mov_b32 s5, s96
	;; [unrolled: 1-line block ×3, first 2 shown]
.LBB127_208:                            ;   in Loop: Header=BB127_46 Depth=1
	s_delay_alu instid0(SALU_CYCLE_1)
	s_mov_b32 s97, s21
	s_mov_b32 s96, s5
	s_and_not1_b32 vcc_lo, exec_lo, s4
	s_mov_b32 s5, -1
	s_cbranch_vccz .LBB127_211
.LBB127_209:                            ;   in Loop: Header=BB127_46 Depth=1
                                        ; implicit-def: $sgpr11
                                        ; implicit-def: $sgpr21
                                        ; implicit-def: $sgpr10
	s_branch .LBB127_308
.LBB127_210:                            ;   in Loop: Header=BB127_46 Depth=1
	s_mov_b64 s[50:51], 1
	s_mov_b32 s5, -1
	s_cbranch_execnz .LBB127_209
.LBB127_211:                            ;   in Loop: Header=BB127_46 Depth=1
	s_cmp_eq_u64 s[8:9], 1
	s_cselect_b32 s4, -1, 0
	s_cmp_eq_u64 s[50:51], 1
	s_cselect_b32 s5, -1, 0
	s_delay_alu instid0(SALU_CYCLE_1)
	s_and_b32 s23, s4, s5
	s_mov_b32 s4, -1
	s_and_b32 vcc_lo, exec_lo, s23
	s_cbranch_vccz .LBB127_226
; %bb.212:                              ;   in Loop: Header=BB127_46 Depth=1
	ds_load_b64 v[2:3], v15 offset:5120
	s_waitcnt lgkmcnt(0)
	s_barrier
	buffer_gl0_inv
	v_readfirstlane_b32 s10, v2
	v_readfirstlane_b32 s11, v3
	s_and_saveexec_b32 s4, s0
	s_cbranch_execz .LBB127_214
; %bb.213:                              ;   in Loop: Header=BB127_46 Depth=1
	ds_store_b32 v42, v15
.LBB127_214:                            ;   in Loop: Header=BB127_46 Depth=1
	s_or_b32 exec_lo, exec_lo, s4
	s_lshl_b32 s4, 2, s17
	s_and_b32 s5, s96, s18
	s_or_b32 s97, s97, s16
	s_or_b32 s96, s5, s4
	s_cmp_eq_u64 s[10:11], 0
	s_waitcnt lgkmcnt(0)
	s_barrier
	buffer_gl0_inv
	s_cbranch_scc1 .LBB127_229
; %bb.215:                              ;   in Loop: Header=BB127_46 Depth=1
	s_add_u32 s21, s78, s10
	s_addc_u32 s5, s79, s11
	s_mov_b32 s4, s53
	s_delay_alu instid0(SALU_CYCLE_1)
	s_cmp_lg_u64 s[4:5], 0
	s_cbranch_scc0 .LBB127_274
; %bb.216:                              ;   in Loop: Header=BB127_46 Depth=1
	v_cvt_f32_u32_e32 v2, s33
	s_sub_u32 s52, 0, s33
	s_subb_u32 s54, 0, 0
	s_delay_alu instid0(VALU_DEP_1) | instskip(NEXT) | instid1(VALU_DEP_1)
	v_fmac_f32_e64 v2, 0, 0x4f800000
	v_rcp_f32_e32 v2, v2
	s_waitcnt_depctr 0xfff
	v_mul_f32_e32 v2, 0x5f7ffffc, v2
	s_delay_alu instid0(VALU_DEP_1) | instskip(NEXT) | instid1(VALU_DEP_1)
	v_mul_f32_e32 v3, 0x2f800000, v2
	v_trunc_f32_e32 v3, v3
	s_delay_alu instid0(VALU_DEP_1) | instskip(SKIP_1) | instid1(VALU_DEP_2)
	v_fmac_f32_e32 v2, 0xcf800000, v3
	v_cvt_u32_f32_e32 v3, v3
	v_cvt_u32_f32_e32 v2, v2
	s_delay_alu instid0(VALU_DEP_2) | instskip(NEXT) | instid1(VALU_DEP_2)
	v_readfirstlane_b32 s4, v3
	v_readfirstlane_b32 s22, v2
	s_delay_alu instid0(VALU_DEP_2) | instskip(NEXT) | instid1(VALU_DEP_1)
	s_mul_i32 s64, s52, s4
	s_mul_hi_u32 s66, s52, s22
	s_mul_i32 s65, s54, s22
	s_add_i32 s64, s66, s64
	s_mul_i32 s67, s52, s22
	s_add_i32 s64, s64, s65
	s_mul_hi_u32 s66, s22, s67
	s_mul_hi_u32 s68, s4, s67
	s_mul_i32 s65, s4, s67
	s_mul_hi_u32 s67, s22, s64
	s_mul_i32 s22, s22, s64
	s_mul_hi_u32 s69, s4, s64
	s_add_u32 s22, s66, s22
	s_addc_u32 s66, 0, s67
	s_add_u32 s22, s22, s65
	s_mul_i32 s64, s4, s64
	s_addc_u32 s22, s66, s68
	s_addc_u32 s65, s69, 0
	s_add_u32 s22, s22, s64
	s_addc_u32 s64, 0, s65
	v_add_co_u32 v2, s22, v2, s22
	s_delay_alu instid0(VALU_DEP_1) | instskip(SKIP_1) | instid1(VALU_DEP_1)
	s_cmp_lg_u32 s22, 0
	s_addc_u32 s4, s4, s64
	v_readfirstlane_b32 s22, v2
	s_mul_i32 s64, s52, s4
	s_delay_alu instid0(VALU_DEP_1)
	s_mul_hi_u32 s65, s52, s22
	s_mul_i32 s54, s54, s22
	s_add_i32 s64, s65, s64
	s_mul_i32 s52, s52, s22
	s_add_i32 s64, s64, s54
	s_mul_hi_u32 s65, s4, s52
	s_mul_i32 s66, s4, s52
	s_mul_hi_u32 s52, s22, s52
	s_mul_hi_u32 s67, s22, s64
	s_mul_i32 s22, s22, s64
	s_mul_hi_u32 s54, s4, s64
	s_add_u32 s22, s52, s22
	s_addc_u32 s52, 0, s67
	s_add_u32 s22, s22, s66
	s_mul_i32 s64, s4, s64
	s_addc_u32 s22, s52, s65
	s_addc_u32 s52, s54, 0
	s_add_u32 s22, s22, s64
	s_addc_u32 s52, 0, s52
	v_add_co_u32 v2, s22, v2, s22
	s_delay_alu instid0(VALU_DEP_1) | instskip(SKIP_1) | instid1(VALU_DEP_1)
	s_cmp_lg_u32 s22, 0
	s_addc_u32 s4, s4, s52
	v_readfirstlane_b32 s22, v2
	s_mul_i32 s54, s21, s4
	s_mul_hi_u32 s52, s21, s4
	s_mul_hi_u32 s64, s5, s4
	s_mul_i32 s4, s5, s4
	s_mul_hi_u32 s65, s21, s22
	s_mul_hi_u32 s66, s5, s22
	s_mul_i32 s22, s5, s22
	s_add_u32 s54, s65, s54
	s_addc_u32 s52, 0, s52
	s_add_u32 s22, s54, s22
	s_addc_u32 s22, s52, s66
	s_addc_u32 s52, s64, 0
	s_add_u32 s4, s22, s4
	s_addc_u32 s22, 0, s52
	s_mul_hi_u32 s52, s33, s4
	s_mul_i32 s4, s33, s4
	s_mul_i32 s22, s33, s22
	v_sub_co_u32 v2, s4, s21, s4
	s_add_i32 s52, s52, s22
	s_cmp_lg_u32 s4, 0
	s_delay_alu instid0(VALU_DEP_1) | instskip(SKIP_2) | instid1(VALU_DEP_1)
	v_sub_co_u32 v3, s4, v2, s33
	s_subb_u32 s22, s5, s52
	s_cmp_lg_u32 s4, 0
	v_cmp_le_u32_e32 vcc_lo, s33, v3
	v_sub_co_u32 v4, s4, v3, s33
	s_subb_u32 s52, s22, 0
	s_cmp_lg_u32 s4, 0
	v_cndmask_b32_e64 v5, 0, -1, vcc_lo
	s_subb_u32 s4, s52, 0
	s_cmp_eq_u32 s52, 0
	v_mov_b32_e32 v7, s4
	s_cselect_b32 vcc_lo, -1, 0
	s_cmp_eq_u32 s22, 0
	v_cndmask_b32_e32 v5, -1, v5, vcc_lo
	v_cmp_le_u32_e32 vcc_lo, s33, v2
	s_cselect_b32 s4, -1, 0
	v_cndmask_b32_e64 v6, 0, -1, vcc_lo
	s_delay_alu instid0(VALU_DEP_3) | instskip(NEXT) | instid1(VALU_DEP_2)
	v_cmp_ne_u32_e32 vcc_lo, 0, v5
	v_cndmask_b32_e64 v5, -1, v6, s4
	v_cndmask_b32_e32 v6, s52, v7, vcc_lo
	v_cndmask_b32_e32 v4, v3, v4, vcc_lo
	s_delay_alu instid0(VALU_DEP_3) | instskip(NEXT) | instid1(VALU_DEP_3)
	v_cmp_ne_u32_e32 vcc_lo, 0, v5
	v_cndmask_b32_e32 v3, s22, v6, vcc_lo
	s_delay_alu instid0(VALU_DEP_3)
	v_cndmask_b32_e32 v2, v2, v4, vcc_lo
	s_cbranch_execnz .LBB127_218
.LBB127_217:                            ;   in Loop: Header=BB127_46 Depth=1
	v_cvt_f32_u32_e32 v2, s33
	s_sub_i32 s4, 0, s33
	s_delay_alu instid0(VALU_DEP_1) | instskip(SKIP_2) | instid1(VALU_DEP_1)
	v_rcp_iflag_f32_e32 v2, v2
	s_waitcnt_depctr 0xfff
	v_mul_f32_e32 v2, 0x4f7ffffe, v2
	v_cvt_u32_f32_e32 v2, v2
	s_delay_alu instid0(VALU_DEP_1) | instskip(NEXT) | instid1(VALU_DEP_1)
	v_mul_lo_u32 v3, s4, v2
	v_mul_hi_u32 v3, v2, v3
	s_delay_alu instid0(VALU_DEP_1) | instskip(NEXT) | instid1(VALU_DEP_1)
	v_add_nc_u32_e32 v2, v2, v3
	v_mul_hi_u32 v2, s21, v2
	s_delay_alu instid0(VALU_DEP_1) | instskip(NEXT) | instid1(VALU_DEP_1)
	v_mul_lo_u32 v2, v2, s33
	v_sub_nc_u32_e32 v2, s21, v2
	s_delay_alu instid0(VALU_DEP_1) | instskip(SKIP_1) | instid1(VALU_DEP_2)
	v_subrev_nc_u32_e32 v3, s33, v2
	v_cmp_le_u32_e32 vcc_lo, s33, v2
	v_cndmask_b32_e32 v2, v2, v3, vcc_lo
	s_delay_alu instid0(VALU_DEP_1) | instskip(SKIP_1) | instid1(VALU_DEP_2)
	v_subrev_nc_u32_e32 v3, s33, v2
	v_cmp_le_u32_e32 vcc_lo, s33, v2
	v_cndmask_b32_e32 v14, v2, v3, vcc_lo
	s_delay_alu instid0(VALU_DEP_1)
	v_dual_mov_b32 v2, v14 :: v_dual_mov_b32 v3, v15
.LBB127_218:                            ;   in Loop: Header=BB127_46 Depth=1
	s_delay_alu instid0(VALU_DEP_1) | instskip(NEXT) | instid1(VALU_DEP_2)
	v_sub_co_u32 v2, vcc_lo, s21, v2
	v_sub_co_ci_u32_e32 v3, vcc_lo, s5, v3, vcc_lo
	s_mov_b32 s4, 0
	s_mov_b32 s5, exec_lo
                                        ; implicit-def: $vgpr28
	s_delay_alu instid0(VALU_DEP_1)
	v_cmpx_gt_u64_e64 v[2:3], v[0:1]
	s_cbranch_execz .LBB127_231
; %bb.219:                              ;   in Loop: Header=BB127_46 Depth=1
	v_dual_mov_b32 v6, v12 :: v_dual_mov_b32 v5, v1
	v_mov_b32_e32 v4, v0
	s_mov_b32 s21, 0
                                        ; implicit-def: $sgpr22
	s_set_inst_prefetch_distance 0x1
	s_branch .LBB127_221
	.p2align	6
.LBB127_220:                            ;   in Loop: Header=BB127_221 Depth=2
	s_or_b32 exec_lo, exec_lo, s4
	s_waitcnt lgkmcnt(0)
	s_barrier
	buffer_gl0_inv
	ds_load_b64 v[27:28], v15 offset:3072
	v_add_co_u32 v4, vcc_lo, v4, s33
	v_add_co_ci_u32_e32 v5, vcc_lo, 0, v5, vcc_lo
	v_add_nc_u32_e32 v6, s86, v6
	s_waitcnt lgkmcnt(0)
	s_barrier
	s_delay_alu instid0(VALU_DEP_2) | instskip(SKIP_2) | instid1(VALU_DEP_1)
	v_cmp_ge_u64_e32 vcc_lo, v[4:5], v[2:3]
	buffer_gl0_inv
	v_cmp_neq_f32_e64 s4, 0, v27
	s_or_b32 s52, vcc_lo, s4
	s_delay_alu instid0(SALU_CYCLE_1) | instskip(NEXT) | instid1(SALU_CYCLE_1)
	s_and_b32 s52, exec_lo, s52
	s_or_b32 s21, s52, s21
	s_and_not1_b32 s22, s22, exec_lo
	s_and_b32 s4, s4, exec_lo
	s_delay_alu instid0(SALU_CYCLE_1)
	s_or_b32 s22, s22, s4
	s_and_not1_b32 exec_lo, exec_lo, s21
	s_cbranch_execz .LBB127_230
.LBB127_221:                            ;   Parent Loop BB127_46 Depth=1
                                        ; =>  This Inner Loop Header: Depth=2
	s_delay_alu instid0(VALU_DEP_1)
	v_cmp_gt_u64_e32 vcc_lo, s[10:11], v[4:5]
	v_mov_b32_e32 v27, 0
	s_and_saveexec_b32 s4, vcc_lo
	s_cbranch_execz .LBB127_223
; %bb.222:                              ;   in Loop: Header=BB127_221 Depth=2
	ds_load_b32 v27, v6
.LBB127_223:                            ;   in Loop: Header=BB127_221 Depth=2
	s_or_b32 exec_lo, exec_lo, s4
	s_and_saveexec_b32 s4, vcc_lo
	s_cbranch_execz .LBB127_220
; %bb.224:                              ;   in Loop: Header=BB127_221 Depth=2
	s_waitcnt lgkmcnt(0)
	v_cmp_lt_i32_e32 vcc_lo, -1, v27
	v_cndmask_b32_e64 v7, -1, 0x80000000, vcc_lo
	v_cmp_o_f32_e32 vcc_lo, v27, v27
	s_delay_alu instid0(VALU_DEP_2) | instskip(NEXT) | instid1(VALU_DEP_1)
	v_xor_b32_e32 v7, v7, v27
	v_cndmask_b32_e32 v7, -1, v7, vcc_lo
	s_delay_alu instid0(VALU_DEP_1) | instskip(NEXT) | instid1(VALU_DEP_1)
	v_and_b32_e32 v7, s97, v7
	v_cmp_eq_u32_e32 vcc_lo, s96, v7
	s_and_b32 exec_lo, exec_lo, vcc_lo
	s_cbranch_execz .LBB127_220
; %bb.225:                              ;   in Loop: Header=BB127_221 Depth=2
	ds_store_b64 v15, v[26:27] offset:3072
	s_branch .LBB127_220
.LBB127_226:                            ;   in Loop: Header=BB127_46 Depth=1
                                        ; implicit-def: $sgpr10
                                        ; implicit-def: $sgpr21
                                        ; implicit-def: $sgpr11
	s_branch .LBB127_245
.LBB127_227:                            ;   in Loop: Header=BB127_46 Depth=1
                                        ; implicit-def: $vgpr2_vgpr3
	s_branch .LBB127_170
.LBB127_228:                            ;   in Loop: Header=BB127_46 Depth=1
                                        ; implicit-def: $vgpr2_vgpr3
	s_branch .LBB127_187
.LBB127_229:                            ;   in Loop: Header=BB127_46 Depth=1
	s_mov_b32 s10, -1
	s_mov_b32 s4, 0
                                        ; implicit-def: $sgpr11
                                        ; implicit-def: $vgpr28
	s_mov_b32 s21, s10
	s_cbranch_execnz .LBB127_232
	s_branch .LBB127_245
.LBB127_230:                            ;   in Loop: Header=BB127_46 Depth=1
	s_set_inst_prefetch_distance 0x2
	s_or_b32 exec_lo, exec_lo, s21
	s_delay_alu instid0(SALU_CYCLE_1)
	s_and_b32 s4, s22, exec_lo
.LBB127_231:                            ;   in Loop: Header=BB127_46 Depth=1
	s_or_b32 exec_lo, exec_lo, s5
	s_mov_b32 s11, -1
	s_mov_b32 s10, 0
	s_delay_alu instid0(SALU_CYCLE_1)
	s_mov_b32 s21, s10
	s_branch .LBB127_245
.LBB127_232:                            ;   in Loop: Header=BB127_46 Depth=1
	s_mov_b32 s54, s53
	s_delay_alu instid0(SALU_CYCLE_1)
	s_cmp_lg_u64 s[54:55], 0
	s_cbranch_scc0 .LBB127_275
; %bb.233:                              ;   in Loop: Header=BB127_46 Depth=1
	v_cvt_f32_u32_e32 v2, s33
	s_sub_u32 s10, 0, s33
	s_subb_u32 s11, 0, 0
	s_delay_alu instid0(VALU_DEP_1) | instskip(NEXT) | instid1(VALU_DEP_1)
	v_fmac_f32_e64 v2, 0, 0x4f800000
	v_rcp_f32_e32 v2, v2
	s_waitcnt_depctr 0xfff
	v_mul_f32_e32 v2, 0x5f7ffffc, v2
	s_delay_alu instid0(VALU_DEP_1) | instskip(NEXT) | instid1(VALU_DEP_1)
	v_mul_f32_e32 v3, 0x2f800000, v2
	v_trunc_f32_e32 v3, v3
	s_delay_alu instid0(VALU_DEP_1) | instskip(SKIP_1) | instid1(VALU_DEP_2)
	v_fmac_f32_e32 v2, 0xcf800000, v3
	v_cvt_u32_f32_e32 v3, v3
	v_cvt_u32_f32_e32 v2, v2
	s_delay_alu instid0(VALU_DEP_2) | instskip(NEXT) | instid1(VALU_DEP_2)
	v_readfirstlane_b32 s4, v3
	v_readfirstlane_b32 s5, v2
	s_delay_alu instid0(VALU_DEP_2) | instskip(NEXT) | instid1(VALU_DEP_1)
	s_mul_i32 s21, s10, s4
	s_mul_hi_u32 s52, s10, s5
	s_mul_i32 s22, s11, s5
	s_add_i32 s21, s52, s21
	s_mul_i32 s54, s10, s5
	s_add_i32 s21, s21, s22
	s_mul_hi_u32 s52, s5, s54
	s_mul_hi_u32 s64, s4, s54
	s_mul_i32 s22, s4, s54
	s_mul_hi_u32 s54, s5, s21
	s_mul_i32 s5, s5, s21
	s_mul_hi_u32 s65, s4, s21
	s_add_u32 s5, s52, s5
	s_addc_u32 s52, 0, s54
	s_add_u32 s5, s5, s22
	s_mul_i32 s21, s4, s21
	s_addc_u32 s5, s52, s64
	s_addc_u32 s22, s65, 0
	s_add_u32 s5, s5, s21
	s_addc_u32 s21, 0, s22
	v_add_co_u32 v2, s5, v2, s5
	s_delay_alu instid0(VALU_DEP_1) | instskip(SKIP_1) | instid1(VALU_DEP_1)
	s_cmp_lg_u32 s5, 0
	s_addc_u32 s4, s4, s21
	v_readfirstlane_b32 s5, v2
	s_mul_i32 s21, s10, s4
	s_delay_alu instid0(VALU_DEP_1)
	s_mul_hi_u32 s22, s10, s5
	s_mul_i32 s11, s11, s5
	s_add_i32 s21, s22, s21
	s_mul_i32 s10, s10, s5
	s_add_i32 s21, s21, s11
	s_mul_hi_u32 s22, s4, s10
	s_mul_i32 s52, s4, s10
	s_mul_hi_u32 s10, s5, s10
	s_mul_hi_u32 s54, s5, s21
	s_mul_i32 s5, s5, s21
	s_mul_hi_u32 s11, s4, s21
	s_add_u32 s5, s10, s5
	s_addc_u32 s10, 0, s54
	s_add_u32 s5, s5, s52
	s_mul_i32 s21, s4, s21
	s_addc_u32 s5, s10, s22
	s_addc_u32 s10, s11, 0
	s_add_u32 s5, s5, s21
	s_addc_u32 s10, 0, s10
	v_add_co_u32 v2, s5, v2, s5
	s_delay_alu instid0(VALU_DEP_1) | instskip(SKIP_1) | instid1(VALU_DEP_1)
	s_cmp_lg_u32 s5, 0
	s_addc_u32 s4, s4, s10
	v_readfirstlane_b32 s5, v2
	s_mul_i32 s11, s80, s4
	s_mul_hi_u32 s10, s80, s4
	s_mul_hi_u32 s21, s55, s4
	s_mul_i32 s4, s55, s4
	s_mul_hi_u32 s22, s80, s5
	s_mul_hi_u32 s52, s55, s5
	s_mul_i32 s5, s55, s5
	s_add_u32 s11, s22, s11
	s_addc_u32 s10, 0, s10
	s_add_u32 s5, s11, s5
	s_addc_u32 s5, s10, s52
	s_addc_u32 s10, s21, 0
	s_add_u32 s4, s5, s4
	s_addc_u32 s5, 0, s10
	s_mul_hi_u32 s10, s33, s4
	s_mul_i32 s4, s33, s4
	s_mul_i32 s5, s33, s5
	v_sub_co_u32 v2, s4, s80, s4
	s_add_i32 s10, s10, s5
	s_cmp_lg_u32 s4, 0
	s_delay_alu instid0(VALU_DEP_1) | instskip(SKIP_2) | instid1(VALU_DEP_1)
	v_sub_co_u32 v3, s4, v2, s33
	s_subb_u32 s5, s55, s10
	s_cmp_lg_u32 s4, 0
	v_cmp_le_u32_e32 vcc_lo, s33, v3
	v_sub_co_u32 v4, s4, v3, s33
	s_subb_u32 s10, s5, 0
	s_cmp_lg_u32 s4, 0
	v_cndmask_b32_e64 v5, 0, -1, vcc_lo
	s_subb_u32 s4, s10, 0
	s_cmp_eq_u32 s10, 0
	v_mov_b32_e32 v7, s4
	s_cselect_b32 vcc_lo, -1, 0
	s_cmp_eq_u32 s5, 0
	v_cndmask_b32_e32 v5, -1, v5, vcc_lo
	v_cmp_le_u32_e32 vcc_lo, s33, v2
	s_cselect_b32 s4, -1, 0
	v_cndmask_b32_e64 v6, 0, -1, vcc_lo
	s_delay_alu instid0(VALU_DEP_3) | instskip(NEXT) | instid1(VALU_DEP_2)
	v_cmp_ne_u32_e32 vcc_lo, 0, v5
	v_cndmask_b32_e64 v5, -1, v6, s4
	v_cndmask_b32_e32 v6, s10, v7, vcc_lo
	v_cndmask_b32_e32 v4, v3, v4, vcc_lo
	s_delay_alu instid0(VALU_DEP_3) | instskip(NEXT) | instid1(VALU_DEP_3)
	v_cmp_ne_u32_e32 vcc_lo, 0, v5
	v_cndmask_b32_e32 v3, s5, v6, vcc_lo
	s_delay_alu instid0(VALU_DEP_3)
	v_cndmask_b32_e32 v2, v2, v4, vcc_lo
	s_cbranch_execnz .LBB127_235
.LBB127_234:                            ;   in Loop: Header=BB127_46 Depth=1
	v_cvt_f32_u32_e32 v2, s33
	s_sub_i32 s4, 0, s33
	s_delay_alu instid0(VALU_DEP_1) | instskip(SKIP_2) | instid1(VALU_DEP_1)
	v_rcp_iflag_f32_e32 v2, v2
	s_waitcnt_depctr 0xfff
	v_mul_f32_e32 v2, 0x4f7ffffe, v2
	v_cvt_u32_f32_e32 v2, v2
	s_delay_alu instid0(VALU_DEP_1) | instskip(NEXT) | instid1(VALU_DEP_1)
	v_mul_lo_u32 v3, s4, v2
	v_mul_hi_u32 v3, v2, v3
	s_delay_alu instid0(VALU_DEP_1) | instskip(NEXT) | instid1(VALU_DEP_1)
	v_add_nc_u32_e32 v2, v2, v3
	v_mul_hi_u32 v2, s80, v2
	s_delay_alu instid0(VALU_DEP_1) | instskip(NEXT) | instid1(VALU_DEP_1)
	v_mul_lo_u32 v2, v2, s33
	v_sub_nc_u32_e32 v2, s80, v2
	s_delay_alu instid0(VALU_DEP_1) | instskip(SKIP_1) | instid1(VALU_DEP_2)
	v_subrev_nc_u32_e32 v3, s33, v2
	v_cmp_le_u32_e32 vcc_lo, s33, v2
	v_cndmask_b32_e32 v2, v2, v3, vcc_lo
	s_delay_alu instid0(VALU_DEP_1) | instskip(SKIP_1) | instid1(VALU_DEP_2)
	v_subrev_nc_u32_e32 v3, s33, v2
	v_cmp_le_u32_e32 vcc_lo, s33, v2
	v_cndmask_b32_e32 v14, v2, v3, vcc_lo
	s_delay_alu instid0(VALU_DEP_1)
	v_dual_mov_b32 v2, v14 :: v_dual_mov_b32 v3, v15
.LBB127_235:                            ;   in Loop: Header=BB127_46 Depth=1
	s_delay_alu instid0(VALU_DEP_1) | instskip(NEXT) | instid1(VALU_DEP_2)
	v_sub_co_u32 v2, vcc_lo, s80, v2
	v_sub_co_ci_u32_e32 v3, vcc_lo, s55, v3, vcc_lo
	s_mov_b32 s4, 0
	s_mov_b32 s5, exec_lo
                                        ; implicit-def: $vgpr28
	s_delay_alu instid0(VALU_DEP_1)
	v_cmpx_gt_u64_e64 v[2:3], v[0:1]
	s_cbranch_execz .LBB127_244
; %bb.236:                              ;   in Loop: Header=BB127_46 Depth=1
	v_dual_mov_b32 v4, v10 :: v_dual_mov_b32 v5, v11
	v_dual_mov_b32 v7, v1 :: v_dual_mov_b32 v6, v0
	s_mov_b32 s10, 0
                                        ; implicit-def: $sgpr11
	s_set_inst_prefetch_distance 0x1
	s_branch .LBB127_238
	.p2align	6
.LBB127_237:                            ;   in Loop: Header=BB127_238 Depth=2
	s_or_b32 exec_lo, exec_lo, s4
	s_waitcnt vmcnt(0) lgkmcnt(0)
	s_barrier
	buffer_gl0_inv
	ds_load_b64 v[27:28], v15 offset:3072
	v_add_co_u32 v6, vcc_lo, v6, s33
	v_add_co_ci_u32_e32 v7, vcc_lo, 0, v7, vcc_lo
	s_waitcnt lgkmcnt(0)
	s_barrier
	buffer_gl0_inv
	v_cmp_ge_u64_e32 vcc_lo, v[6:7], v[2:3]
	v_cmp_neq_f32_e64 s4, 0, v27
	s_delay_alu instid0(VALU_DEP_1)
	s_or_b32 s21, vcc_lo, s4
	v_add_co_u32 v4, vcc_lo, v4, s48
	s_and_b32 s21, exec_lo, s21
	v_add_co_ci_u32_e32 v5, vcc_lo, s49, v5, vcc_lo
	s_or_b32 s10, s21, s10
	s_and_not1_b32 s11, s11, exec_lo
	s_and_b32 s4, s4, exec_lo
	s_delay_alu instid0(SALU_CYCLE_1)
	s_or_b32 s11, s11, s4
	s_and_not1_b32 exec_lo, exec_lo, s10
	s_cbranch_execz .LBB127_243
.LBB127_238:                            ;   Parent Loop BB127_46 Depth=1
                                        ; =>  This Inner Loop Header: Depth=2
	s_delay_alu instid0(VALU_DEP_1)
	v_cmp_gt_u64_e32 vcc_lo, s[24:25], v[6:7]
	v_mov_b32_e32 v27, 0
	s_and_saveexec_b32 s4, vcc_lo
	s_cbranch_execz .LBB127_240
; %bb.239:                              ;   in Loop: Header=BB127_238 Depth=2
	global_load_b32 v27, v[4:5], off
.LBB127_240:                            ;   in Loop: Header=BB127_238 Depth=2
	s_or_b32 exec_lo, exec_lo, s4
	s_and_saveexec_b32 s4, vcc_lo
	s_cbranch_execz .LBB127_237
; %bb.241:                              ;   in Loop: Header=BB127_238 Depth=2
	s_waitcnt vmcnt(0)
	v_cmp_lt_i32_e32 vcc_lo, -1, v27
	v_cndmask_b32_e64 v8, -1, 0x80000000, vcc_lo
	v_cmp_o_f32_e32 vcc_lo, v27, v27
	s_delay_alu instid0(VALU_DEP_2) | instskip(NEXT) | instid1(VALU_DEP_1)
	v_xor_b32_e32 v8, v8, v27
	v_cndmask_b32_e32 v8, -1, v8, vcc_lo
	s_delay_alu instid0(VALU_DEP_1) | instskip(NEXT) | instid1(VALU_DEP_1)
	v_and_b32_e32 v8, s97, v8
	v_cmp_eq_u32_e32 vcc_lo, s96, v8
	s_and_b32 exec_lo, exec_lo, vcc_lo
	s_cbranch_execz .LBB127_237
; %bb.242:                              ;   in Loop: Header=BB127_238 Depth=2
	ds_store_b64 v15, v[26:27] offset:3072
	s_branch .LBB127_237
.LBB127_243:                            ;   in Loop: Header=BB127_46 Depth=1
	s_set_inst_prefetch_distance 0x2
	s_or_b32 exec_lo, exec_lo, s10
	s_delay_alu instid0(SALU_CYCLE_1)
	s_and_b32 s4, s11, exec_lo
.LBB127_244:                            ;   in Loop: Header=BB127_46 Depth=1
	s_or_b32 exec_lo, exec_lo, s5
	s_mov_b32 s21, -1
	s_mov_b32 s10, 0
	s_mov_b32 s11, 0
.LBB127_245:                            ;   in Loop: Header=BB127_46 Depth=1
	s_mov_b32 s5, 0
                                        ; implicit-def: $sgpr52
	s_and_saveexec_b32 s22, s4
	s_cbranch_execz .LBB127_307
; %bb.246:                              ;   in Loop: Header=BB127_46 Depth=1
	s_xor_b32 s4, s23, -1
	s_mov_b32 s52, 1
	s_and_not1_b32 vcc_lo, exec_lo, s4
	s_cbranch_vccnz .LBB127_257
; %bb.247:                              ;   in Loop: Header=BB127_46 Depth=1
	v_cmp_gt_u64_e64 s4, s[50:51], s[8:9]
                                        ; implicit-def: $sgpr52
                                        ; implicit-def: $sgpr5
                                        ; implicit-def: $sgpr23
	s_delay_alu instid0(VALU_DEP_1)
	s_and_b32 vcc_lo, exec_lo, s4
	s_mov_b32 s4, -1
	s_cbranch_vccnz .LBB127_253
; %bb.248:                              ;   in Loop: Header=BB127_46 Depth=1
	ds_load_b64 v[2:3], v15 offset:5120
	s_waitcnt lgkmcnt(0)
	v_cmp_ne_u64_e32 vcc_lo, 0, v[2:3]
	s_cbranch_vccnz .LBB127_252
; %bb.249:                              ;   in Loop: Header=BB127_46 Depth=1
	s_and_saveexec_b32 s4, s3
	s_cbranch_execz .LBB127_251
; %bb.250:                              ;   in Loop: Header=BB127_46 Depth=1
	v_dual_mov_b32 v2, s8 :: v_dual_mov_b32 v3, s9
	ds_store_b64 v15, v[2:3] offset:5128
.LBB127_251:                            ;   in Loop: Header=BB127_46 Depth=1
	s_or_b32 exec_lo, exec_lo, s4
	s_waitcnt lgkmcnt(0)
	s_barrier
	buffer_gl0_inv
.LBB127_252:                            ;   in Loop: Header=BB127_46 Depth=1
	s_lshl_b32 s4, 2, s17
	s_and_b32 s5, s96, s18
	s_or_b32 s23, s97, s16
	s_or_b32 s5, s5, s4
	s_mov_b32 s4, 0
	s_mov_b32 s52, 8
.LBB127_253:                            ;   in Loop: Header=BB127_46 Depth=1
	s_and_not1_b32 vcc_lo, exec_lo, s4
	s_cbranch_vccnz .LBB127_255
; %bb.254:                              ;   in Loop: Header=BB127_46 Depth=1
	s_sub_u32 s50, s50, s8
	s_subb_u32 s51, s51, s9
	s_mov_b32 s4, -1
	s_mov_b32 s52, 0
	s_mov_b32 s5, s96
	;; [unrolled: 1-line block ×3, first 2 shown]
.LBB127_255:                            ;   in Loop: Header=BB127_46 Depth=1
	s_delay_alu instid0(SALU_CYCLE_1)
	s_mov_b32 s97, s23
	s_mov_b32 s96, s5
	s_and_not1_b32 vcc_lo, exec_lo, s4
	s_mov_b32 s64, -1
	s_cbranch_vccz .LBB127_258
.LBB127_256:                            ;   in Loop: Header=BB127_46 Depth=1
                                        ; implicit-def: $sgpr8
                                        ; implicit-def: $sgpr18
                                        ; implicit-def: $sgpr9
	s_branch .LBB127_306
.LBB127_257:                            ;   in Loop: Header=BB127_46 Depth=1
	s_mov_b64 s[50:51], 1
	s_mov_b32 s64, -1
	s_cbranch_execnz .LBB127_256
.LBB127_258:                            ;   in Loop: Header=BB127_46 Depth=1
	s_cmp_eq_u64 s[6:7], 1
	s_mov_b32 s23, -1
	s_cselect_b32 s4, -1, 0
	s_cmp_eq_u64 s[50:51], 1
	s_cselect_b32 s5, -1, 0
	s_delay_alu instid0(SALU_CYCLE_1) | instskip(NEXT) | instid1(SALU_CYCLE_1)
	s_and_b32 s17, s4, s5
	s_and_b32 vcc_lo, exec_lo, s17
	s_cbranch_vccz .LBB127_273
; %bb.259:                              ;   in Loop: Header=BB127_46 Depth=1
	ds_load_b64 v[2:3], v15 offset:5120
	s_waitcnt lgkmcnt(0)
	s_barrier
	buffer_gl0_inv
	v_readfirstlane_b32 s8, v2
	v_readfirstlane_b32 s9, v3
	s_and_saveexec_b32 s4, s0
	s_cbranch_execz .LBB127_261
; %bb.260:                              ;   in Loop: Header=BB127_46 Depth=1
	ds_store_b32 v42, v15
.LBB127_261:                            ;   in Loop: Header=BB127_46 Depth=1
	s_or_b32 exec_lo, exec_lo, s4
	s_or_b32 s96, s96, s16
	s_or_b32 s97, s97, s16
	s_cmp_eq_u64 s[8:9], 0
	s_waitcnt lgkmcnt(0)
	s_barrier
	buffer_gl0_inv
	s_cbranch_scc1 .LBB127_276
; %bb.262:                              ;   in Loop: Header=BB127_46 Depth=1
	s_add_u32 s18, s78, s8
	s_addc_u32 s5, s79, s9
	s_mov_b32 s4, s53
	s_delay_alu instid0(SALU_CYCLE_1)
	s_cmp_lg_u64 s[4:5], 0
	s_cbranch_scc0 .LBB127_312
; %bb.263:                              ;   in Loop: Header=BB127_46 Depth=1
	v_cvt_f32_u32_e32 v2, s33
	s_sub_u32 s52, 0, s33
	s_subb_u32 s54, 0, 0
	s_delay_alu instid0(VALU_DEP_1) | instskip(NEXT) | instid1(VALU_DEP_1)
	v_fmac_f32_e64 v2, 0, 0x4f800000
	v_rcp_f32_e32 v2, v2
	s_waitcnt_depctr 0xfff
	v_mul_f32_e32 v2, 0x5f7ffffc, v2
	s_delay_alu instid0(VALU_DEP_1) | instskip(NEXT) | instid1(VALU_DEP_1)
	v_mul_f32_e32 v3, 0x2f800000, v2
	v_trunc_f32_e32 v3, v3
	s_delay_alu instid0(VALU_DEP_1) | instskip(SKIP_1) | instid1(VALU_DEP_2)
	v_fmac_f32_e32 v2, 0xcf800000, v3
	v_cvt_u32_f32_e32 v3, v3
	v_cvt_u32_f32_e32 v2, v2
	s_delay_alu instid0(VALU_DEP_2) | instskip(NEXT) | instid1(VALU_DEP_2)
	v_readfirstlane_b32 s4, v3
	v_readfirstlane_b32 s23, v2
	s_delay_alu instid0(VALU_DEP_2) | instskip(NEXT) | instid1(VALU_DEP_1)
	s_mul_i32 s64, s52, s4
	s_mul_hi_u32 s66, s52, s23
	s_mul_i32 s65, s54, s23
	s_add_i32 s64, s66, s64
	s_mul_i32 s67, s52, s23
	s_add_i32 s64, s64, s65
	s_mul_hi_u32 s66, s23, s67
	s_mul_hi_u32 s68, s4, s67
	s_mul_i32 s65, s4, s67
	s_mul_hi_u32 s67, s23, s64
	s_mul_i32 s23, s23, s64
	s_mul_hi_u32 s69, s4, s64
	s_add_u32 s23, s66, s23
	s_addc_u32 s66, 0, s67
	s_add_u32 s23, s23, s65
	s_mul_i32 s64, s4, s64
	s_addc_u32 s23, s66, s68
	s_addc_u32 s65, s69, 0
	s_add_u32 s23, s23, s64
	s_addc_u32 s64, 0, s65
	v_add_co_u32 v2, s23, v2, s23
	s_delay_alu instid0(VALU_DEP_1) | instskip(SKIP_1) | instid1(VALU_DEP_1)
	s_cmp_lg_u32 s23, 0
	s_addc_u32 s4, s4, s64
	v_readfirstlane_b32 s23, v2
	s_mul_i32 s64, s52, s4
	s_delay_alu instid0(VALU_DEP_1)
	s_mul_hi_u32 s65, s52, s23
	s_mul_i32 s54, s54, s23
	s_add_i32 s64, s65, s64
	s_mul_i32 s52, s52, s23
	s_add_i32 s64, s64, s54
	s_mul_hi_u32 s65, s4, s52
	s_mul_i32 s66, s4, s52
	s_mul_hi_u32 s52, s23, s52
	s_mul_hi_u32 s67, s23, s64
	s_mul_i32 s23, s23, s64
	s_mul_hi_u32 s54, s4, s64
	s_add_u32 s23, s52, s23
	s_addc_u32 s52, 0, s67
	s_add_u32 s23, s23, s66
	s_mul_i32 s64, s4, s64
	s_addc_u32 s23, s52, s65
	s_addc_u32 s52, s54, 0
	s_add_u32 s23, s23, s64
	s_addc_u32 s52, 0, s52
	v_add_co_u32 v2, s23, v2, s23
	s_delay_alu instid0(VALU_DEP_1) | instskip(SKIP_1) | instid1(VALU_DEP_1)
	s_cmp_lg_u32 s23, 0
	s_addc_u32 s4, s4, s52
	v_readfirstlane_b32 s23, v2
	s_mul_i32 s54, s18, s4
	s_mul_hi_u32 s52, s18, s4
	s_mul_hi_u32 s64, s5, s4
	s_mul_i32 s4, s5, s4
	s_mul_hi_u32 s65, s18, s23
	s_mul_hi_u32 s66, s5, s23
	s_mul_i32 s23, s5, s23
	s_add_u32 s54, s65, s54
	s_addc_u32 s52, 0, s52
	s_add_u32 s23, s54, s23
	s_addc_u32 s23, s52, s66
	s_addc_u32 s52, s64, 0
	s_add_u32 s4, s23, s4
	s_addc_u32 s23, 0, s52
	s_mul_hi_u32 s52, s33, s4
	s_mul_i32 s4, s33, s4
	s_mul_i32 s23, s33, s23
	v_sub_co_u32 v2, s4, s18, s4
	s_add_i32 s52, s52, s23
	s_cmp_lg_u32 s4, 0
	s_delay_alu instid0(VALU_DEP_1) | instskip(SKIP_2) | instid1(VALU_DEP_1)
	v_sub_co_u32 v3, s4, v2, s33
	s_subb_u32 s23, s5, s52
	s_cmp_lg_u32 s4, 0
	v_cmp_le_u32_e32 vcc_lo, s33, v3
	v_sub_co_u32 v4, s4, v3, s33
	s_subb_u32 s52, s23, 0
	s_cmp_lg_u32 s4, 0
	v_cndmask_b32_e64 v5, 0, -1, vcc_lo
	s_subb_u32 s4, s52, 0
	s_cmp_eq_u32 s52, 0
	v_mov_b32_e32 v7, s4
	s_cselect_b32 vcc_lo, -1, 0
	s_cmp_eq_u32 s23, 0
	v_cndmask_b32_e32 v5, -1, v5, vcc_lo
	v_cmp_le_u32_e32 vcc_lo, s33, v2
	s_cselect_b32 s4, -1, 0
	v_cndmask_b32_e64 v6, 0, -1, vcc_lo
	s_delay_alu instid0(VALU_DEP_3) | instskip(NEXT) | instid1(VALU_DEP_2)
	v_cmp_ne_u32_e32 vcc_lo, 0, v5
	v_cndmask_b32_e64 v5, -1, v6, s4
	v_cndmask_b32_e32 v6, s52, v7, vcc_lo
	v_cndmask_b32_e32 v4, v3, v4, vcc_lo
	s_delay_alu instid0(VALU_DEP_3) | instskip(NEXT) | instid1(VALU_DEP_3)
	v_cmp_ne_u32_e32 vcc_lo, 0, v5
	v_cndmask_b32_e32 v3, s23, v6, vcc_lo
	s_delay_alu instid0(VALU_DEP_3)
	v_cndmask_b32_e32 v2, v2, v4, vcc_lo
	s_cbranch_execnz .LBB127_265
.LBB127_264:                            ;   in Loop: Header=BB127_46 Depth=1
	v_cvt_f32_u32_e32 v2, s33
	s_sub_i32 s4, 0, s33
	s_delay_alu instid0(VALU_DEP_1) | instskip(SKIP_2) | instid1(VALU_DEP_1)
	v_rcp_iflag_f32_e32 v2, v2
	s_waitcnt_depctr 0xfff
	v_mul_f32_e32 v2, 0x4f7ffffe, v2
	v_cvt_u32_f32_e32 v2, v2
	s_delay_alu instid0(VALU_DEP_1) | instskip(NEXT) | instid1(VALU_DEP_1)
	v_mul_lo_u32 v3, s4, v2
	v_mul_hi_u32 v3, v2, v3
	s_delay_alu instid0(VALU_DEP_1) | instskip(NEXT) | instid1(VALU_DEP_1)
	v_add_nc_u32_e32 v2, v2, v3
	v_mul_hi_u32 v2, s18, v2
	s_delay_alu instid0(VALU_DEP_1) | instskip(NEXT) | instid1(VALU_DEP_1)
	v_mul_lo_u32 v2, v2, s33
	v_sub_nc_u32_e32 v2, s18, v2
	s_delay_alu instid0(VALU_DEP_1) | instskip(SKIP_1) | instid1(VALU_DEP_2)
	v_subrev_nc_u32_e32 v3, s33, v2
	v_cmp_le_u32_e32 vcc_lo, s33, v2
	v_cndmask_b32_e32 v2, v2, v3, vcc_lo
	s_delay_alu instid0(VALU_DEP_1) | instskip(SKIP_1) | instid1(VALU_DEP_2)
	v_subrev_nc_u32_e32 v3, s33, v2
	v_cmp_le_u32_e32 vcc_lo, s33, v2
	v_cndmask_b32_e32 v14, v2, v3, vcc_lo
	s_delay_alu instid0(VALU_DEP_1)
	v_dual_mov_b32 v2, v14 :: v_dual_mov_b32 v3, v15
.LBB127_265:                            ;   in Loop: Header=BB127_46 Depth=1
	s_delay_alu instid0(VALU_DEP_1) | instskip(NEXT) | instid1(VALU_DEP_2)
	v_sub_co_u32 v2, vcc_lo, s18, v2
	v_sub_co_ci_u32_e32 v3, vcc_lo, s5, v3, vcc_lo
	s_mov_b32 s23, 0
	s_mov_b32 s5, exec_lo
                                        ; implicit-def: $vgpr28
	s_delay_alu instid0(VALU_DEP_1)
	v_cmpx_gt_u64_e64 v[2:3], v[0:1]
	s_cbranch_execz .LBB127_278
; %bb.266:                              ;   in Loop: Header=BB127_46 Depth=1
	v_dual_mov_b32 v6, v12 :: v_dual_mov_b32 v5, v1
	v_mov_b32_e32 v4, v0
	s_mov_b32 s18, 0
                                        ; implicit-def: $sgpr23
	s_set_inst_prefetch_distance 0x1
	s_branch .LBB127_268
	.p2align	6
.LBB127_267:                            ;   in Loop: Header=BB127_268 Depth=2
	s_or_b32 exec_lo, exec_lo, s4
	s_waitcnt lgkmcnt(0)
	s_barrier
	buffer_gl0_inv
	ds_load_b64 v[27:28], v15 offset:3072
	v_add_co_u32 v4, vcc_lo, v4, s33
	v_add_co_ci_u32_e32 v5, vcc_lo, 0, v5, vcc_lo
	v_add_nc_u32_e32 v6, s86, v6
	s_waitcnt lgkmcnt(0)
	s_barrier
	s_delay_alu instid0(VALU_DEP_2) | instskip(SKIP_2) | instid1(VALU_DEP_1)
	v_cmp_ge_u64_e32 vcc_lo, v[4:5], v[2:3]
	buffer_gl0_inv
	v_cmp_neq_f32_e64 s4, 0, v27
	s_or_b32 s52, vcc_lo, s4
	s_delay_alu instid0(SALU_CYCLE_1) | instskip(NEXT) | instid1(SALU_CYCLE_1)
	s_and_b32 s52, exec_lo, s52
	s_or_b32 s18, s52, s18
	s_and_not1_b32 s23, s23, exec_lo
	s_and_b32 s4, s4, exec_lo
	s_delay_alu instid0(SALU_CYCLE_1)
	s_or_b32 s23, s23, s4
	s_and_not1_b32 exec_lo, exec_lo, s18
	s_cbranch_execz .LBB127_277
.LBB127_268:                            ;   Parent Loop BB127_46 Depth=1
                                        ; =>  This Inner Loop Header: Depth=2
	s_delay_alu instid0(VALU_DEP_1)
	v_cmp_gt_u64_e32 vcc_lo, s[8:9], v[4:5]
	v_mov_b32_e32 v27, 0
	s_and_saveexec_b32 s4, vcc_lo
	s_cbranch_execz .LBB127_270
; %bb.269:                              ;   in Loop: Header=BB127_268 Depth=2
	ds_load_b32 v27, v6
.LBB127_270:                            ;   in Loop: Header=BB127_268 Depth=2
	s_or_b32 exec_lo, exec_lo, s4
	s_and_saveexec_b32 s4, vcc_lo
	s_cbranch_execz .LBB127_267
; %bb.271:                              ;   in Loop: Header=BB127_268 Depth=2
	s_waitcnt lgkmcnt(0)
	v_cmp_lt_i32_e32 vcc_lo, -1, v27
	v_cndmask_b32_e64 v7, -1, 0x80000000, vcc_lo
	v_cmp_o_f32_e32 vcc_lo, v27, v27
	s_delay_alu instid0(VALU_DEP_2) | instskip(NEXT) | instid1(VALU_DEP_1)
	v_xor_b32_e32 v7, v7, v27
	v_cndmask_b32_e32 v7, -1, v7, vcc_lo
	s_delay_alu instid0(VALU_DEP_1) | instskip(NEXT) | instid1(VALU_DEP_1)
	v_and_b32_e32 v7, s97, v7
	v_cmp_eq_u32_e32 vcc_lo, s96, v7
	s_and_b32 exec_lo, exec_lo, vcc_lo
	s_cbranch_execz .LBB127_267
; %bb.272:                              ;   in Loop: Header=BB127_268 Depth=2
	ds_store_b64 v15, v[26:27] offset:3072
	s_branch .LBB127_267
.LBB127_273:                            ;   in Loop: Header=BB127_46 Depth=1
                                        ; implicit-def: $sgpr8
                                        ; implicit-def: $sgpr18
                                        ; implicit-def: $sgpr9
	s_branch .LBB127_292
.LBB127_274:                            ;   in Loop: Header=BB127_46 Depth=1
                                        ; implicit-def: $vgpr2_vgpr3
	s_branch .LBB127_217
.LBB127_275:                            ;   in Loop: Header=BB127_46 Depth=1
                                        ; implicit-def: $vgpr2_vgpr3
	s_branch .LBB127_234
.LBB127_276:                            ;   in Loop: Header=BB127_46 Depth=1
	s_mov_b32 s8, -1
	s_mov_b32 s23, 0
                                        ; implicit-def: $sgpr9
                                        ; implicit-def: $vgpr28
	s_mov_b32 s18, s8
	s_cbranch_execnz .LBB127_279
	s_branch .LBB127_292
.LBB127_277:                            ;   in Loop: Header=BB127_46 Depth=1
	s_set_inst_prefetch_distance 0x2
	s_or_b32 exec_lo, exec_lo, s18
	s_delay_alu instid0(SALU_CYCLE_1)
	s_and_b32 s23, s23, exec_lo
.LBB127_278:                            ;   in Loop: Header=BB127_46 Depth=1
	s_or_b32 exec_lo, exec_lo, s5
	s_mov_b32 s9, -1
	s_mov_b32 s8, 0
	s_delay_alu instid0(SALU_CYCLE_1)
	s_mov_b32 s18, s8
	s_branch .LBB127_292
.LBB127_279:                            ;   in Loop: Header=BB127_46 Depth=1
	s_mov_b32 s54, s53
	s_delay_alu instid0(SALU_CYCLE_1)
	s_cmp_lg_u64 s[54:55], 0
	s_cbranch_scc0 .LBB127_313
; %bb.280:                              ;   in Loop: Header=BB127_46 Depth=1
	v_cvt_f32_u32_e32 v2, s33
	s_sub_u32 s8, 0, s33
	s_subb_u32 s9, 0, 0
	s_delay_alu instid0(VALU_DEP_1) | instskip(NEXT) | instid1(VALU_DEP_1)
	v_fmac_f32_e64 v2, 0, 0x4f800000
	v_rcp_f32_e32 v2, v2
	s_waitcnt_depctr 0xfff
	v_mul_f32_e32 v2, 0x5f7ffffc, v2
	s_delay_alu instid0(VALU_DEP_1) | instskip(NEXT) | instid1(VALU_DEP_1)
	v_mul_f32_e32 v3, 0x2f800000, v2
	v_trunc_f32_e32 v3, v3
	s_delay_alu instid0(VALU_DEP_1) | instskip(SKIP_1) | instid1(VALU_DEP_2)
	v_fmac_f32_e32 v2, 0xcf800000, v3
	v_cvt_u32_f32_e32 v3, v3
	v_cvt_u32_f32_e32 v2, v2
	s_delay_alu instid0(VALU_DEP_2) | instskip(NEXT) | instid1(VALU_DEP_2)
	v_readfirstlane_b32 s4, v3
	v_readfirstlane_b32 s5, v2
	s_delay_alu instid0(VALU_DEP_2) | instskip(NEXT) | instid1(VALU_DEP_1)
	s_mul_i32 s18, s8, s4
	s_mul_hi_u32 s52, s8, s5
	s_mul_i32 s23, s9, s5
	s_add_i32 s18, s52, s18
	s_mul_i32 s54, s8, s5
	s_add_i32 s18, s18, s23
	s_mul_hi_u32 s52, s5, s54
	s_mul_hi_u32 s64, s4, s54
	s_mul_i32 s23, s4, s54
	s_mul_hi_u32 s54, s5, s18
	s_mul_i32 s5, s5, s18
	s_mul_hi_u32 s65, s4, s18
	s_add_u32 s5, s52, s5
	s_addc_u32 s52, 0, s54
	s_add_u32 s5, s5, s23
	s_mul_i32 s18, s4, s18
	s_addc_u32 s5, s52, s64
	s_addc_u32 s23, s65, 0
	s_add_u32 s5, s5, s18
	s_addc_u32 s18, 0, s23
	v_add_co_u32 v2, s5, v2, s5
	s_delay_alu instid0(VALU_DEP_1) | instskip(SKIP_1) | instid1(VALU_DEP_1)
	s_cmp_lg_u32 s5, 0
	s_addc_u32 s4, s4, s18
	v_readfirstlane_b32 s5, v2
	s_mul_i32 s18, s8, s4
	s_delay_alu instid0(VALU_DEP_1)
	s_mul_hi_u32 s23, s8, s5
	s_mul_i32 s9, s9, s5
	s_add_i32 s18, s23, s18
	s_mul_i32 s8, s8, s5
	s_add_i32 s18, s18, s9
	s_mul_hi_u32 s23, s4, s8
	s_mul_i32 s52, s4, s8
	s_mul_hi_u32 s8, s5, s8
	s_mul_hi_u32 s54, s5, s18
	s_mul_i32 s5, s5, s18
	s_mul_hi_u32 s9, s4, s18
	s_add_u32 s5, s8, s5
	s_addc_u32 s8, 0, s54
	s_add_u32 s5, s5, s52
	s_mul_i32 s18, s4, s18
	s_addc_u32 s5, s8, s23
	s_addc_u32 s8, s9, 0
	s_add_u32 s5, s5, s18
	s_addc_u32 s8, 0, s8
	v_add_co_u32 v2, s5, v2, s5
	s_delay_alu instid0(VALU_DEP_1) | instskip(SKIP_1) | instid1(VALU_DEP_1)
	s_cmp_lg_u32 s5, 0
	s_addc_u32 s4, s4, s8
	v_readfirstlane_b32 s5, v2
	s_mul_i32 s9, s80, s4
	s_mul_hi_u32 s8, s80, s4
	s_mul_hi_u32 s18, s55, s4
	s_mul_i32 s4, s55, s4
	s_mul_hi_u32 s23, s80, s5
	s_mul_hi_u32 s52, s55, s5
	s_mul_i32 s5, s55, s5
	s_add_u32 s9, s23, s9
	s_addc_u32 s8, 0, s8
	s_add_u32 s5, s9, s5
	s_addc_u32 s5, s8, s52
	s_addc_u32 s8, s18, 0
	s_add_u32 s4, s5, s4
	s_addc_u32 s5, 0, s8
	s_mul_hi_u32 s8, s33, s4
	s_mul_i32 s4, s33, s4
	s_mul_i32 s5, s33, s5
	v_sub_co_u32 v2, s4, s80, s4
	s_add_i32 s8, s8, s5
	s_cmp_lg_u32 s4, 0
	s_delay_alu instid0(VALU_DEP_1) | instskip(SKIP_2) | instid1(VALU_DEP_1)
	v_sub_co_u32 v3, s4, v2, s33
	s_subb_u32 s5, s55, s8
	s_cmp_lg_u32 s4, 0
	v_cmp_le_u32_e32 vcc_lo, s33, v3
	v_sub_co_u32 v4, s4, v3, s33
	s_subb_u32 s8, s5, 0
	s_cmp_lg_u32 s4, 0
	v_cndmask_b32_e64 v5, 0, -1, vcc_lo
	s_subb_u32 s4, s8, 0
	s_cmp_eq_u32 s8, 0
	v_mov_b32_e32 v7, s4
	s_cselect_b32 vcc_lo, -1, 0
	s_cmp_eq_u32 s5, 0
	v_cndmask_b32_e32 v5, -1, v5, vcc_lo
	v_cmp_le_u32_e32 vcc_lo, s33, v2
	s_cselect_b32 s4, -1, 0
	v_cndmask_b32_e64 v6, 0, -1, vcc_lo
	s_delay_alu instid0(VALU_DEP_3) | instskip(NEXT) | instid1(VALU_DEP_2)
	v_cmp_ne_u32_e32 vcc_lo, 0, v5
	v_cndmask_b32_e64 v5, -1, v6, s4
	v_cndmask_b32_e32 v6, s8, v7, vcc_lo
	v_cndmask_b32_e32 v4, v3, v4, vcc_lo
	s_delay_alu instid0(VALU_DEP_3) | instskip(NEXT) | instid1(VALU_DEP_3)
	v_cmp_ne_u32_e32 vcc_lo, 0, v5
	v_cndmask_b32_e32 v3, s5, v6, vcc_lo
	s_delay_alu instid0(VALU_DEP_3)
	v_cndmask_b32_e32 v2, v2, v4, vcc_lo
	s_cbranch_execnz .LBB127_282
.LBB127_281:                            ;   in Loop: Header=BB127_46 Depth=1
	v_cvt_f32_u32_e32 v2, s33
	s_sub_i32 s4, 0, s33
	s_delay_alu instid0(VALU_DEP_1) | instskip(SKIP_2) | instid1(VALU_DEP_1)
	v_rcp_iflag_f32_e32 v2, v2
	s_waitcnt_depctr 0xfff
	v_mul_f32_e32 v2, 0x4f7ffffe, v2
	v_cvt_u32_f32_e32 v2, v2
	s_delay_alu instid0(VALU_DEP_1) | instskip(NEXT) | instid1(VALU_DEP_1)
	v_mul_lo_u32 v3, s4, v2
	v_mul_hi_u32 v3, v2, v3
	s_delay_alu instid0(VALU_DEP_1) | instskip(NEXT) | instid1(VALU_DEP_1)
	v_add_nc_u32_e32 v2, v2, v3
	v_mul_hi_u32 v2, s80, v2
	s_delay_alu instid0(VALU_DEP_1) | instskip(NEXT) | instid1(VALU_DEP_1)
	v_mul_lo_u32 v2, v2, s33
	v_sub_nc_u32_e32 v2, s80, v2
	s_delay_alu instid0(VALU_DEP_1) | instskip(SKIP_1) | instid1(VALU_DEP_2)
	v_subrev_nc_u32_e32 v3, s33, v2
	v_cmp_le_u32_e32 vcc_lo, s33, v2
	v_cndmask_b32_e32 v2, v2, v3, vcc_lo
	s_delay_alu instid0(VALU_DEP_1) | instskip(SKIP_1) | instid1(VALU_DEP_2)
	v_subrev_nc_u32_e32 v3, s33, v2
	v_cmp_le_u32_e32 vcc_lo, s33, v2
	v_cndmask_b32_e32 v14, v2, v3, vcc_lo
	s_delay_alu instid0(VALU_DEP_1)
	v_dual_mov_b32 v2, v14 :: v_dual_mov_b32 v3, v15
.LBB127_282:                            ;   in Loop: Header=BB127_46 Depth=1
	s_delay_alu instid0(VALU_DEP_1) | instskip(NEXT) | instid1(VALU_DEP_2)
	v_sub_co_u32 v2, vcc_lo, s80, v2
	v_sub_co_ci_u32_e32 v3, vcc_lo, s55, v3, vcc_lo
	s_mov_b32 s23, 0
	s_mov_b32 s5, exec_lo
                                        ; implicit-def: $vgpr28
	s_delay_alu instid0(VALU_DEP_1)
	v_cmpx_gt_u64_e64 v[2:3], v[0:1]
	s_cbranch_execz .LBB127_291
; %bb.283:                              ;   in Loop: Header=BB127_46 Depth=1
	v_dual_mov_b32 v4, v10 :: v_dual_mov_b32 v5, v11
	v_dual_mov_b32 v7, v1 :: v_dual_mov_b32 v6, v0
	s_mov_b32 s8, 0
                                        ; implicit-def: $sgpr9
	s_set_inst_prefetch_distance 0x1
	s_branch .LBB127_285
	.p2align	6
.LBB127_284:                            ;   in Loop: Header=BB127_285 Depth=2
	s_or_b32 exec_lo, exec_lo, s4
	s_waitcnt vmcnt(0) lgkmcnt(0)
	s_barrier
	buffer_gl0_inv
	ds_load_b64 v[27:28], v15 offset:3072
	v_add_co_u32 v6, vcc_lo, v6, s33
	v_add_co_ci_u32_e32 v7, vcc_lo, 0, v7, vcc_lo
	s_waitcnt lgkmcnt(0)
	s_barrier
	buffer_gl0_inv
	v_cmp_ge_u64_e32 vcc_lo, v[6:7], v[2:3]
	v_cmp_neq_f32_e64 s4, 0, v27
	s_delay_alu instid0(VALU_DEP_1)
	s_or_b32 s18, vcc_lo, s4
	v_add_co_u32 v4, vcc_lo, v4, s48
	s_and_b32 s18, exec_lo, s18
	v_add_co_ci_u32_e32 v5, vcc_lo, s49, v5, vcc_lo
	s_or_b32 s8, s18, s8
	s_and_not1_b32 s9, s9, exec_lo
	s_and_b32 s4, s4, exec_lo
	s_delay_alu instid0(SALU_CYCLE_1)
	s_or_b32 s9, s9, s4
	s_and_not1_b32 exec_lo, exec_lo, s8
	s_cbranch_execz .LBB127_290
.LBB127_285:                            ;   Parent Loop BB127_46 Depth=1
                                        ; =>  This Inner Loop Header: Depth=2
	s_delay_alu instid0(VALU_DEP_1)
	v_cmp_gt_u64_e32 vcc_lo, s[24:25], v[6:7]
	v_mov_b32_e32 v27, 0
	s_and_saveexec_b32 s4, vcc_lo
	s_cbranch_execz .LBB127_287
; %bb.286:                              ;   in Loop: Header=BB127_285 Depth=2
	global_load_b32 v27, v[4:5], off
.LBB127_287:                            ;   in Loop: Header=BB127_285 Depth=2
	s_or_b32 exec_lo, exec_lo, s4
	s_and_saveexec_b32 s4, vcc_lo
	s_cbranch_execz .LBB127_284
; %bb.288:                              ;   in Loop: Header=BB127_285 Depth=2
	s_waitcnt vmcnt(0)
	v_cmp_lt_i32_e32 vcc_lo, -1, v27
	v_cndmask_b32_e64 v8, -1, 0x80000000, vcc_lo
	v_cmp_o_f32_e32 vcc_lo, v27, v27
	s_delay_alu instid0(VALU_DEP_2) | instskip(NEXT) | instid1(VALU_DEP_1)
	v_xor_b32_e32 v8, v8, v27
	v_cndmask_b32_e32 v8, -1, v8, vcc_lo
	s_delay_alu instid0(VALU_DEP_1) | instskip(NEXT) | instid1(VALU_DEP_1)
	v_and_b32_e32 v8, s97, v8
	v_cmp_eq_u32_e32 vcc_lo, s96, v8
	s_and_b32 exec_lo, exec_lo, vcc_lo
	s_cbranch_execz .LBB127_284
; %bb.289:                              ;   in Loop: Header=BB127_285 Depth=2
	ds_store_b64 v15, v[26:27] offset:3072
	s_branch .LBB127_284
.LBB127_290:                            ;   in Loop: Header=BB127_46 Depth=1
	s_set_inst_prefetch_distance 0x2
	s_or_b32 exec_lo, exec_lo, s8
	s_delay_alu instid0(SALU_CYCLE_1)
	s_and_b32 s23, s9, exec_lo
.LBB127_291:                            ;   in Loop: Header=BB127_46 Depth=1
	s_or_b32 exec_lo, exec_lo, s5
	s_mov_b32 s18, -1
	s_mov_b32 s8, 0
	s_mov_b32 s9, 0
.LBB127_292:                            ;   in Loop: Header=BB127_46 Depth=1
	s_mov_b32 s64, 0
                                        ; implicit-def: $sgpr52
                                        ; implicit-def: $sgpr4_sgpr5
	s_and_saveexec_b32 s54, s23
	s_cbranch_execz .LBB127_305
; %bb.293:                              ;   in Loop: Header=BB127_46 Depth=1
	s_xor_b32 s17, s17, -1
	s_mov_b64 s[4:5], 1
	s_and_not1_b32 vcc_lo, exec_lo, s17
	s_mov_b32 s52, 1
	s_cbranch_vccnz .LBB127_304
; %bb.294:                              ;   in Loop: Header=BB127_46 Depth=1
	v_cmp_gt_u64_e64 s4, s[50:51], s[6:7]
	s_delay_alu instid0(VALU_DEP_1)
	s_and_b32 vcc_lo, exec_lo, s4
	s_cbranch_vccnz .LBB127_300
; %bb.295:                              ;   in Loop: Header=BB127_46 Depth=1
	ds_load_b64 v[2:3], v15 offset:5120
	s_waitcnt lgkmcnt(0)
	v_cmp_ne_u64_e32 vcc_lo, 0, v[2:3]
	s_cbranch_vccnz .LBB127_299
; %bb.296:                              ;   in Loop: Header=BB127_46 Depth=1
	s_and_saveexec_b32 s4, s3
	s_cbranch_execz .LBB127_298
; %bb.297:                              ;   in Loop: Header=BB127_46 Depth=1
	v_dual_mov_b32 v2, s6 :: v_dual_mov_b32 v3, s7
	ds_store_b64 v15, v[2:3] offset:5128
.LBB127_298:                            ;   in Loop: Header=BB127_46 Depth=1
	s_or_b32 exec_lo, exec_lo, s4
	s_waitcnt lgkmcnt(0)
	s_barrier
	buffer_gl0_inv
.LBB127_299:                            ;   in Loop: Header=BB127_46 Depth=1
	s_or_b32 s17, s96, s16
	s_or_b32 s16, s97, s16
	s_mov_b32 s4, 0
	s_mov_b32 s52, 8
	s_branch .LBB127_301
.LBB127_300:                            ;   in Loop: Header=BB127_46 Depth=1
	s_mov_b32 s4, -1
                                        ; implicit-def: $sgpr52
                                        ; implicit-def: $sgpr17
                                        ; implicit-def: $sgpr16
.LBB127_301:                            ;   in Loop: Header=BB127_46 Depth=1
	s_delay_alu instid0(SALU_CYCLE_1)
	s_and_not1_b32 vcc_lo, exec_lo, s4
	s_cbranch_vccnz .LBB127_303
; %bb.302:                              ;   in Loop: Header=BB127_46 Depth=1
	s_sub_u32 s50, s50, s6
	s_subb_u32 s51, s51, s7
	s_mov_b32 s52, 8
	s_mov_b32 s17, s96
	;; [unrolled: 1-line block ×3, first 2 shown]
.LBB127_303:                            ;   in Loop: Header=BB127_46 Depth=1
	s_mov_b64 s[4:5], s[50:51]
	s_mov_b32 s96, s17
	s_mov_b32 s97, s16
.LBB127_304:                            ;   in Loop: Header=BB127_46 Depth=1
	s_mov_b32 s64, exec_lo
.LBB127_305:                            ;   in Loop: Header=BB127_46 Depth=1
	s_or_b32 exec_lo, exec_lo, s54
	s_mov_b64 s[50:51], s[4:5]
.LBB127_306:                            ;   in Loop: Header=BB127_46 Depth=1
	s_and_not1_b32 s4, s10, exec_lo
	s_and_b32 s5, s8, exec_lo
	s_and_not1_b32 s6, s11, exec_lo
	s_or_b32 s10, s4, s5
	s_and_not1_b32 s4, s21, exec_lo
	s_and_b32 s5, s18, exec_lo
	s_and_b32 s7, s9, exec_lo
	s_or_b32 s21, s4, s5
	s_or_b32 s11, s6, s7
	s_and_b32 s5, s64, exec_lo
.LBB127_307:                            ;   in Loop: Header=BB127_46 Depth=1
	s_or_b32 exec_lo, exec_lo, s22
.LBB127_308:                            ;   in Loop: Header=BB127_46 Depth=1
	s_delay_alu instid0(SALU_CYCLE_1)
	s_and_not1_b32 s4, s13, exec_lo
	s_and_b32 s6, s10, exec_lo
	s_and_not1_b32 s7, s12, exec_lo
	s_or_b32 s13, s4, s6
	s_and_not1_b32 s4, s19, exec_lo
	s_and_b32 s6, s21, exec_lo
	s_and_b32 s8, s11, exec_lo
	s_or_b32 s19, s4, s6
	s_or_b32 s12, s7, s8
	s_and_b32 s5, s5, exec_lo
.LBB127_309:                            ;   in Loop: Header=BB127_46 Depth=1
	s_or_b32 exec_lo, exec_lo, s20
	s_and_saveexec_b32 s4, s5
	s_delay_alu instid0(SALU_CYCLE_1)
	s_xor_b32 s4, exec_lo, s4
	s_cbranch_execz .LBB127_44
.LBB127_310:                            ;   in Loop: Header=BB127_46 Depth=1
	s_and_b32 s5, s52, -9
	s_delay_alu instid0(SALU_CYCLE_1)
	s_cmp_eq_u32 s5, 0
	s_cbranch_scc1 .LBB127_42
; %bb.311:                              ;   in Loop: Header=BB127_46 Depth=1
	s_mov_b32 s5, -1
	s_mov_b32 s6, -1
                                        ; implicit-def: $sgpr97
                                        ; implicit-def: $sgpr50_sgpr51
                                        ; implicit-def: $sgpr91
                                        ; implicit-def: $sgpr94
	s_branch .LBB127_43
.LBB127_312:                            ;   in Loop: Header=BB127_46 Depth=1
                                        ; implicit-def: $vgpr2_vgpr3
	s_branch .LBB127_264
.LBB127_313:                            ;   in Loop: Header=BB127_46 Depth=1
                                        ; implicit-def: $vgpr2_vgpr3
	s_branch .LBB127_281
.LBB127_314:
	s_or_b32 exec_lo, exec_lo, s87
	s_xor_b32 s3, s90, -1
	s_xor_b32 s1, s88, -1
	;; [unrolled: 1-line block ×3, first 2 shown]
	s_mov_b32 s0, 0
	s_and_saveexec_b32 s5, s1
	s_delay_alu instid0(SALU_CYCLE_1)
	s_xor_b32 s1, exec_lo, s5
	s_cbranch_execz .LBB127_328
; %bb.315:
	s_and_saveexec_b32 s0, s3
	s_delay_alu instid0(SALU_CYCLE_1)
	s_xor_b32 s3, exec_lo, s0
	s_cbranch_execz .LBB127_326
; %bb.316:
	s_and_saveexec_b32 s0, s4
	s_delay_alu instid0(SALU_CYCLE_1)
	s_xor_b32 s0, exec_lo, s0
; %bb.317:
	v_cmp_lt_i32_e32 vcc_lo, -1, v2
	v_cndmask_b32_e64 v3, 0x80000000, -1, vcc_lo
	s_delay_alu instid0(VALU_DEP_1)
	v_xor_b32_e32 v28, v3, v2
; %bb.318:
	s_or_b32 exec_lo, exec_lo, s0
	s_mul_i32 s0, s36, s35
	s_mul_hi_u32 s4, s36, s34
	s_mul_i32 s5, s37, s34
	s_add_i32 s0, s4, s0
	s_mul_i32 s4, s36, s34
	s_add_i32 s5, s0, s5
	v_mov_b32_e32 v2, 0
	s_lshl_b64 s[4:5], s[4:5], 2
	s_delay_alu instid0(SALU_CYCLE_1) | instskip(SKIP_2) | instid1(SALU_CYCLE_1)
	s_add_u32 s0, s44, s4
	s_addc_u32 s6, s45, s5
	s_lshl_b64 s[4:5], s[26:27], 2
	s_add_u32 s4, s0, s4
	s_addc_u32 s5, s6, s5
	global_store_b32 v2, v28, s[4:5]
	s_and_saveexec_b32 s4, s2
	s_cbranch_execz .LBB127_325
; %bb.319:
	v_cmp_u_f32_e32 vcc_lo, v28, v28
	s_mov_b32 s2, 0
                                        ; implicit-def: $sgpr5
                                        ; implicit-def: $sgpr8
                                        ; implicit-def: $sgpr7
	s_xor_b32 s6, vcc_lo, -1
	s_set_inst_prefetch_distance 0x1
	s_branch .LBB127_321
	.p2align	6
.LBB127_320:                            ;   in Loop: Header=BB127_321 Depth=1
	s_or_b32 exec_lo, exec_lo, s9
	s_delay_alu instid0(SALU_CYCLE_1) | instskip(NEXT) | instid1(SALU_CYCLE_1)
	s_and_b32 s0, exec_lo, s8
	s_or_b32 s2, s0, s2
	s_and_not1_b32 s0, s5, exec_lo
	s_and_b32 s5, s7, exec_lo
	s_delay_alu instid0(SALU_CYCLE_1)
	s_or_b32 s5, s0, s5
	s_and_not1_b32 exec_lo, exec_lo, s2
	s_cbranch_execz .LBB127_323
.LBB127_321:                            ; =>This Inner Loop Header: Depth=1
	global_load_b32 v2, v[10:11], off
	s_or_b32 s7, s7, exec_lo
	s_or_b32 s8, s8, exec_lo
	s_waitcnt vmcnt(0)
	v_cmp_o_f32_e32 vcc_lo, v2, v2
	v_cmp_neq_f32_e64 s0, v2, v28
	v_dual_mov_b32 v3, v1 :: v_dual_mov_b32 v2, v0
                                        ; implicit-def: $vgpr0_vgpr1
	s_or_b32 s9, vcc_lo, s6
	s_delay_alu instid0(VALU_DEP_2) | instid1(SALU_CYCLE_1)
	s_and_b32 s0, s0, s9
	s_delay_alu instid0(SALU_CYCLE_1)
	s_and_saveexec_b32 s9, s0
	s_cbranch_execz .LBB127_320
; %bb.322:                              ;   in Loop: Header=BB127_321 Depth=1
	v_add_co_u32 v0, vcc_lo, v2, s33
	v_add_co_ci_u32_e32 v1, vcc_lo, 0, v3, vcc_lo
	v_add_co_u32 v10, s0, v10, s48
	s_delay_alu instid0(VALU_DEP_1) | instskip(NEXT) | instid1(VALU_DEP_3)
	v_add_co_ci_u32_e64 v11, s0, s49, v11, s0
	v_cmp_le_u64_e32 vcc_lo, s[24:25], v[0:1]
	s_and_not1_b32 s0, s8, exec_lo
	s_and_not1_b32 s7, s7, exec_lo
	s_and_b32 s8, vcc_lo, exec_lo
	s_delay_alu instid0(SALU_CYCLE_1)
	s_or_b32 s8, s0, s8
	s_branch .LBB127_320
.LBB127_323:
	s_set_inst_prefetch_distance 0x2
	s_or_b32 exec_lo, exec_lo, s2
	s_and_saveexec_b32 s0, s5
	s_delay_alu instid0(SALU_CYCLE_1)
	s_xor_b32 s0, exec_lo, s0
	s_cbranch_execz .LBB127_325
; %bb.324:
	s_mul_i32 s0, s40, s39
	s_mul_hi_u32 s2, s40, s38
	s_mul_i32 s6, s40, s38
	s_add_i32 s0, s2, s0
	s_mul_i32 s2, s41, s38
	v_mov_b32_e32 v0, 0
	s_add_i32 s7, s0, s2
	s_delay_alu instid0(SALU_CYCLE_1) | instskip(NEXT) | instid1(SALU_CYCLE_1)
	s_lshl_b64 s[6:7], s[6:7], 3
	s_add_u32 s0, s42, s6
	s_addc_u32 s2, s43, s7
	s_lshl_b64 s[6:7], s[30:31], 3
	s_delay_alu instid0(SALU_CYCLE_1)
	s_add_u32 s6, s0, s6
	s_addc_u32 s7, s2, s7
	global_store_b64 v0, v[2:3], s[6:7]
.LBB127_325:
	s_or_b32 exec_lo, exec_lo, s4
.LBB127_326:
	s_or_saveexec_b32 s0, s3
	s_mov_b32 s2, 0
	s_xor_b32 exec_lo, exec_lo, s0
	s_cbranch_execnz .LBB127_334
.LBB127_327:
	s_or_b32 exec_lo, exec_lo, s0
	s_delay_alu instid0(SALU_CYCLE_1)
	s_and_b32 s0, s2, exec_lo
.LBB127_328:
	s_and_not1_saveexec_b32 s1, s1
	s_cbranch_execnz .LBB127_332
; %bb.329:
	s_or_b32 exec_lo, exec_lo, s1
	s_and_saveexec_b32 s1, s0
.LBB127_330:
	; divergent unreachable
.LBB127_331:
	s_nop 0
	s_sendmsg sendmsg(MSG_DEALLOC_VGPRS)
	s_endpgm
.LBB127_332:
	s_cbranch_execnz .LBB127_336
; %bb.333:
	s_or_b32 s0, s0, exec_lo
	s_or_b32 exec_lo, exec_lo, s1
	s_and_saveexec_b32 s1, s0
	s_cbranch_execnz .LBB127_330
	s_branch .LBB127_331
.LBB127_334:
	s_cbranch_execnz .LBB127_338
; %bb.335:
	s_mov_b32 s2, exec_lo
	s_branch .LBB127_327
.LBB127_336:
	s_trap 2
	s_sendmsg_rtn_b32 s0, sendmsg(MSG_RTN_GET_DOORBELL)
	s_mov_b32 ttmp2, m0
	s_waitcnt lgkmcnt(0)
	s_and_b32 s0, s0, 0x3ff
	s_delay_alu instid0(SALU_CYCLE_1) | instskip(NEXT) | instid1(SALU_CYCLE_1)
	s_bitset1_b32 s0, 10
	s_mov_b32 m0, s0
	s_sendmsg sendmsg(MSG_INTERRUPT)
	s_mov_b32 m0, ttmp2
.LBB127_337:                            ; =>This Inner Loop Header: Depth=1
	s_sethalt 5
	s_branch .LBB127_337
.LBB127_338:
	s_trap 2
	s_sendmsg_rtn_b32 s0, sendmsg(MSG_RTN_GET_DOORBELL)
	s_mov_b32 ttmp2, m0
	s_waitcnt lgkmcnt(0)
	s_and_b32 s0, s0, 0x3ff
	s_delay_alu instid0(SALU_CYCLE_1) | instskip(NEXT) | instid1(SALU_CYCLE_1)
	s_bitset1_b32 s0, 10
	s_mov_b32 m0, s0
	s_sendmsg sendmsg(MSG_INTERRUPT)
	s_mov_b32 m0, ttmp2
.LBB127_339:                            ; =>This Inner Loop Header: Depth=1
	s_sethalt 5
	s_branch .LBB127_339
	.section	.rodata,"a",@progbits
	.p2align	6, 0x0
	.amdhsa_kernel _ZN2at6native12_GLOBAL__N_112gatherMedianIfmLin1EEEvNS_4cuda6detail10TensorInfoIT_T0_EENS5_IlS7_EENS5_IKS6_S7_EES7_S7_S7_b
		.amdhsa_group_segment_fixed_size 5152
		.amdhsa_private_segment_fixed_size 0
		.amdhsa_kernarg_size 1536
		.amdhsa_user_sgpr_count 13
		.amdhsa_user_sgpr_dispatch_ptr 0
		.amdhsa_user_sgpr_queue_ptr 0
		.amdhsa_user_sgpr_kernarg_segment_ptr 1
		.amdhsa_user_sgpr_dispatch_id 0
		.amdhsa_user_sgpr_private_segment_size 0
		.amdhsa_wavefront_size32 1
		.amdhsa_uses_dynamic_stack 0
		.amdhsa_enable_private_segment 0
		.amdhsa_system_sgpr_workgroup_id_x 1
		.amdhsa_system_sgpr_workgroup_id_y 1
		.amdhsa_system_sgpr_workgroup_id_z 1
		.amdhsa_system_sgpr_workgroup_info 0
		.amdhsa_system_vgpr_workitem_id 0
		.amdhsa_next_free_vgpr 47
		.amdhsa_next_free_sgpr 102
		.amdhsa_reserve_vcc 1
		.amdhsa_float_round_mode_32 0
		.amdhsa_float_round_mode_16_64 0
		.amdhsa_float_denorm_mode_32 3
		.amdhsa_float_denorm_mode_16_64 3
		.amdhsa_dx10_clamp 1
		.amdhsa_ieee_mode 1
		.amdhsa_fp16_overflow 0
		.amdhsa_workgroup_processor_mode 1
		.amdhsa_memory_ordered 1
		.amdhsa_forward_progress 0
		.amdhsa_shared_vgpr_count 0
		.amdhsa_exception_fp_ieee_invalid_op 0
		.amdhsa_exception_fp_denorm_src 0
		.amdhsa_exception_fp_ieee_div_zero 0
		.amdhsa_exception_fp_ieee_overflow 0
		.amdhsa_exception_fp_ieee_underflow 0
		.amdhsa_exception_fp_ieee_inexact 0
		.amdhsa_exception_int_div_zero 0
	.end_amdhsa_kernel
	.section	.text._ZN2at6native12_GLOBAL__N_112gatherMedianIfmLin1EEEvNS_4cuda6detail10TensorInfoIT_T0_EENS5_IlS7_EENS5_IKS6_S7_EES7_S7_S7_b,"axG",@progbits,_ZN2at6native12_GLOBAL__N_112gatherMedianIfmLin1EEEvNS_4cuda6detail10TensorInfoIT_T0_EENS5_IlS7_EENS5_IKS6_S7_EES7_S7_S7_b,comdat
.Lfunc_end127:
	.size	_ZN2at6native12_GLOBAL__N_112gatherMedianIfmLin1EEEvNS_4cuda6detail10TensorInfoIT_T0_EENS5_IlS7_EENS5_IKS6_S7_EES7_S7_S7_b, .Lfunc_end127-_ZN2at6native12_GLOBAL__N_112gatherMedianIfmLin1EEEvNS_4cuda6detail10TensorInfoIT_T0_EENS5_IlS7_EENS5_IKS6_S7_EES7_S7_S7_b
                                        ; -- End function
	.section	.AMDGPU.csdata,"",@progbits
; Kernel info:
; codeLenInByte = 20172
; NumSgprs: 104
; NumVgprs: 47
; ScratchSize: 0
; MemoryBound: 0
; FloatMode: 240
; IeeeMode: 1
; LDSByteSize: 5152 bytes/workgroup (compile time only)
; SGPRBlocks: 12
; VGPRBlocks: 5
; NumSGPRsForWavesPerEU: 104
; NumVGPRsForWavesPerEU: 47
; Occupancy: 16
; WaveLimiterHint : 1
; COMPUTE_PGM_RSRC2:SCRATCH_EN: 0
; COMPUTE_PGM_RSRC2:USER_SGPR: 13
; COMPUTE_PGM_RSRC2:TRAP_HANDLER: 0
; COMPUTE_PGM_RSRC2:TGID_X_EN: 1
; COMPUTE_PGM_RSRC2:TGID_Y_EN: 1
; COMPUTE_PGM_RSRC2:TGID_Z_EN: 1
; COMPUTE_PGM_RSRC2:TIDIG_COMP_CNT: 0
	.section	.text._ZN2at6native12_GLOBAL__N_112gatherMedianIN3c104HalfEjLi1EEEvNS_4cuda6detail10TensorInfoIT_T0_EENS7_IlS9_EENS7_IKS8_S9_EES9_S9_S9_b,"axG",@progbits,_ZN2at6native12_GLOBAL__N_112gatherMedianIN3c104HalfEjLi1EEEvNS_4cuda6detail10TensorInfoIT_T0_EENS7_IlS9_EENS7_IKS8_S9_EES9_S9_S9_b,comdat
	.globl	_ZN2at6native12_GLOBAL__N_112gatherMedianIN3c104HalfEjLi1EEEvNS_4cuda6detail10TensorInfoIT_T0_EENS7_IlS9_EENS7_IKS8_S9_EES9_S9_S9_b ; -- Begin function _ZN2at6native12_GLOBAL__N_112gatherMedianIN3c104HalfEjLi1EEEvNS_4cuda6detail10TensorInfoIT_T0_EENS7_IlS9_EENS7_IKS8_S9_EES9_S9_S9_b
	.p2align	8
	.type	_ZN2at6native12_GLOBAL__N_112gatherMedianIN3c104HalfEjLi1EEEvNS_4cuda6detail10TensorInfoIT_T0_EENS7_IlS9_EENS7_IKS8_S9_EES9_S9_S9_b,@function
_ZN2at6native12_GLOBAL__N_112gatherMedianIN3c104HalfEjLi1EEEvNS_4cuda6detail10TensorInfoIT_T0_EENS7_IlS9_EENS7_IKS8_S9_EES9_S9_S9_b: ; @_ZN2at6native12_GLOBAL__N_112gatherMedianIN3c104HalfEjLi1EEEvNS_4cuda6detail10TensorInfoIT_T0_EENS7_IlS9_EENS7_IKS8_S9_EES9_S9_S9_b
; %bb.0:
	s_clause 0x1
	s_load_b64 s[6:7], s[0:1], 0x298
	s_load_b128 s[24:27], s[0:1], 0x288
	s_add_u32 s4, s0, 0x298
	s_addc_u32 s5, s1, 0
	s_waitcnt lgkmcnt(0)
	s_mul_i32 s2, s7, s15
	s_delay_alu instid0(SALU_CYCLE_1) | instskip(NEXT) | instid1(SALU_CYCLE_1)
	s_add_i32 s2, s2, s14
	s_mul_i32 s21, s2, s6
	s_delay_alu instid0(SALU_CYCLE_1) | instskip(NEXT) | instid1(SALU_CYCLE_1)
	s_add_i32 s21, s21, s13
	s_cmp_ge_u32 s21, s25
	s_cbranch_scc1 .LBB128_268
; %bb.1:
	s_clause 0x3
	s_load_b32 s2, s[0:1], 0x21c
	s_load_b64 s[10:11], s[0:1], 0x1b0
	s_load_b64 s[22:23], s[0:1], 0xd8
	;; [unrolled: 1-line block ×3, first 2 shown]
	v_mul_lo_u32 v5, v0, s26
	s_mov_b32 s9, 0
	v_mov_b32_e32 v3, 0
	s_waitcnt lgkmcnt(0)
	s_mul_i32 s8, s2, s21
	v_cmp_gt_u32_e64 s2, s24, v0
	s_lshl_b64 s[14:15], s[8:9], 1
	s_delay_alu instid0(SALU_CYCLE_1) | instskip(SKIP_1) | instid1(VALU_DEP_1)
	s_add_u32 s25, s10, s14
	s_addc_u32 s33, s11, s15
	s_and_saveexec_b32 s7, s2
	s_cbranch_execz .LBB128_5
; %bb.2:
	s_load_b32 s3, s[4:5], 0xc
	v_mul_lo_u32 v1, v0, s26
	v_dual_mov_b32 v3, 0 :: v_dual_mov_b32 v2, 0
	v_mov_b32_e32 v4, v0
	s_waitcnt lgkmcnt(0)
	s_and_b32 s8, s3, 0xffff
	s_delay_alu instid0(SALU_CYCLE_1)
	s_mul_i32 s10, s26, s8
	.p2align	6
.LBB128_3:                              ; =>This Inner Loop Header: Depth=1
	s_delay_alu instid0(VALU_DEP_3) | instskip(SKIP_2) | instid1(VALU_DEP_3)
	v_lshlrev_b64 v[6:7], 1, v[1:2]
	v_add_nc_u32_e32 v4, s8, v4
	v_add_nc_u32_e32 v1, s10, v1
	v_add_co_u32 v6, vcc_lo, s25, v6
	s_delay_alu instid0(VALU_DEP_4) | instskip(NEXT) | instid1(VALU_DEP_4)
	v_add_co_ci_u32_e32 v7, vcc_lo, s33, v7, vcc_lo
	v_cmp_le_u32_e32 vcc_lo, s24, v4
	global_load_u16 v6, v[6:7], off
	s_or_b32 s9, vcc_lo, s9
	s_waitcnt vmcnt(0)
	v_cmp_u_f16_e64 s3, v6, v6
	s_delay_alu instid0(VALU_DEP_1)
	v_add_co_ci_u32_e64 v3, s3, 0, v3, s3
	s_and_not1_b32 exec_lo, exec_lo, s9
	s_cbranch_execnz .LBB128_3
; %bb.4:
	s_or_b32 exec_lo, exec_lo, s9
.LBB128_5:
	s_delay_alu instid0(SALU_CYCLE_1) | instskip(SKIP_4) | instid1(VALU_DEP_1)
	s_or_b32 exec_lo, exec_lo, s7
	s_clause 0x1
	s_load_b32 s34, s[0:1], 0x144
	s_load_b32 s35, s[0:1], 0x6c
	v_cmp_eq_u32_e64 s0, 0, v0
	s_and_saveexec_b32 s1, s0
	s_cbranch_execz .LBB128_7
; %bb.6:
	v_mov_b32_e32 v1, 0
	s_delay_alu instid0(VALU_DEP_1)
	v_mov_b32_e32 v2, v1
	ds_store_b64 v1, v[1:2] offset:4096
.LBB128_7:
	s_or_b32 exec_lo, exec_lo, s1
	s_delay_alu instid0(SALU_CYCLE_1)
	s_mov_b32 s1, exec_lo
	s_waitcnt lgkmcnt(0)
	s_barrier
	buffer_gl0_inv
	v_cmpx_ne_u32_e32 0, v3
	s_cbranch_execz .LBB128_12
; %bb.8:
	v_mov_b32_e32 v1, 0
	s_mov_b32 s3, exec_lo
	s_mov_b64 s[8:9], 0
.LBB128_9:                              ; =>This Inner Loop Header: Depth=1
	s_ctz_i32_b32 s7, s3
	s_delay_alu instid0(SALU_CYCLE_1) | instskip(SKIP_1) | instid1(VALU_DEP_2)
	v_readlane_b32 s10, v3, s7
	v_readlane_b32 s11, v1, s7
	s_add_u32 s8, s8, s10
	s_delay_alu instid0(VALU_DEP_1) | instskip(SKIP_1) | instid1(SALU_CYCLE_1)
	s_addc_u32 s9, s9, s11
	s_lshl_b32 s7, 1, s7
	s_and_not1_b32 s3, s3, s7
	s_delay_alu instid0(SALU_CYCLE_1)
	s_cmp_lg_u32 s3, 0
	s_cbranch_scc1 .LBB128_9
; %bb.10:
	v_mbcnt_lo_u32_b32 v1, exec_lo, 0
	s_mov_b32 s3, exec_lo
	s_delay_alu instid0(VALU_DEP_1)
	v_cmpx_eq_u32_e32 0, v1
	s_xor_b32 s3, exec_lo, s3
	s_cbranch_execz .LBB128_12
; %bb.11:
	v_mov_b32_e32 v1, s8
	v_dual_mov_b32 v3, 0 :: v_dual_mov_b32 v2, s9
	ds_add_u64 v3, v[1:2] offset:4096
.LBB128_12:
	s_or_b32 exec_lo, exec_lo, s1
	v_mov_b32_e32 v1, 0
	s_waitcnt lgkmcnt(0)
	s_barrier
	buffer_gl0_inv
	s_bitcmp1_b32 s27, 0
	ds_load_b64 v[1:2], v1 offset:4096
	s_cselect_b32 s1, -1, 0
	s_mov_b32 s65, s24
	s_waitcnt lgkmcnt(0)
	v_cmp_gt_i64_e32 vcc_lo, 1, v[1:2]
	s_or_b32 s1, s1, vcc_lo
	s_delay_alu instid0(SALU_CYCLE_1)
	s_and_not1_b32 vcc_lo, exec_lo, s1
	s_cbranch_vccnz .LBB128_14
; %bb.13:
	v_not_b32_e32 v1, v1
	v_not_b32_e32 v2, v2
	s_delay_alu instid0(VALU_DEP_2) | instskip(NEXT) | instid1(VALU_DEP_2)
	v_add_co_u32 v1, vcc_lo, v1, s24
	v_add_co_ci_u32_e32 v2, vcc_lo, 0, v2, vcc_lo
	s_delay_alu instid0(VALU_DEP_1) | instskip(NEXT) | instid1(VALU_DEP_1)
	v_lshrrev_b32_e32 v3, 31, v2
	v_add_co_u32 v1, vcc_lo, v1, v3
	v_add_co_ci_u32_e32 v2, vcc_lo, 0, v2, vcc_lo
	s_delay_alu instid0(VALU_DEP_1) | instskip(NEXT) | instid1(VALU_DEP_1)
	v_alignbit_b32 v1, v2, v1, 1
	v_readfirstlane_b32 s1, v1
	s_delay_alu instid0(VALU_DEP_1)
	s_add_i32 s65, s1, 1
.LBB128_14:
	s_and_saveexec_b32 s1, s0
	s_cbranch_execz .LBB128_16
; %bb.15:
	v_dual_mov_b32 v1, 0 :: v_dual_mov_b32 v2, s24
	ds_store_b32 v1, v1 offset:4112
	ds_store_b64 v1, v[1:2] offset:4104
.LBB128_16:
	s_or_b32 exec_lo, exec_lo, s1
	s_waitcnt lgkmcnt(0)
	s_barrier
	buffer_gl0_inv
	s_load_b32 s7, s[4:5], 0xc
	v_mbcnt_lo_u32_b32 v13, -1, 0
	v_cmp_gt_u32_e32 vcc_lo, 32, v0
	v_lshrrev_b32_e32 v1, 3, v0
	v_dual_mov_b32 v7, 0 :: v_dual_lshlrev_b32 v14, 2, v0
	s_delay_alu instid0(VALU_DEP_4) | instskip(SKIP_1) | instid1(VALU_DEP_4)
	v_cmp_gt_i32_e64 s3, 4, v13
	v_lshlrev_b32_e32 v15, 1, v0
	v_and_b32_e32 v17, 0x7c, v1
	s_delay_alu instid0(VALU_DEP_4)
	v_or_b32_e32 v4, 2, v14
	v_mov_b32_e32 v6, v7
	s_and_b32 s39, vcc_lo, s3
	v_or_b32_e32 v21, 3, v14
	v_cmp_gt_u32_e64 s1, 2, v0
	v_mul_lo_u32 v20, s26, v4
	v_cmp_eq_u32_e64 s3, 0, v13
	v_dual_mov_b32 v27, 0 :: v_dual_add_nc_u32 v16, 0xc00, v15
	v_mul_lo_u32 v21, s26, v21
	v_lshlrev_b32_e32 v22, 2, v5
	s_waitcnt lgkmcnt(0)
	s_and_b32 s27, s7, 0xffff
	s_bfe_u32 s7, s7, 0xb0005
	s_lshl_b32 s38, s27, 2
	s_add_i32 s40, s27, -1
	v_cvt_f32_u32_e32 v2, s38
	s_add_i32 s8, s40, s24
	s_cmpk_gt_u32 s24, 0x600
	v_cvt_f32_u32_e32 v3, s27
	s_cselect_b32 s41, -1, 0
	v_rcp_iflag_f32_e32 v2, v2
	s_cmp_gt_u32 s27, 31
	v_mad_u64_u32 v[8:9], null, s26, v14, s[26:27]
	s_cselect_b32 s42, -1, 0
	s_cmp_lt_u32 s13, s6
	v_rcp_iflag_f32_e32 v3, v3
	s_cselect_b32 s6, 12, 18
	v_lshlrev_b32_e32 v24, 3, v0
	s_add_u32 s30, s4, s6
	s_waitcnt_depctr 0xfff
	v_mul_f32_e32 v2, 0x4f7ffffe, v2
	s_addc_u32 s31, s5, 0
	s_add_i32 s4, s7, -1
	s_bfe_u32 s43, s27, 0x30005
	s_cmp_gt_u32 s4, 6
	v_cvt_u32_f32_e32 v2, v2
	s_cselect_b32 s44, -1, 0
	s_and_b32 s45, s7, 0x7f8
	s_cmp_lg_u32 s43, 0
	v_lshl_or_b32 v25, v13, 2, 0xc00
	v_readfirstlane_b32 s4, v2
	s_cselect_b32 s46, -1, 0
	s_sub_i32 s5, 0, s38
	v_lshlrev_b64 v[1:2], v13, -1
	v_mul_f32_e32 v2, 0x4f7ffffe, v3
	s_mul_i32 s5, s5, s4
	v_mov_b32_e32 v26, 0x8000
	s_mul_hi_u32 s5, s4, s5
	s_mul_i32 s37, s26, s27
	s_add_i32 s47, s4, s5
	v_cvt_u32_f32_e32 v9, v2
	s_mul_hi_u32 s4, s24, s47
	v_lshlrev_b64 v[2:3], 1, v[5:6]
	s_mul_i32 s4, s4, s38
	v_not_b32_e32 v18, v1
	s_sub_i32 s4, s24, s4
	v_add3_u32 v1, s27, s24, v0
	s_sub_i32 s5, s4, s38
	s_cmp_ge_u32 s4, s38
	s_mov_b32 s36, 0
	s_cselect_b32 s4, s5, s4
	v_readfirstlane_b32 s5, v9
	s_sub_i32 s6, s4, s38
	s_cmp_ge_u32 s4, s38
	v_add_co_u32 v9, vcc_lo, s25, v2
	s_cselect_b32 s4, s6, s4
	s_sub_i32 s6, 0, s27
	s_sub_i32 s48, s24, s4
	s_mul_i32 s6, s6, s5
	v_add_nc_u32_e32 v19, s48, v0
	s_mul_hi_u32 s6, s5, s6
	v_add_co_ci_u32_e32 v10, vcc_lo, s33, v3, vcc_lo
	s_add_i32 s49, s5, s6
	s_delay_alu instid0(VALU_DEP_2)
	v_mul_lo_u32 v6, v19, s26
	s_mul_hi_u32 s5, s8, s49
	v_subrev_nc_u32_e32 v3, s4, v1
	s_mul_i32 s5, s5, s27
	v_cmp_gt_u32_e64 s4, s48, v14
	s_sub_i32 s5, s8, s5
	s_mov_b32 s58, 14
	s_sub_i32 s6, s5, s27
	s_cmp_ge_u32 s5, s27
	v_lshlrev_b64 v[1:2], 1, v[6:7]
	s_cselect_b32 s6, s6, s5
	v_mul_lo_u32 v23, s26, v3
	s_sub_i32 s7, s6, s27
	s_cmp_ge_u32 s6, s27
	v_cmp_gt_u32_e64 s5, s24, v19
	s_cselect_b32 s6, s7, s6
	v_add_co_u32 v11, vcc_lo, s25, v1
	s_sub_i32 s51, s8, s6
	v_add_co_ci_u32_e32 v12, vcc_lo, s33, v2, vcc_lo
	v_cmp_gt_u32_e64 s6, s51, v0
	s_lshl_b32 s50, s37, 2
	s_lshl_b32 s52, s27, 3
	;; [unrolled: 1-line block ×3, first 2 shown]
	s_movk_i32 s54, 0x3c00
	s_mov_b32 s61, 0
	s_mov_b32 s63, 0
	;; [unrolled: 1-line block ×3, first 2 shown]
                                        ; implicit-def: $sgpr55
                                        ; implicit-def: $sgpr57
                                        ; implicit-def: $sgpr56
                                        ; implicit-def: $sgpr60
                                        ; implicit-def: $sgpr62
                                        ; implicit-def: $sgpr59
	s_branch .LBB128_21
.LBB128_17:                             ;   in Loop: Header=BB128_21 Depth=1
	s_xor_b32 s61, s61, 1
	s_add_i32 s11, s58, -2
	s_cmp_eq_u32 s58, 0
	s_mov_b32 s7, 0
	s_cselect_b32 s9, -1, 0
	s_mov_b32 s58, s11
.LBB128_18:                             ;   in Loop: Header=BB128_21 Depth=1
	s_and_not1_b32 s11, s13, exec_lo
	s_and_b32 s7, s7, exec_lo
	s_and_not1_b32 s15, s15, exec_lo
	s_or_b32 s13, s11, s7
	s_and_not1_b32 s12, s12, exec_lo
	s_or_not1_b32 s11, s9, exec_lo
	s_mov_b32 s65, s20
.LBB128_19:                             ;   in Loop: Header=BB128_21 Depth=1
	s_or_b32 exec_lo, exec_lo, s8
	s_delay_alu instid0(SALU_CYCLE_1)
	s_and_not1_b32 s7, s59, exec_lo
	s_and_b32 s8, s13, exec_lo
	s_and_not1_b32 s9, s60, exec_lo
	s_or_b32 s59, s7, s8
	s_and_not1_b32 s7, s62, exec_lo
	s_and_b32 s8, s15, exec_lo
	s_and_b32 s12, s12, exec_lo
	s_or_b32 s62, s7, s8
	s_or_b32 s60, s9, s12
	s_or_not1_b32 s12, s11, exec_lo
.LBB128_20:                             ;   in Loop: Header=BB128_21 Depth=1
	s_or_b32 exec_lo, exec_lo, s10
	s_delay_alu instid0(SALU_CYCLE_1)
	s_and_b32 s7, exec_lo, s12
	v_mov_b32_e32 v1, s63
	s_or_b32 s36, s7, s36
	s_and_not1_b32 s7, s56, exec_lo
	s_and_b32 s8, s59, exec_lo
	s_and_not1_b32 s9, s55, exec_lo
	s_or_b32 s56, s7, s8
	s_and_not1_b32 s7, s57, exec_lo
	s_and_b32 s8, s62, exec_lo
	s_and_b32 s10, s60, exec_lo
	s_or_b32 s57, s7, s8
	s_or_b32 s55, s9, s10
	s_and_not1_b32 exec_lo, exec_lo, s36
	s_cbranch_execz .LBB128_251
.LBB128_21:                             ; =>This Loop Header: Depth=1
                                        ;     Child Loop BB128_26 Depth 2
                                        ;     Child Loop BB128_41 Depth 2
	;; [unrolled: 1-line block ×16, first 2 shown]
	ds_load_b64 v[1:2], v7 offset:4104
	s_waitcnt lgkmcnt(0)
	v_readfirstlane_b32 s66, v1
	s_delay_alu instid0(VALU_DEP_1)
	s_cmp_lg_u32 s66, 0
	s_cbranch_scc1 .LBB128_48
; %bb.22:                               ;   in Loop: Header=BB128_21 Depth=1
	s_and_b32 vcc_lo, exec_lo, s41
	s_cbranch_vccz .LBB128_34
; %bb.23:                               ;   in Loop: Header=BB128_21 Depth=1
	v_cmp_gt_u32_e32 vcc_lo, 0x601, v2
	s_mov_b32 s66, 0
	s_mov_b32 s7, 0
	s_cbranch_vccz .LBB128_35
; %bb.24:                               ;   in Loop: Header=BB128_21 Depth=1
	global_load_u16 v1, v7, s[30:31]
	global_load_u16 v4, v[9:10], off
	v_mov_b32_e32 v3, v0
	s_mov_b32 s9, 0
	s_waitcnt vmcnt(1)
	v_add_nc_u32_e32 v2, v0, v1
	s_delay_alu instid0(VALU_DEP_1)
	v_mul_lo_u32 v6, s26, v2
	v_mul_lo_u32 v2, s26, v1
	s_branch .LBB128_26
.LBB128_25:                             ;   in Loop: Header=BB128_26 Depth=2
	s_or_b32 exec_lo, exec_lo, s8
	v_add_nc_u32_e32 v6, v6, v2
	v_mov_b32_e32 v4, v28
	s_and_not1_b32 exec_lo, exec_lo, s9
	s_cbranch_execz .LBB128_136
.LBB128_26:                             ;   Parent Loop BB128_21 Depth=1
                                        ; =>  This Inner Loop Header: Depth=2
	v_dual_mov_b32 v28, 0 :: v_dual_add_nc_u32 v3, v3, v1
	s_waitcnt lgkmcnt(0)
	v_mov_b32_e32 v29, 0
	s_mov_b32 s8, exec_lo
	s_delay_alu instid0(VALU_DEP_2)
	v_cmp_le_u32_e32 vcc_lo, s24, v3
	v_cmpx_gt_u32_e64 s24, v3
	s_cbranch_execz .LBB128_28
; %bb.27:                               ;   in Loop: Header=BB128_26 Depth=2
	v_lshlrev_b64 v[30:31], 1, v[6:7]
	s_delay_alu instid0(VALU_DEP_1) | instskip(NEXT) | instid1(VALU_DEP_1)
	v_add_co_u32 v30, s7, s25, v30
	v_add_co_ci_u32_e64 v31, s7, s33, v31, s7
	global_load_u16 v28, v[30:31], off
.LBB128_28:                             ;   in Loop: Header=BB128_26 Depth=2
	s_or_b32 exec_lo, exec_lo, s8
	s_waitcnt vmcnt(0)
	v_cmp_lt_i16_e64 s7, -1, v4
	v_and_b32_e32 v30, 0xffff, v4
	s_delay_alu instid0(VALU_DEP_2) | instskip(SKIP_1) | instid1(VALU_DEP_2)
	v_cndmask_b32_e64 v31, 0xffff, v26, s7
	v_cmp_o_f16_e64 s7, v4, v4
	v_xor_b32_e32 v30, v31, v30
	s_delay_alu instid0(VALU_DEP_1) | instskip(NEXT) | instid1(VALU_DEP_1)
	v_cndmask_b32_e64 v30, 0xffff, v30, s7
	v_and_b32_e32 v30, s64, v30
	s_delay_alu instid0(VALU_DEP_1) | instskip(NEXT) | instid1(VALU_DEP_1)
	v_cmp_eq_u32_e64 s7, s63, v30
	s_cmp_lg_u32 s7, 0
	s_cselect_b32 s8, -1, 0
	s_delay_alu instid0(SALU_CYCLE_1) | instskip(NEXT) | instid1(SALU_CYCLE_1)
	s_and_b32 s8, s3, s8
	s_and_saveexec_b32 s10, s8
	s_cbranch_execz .LBB128_32
; %bb.29:                               ;   in Loop: Header=BB128_26 Depth=2
	s_mov_b32 s13, exec_lo
	s_bcnt1_i32_b32 s11, s7
	v_mbcnt_lo_u32_b32 v29, s13, 0
	s_mov_b32 s12, exec_lo
                                        ; implicit-def: $vgpr30
	s_delay_alu instid0(VALU_DEP_1)
	v_cmpx_eq_u32_e32 0, v29
	s_cbranch_execz .LBB128_31
; %bb.30:                               ;   in Loop: Header=BB128_26 Depth=2
	s_bcnt1_i32_b32 s8, s13
	s_delay_alu instid0(SALU_CYCLE_1) | instskip(NEXT) | instid1(SALU_CYCLE_1)
	s_mul_i32 s8, s11, s8
	v_mov_b32_e32 v30, s8
	ds_add_rtn_u32 v30, v7, v30 offset:4112
.LBB128_31:                             ;   in Loop: Header=BB128_26 Depth=2
	s_or_b32 exec_lo, exec_lo, s12
	s_waitcnt lgkmcnt(0)
	v_readfirstlane_b32 s8, v30
	s_delay_alu instid0(VALU_DEP_1)
	v_mad_u32_u24 v29, s11, v29, s8
.LBB128_32:                             ;   in Loop: Header=BB128_26 Depth=2
	s_or_b32 exec_lo, exec_lo, s10
	ds_bpermute_b32 v29, v7, v29
	s_and_b32 s8, exec_lo, vcc_lo
	s_delay_alu instid0(SALU_CYCLE_1)
	s_or_b32 s9, s8, s9
	s_and_saveexec_b32 s8, s7
	s_cbranch_execz .LBB128_25
; %bb.33:                               ;   in Loop: Header=BB128_26 Depth=2
	v_and_b32_e32 v30, s7, v18
	s_delay_alu instid0(VALU_DEP_1) | instskip(NEXT) | instid1(VALU_DEP_1)
	v_bcnt_u32_b32 v30, v30, 0
	v_lshlrev_b32_e32 v30, 1, v30
	s_waitcnt lgkmcnt(0)
	s_delay_alu instid0(VALU_DEP_1)
	v_lshl_add_u32 v29, v29, 1, v30
	ds_store_b16 v29, v4
	s_branch .LBB128_25
.LBB128_34:                             ;   in Loop: Header=BB128_21 Depth=1
	s_mov_b32 s66, -1
	s_mov_b32 s7, 0
.LBB128_35:                             ;   in Loop: Header=BB128_21 Depth=1
	s_and_b32 vcc_lo, exec_lo, s66
	s_cbranch_vccz .LBB128_46
.LBB128_36:                             ;   in Loop: Header=BB128_21 Depth=1
	v_mov_b32_e32 v1, 0
	s_and_saveexec_b32 s7, s2
	s_cbranch_execz .LBB128_38
; %bb.37:                               ;   in Loop: Header=BB128_21 Depth=1
	global_load_u16 v1, v[9:10], off
.LBB128_38:                             ;   in Loop: Header=BB128_21 Depth=1
	s_or_b32 exec_lo, exec_lo, s7
	s_and_saveexec_b32 s8, s2
	s_cbranch_execz .LBB128_43
; %bb.39:                               ;   in Loop: Header=BB128_21 Depth=1
	global_load_u16 v2, v7, s[30:31]
	s_mov_b32 s9, 0
	v_dual_mov_b32 v28, v15 :: v_dual_mov_b32 v29, v0
	s_waitcnt vmcnt(0)
	v_add_nc_u32_e32 v3, v0, v2
	v_lshlrev_b32_e32 v4, 1, v2
	s_delay_alu instid0(VALU_DEP_2)
	v_mul_lo_u32 v6, s26, v3
	v_mul_lo_u32 v3, s26, v2
	s_set_inst_prefetch_distance 0x1
	s_branch .LBB128_41
	.p2align	6
.LBB128_40:                             ;   in Loop: Header=BB128_41 Depth=2
	s_or_b32 exec_lo, exec_lo, s10
	ds_store_b16 v28, v1
	s_waitcnt vmcnt(0)
	v_dual_mov_b32 v1, v30 :: v_dual_add_nc_u32 v28, v28, v4
	v_add_nc_u32_e32 v6, v6, v3
	s_and_b32 s7, exec_lo, vcc_lo
	s_delay_alu instid0(SALU_CYCLE_1) | instskip(NEXT) | instid1(SALU_CYCLE_1)
	s_or_b32 s9, s7, s9
	s_and_not1_b32 exec_lo, exec_lo, s9
	s_cbranch_execz .LBB128_43
.LBB128_41:                             ;   Parent Loop BB128_21 Depth=1
                                        ; =>  This Inner Loop Header: Depth=2
	v_dual_mov_b32 v30, 0 :: v_dual_add_nc_u32 v29, v29, v2
	s_mov_b32 s10, exec_lo
	s_delay_alu instid0(VALU_DEP_1)
	v_cmp_le_u32_e32 vcc_lo, s24, v29
	v_cmpx_gt_u32_e64 s24, v29
	s_cbranch_execz .LBB128_40
; %bb.42:                               ;   in Loop: Header=BB128_41 Depth=2
	v_lshlrev_b64 v[30:31], 1, v[6:7]
	s_delay_alu instid0(VALU_DEP_1) | instskip(NEXT) | instid1(VALU_DEP_1)
	v_add_co_u32 v30, s7, s25, v30
	v_add_co_ci_u32_e64 v31, s7, s33, v31, s7
	global_load_u16 v30, v[30:31], off
	s_branch .LBB128_40
.LBB128_43:                             ;   in Loop: Header=BB128_21 Depth=1
	s_set_inst_prefetch_distance 0x2
	s_or_b32 exec_lo, exec_lo, s8
	s_waitcnt vmcnt(0) lgkmcnt(0)
	s_barrier
	buffer_gl0_inv
	s_and_saveexec_b32 s7, s0
	s_cbranch_execz .LBB128_45
; %bb.44:                               ;   in Loop: Header=BB128_21 Depth=1
	v_mov_b32_e32 v1, s24
	ds_store_b32 v7, v1 offset:4104
.LBB128_45:                             ;   in Loop: Header=BB128_21 Depth=1
	s_or_b32 exec_lo, exec_lo, s7
	s_mov_b32 s7, -1
	s_waitcnt lgkmcnt(0)
	s_barrier
                                        ; implicit-def: $sgpr66
.LBB128_46:                             ;   in Loop: Header=BB128_21 Depth=1
	s_and_b32 vcc_lo, exec_lo, s7
	s_cbranch_vccz .LBB128_48
; %bb.47:                               ;   in Loop: Header=BB128_21 Depth=1
	buffer_gl0_inv
	ds_load_b32 v1, v7 offset:4104
	s_waitcnt lgkmcnt(0)
	v_readfirstlane_b32 s66, v1
.LBB128_48:                             ;   in Loop: Header=BB128_21 Depth=1
	s_delay_alu instid0(VALU_DEP_1)
	s_cmp_lt_i32 s66, 1
	s_cbranch_scc0 .LBB128_52
; %bb.49:                               ;   in Loop: Header=BB128_21 Depth=1
	v_dual_mov_b32 v1, 0 :: v_dual_mov_b32 v2, 0
	v_dual_mov_b32 v3, 0 :: v_dual_mov_b32 v4, 0
	s_mov_b32 s19, 0
	s_and_saveexec_b32 s18, s4
	s_cbranch_execnz .LBB128_53
; %bb.50:                               ;   in Loop: Header=BB128_21 Depth=1
	s_or_b32 exec_lo, exec_lo, s18
	v_mov_b32_e32 v29, 0
	s_and_saveexec_b32 s7, s5
	s_cbranch_execnz .LBB128_56
.LBB128_51:                             ;   in Loop: Header=BB128_21 Depth=1
	s_or_b32 exec_lo, exec_lo, s7
	s_and_saveexec_b32 s11, s5
	s_cbranch_execnz .LBB128_57
	s_branch .LBB128_62
.LBB128_52:                             ;   in Loop: Header=BB128_21 Depth=1
                                        ; implicit-def: $vgpr4
	s_cbranch_execnz .LBB128_63
	s_branch .LBB128_72
.LBB128_53:                             ;   in Loop: Header=BB128_21 Depth=1
	v_mov_b32_e32 v28, v14
	s_and_b32 s20, s58, 0xfe
	s_mov_b32 s67, 0
	s_mov_b32 s68, 0
	;; [unrolled: 1-line block ×5, first 2 shown]
.LBB128_54:                             ;   Parent Loop BB128_21 Depth=1
                                        ; =>  This Inner Loop Header: Depth=2
	v_add_nc_u32_e32 v6, s67, v22
	v_add_nc_u32_e32 v28, s38, v28
	s_delay_alu instid0(VALU_DEP_2) | instskip(SKIP_1) | instid1(VALU_DEP_1)
	v_lshlrev_b64 v[1:2], 1, v[6:7]
	v_add_nc_u32_e32 v6, s67, v8
	v_lshlrev_b64 v[3:4], 1, v[6:7]
	s_delay_alu instid0(VALU_DEP_3) | instskip(SKIP_2) | instid1(VALU_DEP_4)
	v_add_co_u32 v1, vcc_lo, s25, v1
	v_add_nc_u32_e32 v6, s67, v20
	v_add_co_ci_u32_e32 v2, vcc_lo, s33, v2, vcc_lo
	v_add_co_u32 v3, vcc_lo, s25, v3
	s_delay_alu instid0(VALU_DEP_3)
	v_lshlrev_b64 v[29:30], 1, v[6:7]
	v_add_nc_u32_e32 v6, s67, v21
	v_add_co_ci_u32_e32 v4, vcc_lo, s33, v4, vcc_lo
	global_load_u16 v31, v[1:2], off
	s_add_i32 s67, s67, s50
	v_lshlrev_b64 v[1:2], 1, v[6:7]
	global_load_u16 v6, v[3:4], off
	v_add_co_u32 v3, vcc_lo, s25, v29
	v_add_co_ci_u32_e32 v4, vcc_lo, s33, v30, vcc_lo
	v_add_co_u32 v1, vcc_lo, s25, v1
	v_add_co_ci_u32_e32 v2, vcc_lo, s33, v2, vcc_lo
	global_load_u16 v3, v[3:4], off
	v_cmp_le_u32_e32 vcc_lo, s48, v28
	global_load_u16 v1, v[1:2], off
	s_waitcnt vmcnt(3)
	v_cmp_lt_i16_e64 s7, -1, v31
	v_and_b32_e32 v2, 0xffff, v31
	s_waitcnt vmcnt(2)
	v_and_b32_e32 v29, 0xffff, v6
	s_delay_alu instid0(VALU_DEP_3) | instskip(SKIP_1) | instid1(VALU_DEP_2)
	v_cndmask_b32_e64 v4, 0xffff, v26, s7
	v_cmp_lt_i16_e64 s7, -1, v6
	v_xor_b32_e32 v2, v4, v2
	s_delay_alu instid0(VALU_DEP_2)
	v_cndmask_b32_e64 v30, 0xffff, v26, s7
	v_cmp_o_f16_e64 s7, v31, v31
	s_waitcnt vmcnt(1)
	v_cmp_lt_i16_e64 s8, -1, v3
	s_waitcnt vmcnt(0)
	v_cmp_o_f16_e64 s12, v1, v1
	v_xor_b32_e32 v4, v30, v29
	v_cndmask_b32_e64 v2, 0xffff, v2, s7
	v_cmp_o_f16_e64 s7, v6, v6
	v_and_b32_e32 v29, 0xffff, v3
	v_cndmask_b32_e64 v30, 0xffff, v26, s8
	s_delay_alu instid0(VALU_DEP_4) | instskip(NEXT) | instid1(VALU_DEP_4)
	v_and_b32_e32 v31, s64, v2
	v_cndmask_b32_e64 v4, 0xffff, v4, s7
	v_cmp_lt_i16_e64 s7, -1, v1
	s_delay_alu instid0(VALU_DEP_4) | instskip(SKIP_2) | instid1(VALU_DEP_4)
	v_xor_b32_e32 v6, v30, v29
	v_bfe_u32 v2, v2, s20, 2
	v_and_b32_e32 v29, 0xffff, v1
	v_cndmask_b32_e64 v30, 0xffff, v26, s7
	v_cmp_o_f16_e64 s7, v3, v3
	s_delay_alu instid0(VALU_DEP_4)
	v_cmp_eq_u32_e64 s8, 0, v2
	v_cmp_eq_u32_e64 s9, 1, v2
	;; [unrolled: 1-line block ×4, first 2 shown]
	v_cndmask_b32_e64 v3, 0xffff, v6, s7
	v_cmp_eq_u32_e64 s7, s63, v31
	v_xor_b32_e32 v6, v30, v29
	v_and_b32_e32 v29, s64, v4
	v_bfe_u32 v4, v4, s20, 2
	v_and_b32_e32 v2, s64, v3
	s_and_b32 s8, s7, s8
	v_cndmask_b32_e64 v1, 0xffff, v6, s12
	v_cmp_eq_u32_e64 s12, s63, v29
	v_cmp_eq_u32_e64 s13, 0, v4
	v_cndmask_b32_e64 v6, 0, 1, s8
	v_cmp_eq_u32_e64 s8, 1, v4
	s_and_b32 s9, s7, s9
	v_bfe_u32 v3, v3, s20, 2
	v_cndmask_b32_e64 v29, 0, 1, s9
	v_cmp_eq_u32_e64 s9, 2, v4
	s_and_b32 s10, s7, s10
	s_and_b32 s7, s7, s11
	v_cndmask_b32_e64 v30, 0, 1, s10
	s_and_b32 s13, s12, s13
	s_and_b32 s8, s12, s8
	v_cmp_eq_u32_e64 s10, 3, v4
	v_cndmask_b32_e64 v4, 0, 1, s7
	v_cmp_eq_u32_e64 s7, s63, v2
	v_cmp_eq_u32_e64 s11, 0, v3
	v_cmp_ne_u32_e64 s14, 0, v6
	v_cndmask_b32_e64 v6, 0, 1, s13
	v_cmp_eq_u32_e64 s13, 1, v3
	v_cmp_ne_u32_e64 s15, 0, v29
	v_cndmask_b32_e64 v29, 0, 1, s8
	v_cmp_eq_u32_e64 s8, 2, v3
	s_and_b32 s9, s12, s9
	v_and_b32_e32 v2, s64, v1
	v_bfe_u32 v1, v1, s20, 2
	v_cmp_ne_u32_e64 s16, 0, v30
	v_cndmask_b32_e64 v30, 0, 1, s9
	v_cmp_eq_u32_e64 s9, 3, v3
	s_and_b32 s10, s12, s10
	s_and_b32 s11, s7, s11
	;; [unrolled: 1-line block ×4, first 2 shown]
	v_cmp_ne_u32_e64 s17, 0, v4
	v_cndmask_b32_e64 v3, 0, 1, s10
	v_cmp_eq_u32_e64 s10, s63, v2
	v_cmp_eq_u32_e64 s12, 0, v1
	s_bcnt1_i32_b32 s72, s14
	v_cmp_ne_u32_e64 s14, 0, v6
	v_cndmask_b32_e64 v2, 0, 1, s11
	v_cmp_eq_u32_e64 s11, 1, v1
	v_cndmask_b32_e64 v4, 0, 1, s13
	v_cmp_eq_u32_e64 s13, 2, v1
	;; [unrolled: 2-line block ×3, first 2 shown]
	s_and_b32 s7, s7, s9
	s_bcnt1_i32_b32 s75, s17
	v_cndmask_b32_e64 v1, 0, 1, s7
	v_cmp_ne_u32_e64 s17, 0, v3
	s_and_b32 s9, s10, s12
	s_and_b32 s11, s10, s11
	;; [unrolled: 1-line block ×4, first 2 shown]
	v_cmp_ne_u32_e64 s7, 0, v2
	v_cndmask_b32_e64 v2, 0, 1, s9
	v_cmp_ne_u32_e64 s9, 0, v4
	v_cndmask_b32_e64 v3, 0, 1, s11
	v_cndmask_b32_e64 v4, 0, 1, s12
	v_cmp_ne_u32_e64 s12, 0, v1
	v_cndmask_b32_e64 v1, 0, 1, s8
	s_bcnt1_i32_b32 s73, s15
	v_cmp_ne_u32_e64 s15, 0, v29
	s_bcnt1_i32_b32 s74, s16
	v_cmp_ne_u32_e64 s16, 0, v30
	s_add_i32 s68, s75, s68
	v_cmp_ne_u32_e64 s11, 0, v6
	s_bcnt1_i32_b32 s13, s17
	s_bcnt1_i32_b32 s17, s7
	s_add_i32 s13, s68, s13
	v_cmp_ne_u32_e64 s7, 0, v2
	s_bcnt1_i32_b32 s68, s9
	v_cmp_ne_u32_e64 s8, 0, v3
	v_cmp_ne_u32_e64 s9, 0, v4
	;; [unrolled: 1-line block ×3, first 2 shown]
	s_add_i32 s71, s72, s71
	s_add_i32 s70, s73, s70
	;; [unrolled: 1-line block ×3, first 2 shown]
	s_bcnt1_i32_b32 s14, s14
	s_bcnt1_i32_b32 s15, s15
	s_bcnt1_i32_b32 s16, s16
	s_add_i32 s14, s71, s14
	s_add_i32 s15, s70, s15
	;; [unrolled: 1-line block ×3, first 2 shown]
	s_bcnt1_i32_b32 s11, s11
	s_bcnt1_i32_b32 s12, s12
	s_add_i32 s14, s14, s17
	s_add_i32 s15, s15, s68
	;; [unrolled: 1-line block ×4, first 2 shown]
	s_bcnt1_i32_b32 s7, s7
	s_bcnt1_i32_b32 s8, s8
	;; [unrolled: 1-line block ×4, first 2 shown]
	s_add_i32 s71, s14, s7
	s_add_i32 s70, s15, s8
	;; [unrolled: 1-line block ×4, first 2 shown]
	s_delay_alu instid0(SALU_CYCLE_1) | instskip(SKIP_2) | instid1(SALU_CYCLE_1)
	v_dual_mov_b32 v1, s71 :: v_dual_mov_b32 v4, s68
	v_dual_mov_b32 v2, s70 :: v_dual_mov_b32 v3, s69
	s_or_b32 s19, vcc_lo, s19
	s_and_not1_b32 exec_lo, exec_lo, s19
	s_cbranch_execnz .LBB128_54
; %bb.55:                               ;   in Loop: Header=BB128_21 Depth=1
	s_or_b32 exec_lo, exec_lo, s19
	s_delay_alu instid0(SALU_CYCLE_1)
	s_or_b32 exec_lo, exec_lo, s18
	v_mov_b32_e32 v29, 0
	s_and_saveexec_b32 s7, s5
	s_cbranch_execz .LBB128_51
.LBB128_56:                             ;   in Loop: Header=BB128_21 Depth=1
	global_load_u16 v29, v[11:12], off
	s_or_b32 exec_lo, exec_lo, s7
	s_and_saveexec_b32 s11, s5
	s_cbranch_execz .LBB128_62
.LBB128_57:                             ;   in Loop: Header=BB128_21 Depth=1
	v_mov_b32_e32 v6, v23
	v_mov_b32_e32 v28, v19
	s_and_b32 s13, s58, 0xfe
	s_mov_b32 s12, 0
	s_branch .LBB128_59
.LBB128_58:                             ;   in Loop: Header=BB128_59 Depth=2
	s_or_b32 exec_lo, exec_lo, s8
	s_waitcnt vmcnt(0)
	v_cmp_lt_i16_e64 s7, -1, v29
	v_and_b32_e32 v31, 0xffff, v29
	s_and_b32 s8, exec_lo, vcc_lo
	v_add_nc_u32_e32 v6, s37, v6
	s_or_b32 s12, s8, s12
	v_cndmask_b32_e64 v32, 0xffff, v26, s7
	v_cmp_o_f16_e64 s7, v29, v29
	s_delay_alu instid0(VALU_DEP_2) | instskip(NEXT) | instid1(VALU_DEP_1)
	v_xor_b32_e32 v31, v32, v31
	v_cndmask_b32_e64 v29, 0xffff, v31, s7
	s_delay_alu instid0(VALU_DEP_1) | instskip(SKIP_1) | instid1(VALU_DEP_2)
	v_and_b32_e32 v31, s64, v29
	v_bfe_u32 v29, v29, s13, 2
	v_cmp_eq_u32_e32 vcc_lo, s63, v31
	s_delay_alu instid0(VALU_DEP_2) | instskip(SKIP_3) | instid1(VALU_DEP_4)
	v_cmp_eq_u32_e64 s7, 0, v29
	v_cmp_eq_u32_e64 s8, 1, v29
	;; [unrolled: 1-line block ×4, first 2 shown]
	s_and_b32 s7, vcc_lo, s7
	s_delay_alu instid0(SALU_CYCLE_1) | instskip(SKIP_1) | instid1(SALU_CYCLE_1)
	v_cndmask_b32_e64 v29, 0, 1, s7
	s_and_b32 s7, vcc_lo, s8
	v_cndmask_b32_e64 v31, 0, 1, s7
	s_and_b32 s7, vcc_lo, s9
	s_delay_alu instid0(SALU_CYCLE_1)
	v_cndmask_b32_e64 v32, 0, 1, s7
	s_and_b32 s7, vcc_lo, s10
	v_cmp_ne_u32_e32 vcc_lo, 0, v29
	v_mov_b32_e32 v29, v30
	v_cndmask_b32_e64 v33, 0, 1, s7
	v_cmp_ne_u32_e64 s7, 0, v31
	v_cmp_ne_u32_e64 s8, 0, v32
	s_bcnt1_i32_b32 s10, vcc_lo
	s_delay_alu instid0(VALU_DEP_3) | instskip(NEXT) | instid1(VALU_DEP_3)
	v_cmp_ne_u32_e64 s9, 0, v33
	s_bcnt1_i32_b32 s7, s7
	s_delay_alu instid0(VALU_DEP_2)
	s_bcnt1_i32_b32 s8, s8
	v_add_nc_u32_e32 v1, s10, v1
	v_add_nc_u32_e32 v2, s7, v2
	s_bcnt1_i32_b32 s9, s9
	v_add_nc_u32_e32 v3, s8, v3
	v_add_nc_u32_e32 v4, s9, v4
	s_and_not1_b32 exec_lo, exec_lo, s12
	s_cbranch_execz .LBB128_61
.LBB128_59:                             ;   Parent Loop BB128_21 Depth=1
                                        ; =>  This Inner Loop Header: Depth=2
	s_delay_alu instid0(VALU_DEP_1) | instskip(SKIP_2) | instid1(VALU_DEP_2)
	v_add_nc_u32_e32 v28, s27, v28
	v_mov_b32_e32 v30, 0
	s_mov_b32 s8, exec_lo
	v_cmp_le_u32_e32 vcc_lo, s24, v28
	v_cmpx_gt_u32_e64 s24, v28
	s_cbranch_execz .LBB128_58
; %bb.60:                               ;   in Loop: Header=BB128_59 Depth=2
	v_lshlrev_b64 v[30:31], 1, v[6:7]
	s_delay_alu instid0(VALU_DEP_1) | instskip(NEXT) | instid1(VALU_DEP_1)
	v_add_co_u32 v30, s7, s25, v30
	v_add_co_ci_u32_e64 v31, s7, s33, v31, s7
	global_load_u16 v30, v[30:31], off
	s_branch .LBB128_58
.LBB128_61:                             ;   in Loop: Header=BB128_21 Depth=1
	s_or_b32 exec_lo, exec_lo, s12
.LBB128_62:                             ;   in Loop: Header=BB128_21 Depth=1
	s_delay_alu instid0(SALU_CYCLE_1)
	s_or_b32 exec_lo, exec_lo, s11
	s_branch .LBB128_72
.LBB128_63:                             ;   in Loop: Header=BB128_21 Depth=1
	s_mul_hi_u32 s7, s66, s47
	v_dual_mov_b32 v1, 0 :: v_dual_mov_b32 v2, 0
	s_mul_i32 s7, s7, s38
	v_dual_mov_b32 v3, 0 :: v_dual_mov_b32 v4, 0
	s_sub_i32 s7, s66, s7
	s_mov_b32 s69, 0
	s_sub_i32 s8, s7, s38
	s_cmp_ge_u32 s7, s38
	s_mov_b32 s68, exec_lo
	s_cselect_b32 s7, s8, s7
	s_delay_alu instid0(SALU_CYCLE_1) | instskip(SKIP_2) | instid1(SALU_CYCLE_1)
	s_sub_i32 s8, s7, s38
	s_cmp_ge_u32 s7, s38
	s_cselect_b32 s7, s8, s7
	s_sub_i32 s67, s66, s7
	s_delay_alu instid0(SALU_CYCLE_1)
	v_cmpx_gt_u32_e64 s67, v14
	s_cbranch_execz .LBB128_67
; %bb.64:                               ;   in Loop: Header=BB128_21 Depth=1
	v_mov_b32_e32 v6, v24
	v_mov_b32_e32 v28, v14
	s_and_b32 s70, s58, 0xfe
	s_mov_b32 s71, 0
	s_mov_b32 s72, 0
	;; [unrolled: 1-line block ×4, first 2 shown]
.LBB128_65:                             ;   Parent Loop BB128_21 Depth=1
                                        ; =>  This Inner Loop Header: Depth=2
	ds_load_b64 v[1:2], v6
	s_waitcnt lgkmcnt(0)
	v_cmp_lt_i16_e64 s7, -1, v1
	v_lshrrev_b32_e32 v3, 16, v1
	v_lshrrev_b32_e32 v32, 16, v2
	v_and_b32_e32 v4, 0xffff, v1
	v_and_b32_e32 v30, 0xffff, v2
	s_waitcnt vmcnt(0)
	v_cndmask_b32_e64 v29, 0xffff, v26, s7
	v_cmp_lt_i16_e64 s7, -1, v2
	v_cmp_lt_i16_e64 s8, -1, v32
	s_delay_alu instid0(VALU_DEP_3) | instskip(NEXT) | instid1(VALU_DEP_3)
	v_xor_b32_e32 v4, v29, v4
	v_cndmask_b32_e64 v31, 0xffff, v26, s7
	v_cmp_lt_i16_e64 s7, -1, v3
	s_delay_alu instid0(VALU_DEP_2) | instskip(NEXT) | instid1(VALU_DEP_2)
	v_xor_b32_e32 v30, v31, v30
	v_cndmask_b32_e64 v29, 0xffff, v26, s7
	v_cmp_o_f16_e64 s7, v2, v2
	v_cndmask_b32_e64 v2, 0xffff, v26, s8
	v_cmp_o_f16_e64 s8, v1, v1
	s_delay_alu instid0(VALU_DEP_2) | instskip(NEXT) | instid1(VALU_DEP_2)
	v_xor_b32_e32 v2, v2, v32
	v_cndmask_b32_e64 v1, 0xffff, v4, s8
	v_xor_b32_e32 v4, v29, v3
	v_cmp_o_f16_e64 s8, v3, v3
	v_cndmask_b32_e64 v29, 0xffff, v30, s7
	v_cmp_o_f16_e64 s7, v32, v32
	s_delay_alu instid0(VALU_DEP_3)
	v_cndmask_b32_e64 v3, 0xffff, v4, s8
	v_and_b32_e32 v4, s64, v1
	v_bfe_u32 v1, v1, s70, 2
	v_and_b32_e32 v30, s64, v29
	v_bfe_u32 v29, v29, s70, 2
	v_cndmask_b32_e64 v2, 0xffff, v2, s7
	v_cmp_eq_u32_e64 s7, s63, v4
	v_and_b32_e32 v4, s64, v3
	v_bfe_u32 v3, v3, s70, 2
	v_cmp_eq_u32_e64 s9, 0, v1
	v_cmp_eq_u32_e64 s11, 1, v1
	;; [unrolled: 1-line block ×8, first 2 shown]
	v_and_b32_e32 v30, s64, v2
	v_bfe_u32 v2, v2, s70, 2
	v_cmp_eq_u32_e64 s16, 3, v29
	v_cmp_eq_u32_e64 s17, s63, v4
	;; [unrolled: 1-line block ×3, first 2 shown]
	s_and_b32 s9, s7, s9
	s_and_b32 s11, s7, s11
	;; [unrolled: 1-line block ×3, first 2 shown]
	v_cndmask_b32_e64 v1, 0, 1, s9
	s_and_b32 s9, s8, s10
	v_cndmask_b32_e64 v29, 0, 1, s11
	s_and_b32 s11, s8, s12
	v_cndmask_b32_e64 v31, 0, 1, s13
	s_and_b32 s13, s8, s14
	s_and_b32 s7, s7, s15
	v_cmp_eq_u32_e64 s18, s63, v30
	v_cmp_eq_u32_e64 s20, 0, v2
	v_cndmask_b32_e64 v4, 0, 1, s9
	v_cmp_eq_u32_e64 s9, 1, v3
	v_cmp_eq_u32_e64 s10, 1, v2
	v_cndmask_b32_e64 v30, 0, 1, s11
	;; [unrolled: 3-line block ×4, first 2 shown]
	s_and_b32 s7, s8, s16
	s_and_b32 s8, s17, s19
	v_cndmask_b32_e64 v3, 0, 1, s7
	v_cmp_ne_u32_e64 s7, 0, v1
	v_cndmask_b32_e64 v1, 0, 1, s8
	s_and_b32 s15, s18, s20
	s_and_b32 s9, s17, s9
	s_and_b32 s10, s18, s10
	s_and_b32 s11, s17, s11
	s_and_b32 s12, s18, s12
	s_and_b32 s13, s17, s13
	v_cmp_ne_u32_e64 s8, 0, v4
	v_cndmask_b32_e64 v4, 0, 1, s15
	v_cmp_ne_u32_e64 s15, 0, v29
	v_cndmask_b32_e64 v29, 0, 1, s9
	v_cmp_ne_u32_e64 s9, 0, v30
	v_cndmask_b32_e64 v30, 0, 1, s10
	v_cmp_ne_u32_e64 s10, 0, v31
	v_cndmask_b32_e64 v31, 0, 1, s11
	v_cmp_ne_u32_e64 s11, 0, v32
	v_cndmask_b32_e64 v32, 0, 1, s12
	v_cmp_ne_u32_e64 s12, 0, v2
	v_cndmask_b32_e64 v2, 0, 1, s13
	s_bcnt1_i32_b32 s16, s7
	v_cmp_ne_u32_e64 s7, 0, v1
	s_and_b32 s14, s18, s14
	v_cmp_ne_u32_e64 s13, 0, v3
	v_cndmask_b32_e64 v3, 0, 1, s14
	s_bcnt1_i32_b32 s17, s8
	v_cmp_ne_u32_e64 s8, 0, v4
	v_cmp_ne_u32_e64 s14, 0, v29
	s_bcnt1_i32_b32 s19, s10
	v_cmp_ne_u32_e64 s10, 0, v31
	s_bcnt1_i32_b32 s75, s12
	v_cmp_ne_u32_e64 s12, 0, v2
	s_add_i32 s16, s16, s74
	s_bcnt1_i32_b32 s7, s7
	s_bcnt1_i32_b32 s15, s15
	s_add_i32 s7, s16, s7
	s_bcnt1_i32_b32 s18, s9
	v_cmp_ne_u32_e64 s9, 0, v30
	s_bcnt1_i32_b32 s20, s11
	v_cmp_ne_u32_e64 s11, 0, v32
	;; [unrolled: 2-line block ×3, first 2 shown]
	s_bcnt1_i32_b32 s8, s8
	s_add_i32 s7, s7, s17
	s_add_i32 s15, s15, s73
	;; [unrolled: 1-line block ×4, first 2 shown]
	s_bcnt1_i32_b32 s14, s14
	s_bcnt1_i32_b32 s10, s10
	;; [unrolled: 1-line block ×3, first 2 shown]
	s_add_i32 s74, s7, s8
	s_delay_alu instid0(SALU_CYCLE_1)
	v_dual_mov_b32 v1, s74 :: v_dual_add_nc_u32 v28, s38, v28
	s_add_i32 s14, s15, s14
	s_add_i32 s10, s19, s10
	;; [unrolled: 1-line block ×3, first 2 shown]
	s_bcnt1_i32_b32 s9, s9
	s_bcnt1_i32_b32 s11, s11
	;; [unrolled: 1-line block ×3, first 2 shown]
	s_add_i32 s14, s14, s18
	s_add_i32 s10, s10, s20
	;; [unrolled: 1-line block ×3, first 2 shown]
	v_cmp_le_u32_e32 vcc_lo, s67, v28
	s_add_i32 s73, s14, s9
	s_add_i32 s72, s10, s11
	;; [unrolled: 1-line block ×3, first 2 shown]
	v_dual_mov_b32 v3, s72 :: v_dual_add_nc_u32 v6, s52, v6
	v_mov_b32_e32 v2, s73
	v_mov_b32_e32 v4, s71
	s_or_b32 s69, vcc_lo, s69
	s_delay_alu instid0(SALU_CYCLE_1)
	s_and_not1_b32 exec_lo, exec_lo, s69
	s_cbranch_execnz .LBB128_65
; %bb.66:                               ;   in Loop: Header=BB128_21 Depth=1
	s_or_b32 exec_lo, exec_lo, s69
.LBB128_67:                             ;   in Loop: Header=BB128_21 Depth=1
	s_delay_alu instid0(SALU_CYCLE_1) | instskip(SKIP_2) | instid1(VALU_DEP_1)
	s_or_b32 exec_lo, exec_lo, s68
	v_add_nc_u32_e32 v6, s67, v0
	s_mov_b32 s12, exec_lo
	v_cmpx_gt_u32_e64 s66, v6
	s_cbranch_execz .LBB128_71
; %bb.68:                               ;   in Loop: Header=BB128_21 Depth=1
	v_lshlrev_b32_e32 v28, 1, v6
	s_and_b32 s14, s58, 0xfe
	s_mov_b32 s13, 0
.LBB128_69:                             ;   Parent Loop BB128_21 Depth=1
                                        ; =>  This Inner Loop Header: Depth=2
	s_waitcnt vmcnt(0)
	ds_load_u16 v29, v28
	v_add_nc_u32_e32 v6, s27, v6
	v_add_nc_u32_e32 v28, s53, v28
	s_delay_alu instid0(VALU_DEP_2) | instskip(SKIP_3) | instid1(VALU_DEP_2)
	v_cmp_le_u32_e32 vcc_lo, s66, v6
	s_waitcnt lgkmcnt(0)
	v_cmp_lt_i16_e64 s7, -1, v29
	v_and_b32_e32 v30, 0xffff, v29
	v_cndmask_b32_e64 v31, 0xffff, v26, s7
	v_cmp_o_f16_e64 s7, v29, v29
	s_delay_alu instid0(VALU_DEP_2) | instskip(NEXT) | instid1(VALU_DEP_1)
	v_xor_b32_e32 v30, v31, v30
	v_cndmask_b32_e64 v29, 0xffff, v30, s7
	s_delay_alu instid0(VALU_DEP_1) | instskip(SKIP_1) | instid1(VALU_DEP_2)
	v_and_b32_e32 v30, s64, v29
	v_bfe_u32 v29, v29, s14, 2
	v_cmp_eq_u32_e64 s7, s63, v30
	s_delay_alu instid0(VALU_DEP_2) | instskip(SKIP_3) | instid1(VALU_DEP_4)
	v_cmp_eq_u32_e64 s8, 0, v29
	v_cmp_eq_u32_e64 s9, 1, v29
	;; [unrolled: 1-line block ×4, first 2 shown]
	s_and_b32 s8, s7, s8
	s_delay_alu instid0(SALU_CYCLE_1) | instskip(SKIP_1) | instid1(SALU_CYCLE_1)
	v_cndmask_b32_e64 v29, 0, 1, s8
	s_and_b32 s8, s7, s9
	v_cndmask_b32_e64 v30, 0, 1, s8
	s_and_b32 s8, s7, s10
	s_and_b32 s7, s7, s11
	v_cndmask_b32_e64 v31, 0, 1, s8
	v_cndmask_b32_e64 v32, 0, 1, s7
	v_cmp_ne_u32_e64 s7, 0, v29
	v_cmp_ne_u32_e64 s8, 0, v30
	s_delay_alu instid0(VALU_DEP_4) | instskip(NEXT) | instid1(VALU_DEP_4)
	v_cmp_ne_u32_e64 s9, 0, v31
	v_cmp_ne_u32_e64 s10, 0, v32
	s_delay_alu instid0(VALU_DEP_4) | instskip(NEXT) | instid1(VALU_DEP_3)
	s_bcnt1_i32_b32 s7, s7
	s_bcnt1_i32_b32 s8, s8
	v_add_nc_u32_e32 v1, s7, v1
	s_bcnt1_i32_b32 s9, s9
	s_bcnt1_i32_b32 s10, s10
	v_add_nc_u32_e32 v2, s8, v2
	v_add_nc_u32_e32 v3, s9, v3
	;; [unrolled: 1-line block ×3, first 2 shown]
	s_or_b32 s13, vcc_lo, s13
	s_delay_alu instid0(SALU_CYCLE_1)
	s_and_not1_b32 exec_lo, exec_lo, s13
	s_cbranch_execnz .LBB128_69
; %bb.70:                               ;   in Loop: Header=BB128_21 Depth=1
	s_or_b32 exec_lo, exec_lo, s13
.LBB128_71:                             ;   in Loop: Header=BB128_21 Depth=1
	s_delay_alu instid0(SALU_CYCLE_1)
	s_or_b32 exec_lo, exec_lo, s12
.LBB128_72:                             ;   in Loop: Header=BB128_21 Depth=1
	s_lshl_b32 s7, s61, 7
	s_and_saveexec_b32 s8, s3
	s_cbranch_execz .LBB128_74
; %bb.73:                               ;   in Loop: Header=BB128_21 Depth=1
	v_or_b32_e32 v6, s7, v17
	s_delay_alu instid0(VALU_DEP_1)
	v_lshlrev_b32_e32 v6, 2, v6
	ds_store_b128 v6, v[1:4] offset:3072
.LBB128_74:                             ;   in Loop: Header=BB128_21 Depth=1
	s_or_b32 exec_lo, exec_lo, s8
	s_waitcnt vmcnt(0) lgkmcnt(0)
	s_barrier
	buffer_gl0_inv
	s_and_saveexec_b32 s8, s39
	s_cbranch_execz .LBB128_84
; %bb.75:                               ;   in Loop: Header=BB128_21 Depth=1
	v_mov_b32_e32 v1, 0
	s_and_not1_b32 vcc_lo, exec_lo, s42
	s_cbranch_vccnz .LBB128_83
; %bb.76:                               ;   in Loop: Header=BB128_21 Depth=1
	v_mov_b32_e32 v1, 0
	s_and_not1_b32 vcc_lo, exec_lo, s44
	s_mov_b32 s9, 0
	s_cbranch_vccnz .LBB128_80
; %bb.77:                               ;   in Loop: Header=BB128_21 Depth=1
	v_lshl_add_u32 v2, s61, 9, v25
	v_mov_b32_e32 v1, 0
	.p2align	6
.LBB128_78:                             ;   Parent Loop BB128_21 Depth=1
                                        ; =>  This Inner Loop Header: Depth=2
	ds_load_2addr_b32 v[3:4], v2 offset1:4
	ds_load_2addr_b32 v[28:29], v2 offset0:8 offset1:12
	ds_load_2addr_b32 v[30:31], v2 offset0:16 offset1:20
	;; [unrolled: 1-line block ×3, first 2 shown]
	v_add_nc_u32_e32 v2, 0x80, v2
	s_add_i32 s9, s9, 8
	s_delay_alu instid0(SALU_CYCLE_1) | instskip(SKIP_3) | instid1(VALU_DEP_1)
	s_cmp_eq_u32 s45, s9
	s_waitcnt lgkmcnt(3)
	v_add3_u32 v1, v3, v1, v4
	s_waitcnt lgkmcnt(2)
	v_add3_u32 v1, v28, v1, v29
	s_waitcnt lgkmcnt(1)
	s_delay_alu instid0(VALU_DEP_1) | instskip(SKIP_1) | instid1(VALU_DEP_1)
	v_add3_u32 v1, v30, v1, v31
	s_waitcnt lgkmcnt(0)
	v_add3_u32 v1, v32, v1, v33
	s_cbranch_scc0 .LBB128_78
; %bb.79:                               ;   in Loop: Header=BB128_21 Depth=1
	s_mov_b32 s9, s45
.LBB128_80:                             ;   in Loop: Header=BB128_21 Depth=1
	s_and_not1_b32 vcc_lo, exec_lo, s46
	s_cbranch_vccnz .LBB128_83
; %bb.81:                               ;   in Loop: Header=BB128_21 Depth=1
	s_lshl_b32 s10, s61, 9
	s_lshl_b32 s9, s9, 4
	s_delay_alu instid0(SALU_CYCLE_1)
	v_add3_u32 v2, s10, s9, v25
	s_mov_b32 s9, s43
.LBB128_82:                             ;   Parent Loop BB128_21 Depth=1
                                        ; =>  This Inner Loop Header: Depth=2
	ds_load_b32 v3, v2
	v_add_nc_u32_e32 v2, 16, v2
	s_add_i32 s9, s9, -1
	s_delay_alu instid0(SALU_CYCLE_1)
	s_cmp_lg_u32 s9, 0
	s_waitcnt lgkmcnt(0)
	v_add_nc_u32_e32 v1, v3, v1
	s_cbranch_scc1 .LBB128_82
.LBB128_83:                             ;   in Loop: Header=BB128_21 Depth=1
	v_add_lshl_u32 v2, s7, v13, 2
	ds_store_b32 v2, v1 offset:3072
.LBB128_84:                             ;   in Loop: Header=BB128_21 Depth=1
	s_or_b32 exec_lo, exec_lo, s8
	s_lshl_b32 s7, s7, 2
	s_waitcnt lgkmcnt(0)
	v_mov_b32_e32 v1, s7
	s_barrier
	buffer_gl0_inv
	s_and_b32 s16, s58, 0xfe
	s_mov_b32 s12, -1
	ds_load_b128 v[1:4], v1 offset:3072
	s_lshl_b32 s9, 3, s16
	s_delay_alu instid0(SALU_CYCLE_1) | instskip(SKIP_4) | instid1(VALU_DEP_3)
	s_not_b32 s17, s9
	s_waitcnt lgkmcnt(0)
	v_readfirstlane_b32 s11, v1
	v_readfirstlane_b32 s19, v2
	v_readfirstlane_b32 s14, v3
	s_cmp_eq_u32 s11, 1
	s_cselect_b32 s7, -1, 0
	s_cmp_eq_u32 s65, 1
	s_cselect_b32 s8, -1, 0
	s_delay_alu instid0(SALU_CYCLE_1)
	s_and_b32 s13, s7, s8
	v_readfirstlane_b32 s8, v4
	s_and_b32 vcc_lo, exec_lo, s13
	s_cbranch_vccz .LBB128_96
; %bb.85:                               ;   in Loop: Header=BB128_21 Depth=1
	ds_load_b32 v1, v7 offset:4104
	s_waitcnt lgkmcnt(0)
	s_barrier
	buffer_gl0_inv
	v_readfirstlane_b32 s10, v1
	s_and_saveexec_b32 s7, s1
	s_cbranch_execz .LBB128_87
; %bb.86:                               ;   in Loop: Header=BB128_21 Depth=1
	ds_store_b16 v16, v7
.LBB128_87:                             ;   in Loop: Header=BB128_21 Depth=1
	s_or_b32 exec_lo, exec_lo, s7
	s_and_b32 s63, s63, s17
	s_or_b32 s64, s64, s9
	s_cmp_eq_u32 s10, 0
	s_waitcnt lgkmcnt(0)
	s_barrier
	buffer_gl0_inv
	s_cbranch_scc1 .LBB128_97
; %bb.88:                               ;   in Loop: Header=BB128_21 Depth=1
	s_add_i32 s7, s10, s40
                                        ; implicit-def: $vgpr27
	s_delay_alu instid0(SALU_CYCLE_1) | instskip(NEXT) | instid1(SALU_CYCLE_1)
	s_mul_hi_u32 s15, s7, s49
	s_mul_i32 s15, s15, s27
	s_delay_alu instid0(SALU_CYCLE_1) | instskip(NEXT) | instid1(SALU_CYCLE_1)
	s_sub_i32 s15, s7, s15
	s_sub_i32 s18, s15, s27
	s_cmp_ge_u32 s15, s27
	s_cselect_b32 s15, s18, s15
	s_delay_alu instid0(SALU_CYCLE_1) | instskip(SKIP_2) | instid1(SALU_CYCLE_1)
	s_sub_i32 s18, s15, s27
	s_cmp_ge_u32 s15, s27
	s_cselect_b32 s15, s18, s15
	s_sub_i32 s18, s7, s15
	s_mov_b32 s7, 0
	s_mov_b32 s15, exec_lo
	v_cmpx_gt_u32_e64 s18, v0
	s_cbranch_execz .LBB128_99
; %bb.89:                               ;   in Loop: Header=BB128_21 Depth=1
	v_dual_mov_b32 v1, v15 :: v_dual_mov_b32 v2, v0
	s_mov_b32 s20, 0
                                        ; implicit-def: $sgpr66
	s_set_inst_prefetch_distance 0x1
	s_branch .LBB128_91
	.p2align	6
.LBB128_90:                             ;   in Loop: Header=BB128_91 Depth=2
	s_or_b32 exec_lo, exec_lo, s7
	s_waitcnt lgkmcnt(0)
	s_barrier
	buffer_gl0_inv
	ds_load_b32 v3, v7 offset:3072
	v_add_nc_u32_e32 v2, s27, v2
	v_add_nc_u32_e32 v1, s53, v1
	s_waitcnt lgkmcnt(0)
	s_barrier
	buffer_gl0_inv
	v_cmp_le_u32_e32 vcc_lo, s18, v2
	v_cmp_neq_f16_e64 s7, 0, v3
	s_delay_alu instid0(VALU_DEP_1) | instskip(NEXT) | instid1(SALU_CYCLE_1)
	s_or_b32 s67, vcc_lo, s7
	s_and_b32 s67, exec_lo, s67
	s_delay_alu instid0(SALU_CYCLE_1) | instskip(SKIP_2) | instid1(SALU_CYCLE_1)
	s_or_b32 s20, s67, s20
	s_and_not1_b32 s66, s66, exec_lo
	s_and_b32 s7, s7, exec_lo
	s_or_b32 s66, s66, s7
	s_and_not1_b32 exec_lo, exec_lo, s20
	s_cbranch_execz .LBB128_98
.LBB128_91:                             ;   Parent Loop BB128_21 Depth=1
                                        ; =>  This Inner Loop Header: Depth=2
	s_delay_alu instid0(VALU_DEP_1)
	v_cmp_gt_u32_e32 vcc_lo, s10, v2
	v_mov_b32_e32 v3, 0
	s_and_saveexec_b32 s7, vcc_lo
	s_cbranch_execz .LBB128_93
; %bb.92:                               ;   in Loop: Header=BB128_91 Depth=2
	ds_load_u16 v3, v1
.LBB128_93:                             ;   in Loop: Header=BB128_91 Depth=2
	s_or_b32 exec_lo, exec_lo, s7
	s_and_saveexec_b32 s7, vcc_lo
	s_cbranch_execz .LBB128_90
; %bb.94:                               ;   in Loop: Header=BB128_91 Depth=2
	s_waitcnt lgkmcnt(0)
	v_cmp_lt_i16_e32 vcc_lo, -1, v3
	v_and_b32_e32 v4, 0xffff, v3
	v_cndmask_b32_e32 v6, 0xffff, v26, vcc_lo
	v_cmp_o_f16_e32 vcc_lo, v3, v3
	s_delay_alu instid0(VALU_DEP_2) | instskip(NEXT) | instid1(VALU_DEP_1)
	v_xor_b32_e32 v4, v6, v4
	v_cndmask_b32_e32 v4, 0xffff, v4, vcc_lo
	s_delay_alu instid0(VALU_DEP_1) | instskip(NEXT) | instid1(VALU_DEP_1)
	v_and_b32_e32 v4, s64, v4
	v_cmp_eq_u32_e32 vcc_lo, s63, v4
	s_and_b32 exec_lo, exec_lo, vcc_lo
	s_cbranch_execz .LBB128_90
; %bb.95:                               ;   in Loop: Header=BB128_91 Depth=2
	v_perm_b32 v3, v3, s54, 0x5040100
	ds_store_b32 v7, v3 offset:3072
	s_branch .LBB128_90
.LBB128_96:                             ;   in Loop: Header=BB128_21 Depth=1
	s_mov_b32 s7, -1
                                        ; implicit-def: $sgpr10
                                        ; implicit-def: $sgpr18
                                        ; implicit-def: $sgpr15
	s_branch .LBB128_110
.LBB128_97:                             ;   in Loop: Header=BB128_21 Depth=1
	s_mov_b32 s10, -1
	s_mov_b32 s7, 0
                                        ; implicit-def: $sgpr15
                                        ; implicit-def: $vgpr27
	s_mov_b32 s18, s10
	s_cbranch_execnz .LBB128_100
	s_branch .LBB128_110
.LBB128_98:                             ;   in Loop: Header=BB128_21 Depth=1
	s_set_inst_prefetch_distance 0x2
	s_or_b32 exec_lo, exec_lo, s20
	v_lshrrev_b32_e32 v27, 16, v3
	s_and_b32 s7, s66, exec_lo
.LBB128_99:                             ;   in Loop: Header=BB128_21 Depth=1
	s_or_b32 exec_lo, exec_lo, s15
	s_mov_b32 s15, -1
	s_mov_b32 s10, 0
	s_delay_alu instid0(SALU_CYCLE_1)
	s_mov_b32 s18, s10
	s_branch .LBB128_110
.LBB128_100:                            ;   in Loop: Header=BB128_21 Depth=1
	s_mov_b32 s7, 0
                                        ; implicit-def: $vgpr27
	s_and_saveexec_b32 s10, s6
	s_cbranch_execz .LBB128_109
; %bb.101:                              ;   in Loop: Header=BB128_21 Depth=1
	v_dual_mov_b32 v6, v5 :: v_dual_mov_b32 v1, v0
	s_mov_b32 s15, 0
                                        ; implicit-def: $sgpr18
	s_branch .LBB128_103
.LBB128_102:                            ;   in Loop: Header=BB128_103 Depth=2
	s_or_b32 exec_lo, exec_lo, s7
	s_waitcnt vmcnt(0) lgkmcnt(0)
	s_barrier
	buffer_gl0_inv
	ds_load_b32 v2, v7 offset:3072
	v_add_nc_u32_e32 v1, s27, v1
	v_add_nc_u32_e32 v6, s37, v6
	s_waitcnt lgkmcnt(0)
	s_barrier
	buffer_gl0_inv
	v_cmp_le_u32_e32 vcc_lo, s51, v1
	v_cmp_neq_f16_e64 s7, 0, v2
	s_delay_alu instid0(VALU_DEP_1) | instskip(NEXT) | instid1(SALU_CYCLE_1)
	s_or_b32 s20, vcc_lo, s7
	s_and_b32 s20, exec_lo, s20
	s_delay_alu instid0(SALU_CYCLE_1) | instskip(SKIP_2) | instid1(SALU_CYCLE_1)
	s_or_b32 s15, s20, s15
	s_and_not1_b32 s18, s18, exec_lo
	s_and_b32 s7, s7, exec_lo
	s_or_b32 s18, s18, s7
	s_and_not1_b32 exec_lo, exec_lo, s15
	s_cbranch_execz .LBB128_108
.LBB128_103:                            ;   Parent Loop BB128_21 Depth=1
                                        ; =>  This Inner Loop Header: Depth=2
	s_delay_alu instid0(VALU_DEP_1)
	v_cmp_gt_u32_e32 vcc_lo, s24, v1
	v_mov_b32_e32 v2, 0
	s_and_saveexec_b32 s20, vcc_lo
	s_cbranch_execz .LBB128_105
; %bb.104:                              ;   in Loop: Header=BB128_103 Depth=2
	v_lshlrev_b64 v[2:3], 1, v[6:7]
	s_delay_alu instid0(VALU_DEP_1) | instskip(NEXT) | instid1(VALU_DEP_1)
	v_add_co_u32 v2, s7, s25, v2
	v_add_co_ci_u32_e64 v3, s7, s33, v3, s7
	global_load_u16 v2, v[2:3], off
.LBB128_105:                            ;   in Loop: Header=BB128_103 Depth=2
	s_or_b32 exec_lo, exec_lo, s20
	s_and_saveexec_b32 s7, vcc_lo
	s_cbranch_execz .LBB128_102
; %bb.106:                              ;   in Loop: Header=BB128_103 Depth=2
	s_waitcnt vmcnt(0)
	v_cmp_lt_i16_e32 vcc_lo, -1, v2
	v_and_b32_e32 v3, 0xffff, v2
	v_cndmask_b32_e32 v4, 0xffff, v26, vcc_lo
	v_cmp_o_f16_e32 vcc_lo, v2, v2
	s_delay_alu instid0(VALU_DEP_2) | instskip(NEXT) | instid1(VALU_DEP_1)
	v_xor_b32_e32 v3, v4, v3
	v_cndmask_b32_e32 v3, 0xffff, v3, vcc_lo
	s_delay_alu instid0(VALU_DEP_1) | instskip(NEXT) | instid1(VALU_DEP_1)
	v_and_b32_e32 v3, s64, v3
	v_cmp_eq_u32_e32 vcc_lo, s63, v3
	s_and_b32 exec_lo, exec_lo, vcc_lo
	s_cbranch_execz .LBB128_102
; %bb.107:                              ;   in Loop: Header=BB128_103 Depth=2
	v_perm_b32 v2, v2, s54, 0x5040100
	ds_store_b32 v7, v2 offset:3072
	s_branch .LBB128_102
.LBB128_108:                            ;   in Loop: Header=BB128_21 Depth=1
	s_or_b32 exec_lo, exec_lo, s15
	v_lshrrev_b32_e32 v27, 16, v2
	s_and_b32 s7, s18, exec_lo
.LBB128_109:                            ;   in Loop: Header=BB128_21 Depth=1
	s_or_b32 exec_lo, exec_lo, s10
	s_mov_b32 s18, -1
	s_mov_b32 s10, 0
	s_mov_b32 s15, 0
.LBB128_110:                            ;   in Loop: Header=BB128_21 Depth=1
	s_and_not1_b32 s20, s59, exec_lo
	s_and_b32 s10, s10, exec_lo
	s_and_b32 s18, s18, exec_lo
	s_or_b32 s59, s20, s10
	s_and_not1_b32 s10, s62, exec_lo
	s_and_not1_b32 s20, s60, exec_lo
	s_and_b32 s15, s15, exec_lo
	s_or_b32 s62, s10, s18
	s_or_b32 s60, s20, s15
	s_and_saveexec_b32 s10, s7
	s_cbranch_execz .LBB128_20
; %bb.111:                              ;   in Loop: Header=BB128_21 Depth=1
	s_xor_b32 s7, s13, -1
	s_mov_b32 s12, 0
	s_and_not1_b32 vcc_lo, exec_lo, s7
	s_mov_b32 s20, 1
	s_cbranch_vccnz .LBB128_122
; %bb.112:                              ;   in Loop: Header=BB128_21 Depth=1
	s_cmp_gt_u32 s65, s11
	s_mov_b32 s12, -1
                                        ; implicit-def: $sgpr7
                                        ; implicit-def: $sgpr13
                                        ; implicit-def: $sgpr15
	s_cbranch_scc1 .LBB128_118
; %bb.113:                              ;   in Loop: Header=BB128_21 Depth=1
	ds_load_b32 v1, v7 offset:4104
	s_waitcnt lgkmcnt(0)
	v_cmp_ne_u32_e32 vcc_lo, 0, v1
	s_cbranch_vccnz .LBB128_117
; %bb.114:                              ;   in Loop: Header=BB128_21 Depth=1
	s_and_saveexec_b32 s7, s0
	s_cbranch_execz .LBB128_116
; %bb.115:                              ;   in Loop: Header=BB128_21 Depth=1
	v_mov_b32_e32 v1, s11
	ds_store_b32 v7, v1 offset:4108
.LBB128_116:                            ;   in Loop: Header=BB128_21 Depth=1
	s_or_b32 exec_lo, exec_lo, s7
	s_waitcnt lgkmcnt(0)
	s_barrier
	buffer_gl0_inv
.LBB128_117:                            ;   in Loop: Header=BB128_21 Depth=1
	s_and_b32 s13, s63, s17
	s_or_b32 s15, s64, s9
	s_mov_b32 s12, 0
	s_mov_b32 s7, 8
.LBB128_118:                            ;   in Loop: Header=BB128_21 Depth=1
	s_and_not1_b32 vcc_lo, exec_lo, s12
	s_cbranch_vccnz .LBB128_120
; %bb.119:                              ;   in Loop: Header=BB128_21 Depth=1
	s_sub_i32 s65, s65, s11
	s_mov_b32 s12, -1
	s_mov_b32 s7, 0
	s_mov_b32 s13, s63
	;; [unrolled: 1-line block ×3, first 2 shown]
.LBB128_120:                            ;   in Loop: Header=BB128_21 Depth=1
	s_delay_alu instid0(SALU_CYCLE_1)
	s_mov_b32 s64, s15
	s_mov_b32 s63, s13
	;; [unrolled: 1-line block ×3, first 2 shown]
	s_and_b32 vcc_lo, exec_lo, s12
	s_mov_b32 s11, -1
	s_cbranch_vccnz .LBB128_123
.LBB128_121:                            ;   in Loop: Header=BB128_21 Depth=1
	s_mov_b32 s67, -1
                                        ; implicit-def: $sgpr12
                                        ; implicit-def: $sgpr15
                                        ; implicit-def: $sgpr13
                                        ; implicit-def: $sgpr65
	s_delay_alu instid0(SALU_CYCLE_1) | instskip(NEXT) | instid1(SALU_CYCLE_1)
	s_and_saveexec_b32 s8, s67
	s_xor_b32 s8, exec_lo, s8
	s_cbranch_execz .LBB128_19
	s_branch .LBB128_249
.LBB128_122:                            ;   in Loop: Header=BB128_21 Depth=1
	s_mov_b32 s7, 1
	s_and_b32 vcc_lo, exec_lo, s12
	s_mov_b32 s11, -1
	s_cbranch_vccz .LBB128_121
.LBB128_123:                            ;   in Loop: Header=BB128_21 Depth=1
	s_cmp_eq_u32 s19, 1
	s_mov_b32 s66, -1
	s_cselect_b32 s7, -1, 0
	s_cmp_eq_u32 s20, 1
	s_cselect_b32 s12, -1, 0
	s_delay_alu instid0(SALU_CYCLE_1) | instskip(NEXT) | instid1(SALU_CYCLE_1)
	s_and_b32 s65, s7, s12
	s_and_b32 vcc_lo, exec_lo, s65
	s_cbranch_vccz .LBB128_135
; %bb.124:                              ;   in Loop: Header=BB128_21 Depth=1
	ds_load_b32 v1, v7 offset:4104
	s_waitcnt lgkmcnt(0)
	s_barrier
	buffer_gl0_inv
	v_readfirstlane_b32 s12, v1
	s_and_saveexec_b32 s7, s1
	s_cbranch_execz .LBB128_126
; %bb.125:                              ;   in Loop: Header=BB128_21 Depth=1
	ds_store_b16 v16, v7
.LBB128_126:                            ;   in Loop: Header=BB128_21 Depth=1
	s_or_b32 exec_lo, exec_lo, s7
	s_lshl_b32 s7, 1, s16
	s_and_b32 s13, s63, s17
	s_or_b32 s64, s64, s9
	s_or_b32 s63, s13, s7
	s_cmp_eq_u32 s12, 0
	s_waitcnt lgkmcnt(0)
	s_barrier
	buffer_gl0_inv
	s_cbranch_scc1 .LBB128_139
; %bb.127:                              ;   in Loop: Header=BB128_21 Depth=1
	s_add_i32 s7, s12, s40
	s_mov_b32 s66, 0
	s_mul_hi_u32 s13, s7, s49
                                        ; implicit-def: $vgpr27
	s_delay_alu instid0(SALU_CYCLE_1) | instskip(NEXT) | instid1(SALU_CYCLE_1)
	s_mul_i32 s13, s13, s27
	s_sub_i32 s13, s7, s13
	s_delay_alu instid0(SALU_CYCLE_1) | instskip(SKIP_2) | instid1(SALU_CYCLE_1)
	s_sub_i32 s15, s13, s27
	s_cmp_ge_u32 s13, s27
	s_cselect_b32 s13, s15, s13
	s_sub_i32 s15, s13, s27
	s_cmp_ge_u32 s13, s27
	s_cselect_b32 s13, s15, s13
	s_delay_alu instid0(SALU_CYCLE_1)
	s_sub_i32 s15, s7, s13
	s_mov_b32 s13, exec_lo
	v_cmpx_gt_u32_e64 s15, v0
	s_cbranch_execz .LBB128_141
; %bb.128:                              ;   in Loop: Header=BB128_21 Depth=1
	v_dual_mov_b32 v1, v15 :: v_dual_mov_b32 v2, v0
	s_mov_b32 s18, 0
                                        ; implicit-def: $sgpr66
	s_set_inst_prefetch_distance 0x1
	s_branch .LBB128_130
	.p2align	6
.LBB128_129:                            ;   in Loop: Header=BB128_130 Depth=2
	s_or_b32 exec_lo, exec_lo, s7
	s_waitcnt lgkmcnt(0)
	s_barrier
	buffer_gl0_inv
	ds_load_b32 v3, v7 offset:3072
	v_add_nc_u32_e32 v2, s27, v2
	v_add_nc_u32_e32 v1, s53, v1
	s_waitcnt lgkmcnt(0)
	s_barrier
	buffer_gl0_inv
	v_cmp_le_u32_e32 vcc_lo, s15, v2
	v_cmp_neq_f16_e64 s7, 0, v3
	s_delay_alu instid0(VALU_DEP_1) | instskip(NEXT) | instid1(SALU_CYCLE_1)
	s_or_b32 s67, vcc_lo, s7
	s_and_b32 s67, exec_lo, s67
	s_delay_alu instid0(SALU_CYCLE_1) | instskip(SKIP_2) | instid1(SALU_CYCLE_1)
	s_or_b32 s18, s67, s18
	s_and_not1_b32 s66, s66, exec_lo
	s_and_b32 s7, s7, exec_lo
	s_or_b32 s66, s66, s7
	s_and_not1_b32 exec_lo, exec_lo, s18
	s_cbranch_execz .LBB128_140
.LBB128_130:                            ;   Parent Loop BB128_21 Depth=1
                                        ; =>  This Inner Loop Header: Depth=2
	s_delay_alu instid0(VALU_DEP_1)
	v_cmp_gt_u32_e32 vcc_lo, s12, v2
	v_mov_b32_e32 v3, 0
	s_and_saveexec_b32 s7, vcc_lo
	s_cbranch_execz .LBB128_132
; %bb.131:                              ;   in Loop: Header=BB128_130 Depth=2
	ds_load_u16 v3, v1
.LBB128_132:                            ;   in Loop: Header=BB128_130 Depth=2
	s_or_b32 exec_lo, exec_lo, s7
	s_and_saveexec_b32 s7, vcc_lo
	s_cbranch_execz .LBB128_129
; %bb.133:                              ;   in Loop: Header=BB128_130 Depth=2
	s_waitcnt lgkmcnt(0)
	v_cmp_lt_i16_e32 vcc_lo, -1, v3
	v_and_b32_e32 v4, 0xffff, v3
	v_cndmask_b32_e32 v6, 0xffff, v26, vcc_lo
	v_cmp_o_f16_e32 vcc_lo, v3, v3
	s_delay_alu instid0(VALU_DEP_2) | instskip(NEXT) | instid1(VALU_DEP_1)
	v_xor_b32_e32 v4, v6, v4
	v_cndmask_b32_e32 v4, 0xffff, v4, vcc_lo
	s_delay_alu instid0(VALU_DEP_1) | instskip(NEXT) | instid1(VALU_DEP_1)
	v_and_b32_e32 v4, s64, v4
	v_cmp_eq_u32_e32 vcc_lo, s63, v4
	s_and_b32 exec_lo, exec_lo, vcc_lo
	s_cbranch_execz .LBB128_129
; %bb.134:                              ;   in Loop: Header=BB128_130 Depth=2
	v_perm_b32 v3, v3, s54, 0x5040100
	ds_store_b32 v7, v3 offset:3072
	s_branch .LBB128_129
.LBB128_135:                            ;   in Loop: Header=BB128_21 Depth=1
                                        ; implicit-def: $sgpr13
                                        ; implicit-def: $sgpr15
                                        ; implicit-def: $sgpr12
	s_branch .LBB128_152
.LBB128_136:                            ;   in Loop: Header=BB128_21 Depth=1
	s_or_b32 exec_lo, exec_lo, s9
	s_waitcnt lgkmcnt(0)
	s_barrier
	buffer_gl0_inv
	s_and_saveexec_b32 s7, s0
	s_cbranch_execz .LBB128_138
; %bb.137:                              ;   in Loop: Header=BB128_21 Depth=1
	ds_load_b32 v1, v7 offset:4112
	s_waitcnt lgkmcnt(0)
	ds_store_b32 v7, v1 offset:4104
.LBB128_138:                            ;   in Loop: Header=BB128_21 Depth=1
	s_or_b32 exec_lo, exec_lo, s7
	s_waitcnt lgkmcnt(0)
	s_mov_b32 s7, -1
	s_barrier
	s_and_b32 vcc_lo, exec_lo, s66
	s_cbranch_vccnz .LBB128_36
	s_branch .LBB128_46
.LBB128_139:                            ;   in Loop: Header=BB128_21 Depth=1
	s_mov_b32 s13, -1
	s_mov_b32 s66, 0
                                        ; implicit-def: $sgpr12
                                        ; implicit-def: $vgpr27
	s_mov_b32 s15, s13
	s_cbranch_execnz .LBB128_142
	s_branch .LBB128_152
.LBB128_140:                            ;   in Loop: Header=BB128_21 Depth=1
	s_set_inst_prefetch_distance 0x2
	s_or_b32 exec_lo, exec_lo, s18
	v_lshrrev_b32_e32 v27, 16, v3
	s_and_b32 s66, s66, exec_lo
.LBB128_141:                            ;   in Loop: Header=BB128_21 Depth=1
	s_or_b32 exec_lo, exec_lo, s13
	s_mov_b32 s12, -1
	s_mov_b32 s13, 0
	s_delay_alu instid0(SALU_CYCLE_1)
	s_mov_b32 s15, s13
	s_branch .LBB128_152
.LBB128_142:                            ;   in Loop: Header=BB128_21 Depth=1
	s_mov_b32 s66, 0
                                        ; implicit-def: $vgpr27
	s_and_saveexec_b32 s12, s6
	s_cbranch_execz .LBB128_151
; %bb.143:                              ;   in Loop: Header=BB128_21 Depth=1
	v_dual_mov_b32 v6, v5 :: v_dual_mov_b32 v1, v0
	s_mov_b32 s13, 0
                                        ; implicit-def: $sgpr15
	s_branch .LBB128_145
.LBB128_144:                            ;   in Loop: Header=BB128_145 Depth=2
	s_or_b32 exec_lo, exec_lo, s7
	s_waitcnt vmcnt(0) lgkmcnt(0)
	s_barrier
	buffer_gl0_inv
	ds_load_b32 v2, v7 offset:3072
	v_add_nc_u32_e32 v1, s27, v1
	v_add_nc_u32_e32 v6, s37, v6
	s_waitcnt lgkmcnt(0)
	s_barrier
	buffer_gl0_inv
	v_cmp_le_u32_e32 vcc_lo, s51, v1
	v_cmp_neq_f16_e64 s7, 0, v2
	s_delay_alu instid0(VALU_DEP_1) | instskip(NEXT) | instid1(SALU_CYCLE_1)
	s_or_b32 s18, vcc_lo, s7
	s_and_b32 s18, exec_lo, s18
	s_delay_alu instid0(SALU_CYCLE_1) | instskip(SKIP_2) | instid1(SALU_CYCLE_1)
	s_or_b32 s13, s18, s13
	s_and_not1_b32 s15, s15, exec_lo
	s_and_b32 s7, s7, exec_lo
	s_or_b32 s15, s15, s7
	s_and_not1_b32 exec_lo, exec_lo, s13
	s_cbranch_execz .LBB128_150
.LBB128_145:                            ;   Parent Loop BB128_21 Depth=1
                                        ; =>  This Inner Loop Header: Depth=2
	s_delay_alu instid0(VALU_DEP_1)
	v_cmp_gt_u32_e32 vcc_lo, s24, v1
	v_mov_b32_e32 v2, 0
	s_and_saveexec_b32 s18, vcc_lo
	s_cbranch_execz .LBB128_147
; %bb.146:                              ;   in Loop: Header=BB128_145 Depth=2
	v_lshlrev_b64 v[2:3], 1, v[6:7]
	s_delay_alu instid0(VALU_DEP_1) | instskip(NEXT) | instid1(VALU_DEP_1)
	v_add_co_u32 v2, s7, s25, v2
	v_add_co_ci_u32_e64 v3, s7, s33, v3, s7
	global_load_u16 v2, v[2:3], off
.LBB128_147:                            ;   in Loop: Header=BB128_145 Depth=2
	s_or_b32 exec_lo, exec_lo, s18
	s_and_saveexec_b32 s7, vcc_lo
	s_cbranch_execz .LBB128_144
; %bb.148:                              ;   in Loop: Header=BB128_145 Depth=2
	s_waitcnt vmcnt(0)
	v_cmp_lt_i16_e32 vcc_lo, -1, v2
	v_and_b32_e32 v3, 0xffff, v2
	v_cndmask_b32_e32 v4, 0xffff, v26, vcc_lo
	v_cmp_o_f16_e32 vcc_lo, v2, v2
	s_delay_alu instid0(VALU_DEP_2) | instskip(NEXT) | instid1(VALU_DEP_1)
	v_xor_b32_e32 v3, v4, v3
	v_cndmask_b32_e32 v3, 0xffff, v3, vcc_lo
	s_delay_alu instid0(VALU_DEP_1) | instskip(NEXT) | instid1(VALU_DEP_1)
	v_and_b32_e32 v3, s64, v3
	v_cmp_eq_u32_e32 vcc_lo, s63, v3
	s_and_b32 exec_lo, exec_lo, vcc_lo
	s_cbranch_execz .LBB128_144
; %bb.149:                              ;   in Loop: Header=BB128_145 Depth=2
	v_perm_b32 v2, v2, s54, 0x5040100
	ds_store_b32 v7, v2 offset:3072
	s_branch .LBB128_144
.LBB128_150:                            ;   in Loop: Header=BB128_21 Depth=1
	s_or_b32 exec_lo, exec_lo, s13
	v_lshrrev_b32_e32 v27, 16, v2
	s_and_b32 s66, s15, exec_lo
.LBB128_151:                            ;   in Loop: Header=BB128_21 Depth=1
	s_or_b32 exec_lo, exec_lo, s12
	s_mov_b32 s15, -1
	s_mov_b32 s13, 0
	s_mov_b32 s12, 0
.LBB128_152:                            ;   in Loop: Header=BB128_21 Depth=1
	s_mov_b32 s67, 0
                                        ; implicit-def: $sgpr7
	s_and_saveexec_b32 s18, s66
	s_cbranch_execz .LBB128_248
; %bb.153:                              ;   in Loop: Header=BB128_21 Depth=1
	s_xor_b32 s7, s65, -1
	s_mov_b32 s65, 0
	s_and_not1_b32 vcc_lo, exec_lo, s7
	s_mov_b32 s68, 1
	s_cbranch_vccnz .LBB128_164
; %bb.154:                              ;   in Loop: Header=BB128_21 Depth=1
	s_cmp_gt_u32 s20, s19
	s_mov_b32 s65, -1
                                        ; implicit-def: $sgpr7
                                        ; implicit-def: $sgpr66
                                        ; implicit-def: $sgpr67
	s_cbranch_scc1 .LBB128_160
; %bb.155:                              ;   in Loop: Header=BB128_21 Depth=1
	ds_load_b32 v1, v7 offset:4104
	s_waitcnt lgkmcnt(0)
	v_cmp_ne_u32_e32 vcc_lo, 0, v1
	s_cbranch_vccnz .LBB128_159
; %bb.156:                              ;   in Loop: Header=BB128_21 Depth=1
	s_and_saveexec_b32 s7, s0
	s_cbranch_execz .LBB128_158
; %bb.157:                              ;   in Loop: Header=BB128_21 Depth=1
	v_mov_b32_e32 v1, s19
	ds_store_b32 v7, v1 offset:4108
.LBB128_158:                            ;   in Loop: Header=BB128_21 Depth=1
	s_or_b32 exec_lo, exec_lo, s7
	s_waitcnt lgkmcnt(0)
	s_barrier
	buffer_gl0_inv
.LBB128_159:                            ;   in Loop: Header=BB128_21 Depth=1
	s_lshl_b32 s7, 1, s16
	s_and_b32 s65, s63, s17
	s_or_b32 s67, s64, s9
	s_or_b32 s66, s65, s7
	s_mov_b32 s65, 0
	s_mov_b32 s7, 8
.LBB128_160:                            ;   in Loop: Header=BB128_21 Depth=1
	s_and_not1_b32 vcc_lo, exec_lo, s65
	s_cbranch_vccnz .LBB128_162
; %bb.161:                              ;   in Loop: Header=BB128_21 Depth=1
	s_sub_i32 s20, s20, s19
	s_mov_b32 s65, -1
	s_mov_b32 s7, 0
	s_mov_b32 s66, s63
	;; [unrolled: 1-line block ×3, first 2 shown]
.LBB128_162:                            ;   in Loop: Header=BB128_21 Depth=1
	s_delay_alu instid0(SALU_CYCLE_1)
	s_mov_b32 s64, s67
	s_mov_b32 s63, s66
	;; [unrolled: 1-line block ×3, first 2 shown]
	s_and_not1_b32 vcc_lo, exec_lo, s65
	s_mov_b32 s70, -1
	s_cbranch_vccz .LBB128_165
.LBB128_163:                            ;   in Loop: Header=BB128_21 Depth=1
                                        ; implicit-def: $sgpr20
                                        ; implicit-def: $sgpr65
                                        ; implicit-def: $sgpr19
	s_branch .LBB128_247
.LBB128_164:                            ;   in Loop: Header=BB128_21 Depth=1
	s_mov_b32 s7, 1
	s_and_not1_b32 vcc_lo, exec_lo, s65
	s_mov_b32 s70, -1
	s_cbranch_vccnz .LBB128_163
.LBB128_165:                            ;   in Loop: Header=BB128_21 Depth=1
	s_cmp_eq_u32 s14, 1
	s_mov_b32 s69, -1
	s_cselect_b32 s7, -1, 0
	s_cmp_eq_u32 s68, 1
	s_cselect_b32 s19, -1, 0
	s_delay_alu instid0(SALU_CYCLE_1) | instskip(NEXT) | instid1(SALU_CYCLE_1)
	s_and_b32 s67, s7, s19
	s_and_b32 vcc_lo, exec_lo, s67
	s_cbranch_vccz .LBB128_177
; %bb.166:                              ;   in Loop: Header=BB128_21 Depth=1
	ds_load_b32 v1, v7 offset:4104
	s_waitcnt lgkmcnt(0)
	s_barrier
	buffer_gl0_inv
	v_readfirstlane_b32 s19, v1
	s_and_saveexec_b32 s7, s1
	s_cbranch_execz .LBB128_168
; %bb.167:                              ;   in Loop: Header=BB128_21 Depth=1
	ds_store_b16 v16, v7
.LBB128_168:                            ;   in Loop: Header=BB128_21 Depth=1
	s_or_b32 exec_lo, exec_lo, s7
	s_lshl_b32 s7, 2, s16
	s_and_b32 s20, s63, s17
	s_or_b32 s64, s64, s9
	s_or_b32 s63, s20, s7
	s_cmp_eq_u32 s19, 0
	s_waitcnt lgkmcnt(0)
	s_barrier
	buffer_gl0_inv
	s_cbranch_scc1 .LBB128_178
; %bb.169:                              ;   in Loop: Header=BB128_21 Depth=1
	s_add_i32 s7, s19, s40
	s_mov_b32 s69, 0
	s_mul_hi_u32 s20, s7, s49
                                        ; implicit-def: $vgpr27
	s_delay_alu instid0(SALU_CYCLE_1) | instskip(NEXT) | instid1(SALU_CYCLE_1)
	s_mul_i32 s20, s20, s27
	s_sub_i32 s20, s7, s20
	s_delay_alu instid0(SALU_CYCLE_1) | instskip(SKIP_2) | instid1(SALU_CYCLE_1)
	s_sub_i32 s65, s20, s27
	s_cmp_ge_u32 s20, s27
	s_cselect_b32 s20, s65, s20
	s_sub_i32 s65, s20, s27
	s_cmp_ge_u32 s20, s27
	s_cselect_b32 s20, s65, s20
	s_delay_alu instid0(SALU_CYCLE_1)
	s_sub_i32 s65, s7, s20
	s_mov_b32 s20, exec_lo
	v_cmpx_gt_u32_e64 s65, v0
	s_cbranch_execz .LBB128_180
; %bb.170:                              ;   in Loop: Header=BB128_21 Depth=1
	v_dual_mov_b32 v1, v15 :: v_dual_mov_b32 v2, v0
	s_mov_b32 s66, 0
                                        ; implicit-def: $sgpr69
	s_set_inst_prefetch_distance 0x1
	s_branch .LBB128_172
	.p2align	6
.LBB128_171:                            ;   in Loop: Header=BB128_172 Depth=2
	s_or_b32 exec_lo, exec_lo, s7
	s_waitcnt lgkmcnt(0)
	s_barrier
	buffer_gl0_inv
	ds_load_b32 v3, v7 offset:3072
	v_add_nc_u32_e32 v2, s27, v2
	v_add_nc_u32_e32 v1, s53, v1
	s_waitcnt lgkmcnt(0)
	s_barrier
	buffer_gl0_inv
	v_cmp_le_u32_e32 vcc_lo, s65, v2
	v_cmp_neq_f16_e64 s7, 0, v3
	s_delay_alu instid0(VALU_DEP_1) | instskip(NEXT) | instid1(SALU_CYCLE_1)
	s_or_b32 s70, vcc_lo, s7
	s_and_b32 s70, exec_lo, s70
	s_delay_alu instid0(SALU_CYCLE_1) | instskip(SKIP_2) | instid1(SALU_CYCLE_1)
	s_or_b32 s66, s70, s66
	s_and_not1_b32 s69, s69, exec_lo
	s_and_b32 s7, s7, exec_lo
	s_or_b32 s69, s69, s7
	s_and_not1_b32 exec_lo, exec_lo, s66
	s_cbranch_execz .LBB128_179
.LBB128_172:                            ;   Parent Loop BB128_21 Depth=1
                                        ; =>  This Inner Loop Header: Depth=2
	s_delay_alu instid0(VALU_DEP_1)
	v_cmp_gt_u32_e32 vcc_lo, s19, v2
	v_mov_b32_e32 v3, 0
	s_and_saveexec_b32 s7, vcc_lo
	s_cbranch_execz .LBB128_174
; %bb.173:                              ;   in Loop: Header=BB128_172 Depth=2
	ds_load_u16 v3, v1
.LBB128_174:                            ;   in Loop: Header=BB128_172 Depth=2
	s_or_b32 exec_lo, exec_lo, s7
	s_and_saveexec_b32 s7, vcc_lo
	s_cbranch_execz .LBB128_171
; %bb.175:                              ;   in Loop: Header=BB128_172 Depth=2
	s_waitcnt lgkmcnt(0)
	v_cmp_lt_i16_e32 vcc_lo, -1, v3
	v_and_b32_e32 v4, 0xffff, v3
	v_cndmask_b32_e32 v6, 0xffff, v26, vcc_lo
	v_cmp_o_f16_e32 vcc_lo, v3, v3
	s_delay_alu instid0(VALU_DEP_2) | instskip(NEXT) | instid1(VALU_DEP_1)
	v_xor_b32_e32 v4, v6, v4
	v_cndmask_b32_e32 v4, 0xffff, v4, vcc_lo
	s_delay_alu instid0(VALU_DEP_1) | instskip(NEXT) | instid1(VALU_DEP_1)
	v_and_b32_e32 v4, s64, v4
	v_cmp_eq_u32_e32 vcc_lo, s63, v4
	s_and_b32 exec_lo, exec_lo, vcc_lo
	s_cbranch_execz .LBB128_171
; %bb.176:                              ;   in Loop: Header=BB128_172 Depth=2
	v_perm_b32 v3, v3, s54, 0x5040100
	ds_store_b32 v7, v3 offset:3072
	s_branch .LBB128_171
.LBB128_177:                            ;   in Loop: Header=BB128_21 Depth=1
                                        ; implicit-def: $sgpr19
                                        ; implicit-def: $sgpr65
                                        ; implicit-def: $sgpr20
	s_branch .LBB128_191
.LBB128_178:                            ;   in Loop: Header=BB128_21 Depth=1
	s_mov_b32 s19, -1
	s_mov_b32 s69, 0
                                        ; implicit-def: $sgpr20
                                        ; implicit-def: $vgpr27
	s_mov_b32 s65, s19
	s_cbranch_execnz .LBB128_181
	s_branch .LBB128_191
.LBB128_179:                            ;   in Loop: Header=BB128_21 Depth=1
	s_set_inst_prefetch_distance 0x2
	s_or_b32 exec_lo, exec_lo, s66
	v_lshrrev_b32_e32 v27, 16, v3
	s_and_b32 s69, s69, exec_lo
.LBB128_180:                            ;   in Loop: Header=BB128_21 Depth=1
	s_or_b32 exec_lo, exec_lo, s20
	s_mov_b32 s20, -1
	s_mov_b32 s19, 0
	s_delay_alu instid0(SALU_CYCLE_1)
	s_mov_b32 s65, s19
	s_branch .LBB128_191
.LBB128_181:                            ;   in Loop: Header=BB128_21 Depth=1
	s_mov_b32 s69, 0
                                        ; implicit-def: $vgpr27
	s_and_saveexec_b32 s19, s6
	s_cbranch_execz .LBB128_190
; %bb.182:                              ;   in Loop: Header=BB128_21 Depth=1
	v_dual_mov_b32 v6, v5 :: v_dual_mov_b32 v1, v0
	s_mov_b32 s20, 0
                                        ; implicit-def: $sgpr65
	s_branch .LBB128_184
.LBB128_183:                            ;   in Loop: Header=BB128_184 Depth=2
	s_or_b32 exec_lo, exec_lo, s7
	s_waitcnt vmcnt(0) lgkmcnt(0)
	s_barrier
	buffer_gl0_inv
	ds_load_b32 v2, v7 offset:3072
	v_add_nc_u32_e32 v1, s27, v1
	v_add_nc_u32_e32 v6, s37, v6
	s_waitcnt lgkmcnt(0)
	s_barrier
	buffer_gl0_inv
	v_cmp_le_u32_e32 vcc_lo, s51, v1
	v_cmp_neq_f16_e64 s7, 0, v2
	s_delay_alu instid0(VALU_DEP_1) | instskip(NEXT) | instid1(SALU_CYCLE_1)
	s_or_b32 s66, vcc_lo, s7
	s_and_b32 s66, exec_lo, s66
	s_delay_alu instid0(SALU_CYCLE_1) | instskip(SKIP_2) | instid1(SALU_CYCLE_1)
	s_or_b32 s20, s66, s20
	s_and_not1_b32 s65, s65, exec_lo
	s_and_b32 s7, s7, exec_lo
	s_or_b32 s65, s65, s7
	s_and_not1_b32 exec_lo, exec_lo, s20
	s_cbranch_execz .LBB128_189
.LBB128_184:                            ;   Parent Loop BB128_21 Depth=1
                                        ; =>  This Inner Loop Header: Depth=2
	s_delay_alu instid0(VALU_DEP_1)
	v_cmp_gt_u32_e32 vcc_lo, s24, v1
	v_mov_b32_e32 v2, 0
	s_and_saveexec_b32 s66, vcc_lo
	s_cbranch_execz .LBB128_186
; %bb.185:                              ;   in Loop: Header=BB128_184 Depth=2
	v_lshlrev_b64 v[2:3], 1, v[6:7]
	s_delay_alu instid0(VALU_DEP_1) | instskip(NEXT) | instid1(VALU_DEP_1)
	v_add_co_u32 v2, s7, s25, v2
	v_add_co_ci_u32_e64 v3, s7, s33, v3, s7
	global_load_u16 v2, v[2:3], off
.LBB128_186:                            ;   in Loop: Header=BB128_184 Depth=2
	s_or_b32 exec_lo, exec_lo, s66
	s_and_saveexec_b32 s7, vcc_lo
	s_cbranch_execz .LBB128_183
; %bb.187:                              ;   in Loop: Header=BB128_184 Depth=2
	s_waitcnt vmcnt(0)
	v_cmp_lt_i16_e32 vcc_lo, -1, v2
	v_and_b32_e32 v3, 0xffff, v2
	v_cndmask_b32_e32 v4, 0xffff, v26, vcc_lo
	v_cmp_o_f16_e32 vcc_lo, v2, v2
	s_delay_alu instid0(VALU_DEP_2) | instskip(NEXT) | instid1(VALU_DEP_1)
	v_xor_b32_e32 v3, v4, v3
	v_cndmask_b32_e32 v3, 0xffff, v3, vcc_lo
	s_delay_alu instid0(VALU_DEP_1) | instskip(NEXT) | instid1(VALU_DEP_1)
	v_and_b32_e32 v3, s64, v3
	v_cmp_eq_u32_e32 vcc_lo, s63, v3
	s_and_b32 exec_lo, exec_lo, vcc_lo
	s_cbranch_execz .LBB128_183
; %bb.188:                              ;   in Loop: Header=BB128_184 Depth=2
	v_perm_b32 v2, v2, s54, 0x5040100
	ds_store_b32 v7, v2 offset:3072
	s_branch .LBB128_183
.LBB128_189:                            ;   in Loop: Header=BB128_21 Depth=1
	s_or_b32 exec_lo, exec_lo, s20
	v_lshrrev_b32_e32 v27, 16, v2
	s_and_b32 s69, s65, exec_lo
.LBB128_190:                            ;   in Loop: Header=BB128_21 Depth=1
	s_or_b32 exec_lo, exec_lo, s19
	s_mov_b32 s65, -1
	s_mov_b32 s19, 0
	s_mov_b32 s20, 0
.LBB128_191:                            ;   in Loop: Header=BB128_21 Depth=1
	s_mov_b32 s70, 0
                                        ; implicit-def: $sgpr7
	s_and_saveexec_b32 s66, s69
	s_cbranch_execz .LBB128_246
; %bb.192:                              ;   in Loop: Header=BB128_21 Depth=1
	s_xor_b32 s7, s67, -1
	s_mov_b32 s69, 0
	s_and_not1_b32 vcc_lo, exec_lo, s7
	s_mov_b32 s67, 1
	s_cbranch_vccnz .LBB128_203
; %bb.193:                              ;   in Loop: Header=BB128_21 Depth=1
	s_cmp_gt_u32 s68, s14
	s_mov_b32 s69, -1
                                        ; implicit-def: $sgpr7
                                        ; implicit-def: $sgpr67
                                        ; implicit-def: $sgpr70
	s_cbranch_scc1 .LBB128_199
; %bb.194:                              ;   in Loop: Header=BB128_21 Depth=1
	ds_load_b32 v1, v7 offset:4104
	s_waitcnt lgkmcnt(0)
	v_cmp_ne_u32_e32 vcc_lo, 0, v1
	s_cbranch_vccnz .LBB128_198
; %bb.195:                              ;   in Loop: Header=BB128_21 Depth=1
	s_and_saveexec_b32 s7, s0
	s_cbranch_execz .LBB128_197
; %bb.196:                              ;   in Loop: Header=BB128_21 Depth=1
	v_mov_b32_e32 v1, s14
	ds_store_b32 v7, v1 offset:4108
.LBB128_197:                            ;   in Loop: Header=BB128_21 Depth=1
	s_or_b32 exec_lo, exec_lo, s7
	s_waitcnt lgkmcnt(0)
	s_barrier
	buffer_gl0_inv
.LBB128_198:                            ;   in Loop: Header=BB128_21 Depth=1
	s_lshl_b32 s7, 2, s16
	s_and_b32 s16, s63, s17
	s_or_b32 s70, s64, s9
	s_or_b32 s67, s16, s7
	s_mov_b32 s69, 0
	s_mov_b32 s7, 8
.LBB128_199:                            ;   in Loop: Header=BB128_21 Depth=1
	s_and_not1_b32 vcc_lo, exec_lo, s69
	s_cbranch_vccnz .LBB128_201
; %bb.200:                              ;   in Loop: Header=BB128_21 Depth=1
	s_sub_i32 s68, s68, s14
	s_mov_b32 s69, -1
	s_mov_b32 s7, 0
	s_mov_b32 s67, s63
	;; [unrolled: 1-line block ×3, first 2 shown]
.LBB128_201:                            ;   in Loop: Header=BB128_21 Depth=1
	s_delay_alu instid0(SALU_CYCLE_1)
	s_mov_b32 s64, s70
	s_mov_b32 s63, s67
	;; [unrolled: 1-line block ×3, first 2 shown]
	s_and_not1_b32 vcc_lo, exec_lo, s69
	s_mov_b32 s71, -1
	s_cbranch_vccz .LBB128_204
.LBB128_202:                            ;   in Loop: Header=BB128_21 Depth=1
                                        ; implicit-def: $sgpr16
                                        ; implicit-def: $sgpr68
                                        ; implicit-def: $sgpr17
	s_branch .LBB128_245
.LBB128_203:                            ;   in Loop: Header=BB128_21 Depth=1
	s_mov_b32 s7, 1
	s_and_not1_b32 vcc_lo, exec_lo, s69
	s_mov_b32 s71, -1
	s_cbranch_vccnz .LBB128_202
.LBB128_204:                            ;   in Loop: Header=BB128_21 Depth=1
	s_cmp_eq_u32 s8, 1
	s_mov_b32 s69, -1
	s_cselect_b32 s7, -1, 0
	s_cmp_eq_u32 s67, 1
	s_cselect_b32 s14, -1, 0
	s_delay_alu instid0(SALU_CYCLE_1) | instskip(NEXT) | instid1(SALU_CYCLE_1)
	s_and_b32 s14, s7, s14
	s_and_b32 vcc_lo, exec_lo, s14
	s_cbranch_vccz .LBB128_216
; %bb.205:                              ;   in Loop: Header=BB128_21 Depth=1
	ds_load_b32 v1, v7 offset:4104
	s_waitcnt lgkmcnt(0)
	s_barrier
	buffer_gl0_inv
	v_readfirstlane_b32 s16, v1
	s_and_saveexec_b32 s7, s1
	s_cbranch_execz .LBB128_207
; %bb.206:                              ;   in Loop: Header=BB128_21 Depth=1
	ds_store_b16 v16, v7
.LBB128_207:                            ;   in Loop: Header=BB128_21 Depth=1
	s_or_b32 exec_lo, exec_lo, s7
	s_or_b32 s63, s63, s9
	s_or_b32 s64, s64, s9
	s_cmp_eq_u32 s16, 0
	s_waitcnt lgkmcnt(0)
	s_barrier
	buffer_gl0_inv
	s_cbranch_scc1 .LBB128_217
; %bb.208:                              ;   in Loop: Header=BB128_21 Depth=1
	s_add_i32 s7, s16, s40
	s_mov_b32 s69, 0
	s_mul_hi_u32 s17, s7, s49
                                        ; implicit-def: $vgpr27
	s_delay_alu instid0(SALU_CYCLE_1) | instskip(NEXT) | instid1(SALU_CYCLE_1)
	s_mul_i32 s17, s17, s27
	s_sub_i32 s17, s7, s17
	s_delay_alu instid0(SALU_CYCLE_1) | instskip(SKIP_2) | instid1(SALU_CYCLE_1)
	s_sub_i32 s68, s17, s27
	s_cmp_ge_u32 s17, s27
	s_cselect_b32 s17, s68, s17
	s_sub_i32 s68, s17, s27
	s_cmp_ge_u32 s17, s27
	s_cselect_b32 s17, s68, s17
	s_delay_alu instid0(SALU_CYCLE_1)
	s_sub_i32 s68, s7, s17
	s_mov_b32 s17, exec_lo
	v_cmpx_gt_u32_e64 s68, v0
	s_cbranch_execz .LBB128_219
; %bb.209:                              ;   in Loop: Header=BB128_21 Depth=1
	v_dual_mov_b32 v1, v15 :: v_dual_mov_b32 v2, v0
                                        ; implicit-def: $sgpr70
	s_set_inst_prefetch_distance 0x1
	s_branch .LBB128_211
	.p2align	6
.LBB128_210:                            ;   in Loop: Header=BB128_211 Depth=2
	s_or_b32 exec_lo, exec_lo, s7
	s_waitcnt lgkmcnt(0)
	s_barrier
	buffer_gl0_inv
	ds_load_b32 v3, v7 offset:3072
	v_add_nc_u32_e32 v2, s27, v2
	v_add_nc_u32_e32 v1, s53, v1
	s_waitcnt lgkmcnt(0)
	s_barrier
	buffer_gl0_inv
	v_cmp_le_u32_e32 vcc_lo, s68, v2
	v_cmp_neq_f16_e64 s7, 0, v3
	s_delay_alu instid0(VALU_DEP_1) | instskip(NEXT) | instid1(SALU_CYCLE_1)
	s_or_b32 s71, vcc_lo, s7
	s_and_b32 s71, exec_lo, s71
	s_delay_alu instid0(SALU_CYCLE_1) | instskip(SKIP_2) | instid1(SALU_CYCLE_1)
	s_or_b32 s69, s71, s69
	s_and_not1_b32 s70, s70, exec_lo
	s_and_b32 s7, s7, exec_lo
	s_or_b32 s70, s70, s7
	s_and_not1_b32 exec_lo, exec_lo, s69
	s_cbranch_execz .LBB128_218
.LBB128_211:                            ;   Parent Loop BB128_21 Depth=1
                                        ; =>  This Inner Loop Header: Depth=2
	s_delay_alu instid0(VALU_DEP_1)
	v_cmp_gt_u32_e32 vcc_lo, s16, v2
	v_mov_b32_e32 v3, 0
	s_and_saveexec_b32 s7, vcc_lo
	s_cbranch_execz .LBB128_213
; %bb.212:                              ;   in Loop: Header=BB128_211 Depth=2
	ds_load_u16 v3, v1
.LBB128_213:                            ;   in Loop: Header=BB128_211 Depth=2
	s_or_b32 exec_lo, exec_lo, s7
	s_and_saveexec_b32 s7, vcc_lo
	s_cbranch_execz .LBB128_210
; %bb.214:                              ;   in Loop: Header=BB128_211 Depth=2
	s_waitcnt lgkmcnt(0)
	v_cmp_lt_i16_e32 vcc_lo, -1, v3
	v_and_b32_e32 v4, 0xffff, v3
	v_cndmask_b32_e32 v6, 0xffff, v26, vcc_lo
	v_cmp_o_f16_e32 vcc_lo, v3, v3
	s_delay_alu instid0(VALU_DEP_2) | instskip(NEXT) | instid1(VALU_DEP_1)
	v_xor_b32_e32 v4, v6, v4
	v_cndmask_b32_e32 v4, 0xffff, v4, vcc_lo
	s_delay_alu instid0(VALU_DEP_1) | instskip(NEXT) | instid1(VALU_DEP_1)
	v_and_b32_e32 v4, s64, v4
	v_cmp_eq_u32_e32 vcc_lo, s63, v4
	s_and_b32 exec_lo, exec_lo, vcc_lo
	s_cbranch_execz .LBB128_210
; %bb.215:                              ;   in Loop: Header=BB128_211 Depth=2
	v_perm_b32 v3, v3, s54, 0x5040100
	ds_store_b32 v7, v3 offset:3072
	s_branch .LBB128_210
.LBB128_216:                            ;   in Loop: Header=BB128_21 Depth=1
                                        ; implicit-def: $sgpr16
                                        ; implicit-def: $sgpr68
                                        ; implicit-def: $sgpr17
	s_branch .LBB128_230
.LBB128_217:                            ;   in Loop: Header=BB128_21 Depth=1
	s_mov_b32 s16, -1
	s_mov_b32 s69, 0
                                        ; implicit-def: $sgpr17
                                        ; implicit-def: $vgpr27
	s_mov_b32 s68, s16
	s_cbranch_execnz .LBB128_220
	s_branch .LBB128_230
.LBB128_218:                            ;   in Loop: Header=BB128_21 Depth=1
	s_set_inst_prefetch_distance 0x2
	s_or_b32 exec_lo, exec_lo, s69
	v_lshrrev_b32_e32 v27, 16, v3
	s_and_b32 s69, s70, exec_lo
.LBB128_219:                            ;   in Loop: Header=BB128_21 Depth=1
	s_or_b32 exec_lo, exec_lo, s17
	s_mov_b32 s17, -1
	s_mov_b32 s16, 0
	s_delay_alu instid0(SALU_CYCLE_1)
	s_mov_b32 s68, s16
	s_branch .LBB128_230
.LBB128_220:                            ;   in Loop: Header=BB128_21 Depth=1
	s_mov_b32 s69, 0
                                        ; implicit-def: $vgpr27
	s_and_saveexec_b32 s16, s6
	s_cbranch_execz .LBB128_229
; %bb.221:                              ;   in Loop: Header=BB128_21 Depth=1
	v_dual_mov_b32 v6, v5 :: v_dual_mov_b32 v1, v0
	s_mov_b32 s17, 0
                                        ; implicit-def: $sgpr68
	s_branch .LBB128_223
.LBB128_222:                            ;   in Loop: Header=BB128_223 Depth=2
	s_or_b32 exec_lo, exec_lo, s7
	s_waitcnt vmcnt(0) lgkmcnt(0)
	s_barrier
	buffer_gl0_inv
	ds_load_b32 v2, v7 offset:3072
	v_add_nc_u32_e32 v1, s27, v1
	v_add_nc_u32_e32 v6, s37, v6
	s_waitcnt lgkmcnt(0)
	s_barrier
	buffer_gl0_inv
	v_cmp_le_u32_e32 vcc_lo, s51, v1
	v_cmp_neq_f16_e64 s7, 0, v2
	s_delay_alu instid0(VALU_DEP_1) | instskip(NEXT) | instid1(SALU_CYCLE_1)
	s_or_b32 s69, vcc_lo, s7
	s_and_b32 s69, exec_lo, s69
	s_delay_alu instid0(SALU_CYCLE_1) | instskip(SKIP_2) | instid1(SALU_CYCLE_1)
	s_or_b32 s17, s69, s17
	s_and_not1_b32 s68, s68, exec_lo
	s_and_b32 s7, s7, exec_lo
	s_or_b32 s68, s68, s7
	s_and_not1_b32 exec_lo, exec_lo, s17
	s_cbranch_execz .LBB128_228
.LBB128_223:                            ;   Parent Loop BB128_21 Depth=1
                                        ; =>  This Inner Loop Header: Depth=2
	s_delay_alu instid0(VALU_DEP_1)
	v_cmp_gt_u32_e32 vcc_lo, s24, v1
	v_mov_b32_e32 v2, 0
	s_and_saveexec_b32 s69, vcc_lo
	s_cbranch_execz .LBB128_225
; %bb.224:                              ;   in Loop: Header=BB128_223 Depth=2
	v_lshlrev_b64 v[2:3], 1, v[6:7]
	s_delay_alu instid0(VALU_DEP_1) | instskip(NEXT) | instid1(VALU_DEP_1)
	v_add_co_u32 v2, s7, s25, v2
	v_add_co_ci_u32_e64 v3, s7, s33, v3, s7
	global_load_u16 v2, v[2:3], off
.LBB128_225:                            ;   in Loop: Header=BB128_223 Depth=2
	s_or_b32 exec_lo, exec_lo, s69
	s_and_saveexec_b32 s7, vcc_lo
	s_cbranch_execz .LBB128_222
; %bb.226:                              ;   in Loop: Header=BB128_223 Depth=2
	s_waitcnt vmcnt(0)
	v_cmp_lt_i16_e32 vcc_lo, -1, v2
	v_and_b32_e32 v3, 0xffff, v2
	v_cndmask_b32_e32 v4, 0xffff, v26, vcc_lo
	v_cmp_o_f16_e32 vcc_lo, v2, v2
	s_delay_alu instid0(VALU_DEP_2) | instskip(NEXT) | instid1(VALU_DEP_1)
	v_xor_b32_e32 v3, v4, v3
	v_cndmask_b32_e32 v3, 0xffff, v3, vcc_lo
	s_delay_alu instid0(VALU_DEP_1) | instskip(NEXT) | instid1(VALU_DEP_1)
	v_and_b32_e32 v3, s64, v3
	v_cmp_eq_u32_e32 vcc_lo, s63, v3
	s_and_b32 exec_lo, exec_lo, vcc_lo
	s_cbranch_execz .LBB128_222
; %bb.227:                              ;   in Loop: Header=BB128_223 Depth=2
	v_perm_b32 v2, v2, s54, 0x5040100
	ds_store_b32 v7, v2 offset:3072
	s_branch .LBB128_222
.LBB128_228:                            ;   in Loop: Header=BB128_21 Depth=1
	s_or_b32 exec_lo, exec_lo, s17
	v_lshrrev_b32_e32 v27, 16, v2
	s_and_b32 s69, s68, exec_lo
.LBB128_229:                            ;   in Loop: Header=BB128_21 Depth=1
	s_or_b32 exec_lo, exec_lo, s16
	s_mov_b32 s68, -1
	s_mov_b32 s16, 0
	s_mov_b32 s17, 0
.LBB128_230:                            ;   in Loop: Header=BB128_21 Depth=1
	s_mov_b32 s71, 0
                                        ; implicit-def: $sgpr7
	s_and_saveexec_b32 s70, s69
	s_cbranch_execz .LBB128_244
; %bb.231:                              ;   in Loop: Header=BB128_21 Depth=1
	s_xor_b32 s7, s14, -1
	s_delay_alu instid0(SALU_CYCLE_1)
	s_and_not1_b32 vcc_lo, exec_lo, s7
	s_mov_b32 s7, 1
	s_cbranch_vccnz .LBB128_238
; %bb.232:                              ;   in Loop: Header=BB128_21 Depth=1
	s_cmp_gt_u32 s67, s8
	s_cbranch_scc1 .LBB128_239
; %bb.233:                              ;   in Loop: Header=BB128_21 Depth=1
	ds_load_b32 v1, v7 offset:4104
	s_waitcnt lgkmcnt(0)
	v_cmp_ne_u32_e32 vcc_lo, 0, v1
	s_cbranch_vccnz .LBB128_237
; %bb.234:                              ;   in Loop: Header=BB128_21 Depth=1
	s_and_saveexec_b32 s7, s0
	s_cbranch_execz .LBB128_236
; %bb.235:                              ;   in Loop: Header=BB128_21 Depth=1
	v_mov_b32_e32 v1, s8
	ds_store_b32 v7, v1 offset:4108
.LBB128_236:                            ;   in Loop: Header=BB128_21 Depth=1
	s_or_b32 exec_lo, exec_lo, s7
	s_waitcnt lgkmcnt(0)
	s_barrier
	buffer_gl0_inv
.LBB128_237:                            ;   in Loop: Header=BB128_21 Depth=1
	s_or_b32 s14, s63, s9
	s_or_b32 s9, s64, s9
	s_mov_b32 s69, 0
	s_mov_b32 s7, 8
	s_branch .LBB128_240
.LBB128_238:                            ;   in Loop: Header=BB128_21 Depth=1
	s_mov_b32 s67, 1
	s_branch .LBB128_243
.LBB128_239:                            ;   in Loop: Header=BB128_21 Depth=1
	s_mov_b32 s69, -1
                                        ; implicit-def: $sgpr7
                                        ; implicit-def: $sgpr14
                                        ; implicit-def: $sgpr9
.LBB128_240:                            ;   in Loop: Header=BB128_21 Depth=1
	s_delay_alu instid0(SALU_CYCLE_1)
	s_and_not1_b32 vcc_lo, exec_lo, s69
	s_cbranch_vccnz .LBB128_242
; %bb.241:                              ;   in Loop: Header=BB128_21 Depth=1
	s_sub_i32 s67, s67, s8
	s_mov_b32 s7, 8
	s_mov_b32 s14, s63
	;; [unrolled: 1-line block ×3, first 2 shown]
.LBB128_242:                            ;   in Loop: Header=BB128_21 Depth=1
	s_mov_b32 s63, s14
	s_mov_b32 s64, s9
.LBB128_243:                            ;   in Loop: Header=BB128_21 Depth=1
	s_mov_b32 s71, exec_lo
.LBB128_244:                            ;   in Loop: Header=BB128_21 Depth=1
	s_or_b32 exec_lo, exec_lo, s70
.LBB128_245:                            ;   in Loop: Header=BB128_21 Depth=1
	s_delay_alu instid0(SALU_CYCLE_1)
	s_and_not1_b32 s8, s19, exec_lo
	s_and_b32 s9, s16, exec_lo
	s_and_not1_b32 s14, s20, exec_lo
	s_or_b32 s19, s8, s9
	s_and_not1_b32 s8, s65, exec_lo
	s_and_b32 s9, s68, exec_lo
	s_and_b32 s16, s17, exec_lo
	s_or_b32 s65, s8, s9
	s_or_b32 s20, s14, s16
	s_and_b32 s70, s71, exec_lo
	s_mov_b32 s68, s67
.LBB128_246:                            ;   in Loop: Header=BB128_21 Depth=1
	s_or_b32 exec_lo, exec_lo, s66
.LBB128_247:                            ;   in Loop: Header=BB128_21 Depth=1
	s_delay_alu instid0(SALU_CYCLE_1)
	s_and_not1_b32 s8, s13, exec_lo
	s_and_b32 s9, s19, exec_lo
	s_and_not1_b32 s12, s12, exec_lo
	s_or_b32 s13, s8, s9
	s_and_not1_b32 s8, s15, exec_lo
	s_and_b32 s9, s65, exec_lo
	s_and_b32 s14, s20, exec_lo
	s_or_b32 s15, s8, s9
	s_or_b32 s12, s12, s14
	s_and_b32 s67, s70, exec_lo
	s_mov_b32 s20, s68
.LBB128_248:                            ;   in Loop: Header=BB128_21 Depth=1
	s_or_b32 exec_lo, exec_lo, s18
                                        ; implicit-def: $sgpr65
	s_and_saveexec_b32 s8, s67
	s_delay_alu instid0(SALU_CYCLE_1)
	s_xor_b32 s8, exec_lo, s8
	s_cbranch_execz .LBB128_19
.LBB128_249:                            ;   in Loop: Header=BB128_21 Depth=1
	s_and_b32 s7, s7, -9
	s_delay_alu instid0(SALU_CYCLE_1)
	s_cmp_eq_u32 s7, 0
	s_cbranch_scc1 .LBB128_17
; %bb.250:                              ;   in Loop: Header=BB128_21 Depth=1
	s_mov_b32 s7, -1
	s_mov_b32 s9, -1
                                        ; implicit-def: $sgpr64
                                        ; implicit-def: $sgpr20
                                        ; implicit-def: $sgpr58
                                        ; implicit-def: $sgpr61
	s_branch .LBB128_18
.LBB128_251:
	s_or_b32 exec_lo, exec_lo, s36
	s_xor_b32 s4, s57, -1
	s_xor_b32 s3, s55, -1
	;; [unrolled: 1-line block ×3, first 2 shown]
	s_mov_b32 s0, 0
	s_and_saveexec_b32 s5, s3
	s_delay_alu instid0(SALU_CYCLE_1)
	s_xor_b32 s3, exec_lo, s5
	s_cbranch_execz .LBB128_265
; %bb.252:
	s_and_saveexec_b32 s0, s4
	s_delay_alu instid0(SALU_CYCLE_1)
	s_xor_b32 s4, exec_lo, s0
	s_cbranch_execz .LBB128_263
; %bb.253:
	s_and_saveexec_b32 s0, s1
	s_delay_alu instid0(SALU_CYCLE_1)
	s_xor_b32 s0, exec_lo, s0
; %bb.254:
	v_and_b32_e32 v2, 0x8000, v1
	v_mov_b32_e32 v3, 0xffff
	s_delay_alu instid0(VALU_DEP_2) | instskip(NEXT) | instid1(VALU_DEP_2)
	v_cmp_eq_u32_e32 vcc_lo, 0, v2
	v_cndmask_b32_e32 v2, 0x8000, v3, vcc_lo
	s_delay_alu instid0(VALU_DEP_1)
	v_xor_b32_e32 v27, v2, v1
; %bb.255:
	s_or_b32 exec_lo, exec_lo, s0
	s_mul_i32 s0, s35, s21
	s_mov_b32 s1, 0
	v_mov_b32_e32 v6, 0
	s_lshl_b64 s[6:7], s[0:1], 1
	s_delay_alu instid0(SALU_CYCLE_1)
	s_add_u32 s6, s28, s6
	s_addc_u32 s7, s29, s7
	global_store_b16 v6, v27, s[6:7]
	s_and_saveexec_b32 s5, s2
	s_cbranch_execz .LBB128_262
; %bb.256:
	v_cmp_u_f16_e32 vcc_lo, v27, v27
                                        ; implicit-def: $sgpr2
                                        ; implicit-def: $sgpr8
                                        ; implicit-def: $sgpr7
	s_xor_b32 s6, vcc_lo, -1
	s_set_inst_prefetch_distance 0x1
	s_branch .LBB128_258
	.p2align	6
.LBB128_257:                            ;   in Loop: Header=BB128_258 Depth=1
	s_or_b32 exec_lo, exec_lo, s0
	s_delay_alu instid0(SALU_CYCLE_1) | instskip(NEXT) | instid1(SALU_CYCLE_1)
	s_and_b32 s0, exec_lo, s8
	s_or_b32 s1, s0, s1
	s_and_not1_b32 s0, s2, exec_lo
	s_and_b32 s2, s7, exec_lo
	s_delay_alu instid0(SALU_CYCLE_1)
	s_or_b32 s2, s0, s2
	s_and_not1_b32 exec_lo, exec_lo, s1
	s_cbranch_execz .LBB128_260
.LBB128_258:                            ; =>This Inner Loop Header: Depth=1
	v_lshlrev_b64 v[1:2], 1, v[5:6]
	s_or_b32 s7, s7, exec_lo
	s_or_b32 s8, s8, exec_lo
	s_delay_alu instid0(VALU_DEP_1) | instskip(NEXT) | instid1(VALU_DEP_2)
	v_add_co_u32 v1, vcc_lo, s25, v1
	v_add_co_ci_u32_e32 v2, vcc_lo, s33, v2, vcc_lo
	global_load_u16 v1, v[1:2], off
	s_waitcnt vmcnt(0)
	v_cmp_o_f16_e32 vcc_lo, v1, v1
	v_cmp_neq_f16_e64 s0, v1, v27
	v_mov_b32_e32 v1, v0
                                        ; implicit-def: $vgpr0
	s_or_b32 s9, s6, vcc_lo
	s_delay_alu instid0(VALU_DEP_2) | instid1(SALU_CYCLE_1)
	s_and_b32 s9, s0, s9
	s_delay_alu instid0(SALU_CYCLE_1)
	s_and_saveexec_b32 s0, s9
	s_cbranch_execz .LBB128_257
; %bb.259:                              ;   in Loop: Header=BB128_258 Depth=1
	v_add_nc_u32_e32 v0, s27, v1
	s_and_not1_b32 s8, s8, exec_lo
	v_add_nc_u32_e32 v5, s37, v5
	s_and_not1_b32 s7, s7, exec_lo
	s_delay_alu instid0(VALU_DEP_2) | instskip(SKIP_1) | instid1(SALU_CYCLE_1)
	v_cmp_le_u32_e32 vcc_lo, s24, v0
	s_and_b32 s9, vcc_lo, exec_lo
	s_or_b32 s8, s8, s9
	s_branch .LBB128_257
.LBB128_260:
	s_set_inst_prefetch_distance 0x2
	s_or_b32 exec_lo, exec_lo, s1
	s_and_saveexec_b32 s0, s2
	s_delay_alu instid0(SALU_CYCLE_1)
	s_xor_b32 s0, exec_lo, s0
	s_cbranch_execz .LBB128_262
; %bb.261:
	s_mul_i32 s0, s34, s21
	s_mov_b32 s1, 0
	v_mov_b32_e32 v2, 0
	s_lshl_b64 s[0:1], s[0:1], 3
	s_delay_alu instid0(SALU_CYCLE_1)
	s_add_u32 s0, s22, s0
	s_addc_u32 s1, s23, s1
	global_store_b64 v2, v[1:2], s[0:1]
.LBB128_262:
	s_or_b32 exec_lo, exec_lo, s5
.LBB128_263:
	s_or_saveexec_b32 s0, s4
	s_mov_b32 s1, 0
	s_xor_b32 exec_lo, exec_lo, s0
	s_cbranch_execnz .LBB128_271
.LBB128_264:
	s_or_b32 exec_lo, exec_lo, s0
	s_delay_alu instid0(SALU_CYCLE_1)
	s_and_b32 s0, s1, exec_lo
.LBB128_265:
	s_and_not1_saveexec_b32 s1, s3
	s_cbranch_execnz .LBB128_269
; %bb.266:
	s_or_b32 exec_lo, exec_lo, s1
	s_and_saveexec_b32 s1, s0
.LBB128_267:
	; divergent unreachable
.LBB128_268:
	s_nop 0
	s_sendmsg sendmsg(MSG_DEALLOC_VGPRS)
	s_endpgm
.LBB128_269:
	s_cbranch_execnz .LBB128_273
; %bb.270:
	s_or_b32 s0, s0, exec_lo
	s_or_b32 exec_lo, exec_lo, s1
	s_and_saveexec_b32 s1, s0
	s_cbranch_execnz .LBB128_267
	s_branch .LBB128_268
.LBB128_271:
	s_cbranch_execnz .LBB128_275
; %bb.272:
	s_mov_b32 s1, exec_lo
	s_branch .LBB128_264
.LBB128_273:
	s_trap 2
	s_sendmsg_rtn_b32 s0, sendmsg(MSG_RTN_GET_DOORBELL)
	s_mov_b32 ttmp2, m0
	s_waitcnt lgkmcnt(0)
	s_and_b32 s0, s0, 0x3ff
	s_delay_alu instid0(SALU_CYCLE_1) | instskip(NEXT) | instid1(SALU_CYCLE_1)
	s_bitset1_b32 s0, 10
	s_mov_b32 m0, s0
	s_sendmsg sendmsg(MSG_INTERRUPT)
	s_mov_b32 m0, ttmp2
.LBB128_274:                            ; =>This Inner Loop Header: Depth=1
	s_sethalt 5
	s_branch .LBB128_274
.LBB128_275:
	s_trap 2
	s_sendmsg_rtn_b32 s0, sendmsg(MSG_RTN_GET_DOORBELL)
	s_mov_b32 ttmp2, m0
	s_waitcnt lgkmcnt(0)
	s_and_b32 s0, s0, 0x3ff
	s_delay_alu instid0(SALU_CYCLE_1) | instskip(NEXT) | instid1(SALU_CYCLE_1)
	s_bitset1_b32 s0, 10
	s_mov_b32 m0, s0
	s_sendmsg sendmsg(MSG_INTERRUPT)
	s_mov_b32 m0, ttmp2
.LBB128_276:                            ; =>This Inner Loop Header: Depth=1
	s_sethalt 5
	s_branch .LBB128_276
	.section	.rodata,"a",@progbits
	.p2align	6, 0x0
	.amdhsa_kernel _ZN2at6native12_GLOBAL__N_112gatherMedianIN3c104HalfEjLi1EEEvNS_4cuda6detail10TensorInfoIT_T0_EENS7_IlS9_EENS7_IKS8_S9_EES9_S9_S9_b
		.amdhsa_group_segment_fixed_size 4120
		.amdhsa_private_segment_fixed_size 0
		.amdhsa_kernarg_size 920
		.amdhsa_user_sgpr_count 13
		.amdhsa_user_sgpr_dispatch_ptr 0
		.amdhsa_user_sgpr_queue_ptr 0
		.amdhsa_user_sgpr_kernarg_segment_ptr 1
		.amdhsa_user_sgpr_dispatch_id 0
		.amdhsa_user_sgpr_private_segment_size 0
		.amdhsa_wavefront_size32 1
		.amdhsa_uses_dynamic_stack 0
		.amdhsa_enable_private_segment 0
		.amdhsa_system_sgpr_workgroup_id_x 1
		.amdhsa_system_sgpr_workgroup_id_y 1
		.amdhsa_system_sgpr_workgroup_id_z 1
		.amdhsa_system_sgpr_workgroup_info 0
		.amdhsa_system_vgpr_workitem_id 0
		.amdhsa_next_free_vgpr 34
		.amdhsa_next_free_sgpr 77
		.amdhsa_reserve_vcc 1
		.amdhsa_float_round_mode_32 0
		.amdhsa_float_round_mode_16_64 0
		.amdhsa_float_denorm_mode_32 3
		.amdhsa_float_denorm_mode_16_64 3
		.amdhsa_dx10_clamp 1
		.amdhsa_ieee_mode 1
		.amdhsa_fp16_overflow 0
		.amdhsa_workgroup_processor_mode 1
		.amdhsa_memory_ordered 1
		.amdhsa_forward_progress 0
		.amdhsa_shared_vgpr_count 0
		.amdhsa_exception_fp_ieee_invalid_op 0
		.amdhsa_exception_fp_denorm_src 0
		.amdhsa_exception_fp_ieee_div_zero 0
		.amdhsa_exception_fp_ieee_overflow 0
		.amdhsa_exception_fp_ieee_underflow 0
		.amdhsa_exception_fp_ieee_inexact 0
		.amdhsa_exception_int_div_zero 0
	.end_amdhsa_kernel
	.section	.text._ZN2at6native12_GLOBAL__N_112gatherMedianIN3c104HalfEjLi1EEEvNS_4cuda6detail10TensorInfoIT_T0_EENS7_IlS9_EENS7_IKS8_S9_EES9_S9_S9_b,"axG",@progbits,_ZN2at6native12_GLOBAL__N_112gatherMedianIN3c104HalfEjLi1EEEvNS_4cuda6detail10TensorInfoIT_T0_EENS7_IlS9_EENS7_IKS8_S9_EES9_S9_S9_b,comdat
.Lfunc_end128:
	.size	_ZN2at6native12_GLOBAL__N_112gatherMedianIN3c104HalfEjLi1EEEvNS_4cuda6detail10TensorInfoIT_T0_EENS7_IlS9_EENS7_IKS8_S9_EES9_S9_S9_b, .Lfunc_end128-_ZN2at6native12_GLOBAL__N_112gatherMedianIN3c104HalfEjLi1EEEvNS_4cuda6detail10TensorInfoIT_T0_EENS7_IlS9_EENS7_IKS8_S9_EES9_S9_S9_b
                                        ; -- End function
	.section	.AMDGPU.csdata,"",@progbits
; Kernel info:
; codeLenInByte = 10584
; NumSgprs: 79
; NumVgprs: 34
; ScratchSize: 0
; MemoryBound: 0
; FloatMode: 240
; IeeeMode: 1
; LDSByteSize: 4120 bytes/workgroup (compile time only)
; SGPRBlocks: 9
; VGPRBlocks: 4
; NumSGPRsForWavesPerEU: 79
; NumVGPRsForWavesPerEU: 34
; Occupancy: 16
; WaveLimiterHint : 1
; COMPUTE_PGM_RSRC2:SCRATCH_EN: 0
; COMPUTE_PGM_RSRC2:USER_SGPR: 13
; COMPUTE_PGM_RSRC2:TRAP_HANDLER: 0
; COMPUTE_PGM_RSRC2:TGID_X_EN: 1
; COMPUTE_PGM_RSRC2:TGID_Y_EN: 1
; COMPUTE_PGM_RSRC2:TGID_Z_EN: 1
; COMPUTE_PGM_RSRC2:TIDIG_COMP_CNT: 0
	.section	.text._ZN2at6native12_GLOBAL__N_112gatherMedianIN3c104HalfEjLi2EEEvNS_4cuda6detail10TensorInfoIT_T0_EENS7_IlS9_EENS7_IKS8_S9_EES9_S9_S9_b,"axG",@progbits,_ZN2at6native12_GLOBAL__N_112gatherMedianIN3c104HalfEjLi2EEEvNS_4cuda6detail10TensorInfoIT_T0_EENS7_IlS9_EENS7_IKS8_S9_EES9_S9_S9_b,comdat
	.globl	_ZN2at6native12_GLOBAL__N_112gatherMedianIN3c104HalfEjLi2EEEvNS_4cuda6detail10TensorInfoIT_T0_EENS7_IlS9_EENS7_IKS8_S9_EES9_S9_S9_b ; -- Begin function _ZN2at6native12_GLOBAL__N_112gatherMedianIN3c104HalfEjLi2EEEvNS_4cuda6detail10TensorInfoIT_T0_EENS7_IlS9_EENS7_IKS8_S9_EES9_S9_S9_b
	.p2align	8
	.type	_ZN2at6native12_GLOBAL__N_112gatherMedianIN3c104HalfEjLi2EEEvNS_4cuda6detail10TensorInfoIT_T0_EENS7_IlS9_EENS7_IKS8_S9_EES9_S9_S9_b,@function
_ZN2at6native12_GLOBAL__N_112gatherMedianIN3c104HalfEjLi2EEEvNS_4cuda6detail10TensorInfoIT_T0_EENS7_IlS9_EENS7_IKS8_S9_EES9_S9_S9_b: ; @_ZN2at6native12_GLOBAL__N_112gatherMedianIN3c104HalfEjLi2EEEvNS_4cuda6detail10TensorInfoIT_T0_EENS7_IlS9_EENS7_IKS8_S9_EES9_S9_S9_b
; %bb.0:
	s_clause 0x1
	s_load_b64 s[6:7], s[0:1], 0x298
	s_load_b128 s[24:27], s[0:1], 0x288
	s_add_u32 s4, s0, 0x298
	s_addc_u32 s5, s1, 0
	s_waitcnt lgkmcnt(0)
	s_mul_i32 s2, s7, s15
	s_delay_alu instid0(SALU_CYCLE_1) | instskip(NEXT) | instid1(SALU_CYCLE_1)
	s_add_i32 s2, s2, s14
	s_mul_i32 s21, s2, s6
	s_delay_alu instid0(SALU_CYCLE_1) | instskip(NEXT) | instid1(SALU_CYCLE_1)
	s_add_i32 s21, s21, s13
	s_cmp_ge_u32 s21, s25
	s_cbranch_scc1 .LBB129_268
; %bb.1:
	s_clause 0x8
	s_load_b32 s40, s[0:1], 0xc
	s_load_b32 s2, s[0:1], 0x1bc
	;; [unrolled: 1-line block ×3, first 2 shown]
	s_load_b64 s[8:9], s[0:1], 0x1b0
	s_load_b64 s[10:11], s[0:1], 0x21c
	;; [unrolled: 1-line block ×6, first 2 shown]
	v_mul_lo_u32 v5, v0, s26
	s_waitcnt lgkmcnt(0)
	v_cvt_f32_u32_e32 v1, s40
	v_cvt_f32_u32_e32 v2, s2
	;; [unrolled: 1-line block ×3, first 2 shown]
	s_sub_i32 s16, 0, s2
	s_sub_i32 s3, 0, s40
	v_rcp_iflag_f32_e32 v1, v1
	v_rcp_iflag_f32_e32 v2, v2
	v_rcp_iflag_f32_e32 v3, v3
	s_sub_i32 s15, 0, s25
	s_waitcnt_depctr 0xfff
	v_dual_mul_f32 v1, 0x4f7ffffe, v1 :: v_dual_mul_f32 v2, 0x4f7ffffe, v2
	v_mul_f32_e32 v3, 0x4f7ffffe, v3
	s_delay_alu instid0(VALU_DEP_2) | instskip(NEXT) | instid1(VALU_DEP_3)
	v_cvt_u32_f32_e32 v1, v1
	v_cvt_u32_f32_e32 v2, v2
	s_delay_alu instid0(VALU_DEP_3) | instskip(NEXT) | instid1(VALU_DEP_3)
	v_cvt_u32_f32_e32 v3, v3
	v_readfirstlane_b32 s7, v1
	s_delay_alu instid0(VALU_DEP_3) | instskip(NEXT) | instid1(VALU_DEP_3)
	v_readfirstlane_b32 s12, v2
	v_readfirstlane_b32 s14, v3
	v_mov_b32_e32 v3, 0
	s_delay_alu instid0(VALU_DEP_4) | instskip(NEXT) | instid1(VALU_DEP_3)
	s_mul_i32 s3, s3, s7
	s_mul_i32 s16, s16, s12
	s_mul_hi_u32 s3, s7, s3
	s_mul_hi_u32 s16, s12, s16
	s_mul_i32 s15, s15, s14
	s_add_i32 s12, s12, s16
	s_add_i32 s7, s7, s3
	s_mul_hi_u32 s12, s21, s12
	s_mul_hi_u32 s15, s14, s15
	s_mul_i32 s3, s12, s2
	s_add_i32 s14, s14, s15
	s_sub_i32 s3, s21, s3
	s_add_i32 s15, s12, 1
	s_sub_i32 s16, s3, s2
	s_cmp_ge_u32 s3, s2
	s_mul_hi_u32 s41, s21, s7
	s_cselect_b32 s0, s15, s12
	s_cselect_b32 s1, s16, s3
	s_add_i32 s3, s0, 1
	s_cmp_ge_u32 s1, s2
	s_mul_hi_u32 s33, s21, s14
	s_cselect_b32 s1, s3, s0
	s_mov_b32 s3, 0
	s_mul_i32 s2, s1, s2
	s_mul_i32 s1, s1, s10
	s_sub_i32 s2, s21, s2
	v_cmp_gt_u32_e64 s0, s24, v0
	s_mul_i32 s2, s2, s11
	s_delay_alu instid0(SALU_CYCLE_1) | instskip(NEXT) | instid1(SALU_CYCLE_1)
	s_add_i32 s2, s1, s2
	s_lshl_b64 s[10:11], s[2:3], 1
	s_delay_alu instid0(SALU_CYCLE_1)
	s_add_u32 s38, s8, s10
	s_addc_u32 s39, s9, s11
	s_and_saveexec_b32 s2, s0
	s_cbranch_execz .LBB129_5
; %bb.2:
	s_load_b32 s1, s[4:5], 0xc
	v_mul_lo_u32 v1, v0, s26
	v_dual_mov_b32 v3, 0 :: v_dual_mov_b32 v2, 0
	v_mov_b32_e32 v4, v0
	s_waitcnt lgkmcnt(0)
	s_and_b32 s7, s1, 0xffff
	s_delay_alu instid0(SALU_CYCLE_1)
	s_mul_i32 s8, s26, s7
	.p2align	6
.LBB129_3:                              ; =>This Inner Loop Header: Depth=1
	s_delay_alu instid0(VALU_DEP_3) | instskip(SKIP_2) | instid1(VALU_DEP_3)
	v_lshlrev_b64 v[6:7], 1, v[1:2]
	v_add_nc_u32_e32 v4, s7, v4
	v_add_nc_u32_e32 v1, s8, v1
	v_add_co_u32 v6, vcc_lo, s38, v6
	s_delay_alu instid0(VALU_DEP_4) | instskip(NEXT) | instid1(VALU_DEP_4)
	v_add_co_ci_u32_e32 v7, vcc_lo, s39, v7, vcc_lo
	v_cmp_le_u32_e32 vcc_lo, s24, v4
	global_load_u16 v6, v[6:7], off
	s_or_b32 s3, vcc_lo, s3
	s_waitcnt vmcnt(0)
	v_cmp_u_f16_e64 s1, v6, v6
	s_delay_alu instid0(VALU_DEP_1)
	v_add_co_ci_u32_e64 v3, s1, 0, v3, s1
	s_and_not1_b32 exec_lo, exec_lo, s3
	s_cbranch_execnz .LBB129_3
; %bb.4:
	s_or_b32 exec_lo, exec_lo, s3
.LBB129_5:
	s_delay_alu instid0(SALU_CYCLE_1) | instskip(SKIP_1) | instid1(VALU_DEP_1)
	s_or_b32 exec_lo, exec_lo, s2
	v_cmp_eq_u32_e64 s1, 0, v0
	s_and_saveexec_b32 s2, s1
	s_cbranch_execz .LBB129_7
; %bb.6:
	v_mov_b32_e32 v1, 0
	s_delay_alu instid0(VALU_DEP_1)
	v_mov_b32_e32 v2, v1
	ds_store_b64 v1, v[1:2] offset:4096
.LBB129_7:
	s_or_b32 exec_lo, exec_lo, s2
	s_delay_alu instid0(SALU_CYCLE_1)
	s_mov_b32 s7, exec_lo
	s_waitcnt lgkmcnt(0)
	s_barrier
	buffer_gl0_inv
	v_cmpx_ne_u32_e32 0, v3
	s_cbranch_execz .LBB129_12
; %bb.8:
	v_mov_b32_e32 v1, 0
	s_mov_b32 s8, exec_lo
	s_mov_b64 s[2:3], 0
.LBB129_9:                              ; =>This Inner Loop Header: Depth=1
	s_ctz_i32_b32 s9, s8
	s_delay_alu instid0(SALU_CYCLE_1) | instskip(SKIP_1) | instid1(VALU_DEP_2)
	v_readlane_b32 s10, v3, s9
	v_readlane_b32 s11, v1, s9
	s_add_u32 s2, s2, s10
	s_delay_alu instid0(VALU_DEP_1) | instskip(SKIP_1) | instid1(SALU_CYCLE_1)
	s_addc_u32 s3, s3, s11
	s_lshl_b32 s9, 1, s9
	s_and_not1_b32 s8, s8, s9
	s_delay_alu instid0(SALU_CYCLE_1)
	s_cmp_lg_u32 s8, 0
	s_cbranch_scc1 .LBB129_9
; %bb.10:
	v_mbcnt_lo_u32_b32 v1, exec_lo, 0
	s_mov_b32 s8, exec_lo
	s_delay_alu instid0(VALU_DEP_1)
	v_cmpx_eq_u32_e32 0, v1
	s_xor_b32 s8, exec_lo, s8
	s_cbranch_execz .LBB129_12
; %bb.11:
	v_mov_b32_e32 v1, s2
	v_dual_mov_b32 v3, 0 :: v_dual_mov_b32 v2, s3
	ds_add_u64 v3, v[1:2] offset:4096
.LBB129_12:
	s_or_b32 exec_lo, exec_lo, s7
	v_mov_b32_e32 v1, 0
	s_waitcnt lgkmcnt(0)
	s_barrier
	buffer_gl0_inv
	s_bitcmp1_b32 s27, 0
	ds_load_b64 v[1:2], v1 offset:4096
	s_cselect_b32 s2, -1, 0
	s_mov_b32 s71, s24
	s_waitcnt lgkmcnt(0)
	v_cmp_gt_i64_e32 vcc_lo, 1, v[1:2]
	s_or_b32 s2, s2, vcc_lo
	s_delay_alu instid0(SALU_CYCLE_1)
	s_and_not1_b32 vcc_lo, exec_lo, s2
	s_cbranch_vccnz .LBB129_14
; %bb.13:
	v_not_b32_e32 v1, v1
	v_not_b32_e32 v2, v2
	s_delay_alu instid0(VALU_DEP_2) | instskip(NEXT) | instid1(VALU_DEP_2)
	v_add_co_u32 v1, vcc_lo, v1, s24
	v_add_co_ci_u32_e32 v2, vcc_lo, 0, v2, vcc_lo
	s_delay_alu instid0(VALU_DEP_1) | instskip(NEXT) | instid1(VALU_DEP_1)
	v_lshrrev_b32_e32 v3, 31, v2
	v_add_co_u32 v1, vcc_lo, v1, v3
	v_add_co_ci_u32_e32 v2, vcc_lo, 0, v2, vcc_lo
	s_delay_alu instid0(VALU_DEP_1) | instskip(NEXT) | instid1(VALU_DEP_1)
	v_alignbit_b32 v1, v2, v1, 1
	v_readfirstlane_b32 s2, v1
	s_delay_alu instid0(VALU_DEP_1)
	s_add_i32 s71, s2, 1
.LBB129_14:
	s_and_saveexec_b32 s2, s1
	s_cbranch_execz .LBB129_16
; %bb.15:
	v_dual_mov_b32 v1, 0 :: v_dual_mov_b32 v2, s24
	ds_store_b32 v1, v1 offset:4112
	ds_store_b64 v1, v[1:2] offset:4104
.LBB129_16:
	s_or_b32 exec_lo, exec_lo, s2
	s_waitcnt lgkmcnt(0)
	s_barrier
	buffer_gl0_inv
	s_load_b32 s7, s[4:5], 0xc
	v_mbcnt_lo_u32_b32 v13, -1, 0
	v_cmp_gt_u32_e32 vcc_lo, 32, v0
	v_lshrrev_b32_e32 v1, 3, v0
	v_dual_mov_b32 v7, 0 :: v_dual_lshlrev_b32 v14, 2, v0
	s_delay_alu instid0(VALU_DEP_4) | instskip(SKIP_1) | instid1(VALU_DEP_4)
	v_cmp_gt_i32_e64 s3, 4, v13
	v_lshlrev_b32_e32 v15, 1, v0
	v_and_b32_e32 v17, 0x7c, v1
	s_delay_alu instid0(VALU_DEP_4)
	v_or_b32_e32 v4, 2, v14
	v_mov_b32_e32 v6, v7
	s_and_b32 s45, vcc_lo, s3
	v_or_b32_e32 v21, 3, v14
	v_cmp_gt_u32_e64 s2, 2, v0
	v_mul_lo_u32 v20, s26, v4
	v_cmp_eq_u32_e64 s3, 0, v13
	v_dual_mov_b32 v27, 0 :: v_dual_add_nc_u32 v16, 0xc00, v15
	v_mul_lo_u32 v21, s26, v21
	v_lshlrev_b32_e32 v22, 2, v5
	s_waitcnt lgkmcnt(0)
	s_and_b32 s27, s7, 0xffff
	s_bfe_u32 s7, s7, 0xb0005
	s_lshl_b32 s44, s27, 2
	s_add_i32 s46, s27, -1
	v_cvt_f32_u32_e32 v2, s44
	s_add_i32 s8, s46, s24
	s_cmpk_gt_u32 s24, 0x600
	v_cvt_f32_u32_e32 v3, s27
	s_cselect_b32 s47, -1, 0
	v_rcp_iflag_f32_e32 v2, v2
	s_cmp_gt_u32 s27, 31
	v_mad_u64_u32 v[8:9], null, s26, v14, s[26:27]
	s_cselect_b32 s48, -1, 0
	s_cmp_lt_u32 s13, s6
	v_rcp_iflag_f32_e32 v3, v3
	s_cselect_b32 s6, 12, 18
	v_lshlrev_b32_e32 v24, 3, v0
	s_add_u32 s36, s4, s6
	s_waitcnt_depctr 0xfff
	v_mul_f32_e32 v2, 0x4f7ffffe, v2
	s_addc_u32 s37, s5, 0
	s_add_i32 s4, s7, -1
	s_bfe_u32 s49, s27, 0x30005
	s_cmp_gt_u32 s4, 6
	v_cvt_u32_f32_e32 v2, v2
	s_cselect_b32 s50, -1, 0
	s_and_b32 s51, s7, 0x7f8
	s_cmp_lg_u32 s49, 0
	v_lshl_or_b32 v25, v13, 2, 0xc00
	v_readfirstlane_b32 s4, v2
	s_cselect_b32 s52, -1, 0
	s_sub_i32 s5, 0, s44
	v_lshlrev_b64 v[1:2], v13, -1
	v_mul_f32_e32 v2, 0x4f7ffffe, v3
	s_mul_i32 s5, s5, s4
	v_mov_b32_e32 v26, 0x8000
	s_mul_hi_u32 s5, s4, s5
	s_mul_i32 s43, s26, s27
	s_add_i32 s53, s4, s5
	v_cvt_u32_f32_e32 v9, v2
	s_mul_hi_u32 s4, s24, s53
	v_lshlrev_b64 v[2:3], 1, v[5:6]
	s_mul_i32 s4, s4, s44
	v_not_b32_e32 v18, v1
	s_sub_i32 s4, s24, s4
	v_add3_u32 v1, s27, s24, v0
	s_sub_i32 s5, s4, s44
	s_cmp_ge_u32 s4, s44
	s_mov_b32 s42, 0
	s_cselect_b32 s4, s5, s4
	v_readfirstlane_b32 s5, v9
	s_sub_i32 s6, s4, s44
	s_cmp_ge_u32 s4, s44
	v_add_co_u32 v9, vcc_lo, s38, v2
	s_cselect_b32 s4, s6, s4
	s_sub_i32 s6, 0, s27
	s_sub_i32 s54, s24, s4
	s_mul_i32 s6, s6, s5
	v_add_nc_u32_e32 v19, s54, v0
	s_mul_hi_u32 s6, s5, s6
	v_add_co_ci_u32_e32 v10, vcc_lo, s39, v3, vcc_lo
	s_add_i32 s55, s5, s6
	s_delay_alu instid0(VALU_DEP_2)
	v_mul_lo_u32 v6, v19, s26
	s_mul_hi_u32 s5, s8, s55
	v_subrev_nc_u32_e32 v3, s4, v1
	s_mul_i32 s5, s5, s27
	v_cmp_gt_u32_e64 s4, s54, v14
	s_sub_i32 s5, s8, s5
	s_mov_b32 s64, 14
	s_sub_i32 s6, s5, s27
	s_cmp_ge_u32 s5, s27
	v_lshlrev_b64 v[1:2], 1, v[6:7]
	s_cselect_b32 s6, s6, s5
	v_mul_lo_u32 v23, s26, v3
	s_sub_i32 s7, s6, s27
	s_cmp_ge_u32 s6, s27
	v_cmp_gt_u32_e64 s5, s24, v19
	s_cselect_b32 s6, s7, s6
	v_add_co_u32 v11, vcc_lo, s38, v1
	s_sub_i32 s57, s8, s6
	v_add_co_ci_u32_e32 v12, vcc_lo, s39, v2, vcc_lo
	v_cmp_gt_u32_e64 s6, s57, v0
	s_lshl_b32 s56, s43, 2
	s_lshl_b32 s58, s27, 3
	s_lshl_b32 s59, s27, 1
	s_movk_i32 s60, 0x3c00
	s_mov_b32 s67, 0
	s_mov_b32 s69, 0
	;; [unrolled: 1-line block ×3, first 2 shown]
                                        ; implicit-def: $sgpr61
                                        ; implicit-def: $sgpr63
                                        ; implicit-def: $sgpr62
                                        ; implicit-def: $sgpr66
                                        ; implicit-def: $sgpr68
                                        ; implicit-def: $sgpr65
	s_branch .LBB129_21
.LBB129_17:                             ;   in Loop: Header=BB129_21 Depth=1
	s_xor_b32 s67, s67, 1
	s_add_i32 s11, s64, -2
	s_cmp_eq_u32 s64, 0
	s_mov_b32 s7, 0
	s_cselect_b32 s9, -1, 0
	s_mov_b32 s64, s11
.LBB129_18:                             ;   in Loop: Header=BB129_21 Depth=1
	s_and_not1_b32 s11, s13, exec_lo
	s_and_b32 s7, s7, exec_lo
	s_and_not1_b32 s15, s15, exec_lo
	s_or_b32 s13, s11, s7
	s_and_not1_b32 s12, s12, exec_lo
	s_or_not1_b32 s11, s9, exec_lo
	s_mov_b32 s71, s20
.LBB129_19:                             ;   in Loop: Header=BB129_21 Depth=1
	s_or_b32 exec_lo, exec_lo, s8
	s_delay_alu instid0(SALU_CYCLE_1)
	s_and_not1_b32 s7, s65, exec_lo
	s_and_b32 s8, s13, exec_lo
	s_and_not1_b32 s9, s66, exec_lo
	s_or_b32 s65, s7, s8
	s_and_not1_b32 s7, s68, exec_lo
	s_and_b32 s8, s15, exec_lo
	s_and_b32 s12, s12, exec_lo
	s_or_b32 s68, s7, s8
	s_or_b32 s66, s9, s12
	s_or_not1_b32 s12, s11, exec_lo
.LBB129_20:                             ;   in Loop: Header=BB129_21 Depth=1
	s_or_b32 exec_lo, exec_lo, s10
	s_delay_alu instid0(SALU_CYCLE_1)
	s_and_b32 s7, exec_lo, s12
	v_mov_b32_e32 v1, s69
	s_or_b32 s42, s7, s42
	s_and_not1_b32 s7, s62, exec_lo
	s_and_b32 s8, s65, exec_lo
	s_and_not1_b32 s9, s61, exec_lo
	s_or_b32 s62, s7, s8
	s_and_not1_b32 s7, s63, exec_lo
	s_and_b32 s8, s68, exec_lo
	s_and_b32 s10, s66, exec_lo
	s_or_b32 s63, s7, s8
	s_or_b32 s61, s9, s10
	s_and_not1_b32 exec_lo, exec_lo, s42
	s_cbranch_execz .LBB129_251
.LBB129_21:                             ; =>This Loop Header: Depth=1
                                        ;     Child Loop BB129_26 Depth 2
                                        ;     Child Loop BB129_41 Depth 2
	;; [unrolled: 1-line block ×16, first 2 shown]
	ds_load_b64 v[1:2], v7 offset:4104
	s_waitcnt lgkmcnt(0)
	v_readfirstlane_b32 s72, v1
	s_delay_alu instid0(VALU_DEP_1)
	s_cmp_lg_u32 s72, 0
	s_cbranch_scc1 .LBB129_48
; %bb.22:                               ;   in Loop: Header=BB129_21 Depth=1
	s_and_b32 vcc_lo, exec_lo, s47
	s_cbranch_vccz .LBB129_34
; %bb.23:                               ;   in Loop: Header=BB129_21 Depth=1
	v_cmp_gt_u32_e32 vcc_lo, 0x601, v2
	s_mov_b32 s72, 0
	s_mov_b32 s7, 0
	s_cbranch_vccz .LBB129_35
; %bb.24:                               ;   in Loop: Header=BB129_21 Depth=1
	global_load_u16 v1, v7, s[36:37]
	global_load_u16 v4, v[9:10], off
	v_mov_b32_e32 v3, v0
	s_mov_b32 s9, 0
	s_waitcnt vmcnt(1)
	v_add_nc_u32_e32 v2, v0, v1
	s_delay_alu instid0(VALU_DEP_1)
	v_mul_lo_u32 v6, s26, v2
	v_mul_lo_u32 v2, s26, v1
	s_branch .LBB129_26
.LBB129_25:                             ;   in Loop: Header=BB129_26 Depth=2
	s_or_b32 exec_lo, exec_lo, s8
	v_add_nc_u32_e32 v6, v6, v2
	v_mov_b32_e32 v4, v28
	s_and_not1_b32 exec_lo, exec_lo, s9
	s_cbranch_execz .LBB129_136
.LBB129_26:                             ;   Parent Loop BB129_21 Depth=1
                                        ; =>  This Inner Loop Header: Depth=2
	v_dual_mov_b32 v28, 0 :: v_dual_add_nc_u32 v3, v3, v1
	s_waitcnt lgkmcnt(0)
	v_mov_b32_e32 v29, 0
	s_mov_b32 s8, exec_lo
	s_delay_alu instid0(VALU_DEP_2)
	v_cmp_le_u32_e32 vcc_lo, s24, v3
	v_cmpx_gt_u32_e64 s24, v3
	s_cbranch_execz .LBB129_28
; %bb.27:                               ;   in Loop: Header=BB129_26 Depth=2
	v_lshlrev_b64 v[30:31], 1, v[6:7]
	s_delay_alu instid0(VALU_DEP_1) | instskip(NEXT) | instid1(VALU_DEP_1)
	v_add_co_u32 v30, s7, s38, v30
	v_add_co_ci_u32_e64 v31, s7, s39, v31, s7
	global_load_u16 v28, v[30:31], off
.LBB129_28:                             ;   in Loop: Header=BB129_26 Depth=2
	s_or_b32 exec_lo, exec_lo, s8
	s_waitcnt vmcnt(0)
	v_cmp_lt_i16_e64 s7, -1, v4
	v_and_b32_e32 v30, 0xffff, v4
	s_delay_alu instid0(VALU_DEP_2) | instskip(SKIP_1) | instid1(VALU_DEP_2)
	v_cndmask_b32_e64 v31, 0xffff, v26, s7
	v_cmp_o_f16_e64 s7, v4, v4
	v_xor_b32_e32 v30, v31, v30
	s_delay_alu instid0(VALU_DEP_1) | instskip(NEXT) | instid1(VALU_DEP_1)
	v_cndmask_b32_e64 v30, 0xffff, v30, s7
	v_and_b32_e32 v30, s70, v30
	s_delay_alu instid0(VALU_DEP_1) | instskip(NEXT) | instid1(VALU_DEP_1)
	v_cmp_eq_u32_e64 s7, s69, v30
	s_cmp_lg_u32 s7, 0
	s_cselect_b32 s8, -1, 0
	s_delay_alu instid0(SALU_CYCLE_1) | instskip(NEXT) | instid1(SALU_CYCLE_1)
	s_and_b32 s8, s3, s8
	s_and_saveexec_b32 s10, s8
	s_cbranch_execz .LBB129_32
; %bb.29:                               ;   in Loop: Header=BB129_26 Depth=2
	s_mov_b32 s13, exec_lo
	s_bcnt1_i32_b32 s11, s7
	v_mbcnt_lo_u32_b32 v29, s13, 0
	s_mov_b32 s12, exec_lo
                                        ; implicit-def: $vgpr30
	s_delay_alu instid0(VALU_DEP_1)
	v_cmpx_eq_u32_e32 0, v29
	s_cbranch_execz .LBB129_31
; %bb.30:                               ;   in Loop: Header=BB129_26 Depth=2
	s_bcnt1_i32_b32 s8, s13
	s_delay_alu instid0(SALU_CYCLE_1) | instskip(NEXT) | instid1(SALU_CYCLE_1)
	s_mul_i32 s8, s11, s8
	v_mov_b32_e32 v30, s8
	ds_add_rtn_u32 v30, v7, v30 offset:4112
.LBB129_31:                             ;   in Loop: Header=BB129_26 Depth=2
	s_or_b32 exec_lo, exec_lo, s12
	s_waitcnt lgkmcnt(0)
	v_readfirstlane_b32 s8, v30
	s_delay_alu instid0(VALU_DEP_1)
	v_mad_u32_u24 v29, s11, v29, s8
.LBB129_32:                             ;   in Loop: Header=BB129_26 Depth=2
	s_or_b32 exec_lo, exec_lo, s10
	ds_bpermute_b32 v29, v7, v29
	s_and_b32 s8, exec_lo, vcc_lo
	s_delay_alu instid0(SALU_CYCLE_1)
	s_or_b32 s9, s8, s9
	s_and_saveexec_b32 s8, s7
	s_cbranch_execz .LBB129_25
; %bb.33:                               ;   in Loop: Header=BB129_26 Depth=2
	v_and_b32_e32 v30, s7, v18
	s_delay_alu instid0(VALU_DEP_1) | instskip(NEXT) | instid1(VALU_DEP_1)
	v_bcnt_u32_b32 v30, v30, 0
	v_lshlrev_b32_e32 v30, 1, v30
	s_waitcnt lgkmcnt(0)
	s_delay_alu instid0(VALU_DEP_1)
	v_lshl_add_u32 v29, v29, 1, v30
	ds_store_b16 v29, v4
	s_branch .LBB129_25
.LBB129_34:                             ;   in Loop: Header=BB129_21 Depth=1
	s_mov_b32 s72, -1
	s_mov_b32 s7, 0
.LBB129_35:                             ;   in Loop: Header=BB129_21 Depth=1
	s_and_b32 vcc_lo, exec_lo, s72
	s_cbranch_vccz .LBB129_46
.LBB129_36:                             ;   in Loop: Header=BB129_21 Depth=1
	v_mov_b32_e32 v1, 0
	s_and_saveexec_b32 s7, s0
	s_cbranch_execz .LBB129_38
; %bb.37:                               ;   in Loop: Header=BB129_21 Depth=1
	global_load_u16 v1, v[9:10], off
.LBB129_38:                             ;   in Loop: Header=BB129_21 Depth=1
	s_or_b32 exec_lo, exec_lo, s7
	s_and_saveexec_b32 s8, s0
	s_cbranch_execz .LBB129_43
; %bb.39:                               ;   in Loop: Header=BB129_21 Depth=1
	global_load_u16 v2, v7, s[36:37]
	s_mov_b32 s9, 0
	v_dual_mov_b32 v28, v15 :: v_dual_mov_b32 v29, v0
	s_waitcnt vmcnt(0)
	v_add_nc_u32_e32 v3, v0, v2
	v_lshlrev_b32_e32 v4, 1, v2
	s_delay_alu instid0(VALU_DEP_2)
	v_mul_lo_u32 v6, s26, v3
	v_mul_lo_u32 v3, s26, v2
	s_set_inst_prefetch_distance 0x1
	s_branch .LBB129_41
	.p2align	6
.LBB129_40:                             ;   in Loop: Header=BB129_41 Depth=2
	s_or_b32 exec_lo, exec_lo, s10
	ds_store_b16 v28, v1
	s_waitcnt vmcnt(0)
	v_dual_mov_b32 v1, v30 :: v_dual_add_nc_u32 v28, v28, v4
	v_add_nc_u32_e32 v6, v6, v3
	s_and_b32 s7, exec_lo, vcc_lo
	s_delay_alu instid0(SALU_CYCLE_1) | instskip(NEXT) | instid1(SALU_CYCLE_1)
	s_or_b32 s9, s7, s9
	s_and_not1_b32 exec_lo, exec_lo, s9
	s_cbranch_execz .LBB129_43
.LBB129_41:                             ;   Parent Loop BB129_21 Depth=1
                                        ; =>  This Inner Loop Header: Depth=2
	v_dual_mov_b32 v30, 0 :: v_dual_add_nc_u32 v29, v29, v2
	s_mov_b32 s10, exec_lo
	s_delay_alu instid0(VALU_DEP_1)
	v_cmp_le_u32_e32 vcc_lo, s24, v29
	v_cmpx_gt_u32_e64 s24, v29
	s_cbranch_execz .LBB129_40
; %bb.42:                               ;   in Loop: Header=BB129_41 Depth=2
	v_lshlrev_b64 v[30:31], 1, v[6:7]
	s_delay_alu instid0(VALU_DEP_1) | instskip(NEXT) | instid1(VALU_DEP_1)
	v_add_co_u32 v30, s7, s38, v30
	v_add_co_ci_u32_e64 v31, s7, s39, v31, s7
	global_load_u16 v30, v[30:31], off
	s_branch .LBB129_40
.LBB129_43:                             ;   in Loop: Header=BB129_21 Depth=1
	s_set_inst_prefetch_distance 0x2
	s_or_b32 exec_lo, exec_lo, s8
	s_waitcnt vmcnt(0) lgkmcnt(0)
	s_barrier
	buffer_gl0_inv
	s_and_saveexec_b32 s7, s1
	s_cbranch_execz .LBB129_45
; %bb.44:                               ;   in Loop: Header=BB129_21 Depth=1
	v_mov_b32_e32 v1, s24
	ds_store_b32 v7, v1 offset:4104
.LBB129_45:                             ;   in Loop: Header=BB129_21 Depth=1
	s_or_b32 exec_lo, exec_lo, s7
	s_mov_b32 s7, -1
	s_waitcnt lgkmcnt(0)
	s_barrier
                                        ; implicit-def: $sgpr72
.LBB129_46:                             ;   in Loop: Header=BB129_21 Depth=1
	s_and_b32 vcc_lo, exec_lo, s7
	s_cbranch_vccz .LBB129_48
; %bb.47:                               ;   in Loop: Header=BB129_21 Depth=1
	buffer_gl0_inv
	ds_load_b32 v1, v7 offset:4104
	s_waitcnt lgkmcnt(0)
	v_readfirstlane_b32 s72, v1
.LBB129_48:                             ;   in Loop: Header=BB129_21 Depth=1
	s_delay_alu instid0(VALU_DEP_1)
	s_cmp_lt_i32 s72, 1
	s_cbranch_scc0 .LBB129_52
; %bb.49:                               ;   in Loop: Header=BB129_21 Depth=1
	v_dual_mov_b32 v1, 0 :: v_dual_mov_b32 v2, 0
	v_dual_mov_b32 v3, 0 :: v_dual_mov_b32 v4, 0
	s_mov_b32 s19, 0
	s_and_saveexec_b32 s18, s4
	s_cbranch_execnz .LBB129_53
; %bb.50:                               ;   in Loop: Header=BB129_21 Depth=1
	s_or_b32 exec_lo, exec_lo, s18
	v_mov_b32_e32 v29, 0
	s_and_saveexec_b32 s7, s5
	s_cbranch_execnz .LBB129_56
.LBB129_51:                             ;   in Loop: Header=BB129_21 Depth=1
	s_or_b32 exec_lo, exec_lo, s7
	s_and_saveexec_b32 s11, s5
	s_cbranch_execnz .LBB129_57
	s_branch .LBB129_62
.LBB129_52:                             ;   in Loop: Header=BB129_21 Depth=1
                                        ; implicit-def: $vgpr4
	s_cbranch_execnz .LBB129_63
	s_branch .LBB129_72
.LBB129_53:                             ;   in Loop: Header=BB129_21 Depth=1
	v_mov_b32_e32 v28, v14
	s_and_b32 s20, s64, 0xfe
	s_mov_b32 s73, 0
	s_mov_b32 s74, 0
	;; [unrolled: 1-line block ×5, first 2 shown]
.LBB129_54:                             ;   Parent Loop BB129_21 Depth=1
                                        ; =>  This Inner Loop Header: Depth=2
	v_add_nc_u32_e32 v6, s73, v22
	v_add_nc_u32_e32 v28, s44, v28
	s_delay_alu instid0(VALU_DEP_2) | instskip(SKIP_1) | instid1(VALU_DEP_1)
	v_lshlrev_b64 v[1:2], 1, v[6:7]
	v_add_nc_u32_e32 v6, s73, v8
	v_lshlrev_b64 v[3:4], 1, v[6:7]
	s_delay_alu instid0(VALU_DEP_3) | instskip(SKIP_2) | instid1(VALU_DEP_4)
	v_add_co_u32 v1, vcc_lo, s38, v1
	v_add_nc_u32_e32 v6, s73, v20
	v_add_co_ci_u32_e32 v2, vcc_lo, s39, v2, vcc_lo
	v_add_co_u32 v3, vcc_lo, s38, v3
	s_delay_alu instid0(VALU_DEP_3)
	v_lshlrev_b64 v[29:30], 1, v[6:7]
	v_add_nc_u32_e32 v6, s73, v21
	v_add_co_ci_u32_e32 v4, vcc_lo, s39, v4, vcc_lo
	global_load_u16 v31, v[1:2], off
	s_add_i32 s73, s73, s56
	v_lshlrev_b64 v[1:2], 1, v[6:7]
	global_load_u16 v6, v[3:4], off
	v_add_co_u32 v3, vcc_lo, s38, v29
	v_add_co_ci_u32_e32 v4, vcc_lo, s39, v30, vcc_lo
	v_add_co_u32 v1, vcc_lo, s38, v1
	v_add_co_ci_u32_e32 v2, vcc_lo, s39, v2, vcc_lo
	global_load_u16 v3, v[3:4], off
	v_cmp_le_u32_e32 vcc_lo, s54, v28
	global_load_u16 v1, v[1:2], off
	s_waitcnt vmcnt(3)
	v_cmp_lt_i16_e64 s7, -1, v31
	v_and_b32_e32 v2, 0xffff, v31
	s_waitcnt vmcnt(2)
	v_and_b32_e32 v29, 0xffff, v6
	s_delay_alu instid0(VALU_DEP_3) | instskip(SKIP_1) | instid1(VALU_DEP_2)
	v_cndmask_b32_e64 v4, 0xffff, v26, s7
	v_cmp_lt_i16_e64 s7, -1, v6
	v_xor_b32_e32 v2, v4, v2
	s_delay_alu instid0(VALU_DEP_2)
	v_cndmask_b32_e64 v30, 0xffff, v26, s7
	v_cmp_o_f16_e64 s7, v31, v31
	s_waitcnt vmcnt(1)
	v_cmp_lt_i16_e64 s8, -1, v3
	s_waitcnt vmcnt(0)
	v_cmp_o_f16_e64 s12, v1, v1
	v_xor_b32_e32 v4, v30, v29
	v_cndmask_b32_e64 v2, 0xffff, v2, s7
	v_cmp_o_f16_e64 s7, v6, v6
	v_and_b32_e32 v29, 0xffff, v3
	v_cndmask_b32_e64 v30, 0xffff, v26, s8
	s_delay_alu instid0(VALU_DEP_4) | instskip(NEXT) | instid1(VALU_DEP_4)
	v_and_b32_e32 v31, s70, v2
	v_cndmask_b32_e64 v4, 0xffff, v4, s7
	v_cmp_lt_i16_e64 s7, -1, v1
	s_delay_alu instid0(VALU_DEP_4) | instskip(SKIP_2) | instid1(VALU_DEP_4)
	v_xor_b32_e32 v6, v30, v29
	v_bfe_u32 v2, v2, s20, 2
	v_and_b32_e32 v29, 0xffff, v1
	v_cndmask_b32_e64 v30, 0xffff, v26, s7
	v_cmp_o_f16_e64 s7, v3, v3
	s_delay_alu instid0(VALU_DEP_4)
	v_cmp_eq_u32_e64 s8, 0, v2
	v_cmp_eq_u32_e64 s9, 1, v2
	;; [unrolled: 1-line block ×4, first 2 shown]
	v_cndmask_b32_e64 v3, 0xffff, v6, s7
	v_cmp_eq_u32_e64 s7, s69, v31
	v_xor_b32_e32 v6, v30, v29
	v_and_b32_e32 v29, s70, v4
	v_bfe_u32 v4, v4, s20, 2
	v_and_b32_e32 v2, s70, v3
	s_and_b32 s8, s7, s8
	v_cndmask_b32_e64 v1, 0xffff, v6, s12
	v_cmp_eq_u32_e64 s12, s69, v29
	v_cmp_eq_u32_e64 s13, 0, v4
	v_cndmask_b32_e64 v6, 0, 1, s8
	v_cmp_eq_u32_e64 s8, 1, v4
	s_and_b32 s9, s7, s9
	v_bfe_u32 v3, v3, s20, 2
	v_cndmask_b32_e64 v29, 0, 1, s9
	v_cmp_eq_u32_e64 s9, 2, v4
	s_and_b32 s10, s7, s10
	s_and_b32 s7, s7, s11
	v_cndmask_b32_e64 v30, 0, 1, s10
	s_and_b32 s13, s12, s13
	s_and_b32 s8, s12, s8
	v_cmp_eq_u32_e64 s10, 3, v4
	v_cndmask_b32_e64 v4, 0, 1, s7
	v_cmp_eq_u32_e64 s7, s69, v2
	v_cmp_eq_u32_e64 s11, 0, v3
	v_cmp_ne_u32_e64 s14, 0, v6
	v_cndmask_b32_e64 v6, 0, 1, s13
	v_cmp_eq_u32_e64 s13, 1, v3
	v_cmp_ne_u32_e64 s15, 0, v29
	v_cndmask_b32_e64 v29, 0, 1, s8
	v_cmp_eq_u32_e64 s8, 2, v3
	s_and_b32 s9, s12, s9
	v_and_b32_e32 v2, s70, v1
	v_bfe_u32 v1, v1, s20, 2
	v_cmp_ne_u32_e64 s16, 0, v30
	v_cndmask_b32_e64 v30, 0, 1, s9
	v_cmp_eq_u32_e64 s9, 3, v3
	s_and_b32 s10, s12, s10
	s_and_b32 s11, s7, s11
	;; [unrolled: 1-line block ×4, first 2 shown]
	v_cmp_ne_u32_e64 s17, 0, v4
	v_cndmask_b32_e64 v3, 0, 1, s10
	v_cmp_eq_u32_e64 s10, s69, v2
	v_cmp_eq_u32_e64 s12, 0, v1
	s_bcnt1_i32_b32 s78, s14
	v_cmp_ne_u32_e64 s14, 0, v6
	v_cndmask_b32_e64 v2, 0, 1, s11
	v_cmp_eq_u32_e64 s11, 1, v1
	v_cndmask_b32_e64 v4, 0, 1, s13
	v_cmp_eq_u32_e64 s13, 2, v1
	;; [unrolled: 2-line block ×3, first 2 shown]
	s_and_b32 s7, s7, s9
	s_bcnt1_i32_b32 s81, s17
	v_cndmask_b32_e64 v1, 0, 1, s7
	v_cmp_ne_u32_e64 s17, 0, v3
	s_and_b32 s9, s10, s12
	s_and_b32 s11, s10, s11
	;; [unrolled: 1-line block ×4, first 2 shown]
	v_cmp_ne_u32_e64 s7, 0, v2
	v_cndmask_b32_e64 v2, 0, 1, s9
	v_cmp_ne_u32_e64 s9, 0, v4
	v_cndmask_b32_e64 v3, 0, 1, s11
	v_cndmask_b32_e64 v4, 0, 1, s12
	v_cmp_ne_u32_e64 s12, 0, v1
	v_cndmask_b32_e64 v1, 0, 1, s8
	s_bcnt1_i32_b32 s79, s15
	v_cmp_ne_u32_e64 s15, 0, v29
	s_bcnt1_i32_b32 s80, s16
	v_cmp_ne_u32_e64 s16, 0, v30
	s_add_i32 s74, s81, s74
	v_cmp_ne_u32_e64 s11, 0, v6
	s_bcnt1_i32_b32 s13, s17
	s_bcnt1_i32_b32 s17, s7
	s_add_i32 s13, s74, s13
	v_cmp_ne_u32_e64 s7, 0, v2
	s_bcnt1_i32_b32 s74, s9
	v_cmp_ne_u32_e64 s8, 0, v3
	v_cmp_ne_u32_e64 s9, 0, v4
	;; [unrolled: 1-line block ×3, first 2 shown]
	s_add_i32 s77, s78, s77
	s_add_i32 s76, s79, s76
	;; [unrolled: 1-line block ×3, first 2 shown]
	s_bcnt1_i32_b32 s14, s14
	s_bcnt1_i32_b32 s15, s15
	;; [unrolled: 1-line block ×3, first 2 shown]
	s_add_i32 s14, s77, s14
	s_add_i32 s15, s76, s15
	;; [unrolled: 1-line block ×3, first 2 shown]
	s_bcnt1_i32_b32 s11, s11
	s_bcnt1_i32_b32 s12, s12
	s_add_i32 s14, s14, s17
	s_add_i32 s15, s15, s74
	;; [unrolled: 1-line block ×4, first 2 shown]
	s_bcnt1_i32_b32 s7, s7
	s_bcnt1_i32_b32 s8, s8
	;; [unrolled: 1-line block ×4, first 2 shown]
	s_add_i32 s77, s14, s7
	s_add_i32 s76, s15, s8
	;; [unrolled: 1-line block ×4, first 2 shown]
	s_delay_alu instid0(SALU_CYCLE_1) | instskip(SKIP_2) | instid1(SALU_CYCLE_1)
	v_dual_mov_b32 v1, s77 :: v_dual_mov_b32 v4, s74
	v_dual_mov_b32 v2, s76 :: v_dual_mov_b32 v3, s75
	s_or_b32 s19, vcc_lo, s19
	s_and_not1_b32 exec_lo, exec_lo, s19
	s_cbranch_execnz .LBB129_54
; %bb.55:                               ;   in Loop: Header=BB129_21 Depth=1
	s_or_b32 exec_lo, exec_lo, s19
	s_delay_alu instid0(SALU_CYCLE_1)
	s_or_b32 exec_lo, exec_lo, s18
	v_mov_b32_e32 v29, 0
	s_and_saveexec_b32 s7, s5
	s_cbranch_execz .LBB129_51
.LBB129_56:                             ;   in Loop: Header=BB129_21 Depth=1
	global_load_u16 v29, v[11:12], off
	s_or_b32 exec_lo, exec_lo, s7
	s_and_saveexec_b32 s11, s5
	s_cbranch_execz .LBB129_62
.LBB129_57:                             ;   in Loop: Header=BB129_21 Depth=1
	v_mov_b32_e32 v6, v23
	v_mov_b32_e32 v28, v19
	s_and_b32 s13, s64, 0xfe
	s_mov_b32 s12, 0
	s_branch .LBB129_59
.LBB129_58:                             ;   in Loop: Header=BB129_59 Depth=2
	s_or_b32 exec_lo, exec_lo, s8
	s_waitcnt vmcnt(0)
	v_cmp_lt_i16_e64 s7, -1, v29
	v_and_b32_e32 v31, 0xffff, v29
	s_and_b32 s8, exec_lo, vcc_lo
	v_add_nc_u32_e32 v6, s43, v6
	s_or_b32 s12, s8, s12
	v_cndmask_b32_e64 v32, 0xffff, v26, s7
	v_cmp_o_f16_e64 s7, v29, v29
	s_delay_alu instid0(VALU_DEP_2) | instskip(NEXT) | instid1(VALU_DEP_1)
	v_xor_b32_e32 v31, v32, v31
	v_cndmask_b32_e64 v29, 0xffff, v31, s7
	s_delay_alu instid0(VALU_DEP_1) | instskip(SKIP_1) | instid1(VALU_DEP_2)
	v_and_b32_e32 v31, s70, v29
	v_bfe_u32 v29, v29, s13, 2
	v_cmp_eq_u32_e32 vcc_lo, s69, v31
	s_delay_alu instid0(VALU_DEP_2) | instskip(SKIP_3) | instid1(VALU_DEP_4)
	v_cmp_eq_u32_e64 s7, 0, v29
	v_cmp_eq_u32_e64 s8, 1, v29
	;; [unrolled: 1-line block ×4, first 2 shown]
	s_and_b32 s7, vcc_lo, s7
	s_delay_alu instid0(SALU_CYCLE_1) | instskip(SKIP_1) | instid1(SALU_CYCLE_1)
	v_cndmask_b32_e64 v29, 0, 1, s7
	s_and_b32 s7, vcc_lo, s8
	v_cndmask_b32_e64 v31, 0, 1, s7
	s_and_b32 s7, vcc_lo, s9
	s_delay_alu instid0(SALU_CYCLE_1)
	v_cndmask_b32_e64 v32, 0, 1, s7
	s_and_b32 s7, vcc_lo, s10
	v_cmp_ne_u32_e32 vcc_lo, 0, v29
	v_mov_b32_e32 v29, v30
	v_cndmask_b32_e64 v33, 0, 1, s7
	v_cmp_ne_u32_e64 s7, 0, v31
	v_cmp_ne_u32_e64 s8, 0, v32
	s_bcnt1_i32_b32 s10, vcc_lo
	s_delay_alu instid0(VALU_DEP_3) | instskip(NEXT) | instid1(VALU_DEP_3)
	v_cmp_ne_u32_e64 s9, 0, v33
	s_bcnt1_i32_b32 s7, s7
	s_delay_alu instid0(VALU_DEP_2)
	s_bcnt1_i32_b32 s8, s8
	v_add_nc_u32_e32 v1, s10, v1
	v_add_nc_u32_e32 v2, s7, v2
	s_bcnt1_i32_b32 s9, s9
	v_add_nc_u32_e32 v3, s8, v3
	v_add_nc_u32_e32 v4, s9, v4
	s_and_not1_b32 exec_lo, exec_lo, s12
	s_cbranch_execz .LBB129_61
.LBB129_59:                             ;   Parent Loop BB129_21 Depth=1
                                        ; =>  This Inner Loop Header: Depth=2
	s_delay_alu instid0(VALU_DEP_1) | instskip(SKIP_2) | instid1(VALU_DEP_2)
	v_add_nc_u32_e32 v28, s27, v28
	v_mov_b32_e32 v30, 0
	s_mov_b32 s8, exec_lo
	v_cmp_le_u32_e32 vcc_lo, s24, v28
	v_cmpx_gt_u32_e64 s24, v28
	s_cbranch_execz .LBB129_58
; %bb.60:                               ;   in Loop: Header=BB129_59 Depth=2
	v_lshlrev_b64 v[30:31], 1, v[6:7]
	s_delay_alu instid0(VALU_DEP_1) | instskip(NEXT) | instid1(VALU_DEP_1)
	v_add_co_u32 v30, s7, s38, v30
	v_add_co_ci_u32_e64 v31, s7, s39, v31, s7
	global_load_u16 v30, v[30:31], off
	s_branch .LBB129_58
.LBB129_61:                             ;   in Loop: Header=BB129_21 Depth=1
	s_or_b32 exec_lo, exec_lo, s12
.LBB129_62:                             ;   in Loop: Header=BB129_21 Depth=1
	s_delay_alu instid0(SALU_CYCLE_1)
	s_or_b32 exec_lo, exec_lo, s11
	s_branch .LBB129_72
.LBB129_63:                             ;   in Loop: Header=BB129_21 Depth=1
	s_mul_hi_u32 s7, s72, s53
	v_dual_mov_b32 v1, 0 :: v_dual_mov_b32 v2, 0
	s_mul_i32 s7, s7, s44
	v_dual_mov_b32 v3, 0 :: v_dual_mov_b32 v4, 0
	s_sub_i32 s7, s72, s7
	s_mov_b32 s75, 0
	s_sub_i32 s8, s7, s44
	s_cmp_ge_u32 s7, s44
	s_mov_b32 s74, exec_lo
	s_cselect_b32 s7, s8, s7
	s_delay_alu instid0(SALU_CYCLE_1) | instskip(SKIP_2) | instid1(SALU_CYCLE_1)
	s_sub_i32 s8, s7, s44
	s_cmp_ge_u32 s7, s44
	s_cselect_b32 s7, s8, s7
	s_sub_i32 s73, s72, s7
	s_delay_alu instid0(SALU_CYCLE_1)
	v_cmpx_gt_u32_e64 s73, v14
	s_cbranch_execz .LBB129_67
; %bb.64:                               ;   in Loop: Header=BB129_21 Depth=1
	v_mov_b32_e32 v6, v24
	v_mov_b32_e32 v28, v14
	s_and_b32 s76, s64, 0xfe
	s_mov_b32 s77, 0
	s_mov_b32 s78, 0
	;; [unrolled: 1-line block ×4, first 2 shown]
.LBB129_65:                             ;   Parent Loop BB129_21 Depth=1
                                        ; =>  This Inner Loop Header: Depth=2
	ds_load_b64 v[1:2], v6
	s_waitcnt lgkmcnt(0)
	v_cmp_lt_i16_e64 s7, -1, v1
	v_lshrrev_b32_e32 v3, 16, v1
	v_lshrrev_b32_e32 v32, 16, v2
	v_and_b32_e32 v4, 0xffff, v1
	v_and_b32_e32 v30, 0xffff, v2
	s_waitcnt vmcnt(0)
	v_cndmask_b32_e64 v29, 0xffff, v26, s7
	v_cmp_lt_i16_e64 s7, -1, v2
	v_cmp_lt_i16_e64 s8, -1, v32
	s_delay_alu instid0(VALU_DEP_3) | instskip(NEXT) | instid1(VALU_DEP_3)
	v_xor_b32_e32 v4, v29, v4
	v_cndmask_b32_e64 v31, 0xffff, v26, s7
	v_cmp_lt_i16_e64 s7, -1, v3
	s_delay_alu instid0(VALU_DEP_2) | instskip(NEXT) | instid1(VALU_DEP_2)
	v_xor_b32_e32 v30, v31, v30
	v_cndmask_b32_e64 v29, 0xffff, v26, s7
	v_cmp_o_f16_e64 s7, v2, v2
	v_cndmask_b32_e64 v2, 0xffff, v26, s8
	v_cmp_o_f16_e64 s8, v1, v1
	s_delay_alu instid0(VALU_DEP_2) | instskip(NEXT) | instid1(VALU_DEP_2)
	v_xor_b32_e32 v2, v2, v32
	v_cndmask_b32_e64 v1, 0xffff, v4, s8
	v_xor_b32_e32 v4, v29, v3
	v_cmp_o_f16_e64 s8, v3, v3
	v_cndmask_b32_e64 v29, 0xffff, v30, s7
	v_cmp_o_f16_e64 s7, v32, v32
	s_delay_alu instid0(VALU_DEP_3)
	v_cndmask_b32_e64 v3, 0xffff, v4, s8
	v_and_b32_e32 v4, s70, v1
	v_bfe_u32 v1, v1, s76, 2
	v_and_b32_e32 v30, s70, v29
	v_bfe_u32 v29, v29, s76, 2
	v_cndmask_b32_e64 v2, 0xffff, v2, s7
	v_cmp_eq_u32_e64 s7, s69, v4
	v_and_b32_e32 v4, s70, v3
	v_bfe_u32 v3, v3, s76, 2
	v_cmp_eq_u32_e64 s9, 0, v1
	v_cmp_eq_u32_e64 s11, 1, v1
	v_cmp_eq_u32_e64 s13, 2, v1
	v_cmp_eq_u32_e64 s8, s69, v30
	v_cmp_eq_u32_e64 s10, 0, v29
	v_cmp_eq_u32_e64 s12, 1, v29
	v_cmp_eq_u32_e64 s14, 2, v29
	v_cmp_eq_u32_e64 s15, 3, v1
	v_and_b32_e32 v30, s70, v2
	v_bfe_u32 v2, v2, s76, 2
	v_cmp_eq_u32_e64 s16, 3, v29
	v_cmp_eq_u32_e64 s17, s69, v4
	;; [unrolled: 1-line block ×3, first 2 shown]
	s_and_b32 s9, s7, s9
	s_and_b32 s11, s7, s11
	;; [unrolled: 1-line block ×3, first 2 shown]
	v_cndmask_b32_e64 v1, 0, 1, s9
	s_and_b32 s9, s8, s10
	v_cndmask_b32_e64 v29, 0, 1, s11
	s_and_b32 s11, s8, s12
	;; [unrolled: 2-line block ×3, first 2 shown]
	s_and_b32 s7, s7, s15
	v_cmp_eq_u32_e64 s18, s69, v30
	v_cmp_eq_u32_e64 s20, 0, v2
	v_cndmask_b32_e64 v4, 0, 1, s9
	v_cmp_eq_u32_e64 s9, 1, v3
	v_cmp_eq_u32_e64 s10, 1, v2
	v_cndmask_b32_e64 v30, 0, 1, s11
	;; [unrolled: 3-line block ×4, first 2 shown]
	s_and_b32 s7, s8, s16
	s_and_b32 s8, s17, s19
	v_cndmask_b32_e64 v3, 0, 1, s7
	v_cmp_ne_u32_e64 s7, 0, v1
	v_cndmask_b32_e64 v1, 0, 1, s8
	s_and_b32 s15, s18, s20
	s_and_b32 s9, s17, s9
	;; [unrolled: 1-line block ×6, first 2 shown]
	v_cmp_ne_u32_e64 s8, 0, v4
	v_cndmask_b32_e64 v4, 0, 1, s15
	v_cmp_ne_u32_e64 s15, 0, v29
	v_cndmask_b32_e64 v29, 0, 1, s9
	;; [unrolled: 2-line block ×6, first 2 shown]
	s_bcnt1_i32_b32 s16, s7
	v_cmp_ne_u32_e64 s7, 0, v1
	s_and_b32 s14, s18, s14
	v_cmp_ne_u32_e64 s13, 0, v3
	v_cndmask_b32_e64 v3, 0, 1, s14
	s_bcnt1_i32_b32 s17, s8
	v_cmp_ne_u32_e64 s8, 0, v4
	v_cmp_ne_u32_e64 s14, 0, v29
	s_bcnt1_i32_b32 s19, s10
	v_cmp_ne_u32_e64 s10, 0, v31
	s_bcnt1_i32_b32 s81, s12
	v_cmp_ne_u32_e64 s12, 0, v2
	s_add_i32 s16, s16, s80
	s_bcnt1_i32_b32 s7, s7
	s_bcnt1_i32_b32 s15, s15
	s_add_i32 s7, s16, s7
	s_bcnt1_i32_b32 s18, s9
	v_cmp_ne_u32_e64 s9, 0, v30
	s_bcnt1_i32_b32 s20, s11
	v_cmp_ne_u32_e64 s11, 0, v32
	;; [unrolled: 2-line block ×3, first 2 shown]
	s_bcnt1_i32_b32 s8, s8
	s_add_i32 s7, s7, s17
	s_add_i32 s15, s15, s79
	s_add_i32 s19, s19, s78
	s_add_i32 s77, s81, s77
	s_bcnt1_i32_b32 s14, s14
	s_bcnt1_i32_b32 s10, s10
	;; [unrolled: 1-line block ×3, first 2 shown]
	s_add_i32 s80, s7, s8
	s_delay_alu instid0(SALU_CYCLE_1)
	v_dual_mov_b32 v1, s80 :: v_dual_add_nc_u32 v28, s44, v28
	s_add_i32 s14, s15, s14
	s_add_i32 s10, s19, s10
	;; [unrolled: 1-line block ×3, first 2 shown]
	s_bcnt1_i32_b32 s9, s9
	s_bcnt1_i32_b32 s11, s11
	;; [unrolled: 1-line block ×3, first 2 shown]
	s_add_i32 s14, s14, s18
	s_add_i32 s10, s10, s20
	;; [unrolled: 1-line block ×3, first 2 shown]
	v_cmp_le_u32_e32 vcc_lo, s73, v28
	s_add_i32 s79, s14, s9
	s_add_i32 s78, s10, s11
	;; [unrolled: 1-line block ×3, first 2 shown]
	v_dual_mov_b32 v3, s78 :: v_dual_add_nc_u32 v6, s58, v6
	v_mov_b32_e32 v2, s79
	v_mov_b32_e32 v4, s77
	s_or_b32 s75, vcc_lo, s75
	s_delay_alu instid0(SALU_CYCLE_1)
	s_and_not1_b32 exec_lo, exec_lo, s75
	s_cbranch_execnz .LBB129_65
; %bb.66:                               ;   in Loop: Header=BB129_21 Depth=1
	s_or_b32 exec_lo, exec_lo, s75
.LBB129_67:                             ;   in Loop: Header=BB129_21 Depth=1
	s_delay_alu instid0(SALU_CYCLE_1) | instskip(SKIP_2) | instid1(VALU_DEP_1)
	s_or_b32 exec_lo, exec_lo, s74
	v_add_nc_u32_e32 v6, s73, v0
	s_mov_b32 s12, exec_lo
	v_cmpx_gt_u32_e64 s72, v6
	s_cbranch_execz .LBB129_71
; %bb.68:                               ;   in Loop: Header=BB129_21 Depth=1
	v_lshlrev_b32_e32 v28, 1, v6
	s_and_b32 s14, s64, 0xfe
	s_mov_b32 s13, 0
.LBB129_69:                             ;   Parent Loop BB129_21 Depth=1
                                        ; =>  This Inner Loop Header: Depth=2
	s_waitcnt vmcnt(0)
	ds_load_u16 v29, v28
	v_add_nc_u32_e32 v6, s27, v6
	v_add_nc_u32_e32 v28, s59, v28
	s_delay_alu instid0(VALU_DEP_2) | instskip(SKIP_3) | instid1(VALU_DEP_2)
	v_cmp_le_u32_e32 vcc_lo, s72, v6
	s_waitcnt lgkmcnt(0)
	v_cmp_lt_i16_e64 s7, -1, v29
	v_and_b32_e32 v30, 0xffff, v29
	v_cndmask_b32_e64 v31, 0xffff, v26, s7
	v_cmp_o_f16_e64 s7, v29, v29
	s_delay_alu instid0(VALU_DEP_2) | instskip(NEXT) | instid1(VALU_DEP_1)
	v_xor_b32_e32 v30, v31, v30
	v_cndmask_b32_e64 v29, 0xffff, v30, s7
	s_delay_alu instid0(VALU_DEP_1) | instskip(SKIP_1) | instid1(VALU_DEP_2)
	v_and_b32_e32 v30, s70, v29
	v_bfe_u32 v29, v29, s14, 2
	v_cmp_eq_u32_e64 s7, s69, v30
	s_delay_alu instid0(VALU_DEP_2) | instskip(SKIP_3) | instid1(VALU_DEP_4)
	v_cmp_eq_u32_e64 s8, 0, v29
	v_cmp_eq_u32_e64 s9, 1, v29
	;; [unrolled: 1-line block ×4, first 2 shown]
	s_and_b32 s8, s7, s8
	s_delay_alu instid0(SALU_CYCLE_1) | instskip(SKIP_1) | instid1(SALU_CYCLE_1)
	v_cndmask_b32_e64 v29, 0, 1, s8
	s_and_b32 s8, s7, s9
	v_cndmask_b32_e64 v30, 0, 1, s8
	s_and_b32 s8, s7, s10
	s_and_b32 s7, s7, s11
	v_cndmask_b32_e64 v31, 0, 1, s8
	v_cndmask_b32_e64 v32, 0, 1, s7
	v_cmp_ne_u32_e64 s7, 0, v29
	v_cmp_ne_u32_e64 s8, 0, v30
	s_delay_alu instid0(VALU_DEP_4) | instskip(NEXT) | instid1(VALU_DEP_4)
	v_cmp_ne_u32_e64 s9, 0, v31
	v_cmp_ne_u32_e64 s10, 0, v32
	s_delay_alu instid0(VALU_DEP_4) | instskip(NEXT) | instid1(VALU_DEP_3)
	s_bcnt1_i32_b32 s7, s7
	s_bcnt1_i32_b32 s8, s8
	v_add_nc_u32_e32 v1, s7, v1
	s_bcnt1_i32_b32 s9, s9
	s_bcnt1_i32_b32 s10, s10
	v_add_nc_u32_e32 v2, s8, v2
	v_add_nc_u32_e32 v3, s9, v3
	;; [unrolled: 1-line block ×3, first 2 shown]
	s_or_b32 s13, vcc_lo, s13
	s_delay_alu instid0(SALU_CYCLE_1)
	s_and_not1_b32 exec_lo, exec_lo, s13
	s_cbranch_execnz .LBB129_69
; %bb.70:                               ;   in Loop: Header=BB129_21 Depth=1
	s_or_b32 exec_lo, exec_lo, s13
.LBB129_71:                             ;   in Loop: Header=BB129_21 Depth=1
	s_delay_alu instid0(SALU_CYCLE_1)
	s_or_b32 exec_lo, exec_lo, s12
.LBB129_72:                             ;   in Loop: Header=BB129_21 Depth=1
	s_lshl_b32 s7, s67, 7
	s_and_saveexec_b32 s8, s3
	s_cbranch_execz .LBB129_74
; %bb.73:                               ;   in Loop: Header=BB129_21 Depth=1
	v_or_b32_e32 v6, s7, v17
	s_delay_alu instid0(VALU_DEP_1)
	v_lshlrev_b32_e32 v6, 2, v6
	ds_store_b128 v6, v[1:4] offset:3072
.LBB129_74:                             ;   in Loop: Header=BB129_21 Depth=1
	s_or_b32 exec_lo, exec_lo, s8
	s_waitcnt vmcnt(0) lgkmcnt(0)
	s_barrier
	buffer_gl0_inv
	s_and_saveexec_b32 s8, s45
	s_cbranch_execz .LBB129_84
; %bb.75:                               ;   in Loop: Header=BB129_21 Depth=1
	v_mov_b32_e32 v1, 0
	s_and_not1_b32 vcc_lo, exec_lo, s48
	s_cbranch_vccnz .LBB129_83
; %bb.76:                               ;   in Loop: Header=BB129_21 Depth=1
	v_mov_b32_e32 v1, 0
	s_and_not1_b32 vcc_lo, exec_lo, s50
	s_mov_b32 s9, 0
	s_cbranch_vccnz .LBB129_80
; %bb.77:                               ;   in Loop: Header=BB129_21 Depth=1
	v_lshl_add_u32 v2, s67, 9, v25
	v_mov_b32_e32 v1, 0
	.p2align	6
.LBB129_78:                             ;   Parent Loop BB129_21 Depth=1
                                        ; =>  This Inner Loop Header: Depth=2
	ds_load_2addr_b32 v[3:4], v2 offset1:4
	ds_load_2addr_b32 v[28:29], v2 offset0:8 offset1:12
	ds_load_2addr_b32 v[30:31], v2 offset0:16 offset1:20
	;; [unrolled: 1-line block ×3, first 2 shown]
	v_add_nc_u32_e32 v2, 0x80, v2
	s_add_i32 s9, s9, 8
	s_delay_alu instid0(SALU_CYCLE_1) | instskip(SKIP_3) | instid1(VALU_DEP_1)
	s_cmp_eq_u32 s51, s9
	s_waitcnt lgkmcnt(3)
	v_add3_u32 v1, v3, v1, v4
	s_waitcnt lgkmcnt(2)
	v_add3_u32 v1, v28, v1, v29
	s_waitcnt lgkmcnt(1)
	s_delay_alu instid0(VALU_DEP_1) | instskip(SKIP_1) | instid1(VALU_DEP_1)
	v_add3_u32 v1, v30, v1, v31
	s_waitcnt lgkmcnt(0)
	v_add3_u32 v1, v32, v1, v33
	s_cbranch_scc0 .LBB129_78
; %bb.79:                               ;   in Loop: Header=BB129_21 Depth=1
	s_mov_b32 s9, s51
.LBB129_80:                             ;   in Loop: Header=BB129_21 Depth=1
	s_and_not1_b32 vcc_lo, exec_lo, s52
	s_cbranch_vccnz .LBB129_83
; %bb.81:                               ;   in Loop: Header=BB129_21 Depth=1
	s_lshl_b32 s10, s67, 9
	s_lshl_b32 s9, s9, 4
	s_delay_alu instid0(SALU_CYCLE_1)
	v_add3_u32 v2, s10, s9, v25
	s_mov_b32 s9, s49
.LBB129_82:                             ;   Parent Loop BB129_21 Depth=1
                                        ; =>  This Inner Loop Header: Depth=2
	ds_load_b32 v3, v2
	v_add_nc_u32_e32 v2, 16, v2
	s_add_i32 s9, s9, -1
	s_delay_alu instid0(SALU_CYCLE_1)
	s_cmp_lg_u32 s9, 0
	s_waitcnt lgkmcnt(0)
	v_add_nc_u32_e32 v1, v3, v1
	s_cbranch_scc1 .LBB129_82
.LBB129_83:                             ;   in Loop: Header=BB129_21 Depth=1
	v_add_lshl_u32 v2, s7, v13, 2
	ds_store_b32 v2, v1 offset:3072
.LBB129_84:                             ;   in Loop: Header=BB129_21 Depth=1
	s_or_b32 exec_lo, exec_lo, s8
	s_lshl_b32 s7, s7, 2
	s_waitcnt lgkmcnt(0)
	v_mov_b32_e32 v1, s7
	s_barrier
	buffer_gl0_inv
	s_and_b32 s16, s64, 0xfe
	s_mov_b32 s12, -1
	ds_load_b128 v[1:4], v1 offset:3072
	s_lshl_b32 s9, 3, s16
	s_delay_alu instid0(SALU_CYCLE_1) | instskip(SKIP_4) | instid1(VALU_DEP_3)
	s_not_b32 s17, s9
	s_waitcnt lgkmcnt(0)
	v_readfirstlane_b32 s11, v1
	v_readfirstlane_b32 s19, v2
	;; [unrolled: 1-line block ×3, first 2 shown]
	s_cmp_eq_u32 s11, 1
	s_cselect_b32 s7, -1, 0
	s_cmp_eq_u32 s71, 1
	s_cselect_b32 s8, -1, 0
	s_delay_alu instid0(SALU_CYCLE_1)
	s_and_b32 s13, s7, s8
	v_readfirstlane_b32 s8, v4
	s_and_b32 vcc_lo, exec_lo, s13
	s_cbranch_vccz .LBB129_96
; %bb.85:                               ;   in Loop: Header=BB129_21 Depth=1
	ds_load_b32 v1, v7 offset:4104
	s_waitcnt lgkmcnt(0)
	s_barrier
	buffer_gl0_inv
	v_readfirstlane_b32 s10, v1
	s_and_saveexec_b32 s7, s2
	s_cbranch_execz .LBB129_87
; %bb.86:                               ;   in Loop: Header=BB129_21 Depth=1
	ds_store_b16 v16, v7
.LBB129_87:                             ;   in Loop: Header=BB129_21 Depth=1
	s_or_b32 exec_lo, exec_lo, s7
	s_and_b32 s69, s69, s17
	s_or_b32 s70, s70, s9
	s_cmp_eq_u32 s10, 0
	s_waitcnt lgkmcnt(0)
	s_barrier
	buffer_gl0_inv
	s_cbranch_scc1 .LBB129_97
; %bb.88:                               ;   in Loop: Header=BB129_21 Depth=1
	s_add_i32 s7, s10, s46
                                        ; implicit-def: $vgpr27
	s_delay_alu instid0(SALU_CYCLE_1) | instskip(NEXT) | instid1(SALU_CYCLE_1)
	s_mul_hi_u32 s15, s7, s55
	s_mul_i32 s15, s15, s27
	s_delay_alu instid0(SALU_CYCLE_1) | instskip(NEXT) | instid1(SALU_CYCLE_1)
	s_sub_i32 s15, s7, s15
	s_sub_i32 s18, s15, s27
	s_cmp_ge_u32 s15, s27
	s_cselect_b32 s15, s18, s15
	s_delay_alu instid0(SALU_CYCLE_1) | instskip(SKIP_2) | instid1(SALU_CYCLE_1)
	s_sub_i32 s18, s15, s27
	s_cmp_ge_u32 s15, s27
	s_cselect_b32 s15, s18, s15
	s_sub_i32 s18, s7, s15
	s_mov_b32 s7, 0
	s_mov_b32 s15, exec_lo
	v_cmpx_gt_u32_e64 s18, v0
	s_cbranch_execz .LBB129_99
; %bb.89:                               ;   in Loop: Header=BB129_21 Depth=1
	v_dual_mov_b32 v1, v15 :: v_dual_mov_b32 v2, v0
	s_mov_b32 s20, 0
                                        ; implicit-def: $sgpr72
	s_set_inst_prefetch_distance 0x1
	s_branch .LBB129_91
	.p2align	6
.LBB129_90:                             ;   in Loop: Header=BB129_91 Depth=2
	s_or_b32 exec_lo, exec_lo, s7
	s_waitcnt lgkmcnt(0)
	s_barrier
	buffer_gl0_inv
	ds_load_b32 v3, v7 offset:3072
	v_add_nc_u32_e32 v2, s27, v2
	v_add_nc_u32_e32 v1, s59, v1
	s_waitcnt lgkmcnt(0)
	s_barrier
	buffer_gl0_inv
	v_cmp_le_u32_e32 vcc_lo, s18, v2
	v_cmp_neq_f16_e64 s7, 0, v3
	s_delay_alu instid0(VALU_DEP_1) | instskip(NEXT) | instid1(SALU_CYCLE_1)
	s_or_b32 s73, vcc_lo, s7
	s_and_b32 s73, exec_lo, s73
	s_delay_alu instid0(SALU_CYCLE_1) | instskip(SKIP_2) | instid1(SALU_CYCLE_1)
	s_or_b32 s20, s73, s20
	s_and_not1_b32 s72, s72, exec_lo
	s_and_b32 s7, s7, exec_lo
	s_or_b32 s72, s72, s7
	s_and_not1_b32 exec_lo, exec_lo, s20
	s_cbranch_execz .LBB129_98
.LBB129_91:                             ;   Parent Loop BB129_21 Depth=1
                                        ; =>  This Inner Loop Header: Depth=2
	s_delay_alu instid0(VALU_DEP_1)
	v_cmp_gt_u32_e32 vcc_lo, s10, v2
	v_mov_b32_e32 v3, 0
	s_and_saveexec_b32 s7, vcc_lo
	s_cbranch_execz .LBB129_93
; %bb.92:                               ;   in Loop: Header=BB129_91 Depth=2
	ds_load_u16 v3, v1
.LBB129_93:                             ;   in Loop: Header=BB129_91 Depth=2
	s_or_b32 exec_lo, exec_lo, s7
	s_and_saveexec_b32 s7, vcc_lo
	s_cbranch_execz .LBB129_90
; %bb.94:                               ;   in Loop: Header=BB129_91 Depth=2
	s_waitcnt lgkmcnt(0)
	v_cmp_lt_i16_e32 vcc_lo, -1, v3
	v_and_b32_e32 v4, 0xffff, v3
	v_cndmask_b32_e32 v6, 0xffff, v26, vcc_lo
	v_cmp_o_f16_e32 vcc_lo, v3, v3
	s_delay_alu instid0(VALU_DEP_2) | instskip(NEXT) | instid1(VALU_DEP_1)
	v_xor_b32_e32 v4, v6, v4
	v_cndmask_b32_e32 v4, 0xffff, v4, vcc_lo
	s_delay_alu instid0(VALU_DEP_1) | instskip(NEXT) | instid1(VALU_DEP_1)
	v_and_b32_e32 v4, s70, v4
	v_cmp_eq_u32_e32 vcc_lo, s69, v4
	s_and_b32 exec_lo, exec_lo, vcc_lo
	s_cbranch_execz .LBB129_90
; %bb.95:                               ;   in Loop: Header=BB129_91 Depth=2
	v_perm_b32 v3, v3, s60, 0x5040100
	ds_store_b32 v7, v3 offset:3072
	s_branch .LBB129_90
.LBB129_96:                             ;   in Loop: Header=BB129_21 Depth=1
	s_mov_b32 s7, -1
                                        ; implicit-def: $sgpr10
                                        ; implicit-def: $sgpr18
                                        ; implicit-def: $sgpr15
	s_branch .LBB129_110
.LBB129_97:                             ;   in Loop: Header=BB129_21 Depth=1
	s_mov_b32 s10, -1
	s_mov_b32 s7, 0
                                        ; implicit-def: $sgpr15
                                        ; implicit-def: $vgpr27
	s_mov_b32 s18, s10
	s_cbranch_execnz .LBB129_100
	s_branch .LBB129_110
.LBB129_98:                             ;   in Loop: Header=BB129_21 Depth=1
	s_set_inst_prefetch_distance 0x2
	s_or_b32 exec_lo, exec_lo, s20
	v_lshrrev_b32_e32 v27, 16, v3
	s_and_b32 s7, s72, exec_lo
.LBB129_99:                             ;   in Loop: Header=BB129_21 Depth=1
	s_or_b32 exec_lo, exec_lo, s15
	s_mov_b32 s15, -1
	s_mov_b32 s10, 0
	s_delay_alu instid0(SALU_CYCLE_1)
	s_mov_b32 s18, s10
	s_branch .LBB129_110
.LBB129_100:                            ;   in Loop: Header=BB129_21 Depth=1
	s_mov_b32 s7, 0
                                        ; implicit-def: $vgpr27
	s_and_saveexec_b32 s10, s6
	s_cbranch_execz .LBB129_109
; %bb.101:                              ;   in Loop: Header=BB129_21 Depth=1
	v_dual_mov_b32 v6, v5 :: v_dual_mov_b32 v1, v0
	s_mov_b32 s15, 0
                                        ; implicit-def: $sgpr18
	s_branch .LBB129_103
.LBB129_102:                            ;   in Loop: Header=BB129_103 Depth=2
	s_or_b32 exec_lo, exec_lo, s7
	s_waitcnt vmcnt(0) lgkmcnt(0)
	s_barrier
	buffer_gl0_inv
	ds_load_b32 v2, v7 offset:3072
	v_add_nc_u32_e32 v1, s27, v1
	v_add_nc_u32_e32 v6, s43, v6
	s_waitcnt lgkmcnt(0)
	s_barrier
	buffer_gl0_inv
	v_cmp_le_u32_e32 vcc_lo, s57, v1
	v_cmp_neq_f16_e64 s7, 0, v2
	s_delay_alu instid0(VALU_DEP_1) | instskip(NEXT) | instid1(SALU_CYCLE_1)
	s_or_b32 s20, vcc_lo, s7
	s_and_b32 s20, exec_lo, s20
	s_delay_alu instid0(SALU_CYCLE_1) | instskip(SKIP_2) | instid1(SALU_CYCLE_1)
	s_or_b32 s15, s20, s15
	s_and_not1_b32 s18, s18, exec_lo
	s_and_b32 s7, s7, exec_lo
	s_or_b32 s18, s18, s7
	s_and_not1_b32 exec_lo, exec_lo, s15
	s_cbranch_execz .LBB129_108
.LBB129_103:                            ;   Parent Loop BB129_21 Depth=1
                                        ; =>  This Inner Loop Header: Depth=2
	s_delay_alu instid0(VALU_DEP_1)
	v_cmp_gt_u32_e32 vcc_lo, s24, v1
	v_mov_b32_e32 v2, 0
	s_and_saveexec_b32 s20, vcc_lo
	s_cbranch_execz .LBB129_105
; %bb.104:                              ;   in Loop: Header=BB129_103 Depth=2
	v_lshlrev_b64 v[2:3], 1, v[6:7]
	s_delay_alu instid0(VALU_DEP_1) | instskip(NEXT) | instid1(VALU_DEP_1)
	v_add_co_u32 v2, s7, s38, v2
	v_add_co_ci_u32_e64 v3, s7, s39, v3, s7
	global_load_u16 v2, v[2:3], off
.LBB129_105:                            ;   in Loop: Header=BB129_103 Depth=2
	s_or_b32 exec_lo, exec_lo, s20
	s_and_saveexec_b32 s7, vcc_lo
	s_cbranch_execz .LBB129_102
; %bb.106:                              ;   in Loop: Header=BB129_103 Depth=2
	s_waitcnt vmcnt(0)
	v_cmp_lt_i16_e32 vcc_lo, -1, v2
	v_and_b32_e32 v3, 0xffff, v2
	v_cndmask_b32_e32 v4, 0xffff, v26, vcc_lo
	v_cmp_o_f16_e32 vcc_lo, v2, v2
	s_delay_alu instid0(VALU_DEP_2) | instskip(NEXT) | instid1(VALU_DEP_1)
	v_xor_b32_e32 v3, v4, v3
	v_cndmask_b32_e32 v3, 0xffff, v3, vcc_lo
	s_delay_alu instid0(VALU_DEP_1) | instskip(NEXT) | instid1(VALU_DEP_1)
	v_and_b32_e32 v3, s70, v3
	v_cmp_eq_u32_e32 vcc_lo, s69, v3
	s_and_b32 exec_lo, exec_lo, vcc_lo
	s_cbranch_execz .LBB129_102
; %bb.107:                              ;   in Loop: Header=BB129_103 Depth=2
	v_perm_b32 v2, v2, s60, 0x5040100
	ds_store_b32 v7, v2 offset:3072
	s_branch .LBB129_102
.LBB129_108:                            ;   in Loop: Header=BB129_21 Depth=1
	s_or_b32 exec_lo, exec_lo, s15
	v_lshrrev_b32_e32 v27, 16, v2
	s_and_b32 s7, s18, exec_lo
.LBB129_109:                            ;   in Loop: Header=BB129_21 Depth=1
	s_or_b32 exec_lo, exec_lo, s10
	s_mov_b32 s18, -1
	s_mov_b32 s10, 0
	s_mov_b32 s15, 0
.LBB129_110:                            ;   in Loop: Header=BB129_21 Depth=1
	s_and_not1_b32 s20, s65, exec_lo
	s_and_b32 s10, s10, exec_lo
	s_and_b32 s18, s18, exec_lo
	s_or_b32 s65, s20, s10
	s_and_not1_b32 s10, s68, exec_lo
	s_and_not1_b32 s20, s66, exec_lo
	s_and_b32 s15, s15, exec_lo
	s_or_b32 s68, s10, s18
	s_or_b32 s66, s20, s15
	s_and_saveexec_b32 s10, s7
	s_cbranch_execz .LBB129_20
; %bb.111:                              ;   in Loop: Header=BB129_21 Depth=1
	s_xor_b32 s7, s13, -1
	s_mov_b32 s12, 0
	s_and_not1_b32 vcc_lo, exec_lo, s7
	s_mov_b32 s20, 1
	s_cbranch_vccnz .LBB129_122
; %bb.112:                              ;   in Loop: Header=BB129_21 Depth=1
	s_cmp_gt_u32 s71, s11
	s_mov_b32 s12, -1
                                        ; implicit-def: $sgpr7
                                        ; implicit-def: $sgpr13
                                        ; implicit-def: $sgpr15
	s_cbranch_scc1 .LBB129_118
; %bb.113:                              ;   in Loop: Header=BB129_21 Depth=1
	ds_load_b32 v1, v7 offset:4104
	s_waitcnt lgkmcnt(0)
	v_cmp_ne_u32_e32 vcc_lo, 0, v1
	s_cbranch_vccnz .LBB129_117
; %bb.114:                              ;   in Loop: Header=BB129_21 Depth=1
	s_and_saveexec_b32 s7, s1
	s_cbranch_execz .LBB129_116
; %bb.115:                              ;   in Loop: Header=BB129_21 Depth=1
	v_mov_b32_e32 v1, s11
	ds_store_b32 v7, v1 offset:4108
.LBB129_116:                            ;   in Loop: Header=BB129_21 Depth=1
	s_or_b32 exec_lo, exec_lo, s7
	s_waitcnt lgkmcnt(0)
	s_barrier
	buffer_gl0_inv
.LBB129_117:                            ;   in Loop: Header=BB129_21 Depth=1
	s_and_b32 s13, s69, s17
	s_or_b32 s15, s70, s9
	s_mov_b32 s12, 0
	s_mov_b32 s7, 8
.LBB129_118:                            ;   in Loop: Header=BB129_21 Depth=1
	s_and_not1_b32 vcc_lo, exec_lo, s12
	s_cbranch_vccnz .LBB129_120
; %bb.119:                              ;   in Loop: Header=BB129_21 Depth=1
	s_sub_i32 s71, s71, s11
	s_mov_b32 s12, -1
	s_mov_b32 s7, 0
	s_mov_b32 s13, s69
	;; [unrolled: 1-line block ×3, first 2 shown]
.LBB129_120:                            ;   in Loop: Header=BB129_21 Depth=1
	s_delay_alu instid0(SALU_CYCLE_1)
	s_mov_b32 s70, s15
	s_mov_b32 s69, s13
	;; [unrolled: 1-line block ×3, first 2 shown]
	s_and_b32 vcc_lo, exec_lo, s12
	s_mov_b32 s11, -1
	s_cbranch_vccnz .LBB129_123
.LBB129_121:                            ;   in Loop: Header=BB129_21 Depth=1
	s_mov_b32 s73, -1
                                        ; implicit-def: $sgpr12
                                        ; implicit-def: $sgpr15
                                        ; implicit-def: $sgpr13
                                        ; implicit-def: $sgpr71
	s_delay_alu instid0(SALU_CYCLE_1) | instskip(NEXT) | instid1(SALU_CYCLE_1)
	s_and_saveexec_b32 s8, s73
	s_xor_b32 s8, exec_lo, s8
	s_cbranch_execz .LBB129_19
	s_branch .LBB129_249
.LBB129_122:                            ;   in Loop: Header=BB129_21 Depth=1
	s_mov_b32 s7, 1
	s_and_b32 vcc_lo, exec_lo, s12
	s_mov_b32 s11, -1
	s_cbranch_vccz .LBB129_121
.LBB129_123:                            ;   in Loop: Header=BB129_21 Depth=1
	s_cmp_eq_u32 s19, 1
	s_mov_b32 s72, -1
	s_cselect_b32 s7, -1, 0
	s_cmp_eq_u32 s20, 1
	s_cselect_b32 s12, -1, 0
	s_delay_alu instid0(SALU_CYCLE_1) | instskip(NEXT) | instid1(SALU_CYCLE_1)
	s_and_b32 s71, s7, s12
	s_and_b32 vcc_lo, exec_lo, s71
	s_cbranch_vccz .LBB129_135
; %bb.124:                              ;   in Loop: Header=BB129_21 Depth=1
	ds_load_b32 v1, v7 offset:4104
	s_waitcnt lgkmcnt(0)
	s_barrier
	buffer_gl0_inv
	v_readfirstlane_b32 s12, v1
	s_and_saveexec_b32 s7, s2
	s_cbranch_execz .LBB129_126
; %bb.125:                              ;   in Loop: Header=BB129_21 Depth=1
	ds_store_b16 v16, v7
.LBB129_126:                            ;   in Loop: Header=BB129_21 Depth=1
	s_or_b32 exec_lo, exec_lo, s7
	s_lshl_b32 s7, 1, s16
	s_and_b32 s13, s69, s17
	s_or_b32 s70, s70, s9
	s_or_b32 s69, s13, s7
	s_cmp_eq_u32 s12, 0
	s_waitcnt lgkmcnt(0)
	s_barrier
	buffer_gl0_inv
	s_cbranch_scc1 .LBB129_139
; %bb.127:                              ;   in Loop: Header=BB129_21 Depth=1
	s_add_i32 s7, s12, s46
	s_mov_b32 s72, 0
	s_mul_hi_u32 s13, s7, s55
                                        ; implicit-def: $vgpr27
	s_delay_alu instid0(SALU_CYCLE_1) | instskip(NEXT) | instid1(SALU_CYCLE_1)
	s_mul_i32 s13, s13, s27
	s_sub_i32 s13, s7, s13
	s_delay_alu instid0(SALU_CYCLE_1) | instskip(SKIP_2) | instid1(SALU_CYCLE_1)
	s_sub_i32 s15, s13, s27
	s_cmp_ge_u32 s13, s27
	s_cselect_b32 s13, s15, s13
	s_sub_i32 s15, s13, s27
	s_cmp_ge_u32 s13, s27
	s_cselect_b32 s13, s15, s13
	s_delay_alu instid0(SALU_CYCLE_1)
	s_sub_i32 s15, s7, s13
	s_mov_b32 s13, exec_lo
	v_cmpx_gt_u32_e64 s15, v0
	s_cbranch_execz .LBB129_141
; %bb.128:                              ;   in Loop: Header=BB129_21 Depth=1
	v_dual_mov_b32 v1, v15 :: v_dual_mov_b32 v2, v0
	s_mov_b32 s18, 0
                                        ; implicit-def: $sgpr72
	s_set_inst_prefetch_distance 0x1
	s_branch .LBB129_130
	.p2align	6
.LBB129_129:                            ;   in Loop: Header=BB129_130 Depth=2
	s_or_b32 exec_lo, exec_lo, s7
	s_waitcnt lgkmcnt(0)
	s_barrier
	buffer_gl0_inv
	ds_load_b32 v3, v7 offset:3072
	v_add_nc_u32_e32 v2, s27, v2
	v_add_nc_u32_e32 v1, s59, v1
	s_waitcnt lgkmcnt(0)
	s_barrier
	buffer_gl0_inv
	v_cmp_le_u32_e32 vcc_lo, s15, v2
	v_cmp_neq_f16_e64 s7, 0, v3
	s_delay_alu instid0(VALU_DEP_1) | instskip(NEXT) | instid1(SALU_CYCLE_1)
	s_or_b32 s73, vcc_lo, s7
	s_and_b32 s73, exec_lo, s73
	s_delay_alu instid0(SALU_CYCLE_1) | instskip(SKIP_2) | instid1(SALU_CYCLE_1)
	s_or_b32 s18, s73, s18
	s_and_not1_b32 s72, s72, exec_lo
	s_and_b32 s7, s7, exec_lo
	s_or_b32 s72, s72, s7
	s_and_not1_b32 exec_lo, exec_lo, s18
	s_cbranch_execz .LBB129_140
.LBB129_130:                            ;   Parent Loop BB129_21 Depth=1
                                        ; =>  This Inner Loop Header: Depth=2
	s_delay_alu instid0(VALU_DEP_1)
	v_cmp_gt_u32_e32 vcc_lo, s12, v2
	v_mov_b32_e32 v3, 0
	s_and_saveexec_b32 s7, vcc_lo
	s_cbranch_execz .LBB129_132
; %bb.131:                              ;   in Loop: Header=BB129_130 Depth=2
	ds_load_u16 v3, v1
.LBB129_132:                            ;   in Loop: Header=BB129_130 Depth=2
	s_or_b32 exec_lo, exec_lo, s7
	s_and_saveexec_b32 s7, vcc_lo
	s_cbranch_execz .LBB129_129
; %bb.133:                              ;   in Loop: Header=BB129_130 Depth=2
	s_waitcnt lgkmcnt(0)
	v_cmp_lt_i16_e32 vcc_lo, -1, v3
	v_and_b32_e32 v4, 0xffff, v3
	v_cndmask_b32_e32 v6, 0xffff, v26, vcc_lo
	v_cmp_o_f16_e32 vcc_lo, v3, v3
	s_delay_alu instid0(VALU_DEP_2) | instskip(NEXT) | instid1(VALU_DEP_1)
	v_xor_b32_e32 v4, v6, v4
	v_cndmask_b32_e32 v4, 0xffff, v4, vcc_lo
	s_delay_alu instid0(VALU_DEP_1) | instskip(NEXT) | instid1(VALU_DEP_1)
	v_and_b32_e32 v4, s70, v4
	v_cmp_eq_u32_e32 vcc_lo, s69, v4
	s_and_b32 exec_lo, exec_lo, vcc_lo
	s_cbranch_execz .LBB129_129
; %bb.134:                              ;   in Loop: Header=BB129_130 Depth=2
	v_perm_b32 v3, v3, s60, 0x5040100
	ds_store_b32 v7, v3 offset:3072
	s_branch .LBB129_129
.LBB129_135:                            ;   in Loop: Header=BB129_21 Depth=1
                                        ; implicit-def: $sgpr13
                                        ; implicit-def: $sgpr15
                                        ; implicit-def: $sgpr12
	s_branch .LBB129_152
.LBB129_136:                            ;   in Loop: Header=BB129_21 Depth=1
	s_or_b32 exec_lo, exec_lo, s9
	s_waitcnt lgkmcnt(0)
	s_barrier
	buffer_gl0_inv
	s_and_saveexec_b32 s7, s1
	s_cbranch_execz .LBB129_138
; %bb.137:                              ;   in Loop: Header=BB129_21 Depth=1
	ds_load_b32 v1, v7 offset:4112
	s_waitcnt lgkmcnt(0)
	ds_store_b32 v7, v1 offset:4104
.LBB129_138:                            ;   in Loop: Header=BB129_21 Depth=1
	s_or_b32 exec_lo, exec_lo, s7
	s_waitcnt lgkmcnt(0)
	s_mov_b32 s7, -1
	s_barrier
	s_and_b32 vcc_lo, exec_lo, s72
	s_cbranch_vccnz .LBB129_36
	s_branch .LBB129_46
.LBB129_139:                            ;   in Loop: Header=BB129_21 Depth=1
	s_mov_b32 s13, -1
	s_mov_b32 s72, 0
                                        ; implicit-def: $sgpr12
                                        ; implicit-def: $vgpr27
	s_mov_b32 s15, s13
	s_cbranch_execnz .LBB129_142
	s_branch .LBB129_152
.LBB129_140:                            ;   in Loop: Header=BB129_21 Depth=1
	s_set_inst_prefetch_distance 0x2
	s_or_b32 exec_lo, exec_lo, s18
	v_lshrrev_b32_e32 v27, 16, v3
	s_and_b32 s72, s72, exec_lo
.LBB129_141:                            ;   in Loop: Header=BB129_21 Depth=1
	s_or_b32 exec_lo, exec_lo, s13
	s_mov_b32 s12, -1
	s_mov_b32 s13, 0
	s_delay_alu instid0(SALU_CYCLE_1)
	s_mov_b32 s15, s13
	s_branch .LBB129_152
.LBB129_142:                            ;   in Loop: Header=BB129_21 Depth=1
	s_mov_b32 s72, 0
                                        ; implicit-def: $vgpr27
	s_and_saveexec_b32 s12, s6
	s_cbranch_execz .LBB129_151
; %bb.143:                              ;   in Loop: Header=BB129_21 Depth=1
	v_dual_mov_b32 v6, v5 :: v_dual_mov_b32 v1, v0
	s_mov_b32 s13, 0
                                        ; implicit-def: $sgpr15
	s_branch .LBB129_145
.LBB129_144:                            ;   in Loop: Header=BB129_145 Depth=2
	s_or_b32 exec_lo, exec_lo, s7
	s_waitcnt vmcnt(0) lgkmcnt(0)
	s_barrier
	buffer_gl0_inv
	ds_load_b32 v2, v7 offset:3072
	v_add_nc_u32_e32 v1, s27, v1
	v_add_nc_u32_e32 v6, s43, v6
	s_waitcnt lgkmcnt(0)
	s_barrier
	buffer_gl0_inv
	v_cmp_le_u32_e32 vcc_lo, s57, v1
	v_cmp_neq_f16_e64 s7, 0, v2
	s_delay_alu instid0(VALU_DEP_1) | instskip(NEXT) | instid1(SALU_CYCLE_1)
	s_or_b32 s18, vcc_lo, s7
	s_and_b32 s18, exec_lo, s18
	s_delay_alu instid0(SALU_CYCLE_1) | instskip(SKIP_2) | instid1(SALU_CYCLE_1)
	s_or_b32 s13, s18, s13
	s_and_not1_b32 s15, s15, exec_lo
	s_and_b32 s7, s7, exec_lo
	s_or_b32 s15, s15, s7
	s_and_not1_b32 exec_lo, exec_lo, s13
	s_cbranch_execz .LBB129_150
.LBB129_145:                            ;   Parent Loop BB129_21 Depth=1
                                        ; =>  This Inner Loop Header: Depth=2
	s_delay_alu instid0(VALU_DEP_1)
	v_cmp_gt_u32_e32 vcc_lo, s24, v1
	v_mov_b32_e32 v2, 0
	s_and_saveexec_b32 s18, vcc_lo
	s_cbranch_execz .LBB129_147
; %bb.146:                              ;   in Loop: Header=BB129_145 Depth=2
	v_lshlrev_b64 v[2:3], 1, v[6:7]
	s_delay_alu instid0(VALU_DEP_1) | instskip(NEXT) | instid1(VALU_DEP_1)
	v_add_co_u32 v2, s7, s38, v2
	v_add_co_ci_u32_e64 v3, s7, s39, v3, s7
	global_load_u16 v2, v[2:3], off
.LBB129_147:                            ;   in Loop: Header=BB129_145 Depth=2
	s_or_b32 exec_lo, exec_lo, s18
	s_and_saveexec_b32 s7, vcc_lo
	s_cbranch_execz .LBB129_144
; %bb.148:                              ;   in Loop: Header=BB129_145 Depth=2
	s_waitcnt vmcnt(0)
	v_cmp_lt_i16_e32 vcc_lo, -1, v2
	v_and_b32_e32 v3, 0xffff, v2
	v_cndmask_b32_e32 v4, 0xffff, v26, vcc_lo
	v_cmp_o_f16_e32 vcc_lo, v2, v2
	s_delay_alu instid0(VALU_DEP_2) | instskip(NEXT) | instid1(VALU_DEP_1)
	v_xor_b32_e32 v3, v4, v3
	v_cndmask_b32_e32 v3, 0xffff, v3, vcc_lo
	s_delay_alu instid0(VALU_DEP_1) | instskip(NEXT) | instid1(VALU_DEP_1)
	v_and_b32_e32 v3, s70, v3
	v_cmp_eq_u32_e32 vcc_lo, s69, v3
	s_and_b32 exec_lo, exec_lo, vcc_lo
	s_cbranch_execz .LBB129_144
; %bb.149:                              ;   in Loop: Header=BB129_145 Depth=2
	v_perm_b32 v2, v2, s60, 0x5040100
	ds_store_b32 v7, v2 offset:3072
	s_branch .LBB129_144
.LBB129_150:                            ;   in Loop: Header=BB129_21 Depth=1
	s_or_b32 exec_lo, exec_lo, s13
	v_lshrrev_b32_e32 v27, 16, v2
	s_and_b32 s72, s15, exec_lo
.LBB129_151:                            ;   in Loop: Header=BB129_21 Depth=1
	s_or_b32 exec_lo, exec_lo, s12
	s_mov_b32 s15, -1
	s_mov_b32 s13, 0
	s_mov_b32 s12, 0
.LBB129_152:                            ;   in Loop: Header=BB129_21 Depth=1
	s_mov_b32 s73, 0
                                        ; implicit-def: $sgpr7
	s_and_saveexec_b32 s18, s72
	s_cbranch_execz .LBB129_248
; %bb.153:                              ;   in Loop: Header=BB129_21 Depth=1
	s_xor_b32 s7, s71, -1
	s_mov_b32 s71, 0
	s_and_not1_b32 vcc_lo, exec_lo, s7
	s_mov_b32 s74, 1
	s_cbranch_vccnz .LBB129_164
; %bb.154:                              ;   in Loop: Header=BB129_21 Depth=1
	s_cmp_gt_u32 s20, s19
	s_mov_b32 s71, -1
                                        ; implicit-def: $sgpr7
                                        ; implicit-def: $sgpr72
                                        ; implicit-def: $sgpr73
	s_cbranch_scc1 .LBB129_160
; %bb.155:                              ;   in Loop: Header=BB129_21 Depth=1
	ds_load_b32 v1, v7 offset:4104
	s_waitcnt lgkmcnt(0)
	v_cmp_ne_u32_e32 vcc_lo, 0, v1
	s_cbranch_vccnz .LBB129_159
; %bb.156:                              ;   in Loop: Header=BB129_21 Depth=1
	s_and_saveexec_b32 s7, s1
	s_cbranch_execz .LBB129_158
; %bb.157:                              ;   in Loop: Header=BB129_21 Depth=1
	v_mov_b32_e32 v1, s19
	ds_store_b32 v7, v1 offset:4108
.LBB129_158:                            ;   in Loop: Header=BB129_21 Depth=1
	s_or_b32 exec_lo, exec_lo, s7
	s_waitcnt lgkmcnt(0)
	s_barrier
	buffer_gl0_inv
.LBB129_159:                            ;   in Loop: Header=BB129_21 Depth=1
	s_lshl_b32 s7, 1, s16
	s_and_b32 s71, s69, s17
	s_or_b32 s73, s70, s9
	s_or_b32 s72, s71, s7
	s_mov_b32 s71, 0
	s_mov_b32 s7, 8
.LBB129_160:                            ;   in Loop: Header=BB129_21 Depth=1
	s_and_not1_b32 vcc_lo, exec_lo, s71
	s_cbranch_vccnz .LBB129_162
; %bb.161:                              ;   in Loop: Header=BB129_21 Depth=1
	s_sub_i32 s20, s20, s19
	s_mov_b32 s71, -1
	s_mov_b32 s7, 0
	s_mov_b32 s72, s69
	;; [unrolled: 1-line block ×3, first 2 shown]
.LBB129_162:                            ;   in Loop: Header=BB129_21 Depth=1
	s_delay_alu instid0(SALU_CYCLE_1)
	s_mov_b32 s70, s73
	s_mov_b32 s69, s72
	;; [unrolled: 1-line block ×3, first 2 shown]
	s_and_not1_b32 vcc_lo, exec_lo, s71
	s_mov_b32 s76, -1
	s_cbranch_vccz .LBB129_165
.LBB129_163:                            ;   in Loop: Header=BB129_21 Depth=1
                                        ; implicit-def: $sgpr20
                                        ; implicit-def: $sgpr71
                                        ; implicit-def: $sgpr19
	s_branch .LBB129_247
.LBB129_164:                            ;   in Loop: Header=BB129_21 Depth=1
	s_mov_b32 s7, 1
	s_and_not1_b32 vcc_lo, exec_lo, s71
	s_mov_b32 s76, -1
	s_cbranch_vccnz .LBB129_163
.LBB129_165:                            ;   in Loop: Header=BB129_21 Depth=1
	s_cmp_eq_u32 s14, 1
	s_mov_b32 s75, -1
	s_cselect_b32 s7, -1, 0
	s_cmp_eq_u32 s74, 1
	s_cselect_b32 s19, -1, 0
	s_delay_alu instid0(SALU_CYCLE_1) | instskip(NEXT) | instid1(SALU_CYCLE_1)
	s_and_b32 s73, s7, s19
	s_and_b32 vcc_lo, exec_lo, s73
	s_cbranch_vccz .LBB129_177
; %bb.166:                              ;   in Loop: Header=BB129_21 Depth=1
	ds_load_b32 v1, v7 offset:4104
	s_waitcnt lgkmcnt(0)
	s_barrier
	buffer_gl0_inv
	v_readfirstlane_b32 s19, v1
	s_and_saveexec_b32 s7, s2
	s_cbranch_execz .LBB129_168
; %bb.167:                              ;   in Loop: Header=BB129_21 Depth=1
	ds_store_b16 v16, v7
.LBB129_168:                            ;   in Loop: Header=BB129_21 Depth=1
	s_or_b32 exec_lo, exec_lo, s7
	s_lshl_b32 s7, 2, s16
	s_and_b32 s20, s69, s17
	s_or_b32 s70, s70, s9
	s_or_b32 s69, s20, s7
	s_cmp_eq_u32 s19, 0
	s_waitcnt lgkmcnt(0)
	s_barrier
	buffer_gl0_inv
	s_cbranch_scc1 .LBB129_178
; %bb.169:                              ;   in Loop: Header=BB129_21 Depth=1
	s_add_i32 s7, s19, s46
	s_mov_b32 s75, 0
	s_mul_hi_u32 s20, s7, s55
                                        ; implicit-def: $vgpr27
	s_delay_alu instid0(SALU_CYCLE_1) | instskip(NEXT) | instid1(SALU_CYCLE_1)
	s_mul_i32 s20, s20, s27
	s_sub_i32 s20, s7, s20
	s_delay_alu instid0(SALU_CYCLE_1) | instskip(SKIP_2) | instid1(SALU_CYCLE_1)
	s_sub_i32 s71, s20, s27
	s_cmp_ge_u32 s20, s27
	s_cselect_b32 s20, s71, s20
	s_sub_i32 s71, s20, s27
	s_cmp_ge_u32 s20, s27
	s_cselect_b32 s20, s71, s20
	s_delay_alu instid0(SALU_CYCLE_1)
	s_sub_i32 s71, s7, s20
	s_mov_b32 s20, exec_lo
	v_cmpx_gt_u32_e64 s71, v0
	s_cbranch_execz .LBB129_180
; %bb.170:                              ;   in Loop: Header=BB129_21 Depth=1
	v_dual_mov_b32 v1, v15 :: v_dual_mov_b32 v2, v0
	s_mov_b32 s72, 0
                                        ; implicit-def: $sgpr75
	s_set_inst_prefetch_distance 0x1
	s_branch .LBB129_172
	.p2align	6
.LBB129_171:                            ;   in Loop: Header=BB129_172 Depth=2
	s_or_b32 exec_lo, exec_lo, s7
	s_waitcnt lgkmcnt(0)
	s_barrier
	buffer_gl0_inv
	ds_load_b32 v3, v7 offset:3072
	v_add_nc_u32_e32 v2, s27, v2
	v_add_nc_u32_e32 v1, s59, v1
	s_waitcnt lgkmcnt(0)
	s_barrier
	buffer_gl0_inv
	v_cmp_le_u32_e32 vcc_lo, s71, v2
	v_cmp_neq_f16_e64 s7, 0, v3
	s_delay_alu instid0(VALU_DEP_1) | instskip(NEXT) | instid1(SALU_CYCLE_1)
	s_or_b32 s76, vcc_lo, s7
	s_and_b32 s76, exec_lo, s76
	s_delay_alu instid0(SALU_CYCLE_1) | instskip(SKIP_2) | instid1(SALU_CYCLE_1)
	s_or_b32 s72, s76, s72
	s_and_not1_b32 s75, s75, exec_lo
	s_and_b32 s7, s7, exec_lo
	s_or_b32 s75, s75, s7
	s_and_not1_b32 exec_lo, exec_lo, s72
	s_cbranch_execz .LBB129_179
.LBB129_172:                            ;   Parent Loop BB129_21 Depth=1
                                        ; =>  This Inner Loop Header: Depth=2
	s_delay_alu instid0(VALU_DEP_1)
	v_cmp_gt_u32_e32 vcc_lo, s19, v2
	v_mov_b32_e32 v3, 0
	s_and_saveexec_b32 s7, vcc_lo
	s_cbranch_execz .LBB129_174
; %bb.173:                              ;   in Loop: Header=BB129_172 Depth=2
	ds_load_u16 v3, v1
.LBB129_174:                            ;   in Loop: Header=BB129_172 Depth=2
	s_or_b32 exec_lo, exec_lo, s7
	s_and_saveexec_b32 s7, vcc_lo
	s_cbranch_execz .LBB129_171
; %bb.175:                              ;   in Loop: Header=BB129_172 Depth=2
	s_waitcnt lgkmcnt(0)
	v_cmp_lt_i16_e32 vcc_lo, -1, v3
	v_and_b32_e32 v4, 0xffff, v3
	v_cndmask_b32_e32 v6, 0xffff, v26, vcc_lo
	v_cmp_o_f16_e32 vcc_lo, v3, v3
	s_delay_alu instid0(VALU_DEP_2) | instskip(NEXT) | instid1(VALU_DEP_1)
	v_xor_b32_e32 v4, v6, v4
	v_cndmask_b32_e32 v4, 0xffff, v4, vcc_lo
	s_delay_alu instid0(VALU_DEP_1) | instskip(NEXT) | instid1(VALU_DEP_1)
	v_and_b32_e32 v4, s70, v4
	v_cmp_eq_u32_e32 vcc_lo, s69, v4
	s_and_b32 exec_lo, exec_lo, vcc_lo
	s_cbranch_execz .LBB129_171
; %bb.176:                              ;   in Loop: Header=BB129_172 Depth=2
	v_perm_b32 v3, v3, s60, 0x5040100
	ds_store_b32 v7, v3 offset:3072
	s_branch .LBB129_171
.LBB129_177:                            ;   in Loop: Header=BB129_21 Depth=1
                                        ; implicit-def: $sgpr19
                                        ; implicit-def: $sgpr71
                                        ; implicit-def: $sgpr20
	s_branch .LBB129_191
.LBB129_178:                            ;   in Loop: Header=BB129_21 Depth=1
	s_mov_b32 s19, -1
	s_mov_b32 s75, 0
                                        ; implicit-def: $sgpr20
                                        ; implicit-def: $vgpr27
	s_mov_b32 s71, s19
	s_cbranch_execnz .LBB129_181
	s_branch .LBB129_191
.LBB129_179:                            ;   in Loop: Header=BB129_21 Depth=1
	s_set_inst_prefetch_distance 0x2
	s_or_b32 exec_lo, exec_lo, s72
	v_lshrrev_b32_e32 v27, 16, v3
	s_and_b32 s75, s75, exec_lo
.LBB129_180:                            ;   in Loop: Header=BB129_21 Depth=1
	s_or_b32 exec_lo, exec_lo, s20
	s_mov_b32 s20, -1
	s_mov_b32 s19, 0
	s_delay_alu instid0(SALU_CYCLE_1)
	s_mov_b32 s71, s19
	s_branch .LBB129_191
.LBB129_181:                            ;   in Loop: Header=BB129_21 Depth=1
	s_mov_b32 s75, 0
                                        ; implicit-def: $vgpr27
	s_and_saveexec_b32 s19, s6
	s_cbranch_execz .LBB129_190
; %bb.182:                              ;   in Loop: Header=BB129_21 Depth=1
	v_dual_mov_b32 v6, v5 :: v_dual_mov_b32 v1, v0
	s_mov_b32 s20, 0
                                        ; implicit-def: $sgpr71
	s_branch .LBB129_184
.LBB129_183:                            ;   in Loop: Header=BB129_184 Depth=2
	s_or_b32 exec_lo, exec_lo, s7
	s_waitcnt vmcnt(0) lgkmcnt(0)
	s_barrier
	buffer_gl0_inv
	ds_load_b32 v2, v7 offset:3072
	v_add_nc_u32_e32 v1, s27, v1
	v_add_nc_u32_e32 v6, s43, v6
	s_waitcnt lgkmcnt(0)
	s_barrier
	buffer_gl0_inv
	v_cmp_le_u32_e32 vcc_lo, s57, v1
	v_cmp_neq_f16_e64 s7, 0, v2
	s_delay_alu instid0(VALU_DEP_1) | instskip(NEXT) | instid1(SALU_CYCLE_1)
	s_or_b32 s72, vcc_lo, s7
	s_and_b32 s72, exec_lo, s72
	s_delay_alu instid0(SALU_CYCLE_1) | instskip(SKIP_2) | instid1(SALU_CYCLE_1)
	s_or_b32 s20, s72, s20
	s_and_not1_b32 s71, s71, exec_lo
	s_and_b32 s7, s7, exec_lo
	s_or_b32 s71, s71, s7
	s_and_not1_b32 exec_lo, exec_lo, s20
	s_cbranch_execz .LBB129_189
.LBB129_184:                            ;   Parent Loop BB129_21 Depth=1
                                        ; =>  This Inner Loop Header: Depth=2
	s_delay_alu instid0(VALU_DEP_1)
	v_cmp_gt_u32_e32 vcc_lo, s24, v1
	v_mov_b32_e32 v2, 0
	s_and_saveexec_b32 s72, vcc_lo
	s_cbranch_execz .LBB129_186
; %bb.185:                              ;   in Loop: Header=BB129_184 Depth=2
	v_lshlrev_b64 v[2:3], 1, v[6:7]
	s_delay_alu instid0(VALU_DEP_1) | instskip(NEXT) | instid1(VALU_DEP_1)
	v_add_co_u32 v2, s7, s38, v2
	v_add_co_ci_u32_e64 v3, s7, s39, v3, s7
	global_load_u16 v2, v[2:3], off
.LBB129_186:                            ;   in Loop: Header=BB129_184 Depth=2
	s_or_b32 exec_lo, exec_lo, s72
	s_and_saveexec_b32 s7, vcc_lo
	s_cbranch_execz .LBB129_183
; %bb.187:                              ;   in Loop: Header=BB129_184 Depth=2
	s_waitcnt vmcnt(0)
	v_cmp_lt_i16_e32 vcc_lo, -1, v2
	v_and_b32_e32 v3, 0xffff, v2
	v_cndmask_b32_e32 v4, 0xffff, v26, vcc_lo
	v_cmp_o_f16_e32 vcc_lo, v2, v2
	s_delay_alu instid0(VALU_DEP_2) | instskip(NEXT) | instid1(VALU_DEP_1)
	v_xor_b32_e32 v3, v4, v3
	v_cndmask_b32_e32 v3, 0xffff, v3, vcc_lo
	s_delay_alu instid0(VALU_DEP_1) | instskip(NEXT) | instid1(VALU_DEP_1)
	v_and_b32_e32 v3, s70, v3
	v_cmp_eq_u32_e32 vcc_lo, s69, v3
	s_and_b32 exec_lo, exec_lo, vcc_lo
	s_cbranch_execz .LBB129_183
; %bb.188:                              ;   in Loop: Header=BB129_184 Depth=2
	v_perm_b32 v2, v2, s60, 0x5040100
	ds_store_b32 v7, v2 offset:3072
	s_branch .LBB129_183
.LBB129_189:                            ;   in Loop: Header=BB129_21 Depth=1
	s_or_b32 exec_lo, exec_lo, s20
	v_lshrrev_b32_e32 v27, 16, v2
	s_and_b32 s75, s71, exec_lo
.LBB129_190:                            ;   in Loop: Header=BB129_21 Depth=1
	s_or_b32 exec_lo, exec_lo, s19
	s_mov_b32 s71, -1
	s_mov_b32 s19, 0
	s_mov_b32 s20, 0
.LBB129_191:                            ;   in Loop: Header=BB129_21 Depth=1
	s_mov_b32 s76, 0
                                        ; implicit-def: $sgpr7
	s_and_saveexec_b32 s72, s75
	s_cbranch_execz .LBB129_246
; %bb.192:                              ;   in Loop: Header=BB129_21 Depth=1
	s_xor_b32 s7, s73, -1
	s_mov_b32 s75, 0
	s_and_not1_b32 vcc_lo, exec_lo, s7
	s_mov_b32 s73, 1
	s_cbranch_vccnz .LBB129_203
; %bb.193:                              ;   in Loop: Header=BB129_21 Depth=1
	s_cmp_gt_u32 s74, s14
	s_mov_b32 s75, -1
                                        ; implicit-def: $sgpr7
                                        ; implicit-def: $sgpr73
                                        ; implicit-def: $sgpr76
	s_cbranch_scc1 .LBB129_199
; %bb.194:                              ;   in Loop: Header=BB129_21 Depth=1
	ds_load_b32 v1, v7 offset:4104
	s_waitcnt lgkmcnt(0)
	v_cmp_ne_u32_e32 vcc_lo, 0, v1
	s_cbranch_vccnz .LBB129_198
; %bb.195:                              ;   in Loop: Header=BB129_21 Depth=1
	s_and_saveexec_b32 s7, s1
	s_cbranch_execz .LBB129_197
; %bb.196:                              ;   in Loop: Header=BB129_21 Depth=1
	v_mov_b32_e32 v1, s14
	ds_store_b32 v7, v1 offset:4108
.LBB129_197:                            ;   in Loop: Header=BB129_21 Depth=1
	s_or_b32 exec_lo, exec_lo, s7
	s_waitcnt lgkmcnt(0)
	s_barrier
	buffer_gl0_inv
.LBB129_198:                            ;   in Loop: Header=BB129_21 Depth=1
	s_lshl_b32 s7, 2, s16
	s_and_b32 s16, s69, s17
	s_or_b32 s76, s70, s9
	s_or_b32 s73, s16, s7
	s_mov_b32 s75, 0
	s_mov_b32 s7, 8
.LBB129_199:                            ;   in Loop: Header=BB129_21 Depth=1
	s_and_not1_b32 vcc_lo, exec_lo, s75
	s_cbranch_vccnz .LBB129_201
; %bb.200:                              ;   in Loop: Header=BB129_21 Depth=1
	s_sub_i32 s74, s74, s14
	s_mov_b32 s75, -1
	s_mov_b32 s7, 0
	s_mov_b32 s73, s69
	;; [unrolled: 1-line block ×3, first 2 shown]
.LBB129_201:                            ;   in Loop: Header=BB129_21 Depth=1
	s_delay_alu instid0(SALU_CYCLE_1)
	s_mov_b32 s70, s76
	s_mov_b32 s69, s73
	;; [unrolled: 1-line block ×3, first 2 shown]
	s_and_not1_b32 vcc_lo, exec_lo, s75
	s_mov_b32 s77, -1
	s_cbranch_vccz .LBB129_204
.LBB129_202:                            ;   in Loop: Header=BB129_21 Depth=1
                                        ; implicit-def: $sgpr16
                                        ; implicit-def: $sgpr74
                                        ; implicit-def: $sgpr17
	s_branch .LBB129_245
.LBB129_203:                            ;   in Loop: Header=BB129_21 Depth=1
	s_mov_b32 s7, 1
	s_and_not1_b32 vcc_lo, exec_lo, s75
	s_mov_b32 s77, -1
	s_cbranch_vccnz .LBB129_202
.LBB129_204:                            ;   in Loop: Header=BB129_21 Depth=1
	s_cmp_eq_u32 s8, 1
	s_mov_b32 s75, -1
	s_cselect_b32 s7, -1, 0
	s_cmp_eq_u32 s73, 1
	s_cselect_b32 s14, -1, 0
	s_delay_alu instid0(SALU_CYCLE_1) | instskip(NEXT) | instid1(SALU_CYCLE_1)
	s_and_b32 s14, s7, s14
	s_and_b32 vcc_lo, exec_lo, s14
	s_cbranch_vccz .LBB129_216
; %bb.205:                              ;   in Loop: Header=BB129_21 Depth=1
	ds_load_b32 v1, v7 offset:4104
	s_waitcnt lgkmcnt(0)
	s_barrier
	buffer_gl0_inv
	v_readfirstlane_b32 s16, v1
	s_and_saveexec_b32 s7, s2
	s_cbranch_execz .LBB129_207
; %bb.206:                              ;   in Loop: Header=BB129_21 Depth=1
	ds_store_b16 v16, v7
.LBB129_207:                            ;   in Loop: Header=BB129_21 Depth=1
	s_or_b32 exec_lo, exec_lo, s7
	s_or_b32 s69, s69, s9
	s_or_b32 s70, s70, s9
	s_cmp_eq_u32 s16, 0
	s_waitcnt lgkmcnt(0)
	s_barrier
	buffer_gl0_inv
	s_cbranch_scc1 .LBB129_217
; %bb.208:                              ;   in Loop: Header=BB129_21 Depth=1
	s_add_i32 s7, s16, s46
	s_mov_b32 s75, 0
	s_mul_hi_u32 s17, s7, s55
                                        ; implicit-def: $vgpr27
	s_delay_alu instid0(SALU_CYCLE_1) | instskip(NEXT) | instid1(SALU_CYCLE_1)
	s_mul_i32 s17, s17, s27
	s_sub_i32 s17, s7, s17
	s_delay_alu instid0(SALU_CYCLE_1) | instskip(SKIP_2) | instid1(SALU_CYCLE_1)
	s_sub_i32 s74, s17, s27
	s_cmp_ge_u32 s17, s27
	s_cselect_b32 s17, s74, s17
	s_sub_i32 s74, s17, s27
	s_cmp_ge_u32 s17, s27
	s_cselect_b32 s17, s74, s17
	s_delay_alu instid0(SALU_CYCLE_1)
	s_sub_i32 s74, s7, s17
	s_mov_b32 s17, exec_lo
	v_cmpx_gt_u32_e64 s74, v0
	s_cbranch_execz .LBB129_219
; %bb.209:                              ;   in Loop: Header=BB129_21 Depth=1
	v_dual_mov_b32 v1, v15 :: v_dual_mov_b32 v2, v0
                                        ; implicit-def: $sgpr76
	s_set_inst_prefetch_distance 0x1
	s_branch .LBB129_211
	.p2align	6
.LBB129_210:                            ;   in Loop: Header=BB129_211 Depth=2
	s_or_b32 exec_lo, exec_lo, s7
	s_waitcnt lgkmcnt(0)
	s_barrier
	buffer_gl0_inv
	ds_load_b32 v3, v7 offset:3072
	v_add_nc_u32_e32 v2, s27, v2
	v_add_nc_u32_e32 v1, s59, v1
	s_waitcnt lgkmcnt(0)
	s_barrier
	buffer_gl0_inv
	v_cmp_le_u32_e32 vcc_lo, s74, v2
	v_cmp_neq_f16_e64 s7, 0, v3
	s_delay_alu instid0(VALU_DEP_1) | instskip(NEXT) | instid1(SALU_CYCLE_1)
	s_or_b32 s77, vcc_lo, s7
	s_and_b32 s77, exec_lo, s77
	s_delay_alu instid0(SALU_CYCLE_1) | instskip(SKIP_2) | instid1(SALU_CYCLE_1)
	s_or_b32 s75, s77, s75
	s_and_not1_b32 s76, s76, exec_lo
	s_and_b32 s7, s7, exec_lo
	s_or_b32 s76, s76, s7
	s_and_not1_b32 exec_lo, exec_lo, s75
	s_cbranch_execz .LBB129_218
.LBB129_211:                            ;   Parent Loop BB129_21 Depth=1
                                        ; =>  This Inner Loop Header: Depth=2
	s_delay_alu instid0(VALU_DEP_1)
	v_cmp_gt_u32_e32 vcc_lo, s16, v2
	v_mov_b32_e32 v3, 0
	s_and_saveexec_b32 s7, vcc_lo
	s_cbranch_execz .LBB129_213
; %bb.212:                              ;   in Loop: Header=BB129_211 Depth=2
	ds_load_u16 v3, v1
.LBB129_213:                            ;   in Loop: Header=BB129_211 Depth=2
	s_or_b32 exec_lo, exec_lo, s7
	s_and_saveexec_b32 s7, vcc_lo
	s_cbranch_execz .LBB129_210
; %bb.214:                              ;   in Loop: Header=BB129_211 Depth=2
	s_waitcnt lgkmcnt(0)
	v_cmp_lt_i16_e32 vcc_lo, -1, v3
	v_and_b32_e32 v4, 0xffff, v3
	v_cndmask_b32_e32 v6, 0xffff, v26, vcc_lo
	v_cmp_o_f16_e32 vcc_lo, v3, v3
	s_delay_alu instid0(VALU_DEP_2) | instskip(NEXT) | instid1(VALU_DEP_1)
	v_xor_b32_e32 v4, v6, v4
	v_cndmask_b32_e32 v4, 0xffff, v4, vcc_lo
	s_delay_alu instid0(VALU_DEP_1) | instskip(NEXT) | instid1(VALU_DEP_1)
	v_and_b32_e32 v4, s70, v4
	v_cmp_eq_u32_e32 vcc_lo, s69, v4
	s_and_b32 exec_lo, exec_lo, vcc_lo
	s_cbranch_execz .LBB129_210
; %bb.215:                              ;   in Loop: Header=BB129_211 Depth=2
	v_perm_b32 v3, v3, s60, 0x5040100
	ds_store_b32 v7, v3 offset:3072
	s_branch .LBB129_210
.LBB129_216:                            ;   in Loop: Header=BB129_21 Depth=1
                                        ; implicit-def: $sgpr16
                                        ; implicit-def: $sgpr74
                                        ; implicit-def: $sgpr17
	s_branch .LBB129_230
.LBB129_217:                            ;   in Loop: Header=BB129_21 Depth=1
	s_mov_b32 s16, -1
	s_mov_b32 s75, 0
                                        ; implicit-def: $sgpr17
                                        ; implicit-def: $vgpr27
	s_mov_b32 s74, s16
	s_cbranch_execnz .LBB129_220
	s_branch .LBB129_230
.LBB129_218:                            ;   in Loop: Header=BB129_21 Depth=1
	s_set_inst_prefetch_distance 0x2
	s_or_b32 exec_lo, exec_lo, s75
	v_lshrrev_b32_e32 v27, 16, v3
	s_and_b32 s75, s76, exec_lo
.LBB129_219:                            ;   in Loop: Header=BB129_21 Depth=1
	s_or_b32 exec_lo, exec_lo, s17
	s_mov_b32 s17, -1
	s_mov_b32 s16, 0
	s_delay_alu instid0(SALU_CYCLE_1)
	s_mov_b32 s74, s16
	s_branch .LBB129_230
.LBB129_220:                            ;   in Loop: Header=BB129_21 Depth=1
	s_mov_b32 s75, 0
                                        ; implicit-def: $vgpr27
	s_and_saveexec_b32 s16, s6
	s_cbranch_execz .LBB129_229
; %bb.221:                              ;   in Loop: Header=BB129_21 Depth=1
	v_dual_mov_b32 v6, v5 :: v_dual_mov_b32 v1, v0
	s_mov_b32 s17, 0
                                        ; implicit-def: $sgpr74
	s_branch .LBB129_223
.LBB129_222:                            ;   in Loop: Header=BB129_223 Depth=2
	s_or_b32 exec_lo, exec_lo, s7
	s_waitcnt vmcnt(0) lgkmcnt(0)
	s_barrier
	buffer_gl0_inv
	ds_load_b32 v2, v7 offset:3072
	v_add_nc_u32_e32 v1, s27, v1
	v_add_nc_u32_e32 v6, s43, v6
	s_waitcnt lgkmcnt(0)
	s_barrier
	buffer_gl0_inv
	v_cmp_le_u32_e32 vcc_lo, s57, v1
	v_cmp_neq_f16_e64 s7, 0, v2
	s_delay_alu instid0(VALU_DEP_1) | instskip(NEXT) | instid1(SALU_CYCLE_1)
	s_or_b32 s75, vcc_lo, s7
	s_and_b32 s75, exec_lo, s75
	s_delay_alu instid0(SALU_CYCLE_1) | instskip(SKIP_2) | instid1(SALU_CYCLE_1)
	s_or_b32 s17, s75, s17
	s_and_not1_b32 s74, s74, exec_lo
	s_and_b32 s7, s7, exec_lo
	s_or_b32 s74, s74, s7
	s_and_not1_b32 exec_lo, exec_lo, s17
	s_cbranch_execz .LBB129_228
.LBB129_223:                            ;   Parent Loop BB129_21 Depth=1
                                        ; =>  This Inner Loop Header: Depth=2
	s_delay_alu instid0(VALU_DEP_1)
	v_cmp_gt_u32_e32 vcc_lo, s24, v1
	v_mov_b32_e32 v2, 0
	s_and_saveexec_b32 s75, vcc_lo
	s_cbranch_execz .LBB129_225
; %bb.224:                              ;   in Loop: Header=BB129_223 Depth=2
	v_lshlrev_b64 v[2:3], 1, v[6:7]
	s_delay_alu instid0(VALU_DEP_1) | instskip(NEXT) | instid1(VALU_DEP_1)
	v_add_co_u32 v2, s7, s38, v2
	v_add_co_ci_u32_e64 v3, s7, s39, v3, s7
	global_load_u16 v2, v[2:3], off
.LBB129_225:                            ;   in Loop: Header=BB129_223 Depth=2
	s_or_b32 exec_lo, exec_lo, s75
	s_and_saveexec_b32 s7, vcc_lo
	s_cbranch_execz .LBB129_222
; %bb.226:                              ;   in Loop: Header=BB129_223 Depth=2
	s_waitcnt vmcnt(0)
	v_cmp_lt_i16_e32 vcc_lo, -1, v2
	v_and_b32_e32 v3, 0xffff, v2
	v_cndmask_b32_e32 v4, 0xffff, v26, vcc_lo
	v_cmp_o_f16_e32 vcc_lo, v2, v2
	s_delay_alu instid0(VALU_DEP_2) | instskip(NEXT) | instid1(VALU_DEP_1)
	v_xor_b32_e32 v3, v4, v3
	v_cndmask_b32_e32 v3, 0xffff, v3, vcc_lo
	s_delay_alu instid0(VALU_DEP_1) | instskip(NEXT) | instid1(VALU_DEP_1)
	v_and_b32_e32 v3, s70, v3
	v_cmp_eq_u32_e32 vcc_lo, s69, v3
	s_and_b32 exec_lo, exec_lo, vcc_lo
	s_cbranch_execz .LBB129_222
; %bb.227:                              ;   in Loop: Header=BB129_223 Depth=2
	v_perm_b32 v2, v2, s60, 0x5040100
	ds_store_b32 v7, v2 offset:3072
	s_branch .LBB129_222
.LBB129_228:                            ;   in Loop: Header=BB129_21 Depth=1
	s_or_b32 exec_lo, exec_lo, s17
	v_lshrrev_b32_e32 v27, 16, v2
	s_and_b32 s75, s74, exec_lo
.LBB129_229:                            ;   in Loop: Header=BB129_21 Depth=1
	s_or_b32 exec_lo, exec_lo, s16
	s_mov_b32 s74, -1
	s_mov_b32 s16, 0
	s_mov_b32 s17, 0
.LBB129_230:                            ;   in Loop: Header=BB129_21 Depth=1
	s_mov_b32 s77, 0
                                        ; implicit-def: $sgpr7
	s_and_saveexec_b32 s76, s75
	s_cbranch_execz .LBB129_244
; %bb.231:                              ;   in Loop: Header=BB129_21 Depth=1
	s_xor_b32 s7, s14, -1
	s_delay_alu instid0(SALU_CYCLE_1)
	s_and_not1_b32 vcc_lo, exec_lo, s7
	s_mov_b32 s7, 1
	s_cbranch_vccnz .LBB129_238
; %bb.232:                              ;   in Loop: Header=BB129_21 Depth=1
	s_cmp_gt_u32 s73, s8
	s_cbranch_scc1 .LBB129_239
; %bb.233:                              ;   in Loop: Header=BB129_21 Depth=1
	ds_load_b32 v1, v7 offset:4104
	s_waitcnt lgkmcnt(0)
	v_cmp_ne_u32_e32 vcc_lo, 0, v1
	s_cbranch_vccnz .LBB129_237
; %bb.234:                              ;   in Loop: Header=BB129_21 Depth=1
	s_and_saveexec_b32 s7, s1
	s_cbranch_execz .LBB129_236
; %bb.235:                              ;   in Loop: Header=BB129_21 Depth=1
	v_mov_b32_e32 v1, s8
	ds_store_b32 v7, v1 offset:4108
.LBB129_236:                            ;   in Loop: Header=BB129_21 Depth=1
	s_or_b32 exec_lo, exec_lo, s7
	s_waitcnt lgkmcnt(0)
	s_barrier
	buffer_gl0_inv
.LBB129_237:                            ;   in Loop: Header=BB129_21 Depth=1
	s_or_b32 s14, s69, s9
	s_or_b32 s9, s70, s9
	s_mov_b32 s75, 0
	s_mov_b32 s7, 8
	s_branch .LBB129_240
.LBB129_238:                            ;   in Loop: Header=BB129_21 Depth=1
	s_mov_b32 s73, 1
	s_branch .LBB129_243
.LBB129_239:                            ;   in Loop: Header=BB129_21 Depth=1
	s_mov_b32 s75, -1
                                        ; implicit-def: $sgpr7
                                        ; implicit-def: $sgpr14
                                        ; implicit-def: $sgpr9
.LBB129_240:                            ;   in Loop: Header=BB129_21 Depth=1
	s_delay_alu instid0(SALU_CYCLE_1)
	s_and_not1_b32 vcc_lo, exec_lo, s75
	s_cbranch_vccnz .LBB129_242
; %bb.241:                              ;   in Loop: Header=BB129_21 Depth=1
	s_sub_i32 s73, s73, s8
	s_mov_b32 s7, 8
	s_mov_b32 s14, s69
	;; [unrolled: 1-line block ×3, first 2 shown]
.LBB129_242:                            ;   in Loop: Header=BB129_21 Depth=1
	s_mov_b32 s69, s14
	s_mov_b32 s70, s9
.LBB129_243:                            ;   in Loop: Header=BB129_21 Depth=1
	s_mov_b32 s77, exec_lo
.LBB129_244:                            ;   in Loop: Header=BB129_21 Depth=1
	s_or_b32 exec_lo, exec_lo, s76
.LBB129_245:                            ;   in Loop: Header=BB129_21 Depth=1
	s_delay_alu instid0(SALU_CYCLE_1)
	s_and_not1_b32 s8, s19, exec_lo
	s_and_b32 s9, s16, exec_lo
	s_and_not1_b32 s14, s20, exec_lo
	s_or_b32 s19, s8, s9
	s_and_not1_b32 s8, s71, exec_lo
	s_and_b32 s9, s74, exec_lo
	s_and_b32 s16, s17, exec_lo
	s_or_b32 s71, s8, s9
	s_or_b32 s20, s14, s16
	s_and_b32 s76, s77, exec_lo
	s_mov_b32 s74, s73
.LBB129_246:                            ;   in Loop: Header=BB129_21 Depth=1
	s_or_b32 exec_lo, exec_lo, s72
.LBB129_247:                            ;   in Loop: Header=BB129_21 Depth=1
	s_delay_alu instid0(SALU_CYCLE_1)
	s_and_not1_b32 s8, s13, exec_lo
	s_and_b32 s9, s19, exec_lo
	s_and_not1_b32 s12, s12, exec_lo
	s_or_b32 s13, s8, s9
	s_and_not1_b32 s8, s15, exec_lo
	s_and_b32 s9, s71, exec_lo
	s_and_b32 s14, s20, exec_lo
	s_or_b32 s15, s8, s9
	s_or_b32 s12, s12, s14
	s_and_b32 s73, s76, exec_lo
	s_mov_b32 s20, s74
.LBB129_248:                            ;   in Loop: Header=BB129_21 Depth=1
	s_or_b32 exec_lo, exec_lo, s18
                                        ; implicit-def: $sgpr71
	s_and_saveexec_b32 s8, s73
	s_delay_alu instid0(SALU_CYCLE_1)
	s_xor_b32 s8, exec_lo, s8
	s_cbranch_execz .LBB129_19
.LBB129_249:                            ;   in Loop: Header=BB129_21 Depth=1
	s_and_b32 s7, s7, -9
	s_delay_alu instid0(SALU_CYCLE_1)
	s_cmp_eq_u32 s7, 0
	s_cbranch_scc1 .LBB129_17
; %bb.250:                              ;   in Loop: Header=BB129_21 Depth=1
	s_mov_b32 s7, -1
	s_mov_b32 s9, -1
                                        ; implicit-def: $sgpr70
                                        ; implicit-def: $sgpr20
                                        ; implicit-def: $sgpr64
                                        ; implicit-def: $sgpr67
	s_branch .LBB129_18
.LBB129_251:
	s_or_b32 exec_lo, exec_lo, s42
	s_xor_b32 s4, s63, -1
	s_xor_b32 s1, s61, -1
	;; [unrolled: 1-line block ×3, first 2 shown]
	s_mov_b32 s2, 0
	s_and_saveexec_b32 s5, s1
	s_delay_alu instid0(SALU_CYCLE_1)
	s_xor_b32 s1, exec_lo, s5
	s_cbranch_execz .LBB129_265
; %bb.252:
	s_and_saveexec_b32 s2, s4
	s_delay_alu instid0(SALU_CYCLE_1)
	s_xor_b32 s4, exec_lo, s2
	s_cbranch_execz .LBB129_263
; %bb.253:
	s_and_saveexec_b32 s2, s3
	s_delay_alu instid0(SALU_CYCLE_1)
	s_xor_b32 s2, exec_lo, s2
; %bb.254:
	v_and_b32_e32 v2, 0x8000, v1
	v_mov_b32_e32 v3, 0xffff
	s_delay_alu instid0(VALU_DEP_2) | instskip(NEXT) | instid1(VALU_DEP_2)
	v_cmp_eq_u32_e32 vcc_lo, 0, v2
	v_cndmask_b32_e32 v2, 0x8000, v3, vcc_lo
	s_delay_alu instid0(VALU_DEP_1)
	v_xor_b32_e32 v27, v2, v1
; %bb.255:
	s_or_b32 exec_lo, exec_lo, s2
	s_mul_i32 s2, s41, s40
	s_add_i32 s3, s41, 1
	s_sub_i32 s2, s21, s2
	v_mov_b32_e32 v6, 0
	s_sub_i32 s5, s2, s40
	s_cmp_ge_u32 s2, s40
	s_cselect_b32 s3, s3, s41
	s_cselect_b32 s2, s5, s2
	s_add_i32 s5, s3, 1
	s_cmp_ge_u32 s2, s40
	s_cselect_b32 s2, s5, s3
	s_delay_alu instid0(SALU_CYCLE_1) | instskip(SKIP_2) | instid1(SALU_CYCLE_1)
	s_mul_i32 s3, s2, s40
	s_mul_i32 s2, s2, s30
	s_sub_i32 s3, s21, s3
	s_mul_i32 s5, s3, s31
	s_mov_b32 s3, 0
	s_add_i32 s2, s2, s5
	s_delay_alu instid0(SALU_CYCLE_1) | instskip(NEXT) | instid1(SALU_CYCLE_1)
	s_lshl_b64 s[6:7], s[2:3], 1
	s_add_u32 s6, s34, s6
	s_addc_u32 s7, s35, s7
	global_store_b16 v6, v27, s[6:7]
	s_and_saveexec_b32 s2, s0
	s_cbranch_execz .LBB129_262
; %bb.256:
	v_cmp_u_f16_e32 vcc_lo, v27, v27
                                        ; implicit-def: $sgpr5
                                        ; implicit-def: $sgpr8
                                        ; implicit-def: $sgpr7
	s_xor_b32 s6, vcc_lo, -1
	s_set_inst_prefetch_distance 0x1
	s_branch .LBB129_258
	.p2align	6
.LBB129_257:                            ;   in Loop: Header=BB129_258 Depth=1
	s_or_b32 exec_lo, exec_lo, s0
	s_delay_alu instid0(SALU_CYCLE_1) | instskip(NEXT) | instid1(SALU_CYCLE_1)
	s_and_b32 s0, exec_lo, s8
	s_or_b32 s3, s0, s3
	s_and_not1_b32 s0, s5, exec_lo
	s_and_b32 s5, s7, exec_lo
	s_delay_alu instid0(SALU_CYCLE_1)
	s_or_b32 s5, s0, s5
	s_and_not1_b32 exec_lo, exec_lo, s3
	s_cbranch_execz .LBB129_260
.LBB129_258:                            ; =>This Inner Loop Header: Depth=1
	v_lshlrev_b64 v[1:2], 1, v[5:6]
	s_or_b32 s7, s7, exec_lo
	s_or_b32 s8, s8, exec_lo
	s_delay_alu instid0(VALU_DEP_1) | instskip(NEXT) | instid1(VALU_DEP_2)
	v_add_co_u32 v1, vcc_lo, s38, v1
	v_add_co_ci_u32_e32 v2, vcc_lo, s39, v2, vcc_lo
	global_load_u16 v1, v[1:2], off
	s_waitcnt vmcnt(0)
	v_cmp_o_f16_e32 vcc_lo, v1, v1
	v_cmp_neq_f16_e64 s0, v1, v27
	v_mov_b32_e32 v1, v0
                                        ; implicit-def: $vgpr0
	s_or_b32 s9, s6, vcc_lo
	s_delay_alu instid0(VALU_DEP_2) | instid1(SALU_CYCLE_1)
	s_and_b32 s9, s0, s9
	s_delay_alu instid0(SALU_CYCLE_1)
	s_and_saveexec_b32 s0, s9
	s_cbranch_execz .LBB129_257
; %bb.259:                              ;   in Loop: Header=BB129_258 Depth=1
	v_add_nc_u32_e32 v0, s27, v1
	s_and_not1_b32 s8, s8, exec_lo
	v_add_nc_u32_e32 v5, s43, v5
	s_and_not1_b32 s7, s7, exec_lo
	s_delay_alu instid0(VALU_DEP_2) | instskip(SKIP_1) | instid1(SALU_CYCLE_1)
	v_cmp_le_u32_e32 vcc_lo, s24, v0
	s_and_b32 s9, vcc_lo, exec_lo
	s_or_b32 s8, s8, s9
	s_branch .LBB129_257
.LBB129_260:
	s_set_inst_prefetch_distance 0x2
	s_or_b32 exec_lo, exec_lo, s3
	s_and_saveexec_b32 s0, s5
	s_delay_alu instid0(SALU_CYCLE_1)
	s_xor_b32 s0, exec_lo, s0
	s_cbranch_execz .LBB129_262
; %bb.261:
	s_mul_i32 s0, s33, s25
	s_add_i32 s3, s33, 1
	s_sub_i32 s0, s21, s0
	s_mov_b32 s7, 0
	s_sub_i32 s5, s0, s25
	s_cmp_ge_u32 s0, s25
	v_mov_b32_e32 v2, 0
	s_cselect_b32 s3, s3, s33
	s_cselect_b32 s0, s5, s0
	s_add_i32 s5, s3, 1
	s_cmp_ge_u32 s0, s25
	s_cselect_b32 s0, s5, s3
	s_delay_alu instid0(SALU_CYCLE_1) | instskip(SKIP_2) | instid1(SALU_CYCLE_1)
	s_mul_i32 s3, s0, s25
	s_mul_i32 s0, s0, s28
	s_sub_i32 s3, s21, s3
	s_mul_i32 s3, s3, s29
	s_delay_alu instid0(SALU_CYCLE_1) | instskip(NEXT) | instid1(SALU_CYCLE_1)
	s_add_i32 s6, s0, s3
	s_lshl_b64 s[6:7], s[6:7], 3
	s_delay_alu instid0(SALU_CYCLE_1)
	s_add_u32 s6, s22, s6
	s_addc_u32 s7, s23, s7
	global_store_b64 v2, v[1:2], s[6:7]
.LBB129_262:
	s_or_b32 exec_lo, exec_lo, s2
.LBB129_263:
	s_or_saveexec_b32 s0, s4
	s_mov_b32 s2, 0
	s_xor_b32 exec_lo, exec_lo, s0
	s_cbranch_execnz .LBB129_271
.LBB129_264:
	s_or_b32 exec_lo, exec_lo, s0
	s_delay_alu instid0(SALU_CYCLE_1)
	s_and_b32 s2, s2, exec_lo
.LBB129_265:
	s_and_not1_saveexec_b32 s0, s1
	s_cbranch_execnz .LBB129_269
; %bb.266:
	s_or_b32 exec_lo, exec_lo, s0
	s_and_saveexec_b32 s0, s2
.LBB129_267:
	; divergent unreachable
.LBB129_268:
	s_nop 0
	s_sendmsg sendmsg(MSG_DEALLOC_VGPRS)
	s_endpgm
.LBB129_269:
	s_cbranch_execnz .LBB129_273
; %bb.270:
	s_or_b32 s2, s2, exec_lo
	s_or_b32 exec_lo, exec_lo, s0
	s_and_saveexec_b32 s0, s2
	s_cbranch_execnz .LBB129_267
	s_branch .LBB129_268
.LBB129_271:
	s_cbranch_execnz .LBB129_275
; %bb.272:
	s_mov_b32 s2, exec_lo
	s_branch .LBB129_264
.LBB129_273:
	s_trap 2
	s_sendmsg_rtn_b32 s0, sendmsg(MSG_RTN_GET_DOORBELL)
	s_mov_b32 ttmp2, m0
	s_waitcnt lgkmcnt(0)
	s_and_b32 s0, s0, 0x3ff
	s_delay_alu instid0(SALU_CYCLE_1) | instskip(NEXT) | instid1(SALU_CYCLE_1)
	s_bitset1_b32 s0, 10
	s_mov_b32 m0, s0
	s_sendmsg sendmsg(MSG_INTERRUPT)
	s_mov_b32 m0, ttmp2
.LBB129_274:                            ; =>This Inner Loop Header: Depth=1
	s_sethalt 5
	s_branch .LBB129_274
.LBB129_275:
	s_trap 2
	s_sendmsg_rtn_b32 s0, sendmsg(MSG_RTN_GET_DOORBELL)
	s_mov_b32 ttmp2, m0
	s_waitcnt lgkmcnt(0)
	s_and_b32 s0, s0, 0x3ff
	s_delay_alu instid0(SALU_CYCLE_1) | instskip(NEXT) | instid1(SALU_CYCLE_1)
	s_bitset1_b32 s0, 10
	s_mov_b32 m0, s0
	s_sendmsg sendmsg(MSG_INTERRUPT)
	s_mov_b32 m0, ttmp2
.LBB129_276:                            ; =>This Inner Loop Header: Depth=1
	s_sethalt 5
	s_branch .LBB129_276
	.section	.rodata,"a",@progbits
	.p2align	6, 0x0
	.amdhsa_kernel _ZN2at6native12_GLOBAL__N_112gatherMedianIN3c104HalfEjLi2EEEvNS_4cuda6detail10TensorInfoIT_T0_EENS7_IlS9_EENS7_IKS8_S9_EES9_S9_S9_b
		.amdhsa_group_segment_fixed_size 4120
		.amdhsa_private_segment_fixed_size 0
		.amdhsa_kernarg_size 920
		.amdhsa_user_sgpr_count 13
		.amdhsa_user_sgpr_dispatch_ptr 0
		.amdhsa_user_sgpr_queue_ptr 0
		.amdhsa_user_sgpr_kernarg_segment_ptr 1
		.amdhsa_user_sgpr_dispatch_id 0
		.amdhsa_user_sgpr_private_segment_size 0
		.amdhsa_wavefront_size32 1
		.amdhsa_uses_dynamic_stack 0
		.amdhsa_enable_private_segment 0
		.amdhsa_system_sgpr_workgroup_id_x 1
		.amdhsa_system_sgpr_workgroup_id_y 1
		.amdhsa_system_sgpr_workgroup_id_z 1
		.amdhsa_system_sgpr_workgroup_info 0
		.amdhsa_system_vgpr_workitem_id 0
		.amdhsa_next_free_vgpr 34
		.amdhsa_next_free_sgpr 83
		.amdhsa_reserve_vcc 1
		.amdhsa_float_round_mode_32 0
		.amdhsa_float_round_mode_16_64 0
		.amdhsa_float_denorm_mode_32 3
		.amdhsa_float_denorm_mode_16_64 3
		.amdhsa_dx10_clamp 1
		.amdhsa_ieee_mode 1
		.amdhsa_fp16_overflow 0
		.amdhsa_workgroup_processor_mode 1
		.amdhsa_memory_ordered 1
		.amdhsa_forward_progress 0
		.amdhsa_shared_vgpr_count 0
		.amdhsa_exception_fp_ieee_invalid_op 0
		.amdhsa_exception_fp_denorm_src 0
		.amdhsa_exception_fp_ieee_div_zero 0
		.amdhsa_exception_fp_ieee_overflow 0
		.amdhsa_exception_fp_ieee_underflow 0
		.amdhsa_exception_fp_ieee_inexact 0
		.amdhsa_exception_int_div_zero 0
	.end_amdhsa_kernel
	.section	.text._ZN2at6native12_GLOBAL__N_112gatherMedianIN3c104HalfEjLi2EEEvNS_4cuda6detail10TensorInfoIT_T0_EENS7_IlS9_EENS7_IKS8_S9_EES9_S9_S9_b,"axG",@progbits,_ZN2at6native12_GLOBAL__N_112gatherMedianIN3c104HalfEjLi2EEEvNS_4cuda6detail10TensorInfoIT_T0_EENS7_IlS9_EENS7_IKS8_S9_EES9_S9_S9_b,comdat
.Lfunc_end129:
	.size	_ZN2at6native12_GLOBAL__N_112gatherMedianIN3c104HalfEjLi2EEEvNS_4cuda6detail10TensorInfoIT_T0_EENS7_IlS9_EENS7_IKS8_S9_EES9_S9_S9_b, .Lfunc_end129-_ZN2at6native12_GLOBAL__N_112gatherMedianIN3c104HalfEjLi2EEEvNS_4cuda6detail10TensorInfoIT_T0_EENS7_IlS9_EENS7_IKS8_S9_EES9_S9_S9_b
                                        ; -- End function
	.section	.AMDGPU.csdata,"",@progbits
; Kernel info:
; codeLenInByte = 10936
; NumSgprs: 85
; NumVgprs: 34
; ScratchSize: 0
; MemoryBound: 0
; FloatMode: 240
; IeeeMode: 1
; LDSByteSize: 4120 bytes/workgroup (compile time only)
; SGPRBlocks: 10
; VGPRBlocks: 4
; NumSGPRsForWavesPerEU: 85
; NumVGPRsForWavesPerEU: 34
; Occupancy: 16
; WaveLimiterHint : 1
; COMPUTE_PGM_RSRC2:SCRATCH_EN: 0
; COMPUTE_PGM_RSRC2:USER_SGPR: 13
; COMPUTE_PGM_RSRC2:TRAP_HANDLER: 0
; COMPUTE_PGM_RSRC2:TGID_X_EN: 1
; COMPUTE_PGM_RSRC2:TGID_Y_EN: 1
; COMPUTE_PGM_RSRC2:TGID_Z_EN: 1
; COMPUTE_PGM_RSRC2:TIDIG_COMP_CNT: 0
	.section	.text._ZN2at6native12_GLOBAL__N_112gatherMedianIN3c104HalfEjLi3EEEvNS_4cuda6detail10TensorInfoIT_T0_EENS7_IlS9_EENS7_IKS8_S9_EES9_S9_S9_b,"axG",@progbits,_ZN2at6native12_GLOBAL__N_112gatherMedianIN3c104HalfEjLi3EEEvNS_4cuda6detail10TensorInfoIT_T0_EENS7_IlS9_EENS7_IKS8_S9_EES9_S9_S9_b,comdat
	.globl	_ZN2at6native12_GLOBAL__N_112gatherMedianIN3c104HalfEjLi3EEEvNS_4cuda6detail10TensorInfoIT_T0_EENS7_IlS9_EENS7_IKS8_S9_EES9_S9_S9_b ; -- Begin function _ZN2at6native12_GLOBAL__N_112gatherMedianIN3c104HalfEjLi3EEEvNS_4cuda6detail10TensorInfoIT_T0_EENS7_IlS9_EENS7_IKS8_S9_EES9_S9_S9_b
	.p2align	8
	.type	_ZN2at6native12_GLOBAL__N_112gatherMedianIN3c104HalfEjLi3EEEvNS_4cuda6detail10TensorInfoIT_T0_EENS7_IlS9_EENS7_IKS8_S9_EES9_S9_S9_b,@function
_ZN2at6native12_GLOBAL__N_112gatherMedianIN3c104HalfEjLi3EEEvNS_4cuda6detail10TensorInfoIT_T0_EENS7_IlS9_EENS7_IKS8_S9_EES9_S9_S9_b: ; @_ZN2at6native12_GLOBAL__N_112gatherMedianIN3c104HalfEjLi3EEEvNS_4cuda6detail10TensorInfoIT_T0_EENS7_IlS9_EENS7_IKS8_S9_EES9_S9_S9_b
; %bb.0:
	s_clause 0x1
	s_load_b64 s[6:7], s[0:1], 0x298
	s_load_b128 s[24:27], s[0:1], 0x288
	s_add_u32 s4, s0, 0x298
	s_addc_u32 s5, s1, 0
	s_waitcnt lgkmcnt(0)
	s_mul_i32 s2, s7, s15
	s_delay_alu instid0(SALU_CYCLE_1) | instskip(NEXT) | instid1(SALU_CYCLE_1)
	s_add_i32 s2, s2, s14
	s_mul_i32 s21, s2, s6
	s_delay_alu instid0(SALU_CYCLE_1) | instskip(NEXT) | instid1(SALU_CYCLE_1)
	s_add_i32 s21, s21, s13
	s_cmp_ge_u32 s21, s25
	s_cbranch_scc1 .LBB130_268
; %bb.1:
	s_clause 0x7
	s_load_b64 s[34:35], s[0:1], 0xc
	s_load_b64 s[22:23], s[0:1], 0xe4
	;; [unrolled: 1-line block ×5, first 2 shown]
	s_load_b128 s[28:31], s[0:1], 0x144
	s_load_b64 s[40:41], s[0:1], 0xd8
	s_load_b128 s[36:39], s[0:1], 0x6c
	s_waitcnt lgkmcnt(0)
	v_cvt_f32_u32_e32 v1, s35
	v_cvt_f32_u32_e32 v2, s34
	;; [unrolled: 1-line block ×4, first 2 shown]
	s_sub_i32 s10, 0, s35
	v_rcp_iflag_f32_e32 v1, v1
	v_rcp_iflag_f32_e32 v2, v2
	v_rcp_iflag_f32_e32 v3, v3
	v_rcp_iflag_f32_e32 v4, v4
	v_cvt_f32_u32_e32 v5, s9
	v_cvt_f32_u32_e32 v6, s8
	s_delay_alu instid0(VALU_DEP_2)
	v_rcp_iflag_f32_e32 v5, v5
	v_dual_mul_f32 v1, 0x4f7ffffe, v1 :: v_dual_mul_f32 v2, 0x4f7ffffe, v2
	s_waitcnt_depctr 0xfff
	v_dual_mul_f32 v3, 0x4f7ffffe, v3 :: v_dual_mul_f32 v4, 0x4f7ffffe, v4
	v_cvt_u32_f32_e32 v1, v1
	v_cvt_u32_f32_e32 v2, v2
	s_delay_alu instid0(VALU_DEP_3) | instskip(SKIP_1) | instid1(VALU_DEP_4)
	v_cvt_u32_f32_e32 v3, v3
	v_mul_f32_e32 v5, 0x4f7ffffe, v5
	v_readfirstlane_b32 s7, v1
	v_rcp_iflag_f32_e32 v1, v6
	s_delay_alu instid0(VALU_DEP_3) | instskip(SKIP_1) | instid1(VALU_DEP_3)
	v_readfirstlane_b32 s14, v3
	v_cvt_u32_f32_e32 v3, v4
	s_mul_i32 s10, s10, s7
	s_delay_alu instid0(SALU_CYCLE_1) | instskip(NEXT) | instid1(SALU_CYCLE_1)
	s_mul_hi_u32 s10, s7, s10
	s_add_i32 s7, s7, s10
	s_waitcnt_depctr 0xfff
	v_mul_f32_e32 v1, 0x4f7ffffe, v1
	s_mul_hi_u32 s7, s21, s7
	s_delay_alu instid0(SALU_CYCLE_1)
	s_mul_i32 s10, s7, s35
	s_add_i32 s11, s7, 1
	s_sub_i32 s10, s21, s10
	v_cvt_u32_f32_e32 v1, v1
	s_sub_i32 s12, s10, s35
	s_cmp_ge_u32 s10, s35
	s_cselect_b32 s7, s11, s7
	s_cselect_b32 s10, s12, s10
	s_add_i32 s11, s7, 1
	s_cmp_ge_u32 s10, s35
	v_readfirstlane_b32 s10, v2
	s_cselect_b32 s46, s11, s7
	s_sub_i32 s7, 0, s23
	s_sub_i32 s11, 0, s34
	s_mul_i32 s7, s7, s14
	s_mul_i32 s11, s11, s10
	s_mul_hi_u32 s7, s14, s7
	s_mul_hi_u32 s11, s10, s11
	s_add_i32 s14, s14, s7
	s_add_i32 s10, s10, s11
	s_mul_hi_u32 s7, s21, s14
	v_cvt_u32_f32_e32 v2, v5
	s_mul_i32 s12, s7, s23
	v_readfirstlane_b32 s16, v1
	s_sub_i32 s11, s21, s12
	s_add_i32 s12, s7, 1
	s_sub_i32 s14, s11, s23
	s_cmp_ge_u32 s11, s23
	v_readfirstlane_b32 s15, v2
	s_cselect_b32 s7, s12, s7
	s_cselect_b32 s11, s14, s11
	s_add_i32 s12, s7, 1
	s_cmp_ge_u32 s11, s23
	v_readfirstlane_b32 s11, v3
	s_cselect_b32 s25, s12, s7
	s_sub_i32 s7, 0, s9
	s_sub_i32 s12, 0, s22
	s_mul_i32 s7, s7, s15
	s_mul_i32 s12, s12, s11
	s_mul_hi_u32 s7, s15, s7
	s_mul_hi_u32 s12, s11, s12
	s_add_i32 s15, s15, s7
	s_add_i32 s12, s11, s12
	s_mul_hi_u32 s7, s21, s15
	v_mul_lo_u32 v5, v0, s26
	s_mul_i32 s14, s7, s9
	s_mul_hi_u32 s47, s46, s10
	s_sub_i32 s11, s21, s14
	s_add_i32 s14, s7, 1
	s_sub_i32 s15, s11, s9
	s_cmp_ge_u32 s11, s9
	v_mov_b32_e32 v3, 0
	s_cselect_b32 s7, s14, s7
	s_cselect_b32 s11, s15, s11
	s_add_i32 s14, s7, 1
	s_cmp_ge_u32 s11, s9
	s_mul_hi_u32 s31, s25, s12
	s_cselect_b32 s7, s14, s7
	s_sub_i32 s11, 0, s8
	s_mul_i32 s9, s7, s9
	s_mul_i32 s11, s11, s16
	s_sub_i32 s15, s21, s9
	s_mul_hi_u32 s11, s16, s11
	s_delay_alu instid0(SALU_CYCLE_1) | instskip(SKIP_2) | instid1(SALU_CYCLE_1)
	s_add_i32 s11, s16, s11
	s_load_b128 s[16:19], s[0:1], 0x21c
	s_mul_hi_u32 s11, s7, s11
	s_mul_i32 s14, s11, s8
	s_delay_alu instid0(SALU_CYCLE_1)
	s_sub_i32 s9, s7, s14
	s_add_i32 s14, s11, 1
	s_waitcnt lgkmcnt(0)
	s_sub_i32 s19, s9, s8
	s_cmp_ge_u32 s9, s8
	s_cselect_b32 s0, s14, s11
	s_cselect_b32 s1, s19, s9
	s_add_i32 s9, s0, 1
	s_cmp_ge_u32 s1, s8
	s_cselect_b32 s1, s9, s0
	s_mov_b32 s9, 0
	s_mul_i32 s8, s1, s8
	v_cmp_gt_u32_e64 s0, s24, v0
	s_sub_i32 s7, s7, s8
	s_mul_i32 s15, s15, s18
	s_mul_i32 s7, s7, s17
	;; [unrolled: 1-line block ×3, first 2 shown]
	s_add_i32 s7, s7, s15
	s_delay_alu instid0(SALU_CYCLE_1) | instskip(NEXT) | instid1(SALU_CYCLE_1)
	s_add_i32 s8, s7, s1
	s_lshl_b64 s[10:11], s[8:9], 1
	s_delay_alu instid0(SALU_CYCLE_1)
	s_add_u32 s33, s2, s10
	s_addc_u32 s39, s3, s11
	s_and_saveexec_b32 s2, s0
	s_cbranch_execz .LBB130_5
; %bb.2:
	s_load_b32 s1, s[4:5], 0xc
	v_mul_lo_u32 v1, v0, s26
	v_dual_mov_b32 v3, 0 :: v_dual_mov_b32 v2, 0
	v_mov_b32_e32 v4, v0
	s_waitcnt lgkmcnt(0)
	s_and_b32 s3, s1, 0xffff
	s_delay_alu instid0(SALU_CYCLE_1)
	s_mul_i32 s7, s26, s3
	.p2align	6
.LBB130_3:                              ; =>This Inner Loop Header: Depth=1
	s_delay_alu instid0(VALU_DEP_3) | instskip(SKIP_2) | instid1(VALU_DEP_3)
	v_lshlrev_b64 v[6:7], 1, v[1:2]
	v_add_nc_u32_e32 v4, s3, v4
	v_add_nc_u32_e32 v1, s7, v1
	v_add_co_u32 v6, vcc_lo, s33, v6
	s_delay_alu instid0(VALU_DEP_4) | instskip(NEXT) | instid1(VALU_DEP_4)
	v_add_co_ci_u32_e32 v7, vcc_lo, s39, v7, vcc_lo
	v_cmp_le_u32_e32 vcc_lo, s24, v4
	global_load_u16 v6, v[6:7], off
	s_or_b32 s9, vcc_lo, s9
	s_waitcnt vmcnt(0)
	v_cmp_u_f16_e64 s1, v6, v6
	s_delay_alu instid0(VALU_DEP_1)
	v_add_co_ci_u32_e64 v3, s1, 0, v3, s1
	s_and_not1_b32 exec_lo, exec_lo, s9
	s_cbranch_execnz .LBB130_3
; %bb.4:
	s_or_b32 exec_lo, exec_lo, s9
.LBB130_5:
	s_delay_alu instid0(SALU_CYCLE_1) | instskip(SKIP_1) | instid1(VALU_DEP_1)
	s_or_b32 exec_lo, exec_lo, s2
	v_cmp_eq_u32_e64 s1, 0, v0
	s_and_saveexec_b32 s2, s1
	s_cbranch_execz .LBB130_7
; %bb.6:
	v_mov_b32_e32 v1, 0
	s_delay_alu instid0(VALU_DEP_1)
	v_mov_b32_e32 v2, v1
	ds_store_b64 v1, v[1:2] offset:4096
.LBB130_7:
	s_or_b32 exec_lo, exec_lo, s2
	s_delay_alu instid0(SALU_CYCLE_1)
	s_mov_b32 s7, exec_lo
	s_waitcnt lgkmcnt(0)
	s_barrier
	buffer_gl0_inv
	v_cmpx_ne_u32_e32 0, v3
	s_cbranch_execz .LBB130_12
; %bb.8:
	v_mov_b32_e32 v1, 0
	s_mov_b32 s8, exec_lo
	s_mov_b64 s[2:3], 0
.LBB130_9:                              ; =>This Inner Loop Header: Depth=1
	s_ctz_i32_b32 s9, s8
	s_delay_alu instid0(SALU_CYCLE_1) | instskip(SKIP_1) | instid1(VALU_DEP_2)
	v_readlane_b32 s10, v3, s9
	v_readlane_b32 s11, v1, s9
	s_add_u32 s2, s2, s10
	s_delay_alu instid0(VALU_DEP_1) | instskip(SKIP_1) | instid1(SALU_CYCLE_1)
	s_addc_u32 s3, s3, s11
	s_lshl_b32 s9, 1, s9
	s_and_not1_b32 s8, s8, s9
	s_delay_alu instid0(SALU_CYCLE_1)
	s_cmp_lg_u32 s8, 0
	s_cbranch_scc1 .LBB130_9
; %bb.10:
	v_mbcnt_lo_u32_b32 v1, exec_lo, 0
	s_mov_b32 s8, exec_lo
	s_delay_alu instid0(VALU_DEP_1)
	v_cmpx_eq_u32_e32 0, v1
	s_xor_b32 s8, exec_lo, s8
	s_cbranch_execz .LBB130_12
; %bb.11:
	v_mov_b32_e32 v1, s2
	v_dual_mov_b32 v3, 0 :: v_dual_mov_b32 v2, s3
	ds_add_u64 v3, v[1:2] offset:4096
.LBB130_12:
	s_or_b32 exec_lo, exec_lo, s7
	v_mov_b32_e32 v1, 0
	s_waitcnt lgkmcnt(0)
	s_barrier
	buffer_gl0_inv
	s_bitcmp1_b32 s27, 0
	ds_load_b64 v[1:2], v1 offset:4096
	s_cselect_b32 s2, -1, 0
	s_mov_b32 s77, s24
	s_waitcnt lgkmcnt(0)
	v_cmp_gt_i64_e32 vcc_lo, 1, v[1:2]
	s_or_b32 s2, s2, vcc_lo
	s_delay_alu instid0(SALU_CYCLE_1)
	s_and_not1_b32 vcc_lo, exec_lo, s2
	s_cbranch_vccnz .LBB130_14
; %bb.13:
	v_not_b32_e32 v1, v1
	v_not_b32_e32 v2, v2
	s_delay_alu instid0(VALU_DEP_2) | instskip(NEXT) | instid1(VALU_DEP_2)
	v_add_co_u32 v1, vcc_lo, v1, s24
	v_add_co_ci_u32_e32 v2, vcc_lo, 0, v2, vcc_lo
	s_delay_alu instid0(VALU_DEP_1) | instskip(NEXT) | instid1(VALU_DEP_1)
	v_lshrrev_b32_e32 v3, 31, v2
	v_add_co_u32 v1, vcc_lo, v1, v3
	v_add_co_ci_u32_e32 v2, vcc_lo, 0, v2, vcc_lo
	s_delay_alu instid0(VALU_DEP_1) | instskip(NEXT) | instid1(VALU_DEP_1)
	v_alignbit_b32 v1, v2, v1, 1
	v_readfirstlane_b32 s2, v1
	s_delay_alu instid0(VALU_DEP_1)
	s_add_i32 s77, s2, 1
.LBB130_14:
	s_and_saveexec_b32 s2, s1
	s_cbranch_execz .LBB130_16
; %bb.15:
	v_dual_mov_b32 v1, 0 :: v_dual_mov_b32 v2, s24
	ds_store_b32 v1, v1 offset:4112
	ds_store_b64 v1, v[1:2] offset:4104
.LBB130_16:
	s_or_b32 exec_lo, exec_lo, s2
	s_waitcnt lgkmcnt(0)
	s_barrier
	buffer_gl0_inv
	s_load_b32 s7, s[4:5], 0xc
	v_mbcnt_lo_u32_b32 v13, -1, 0
	v_cmp_gt_u32_e32 vcc_lo, 32, v0
	v_lshrrev_b32_e32 v1, 3, v0
	v_dual_mov_b32 v7, 0 :: v_dual_lshlrev_b32 v14, 2, v0
	s_delay_alu instid0(VALU_DEP_4) | instskip(SKIP_1) | instid1(VALU_DEP_4)
	v_cmp_gt_i32_e64 s3, 4, v13
	v_lshlrev_b32_e32 v15, 1, v0
	v_and_b32_e32 v17, 0x7c, v1
	s_delay_alu instid0(VALU_DEP_4)
	v_or_b32_e32 v4, 2, v14
	v_mov_b32_e32 v6, v7
	s_and_b32 s51, vcc_lo, s3
	v_or_b32_e32 v21, 3, v14
	v_cmp_gt_u32_e64 s2, 2, v0
	v_mul_lo_u32 v20, s26, v4
	v_cmp_eq_u32_e64 s3, 0, v13
	v_dual_mov_b32 v27, 0 :: v_dual_add_nc_u32 v16, 0xc00, v15
	v_mul_lo_u32 v21, s26, v21
	v_lshlrev_b32_e32 v22, 2, v5
	s_waitcnt lgkmcnt(0)
	s_and_b32 s27, s7, 0xffff
	s_bfe_u32 s7, s7, 0xb0005
	s_lshl_b32 s50, s27, 2
	s_add_i32 s52, s27, -1
	v_cvt_f32_u32_e32 v2, s50
	s_add_i32 s8, s52, s24
	s_cmpk_gt_u32 s24, 0x600
	v_cvt_f32_u32_e32 v3, s27
	s_cselect_b32 s53, -1, 0
	v_rcp_iflag_f32_e32 v2, v2
	s_cmp_gt_u32 s27, 31
	v_mad_u64_u32 v[8:9], null, s26, v14, s[26:27]
	s_cselect_b32 s54, -1, 0
	s_cmp_lt_u32 s13, s6
	v_rcp_iflag_f32_e32 v3, v3
	s_cselect_b32 s6, 12, 18
	v_lshlrev_b32_e32 v24, 3, v0
	s_add_u32 s44, s4, s6
	s_waitcnt_depctr 0xfff
	v_mul_f32_e32 v2, 0x4f7ffffe, v2
	s_addc_u32 s45, s5, 0
	s_add_i32 s4, s7, -1
	s_bfe_u32 s55, s27, 0x30005
	s_cmp_gt_u32 s4, 6
	v_cvt_u32_f32_e32 v2, v2
	s_cselect_b32 s56, -1, 0
	s_and_b32 s57, s7, 0x7f8
	s_cmp_lg_u32 s55, 0
	v_lshl_or_b32 v25, v13, 2, 0xc00
	v_readfirstlane_b32 s4, v2
	s_cselect_b32 s58, -1, 0
	s_sub_i32 s5, 0, s50
	v_lshlrev_b64 v[1:2], v13, -1
	v_mul_f32_e32 v2, 0x4f7ffffe, v3
	s_mul_i32 s5, s5, s4
	v_mov_b32_e32 v26, 0x8000
	s_mul_hi_u32 s5, s4, s5
	s_mul_i32 s49, s26, s27
	s_add_i32 s59, s4, s5
	v_cvt_u32_f32_e32 v9, v2
	s_mul_hi_u32 s4, s24, s59
	v_lshlrev_b64 v[2:3], 1, v[5:6]
	s_mul_i32 s4, s4, s50
	v_not_b32_e32 v18, v1
	s_sub_i32 s4, s24, s4
	v_add3_u32 v1, s27, s24, v0
	s_sub_i32 s5, s4, s50
	s_cmp_ge_u32 s4, s50
	s_mov_b32 s48, 0
	s_cselect_b32 s4, s5, s4
	v_readfirstlane_b32 s5, v9
	s_sub_i32 s6, s4, s50
	s_cmp_ge_u32 s4, s50
	v_add_co_u32 v9, vcc_lo, s33, v2
	s_cselect_b32 s4, s6, s4
	s_sub_i32 s6, 0, s27
	s_sub_i32 s60, s24, s4
	s_mul_i32 s6, s6, s5
	v_add_nc_u32_e32 v19, s60, v0
	s_mul_hi_u32 s6, s5, s6
	v_add_co_ci_u32_e32 v10, vcc_lo, s39, v3, vcc_lo
	s_add_i32 s61, s5, s6
	s_delay_alu instid0(VALU_DEP_2)
	v_mul_lo_u32 v6, v19, s26
	s_mul_hi_u32 s5, s8, s61
	v_subrev_nc_u32_e32 v3, s4, v1
	s_mul_i32 s5, s5, s27
	v_cmp_gt_u32_e64 s4, s60, v14
	s_sub_i32 s5, s8, s5
	s_mov_b32 s70, 14
	s_sub_i32 s6, s5, s27
	s_cmp_ge_u32 s5, s27
	v_lshlrev_b64 v[1:2], 1, v[6:7]
	s_cselect_b32 s6, s6, s5
	v_mul_lo_u32 v23, s26, v3
	s_sub_i32 s7, s6, s27
	s_cmp_ge_u32 s6, s27
	v_cmp_gt_u32_e64 s5, s24, v19
	s_cselect_b32 s6, s7, s6
	v_add_co_u32 v11, vcc_lo, s33, v1
	s_sub_i32 s63, s8, s6
	v_add_co_ci_u32_e32 v12, vcc_lo, s39, v2, vcc_lo
	v_cmp_gt_u32_e64 s6, s63, v0
	s_lshl_b32 s62, s49, 2
	s_lshl_b32 s64, s27, 3
	;; [unrolled: 1-line block ×3, first 2 shown]
	s_movk_i32 s66, 0x3c00
	s_mov_b32 s73, 0
	s_mov_b32 s75, 0
	;; [unrolled: 1-line block ×3, first 2 shown]
                                        ; implicit-def: $sgpr67
                                        ; implicit-def: $sgpr69
                                        ; implicit-def: $sgpr68
                                        ; implicit-def: $sgpr72
                                        ; implicit-def: $sgpr74
                                        ; implicit-def: $sgpr71
	s_branch .LBB130_21
.LBB130_17:                             ;   in Loop: Header=BB130_21 Depth=1
	s_xor_b32 s73, s73, 1
	s_add_i32 s11, s70, -2
	s_cmp_eq_u32 s70, 0
	s_mov_b32 s7, 0
	s_cselect_b32 s9, -1, 0
	s_mov_b32 s70, s11
.LBB130_18:                             ;   in Loop: Header=BB130_21 Depth=1
	s_and_not1_b32 s11, s13, exec_lo
	s_and_b32 s7, s7, exec_lo
	s_and_not1_b32 s15, s15, exec_lo
	s_or_b32 s13, s11, s7
	s_and_not1_b32 s12, s12, exec_lo
	s_or_not1_b32 s11, s9, exec_lo
	s_mov_b32 s77, s20
.LBB130_19:                             ;   in Loop: Header=BB130_21 Depth=1
	s_or_b32 exec_lo, exec_lo, s8
	s_delay_alu instid0(SALU_CYCLE_1)
	s_and_not1_b32 s7, s71, exec_lo
	s_and_b32 s8, s13, exec_lo
	s_and_not1_b32 s9, s72, exec_lo
	s_or_b32 s71, s7, s8
	s_and_not1_b32 s7, s74, exec_lo
	s_and_b32 s8, s15, exec_lo
	s_and_b32 s12, s12, exec_lo
	s_or_b32 s74, s7, s8
	s_or_b32 s72, s9, s12
	s_or_not1_b32 s12, s11, exec_lo
.LBB130_20:                             ;   in Loop: Header=BB130_21 Depth=1
	s_or_b32 exec_lo, exec_lo, s10
	s_delay_alu instid0(SALU_CYCLE_1)
	s_and_b32 s7, exec_lo, s12
	v_mov_b32_e32 v1, s75
	s_or_b32 s48, s7, s48
	s_and_not1_b32 s7, s68, exec_lo
	s_and_b32 s8, s71, exec_lo
	s_and_not1_b32 s9, s67, exec_lo
	s_or_b32 s68, s7, s8
	s_and_not1_b32 s7, s69, exec_lo
	s_and_b32 s8, s74, exec_lo
	s_and_b32 s10, s72, exec_lo
	s_or_b32 s69, s7, s8
	s_or_b32 s67, s9, s10
	s_and_not1_b32 exec_lo, exec_lo, s48
	s_cbranch_execz .LBB130_251
.LBB130_21:                             ; =>This Loop Header: Depth=1
                                        ;     Child Loop BB130_26 Depth 2
                                        ;     Child Loop BB130_41 Depth 2
	;; [unrolled: 1-line block ×16, first 2 shown]
	ds_load_b64 v[1:2], v7 offset:4104
	s_waitcnt lgkmcnt(0)
	v_readfirstlane_b32 s78, v1
	s_delay_alu instid0(VALU_DEP_1)
	s_cmp_lg_u32 s78, 0
	s_cbranch_scc1 .LBB130_48
; %bb.22:                               ;   in Loop: Header=BB130_21 Depth=1
	s_and_b32 vcc_lo, exec_lo, s53
	s_cbranch_vccz .LBB130_34
; %bb.23:                               ;   in Loop: Header=BB130_21 Depth=1
	v_cmp_gt_u32_e32 vcc_lo, 0x601, v2
	s_mov_b32 s78, 0
	s_mov_b32 s7, 0
	s_cbranch_vccz .LBB130_35
; %bb.24:                               ;   in Loop: Header=BB130_21 Depth=1
	global_load_u16 v1, v7, s[44:45]
	global_load_u16 v4, v[9:10], off
	v_mov_b32_e32 v3, v0
	s_mov_b32 s9, 0
	s_waitcnt vmcnt(1)
	v_add_nc_u32_e32 v2, v0, v1
	s_delay_alu instid0(VALU_DEP_1)
	v_mul_lo_u32 v6, s26, v2
	v_mul_lo_u32 v2, s26, v1
	s_branch .LBB130_26
.LBB130_25:                             ;   in Loop: Header=BB130_26 Depth=2
	s_or_b32 exec_lo, exec_lo, s8
	v_add_nc_u32_e32 v6, v6, v2
	v_mov_b32_e32 v4, v28
	s_and_not1_b32 exec_lo, exec_lo, s9
	s_cbranch_execz .LBB130_136
.LBB130_26:                             ;   Parent Loop BB130_21 Depth=1
                                        ; =>  This Inner Loop Header: Depth=2
	v_dual_mov_b32 v28, 0 :: v_dual_add_nc_u32 v3, v3, v1
	s_waitcnt lgkmcnt(0)
	v_mov_b32_e32 v29, 0
	s_mov_b32 s8, exec_lo
	s_delay_alu instid0(VALU_DEP_2)
	v_cmp_le_u32_e32 vcc_lo, s24, v3
	v_cmpx_gt_u32_e64 s24, v3
	s_cbranch_execz .LBB130_28
; %bb.27:                               ;   in Loop: Header=BB130_26 Depth=2
	v_lshlrev_b64 v[30:31], 1, v[6:7]
	s_delay_alu instid0(VALU_DEP_1) | instskip(NEXT) | instid1(VALU_DEP_1)
	v_add_co_u32 v30, s7, s33, v30
	v_add_co_ci_u32_e64 v31, s7, s39, v31, s7
	global_load_u16 v28, v[30:31], off
.LBB130_28:                             ;   in Loop: Header=BB130_26 Depth=2
	s_or_b32 exec_lo, exec_lo, s8
	s_waitcnt vmcnt(0)
	v_cmp_lt_i16_e64 s7, -1, v4
	v_and_b32_e32 v30, 0xffff, v4
	s_delay_alu instid0(VALU_DEP_2) | instskip(SKIP_1) | instid1(VALU_DEP_2)
	v_cndmask_b32_e64 v31, 0xffff, v26, s7
	v_cmp_o_f16_e64 s7, v4, v4
	v_xor_b32_e32 v30, v31, v30
	s_delay_alu instid0(VALU_DEP_1) | instskip(NEXT) | instid1(VALU_DEP_1)
	v_cndmask_b32_e64 v30, 0xffff, v30, s7
	v_and_b32_e32 v30, s76, v30
	s_delay_alu instid0(VALU_DEP_1) | instskip(NEXT) | instid1(VALU_DEP_1)
	v_cmp_eq_u32_e64 s7, s75, v30
	s_cmp_lg_u32 s7, 0
	s_cselect_b32 s8, -1, 0
	s_delay_alu instid0(SALU_CYCLE_1) | instskip(NEXT) | instid1(SALU_CYCLE_1)
	s_and_b32 s8, s3, s8
	s_and_saveexec_b32 s10, s8
	s_cbranch_execz .LBB130_32
; %bb.29:                               ;   in Loop: Header=BB130_26 Depth=2
	s_mov_b32 s13, exec_lo
	s_bcnt1_i32_b32 s11, s7
	v_mbcnt_lo_u32_b32 v29, s13, 0
	s_mov_b32 s12, exec_lo
                                        ; implicit-def: $vgpr30
	s_delay_alu instid0(VALU_DEP_1)
	v_cmpx_eq_u32_e32 0, v29
	s_cbranch_execz .LBB130_31
; %bb.30:                               ;   in Loop: Header=BB130_26 Depth=2
	s_bcnt1_i32_b32 s8, s13
	s_delay_alu instid0(SALU_CYCLE_1) | instskip(NEXT) | instid1(SALU_CYCLE_1)
	s_mul_i32 s8, s11, s8
	v_mov_b32_e32 v30, s8
	ds_add_rtn_u32 v30, v7, v30 offset:4112
.LBB130_31:                             ;   in Loop: Header=BB130_26 Depth=2
	s_or_b32 exec_lo, exec_lo, s12
	s_waitcnt lgkmcnt(0)
	v_readfirstlane_b32 s8, v30
	s_delay_alu instid0(VALU_DEP_1)
	v_mad_u32_u24 v29, s11, v29, s8
.LBB130_32:                             ;   in Loop: Header=BB130_26 Depth=2
	s_or_b32 exec_lo, exec_lo, s10
	ds_bpermute_b32 v29, v7, v29
	s_and_b32 s8, exec_lo, vcc_lo
	s_delay_alu instid0(SALU_CYCLE_1)
	s_or_b32 s9, s8, s9
	s_and_saveexec_b32 s8, s7
	s_cbranch_execz .LBB130_25
; %bb.33:                               ;   in Loop: Header=BB130_26 Depth=2
	v_and_b32_e32 v30, s7, v18
	s_delay_alu instid0(VALU_DEP_1) | instskip(NEXT) | instid1(VALU_DEP_1)
	v_bcnt_u32_b32 v30, v30, 0
	v_lshlrev_b32_e32 v30, 1, v30
	s_waitcnt lgkmcnt(0)
	s_delay_alu instid0(VALU_DEP_1)
	v_lshl_add_u32 v29, v29, 1, v30
	ds_store_b16 v29, v4
	s_branch .LBB130_25
.LBB130_34:                             ;   in Loop: Header=BB130_21 Depth=1
	s_mov_b32 s78, -1
	s_mov_b32 s7, 0
.LBB130_35:                             ;   in Loop: Header=BB130_21 Depth=1
	s_and_b32 vcc_lo, exec_lo, s78
	s_cbranch_vccz .LBB130_46
.LBB130_36:                             ;   in Loop: Header=BB130_21 Depth=1
	v_mov_b32_e32 v1, 0
	s_and_saveexec_b32 s7, s0
	s_cbranch_execz .LBB130_38
; %bb.37:                               ;   in Loop: Header=BB130_21 Depth=1
	global_load_u16 v1, v[9:10], off
.LBB130_38:                             ;   in Loop: Header=BB130_21 Depth=1
	s_or_b32 exec_lo, exec_lo, s7
	s_and_saveexec_b32 s8, s0
	s_cbranch_execz .LBB130_43
; %bb.39:                               ;   in Loop: Header=BB130_21 Depth=1
	global_load_u16 v2, v7, s[44:45]
	s_mov_b32 s9, 0
	v_dual_mov_b32 v28, v15 :: v_dual_mov_b32 v29, v0
	s_waitcnt vmcnt(0)
	v_add_nc_u32_e32 v3, v0, v2
	v_lshlrev_b32_e32 v4, 1, v2
	s_delay_alu instid0(VALU_DEP_2)
	v_mul_lo_u32 v6, s26, v3
	v_mul_lo_u32 v3, s26, v2
	s_set_inst_prefetch_distance 0x1
	s_branch .LBB130_41
	.p2align	6
.LBB130_40:                             ;   in Loop: Header=BB130_41 Depth=2
	s_or_b32 exec_lo, exec_lo, s10
	ds_store_b16 v28, v1
	s_waitcnt vmcnt(0)
	v_dual_mov_b32 v1, v30 :: v_dual_add_nc_u32 v28, v28, v4
	v_add_nc_u32_e32 v6, v6, v3
	s_and_b32 s7, exec_lo, vcc_lo
	s_delay_alu instid0(SALU_CYCLE_1) | instskip(NEXT) | instid1(SALU_CYCLE_1)
	s_or_b32 s9, s7, s9
	s_and_not1_b32 exec_lo, exec_lo, s9
	s_cbranch_execz .LBB130_43
.LBB130_41:                             ;   Parent Loop BB130_21 Depth=1
                                        ; =>  This Inner Loop Header: Depth=2
	v_dual_mov_b32 v30, 0 :: v_dual_add_nc_u32 v29, v29, v2
	s_mov_b32 s10, exec_lo
	s_delay_alu instid0(VALU_DEP_1)
	v_cmp_le_u32_e32 vcc_lo, s24, v29
	v_cmpx_gt_u32_e64 s24, v29
	s_cbranch_execz .LBB130_40
; %bb.42:                               ;   in Loop: Header=BB130_41 Depth=2
	v_lshlrev_b64 v[30:31], 1, v[6:7]
	s_delay_alu instid0(VALU_DEP_1) | instskip(NEXT) | instid1(VALU_DEP_1)
	v_add_co_u32 v30, s7, s33, v30
	v_add_co_ci_u32_e64 v31, s7, s39, v31, s7
	global_load_u16 v30, v[30:31], off
	s_branch .LBB130_40
.LBB130_43:                             ;   in Loop: Header=BB130_21 Depth=1
	s_set_inst_prefetch_distance 0x2
	s_or_b32 exec_lo, exec_lo, s8
	s_waitcnt vmcnt(0) lgkmcnt(0)
	s_barrier
	buffer_gl0_inv
	s_and_saveexec_b32 s7, s1
	s_cbranch_execz .LBB130_45
; %bb.44:                               ;   in Loop: Header=BB130_21 Depth=1
	v_mov_b32_e32 v1, s24
	ds_store_b32 v7, v1 offset:4104
.LBB130_45:                             ;   in Loop: Header=BB130_21 Depth=1
	s_or_b32 exec_lo, exec_lo, s7
	s_mov_b32 s7, -1
	s_waitcnt lgkmcnt(0)
	s_barrier
                                        ; implicit-def: $sgpr78
.LBB130_46:                             ;   in Loop: Header=BB130_21 Depth=1
	s_and_b32 vcc_lo, exec_lo, s7
	s_cbranch_vccz .LBB130_48
; %bb.47:                               ;   in Loop: Header=BB130_21 Depth=1
	buffer_gl0_inv
	ds_load_b32 v1, v7 offset:4104
	s_waitcnt lgkmcnt(0)
	v_readfirstlane_b32 s78, v1
.LBB130_48:                             ;   in Loop: Header=BB130_21 Depth=1
	s_delay_alu instid0(VALU_DEP_1)
	s_cmp_lt_i32 s78, 1
	s_cbranch_scc0 .LBB130_52
; %bb.49:                               ;   in Loop: Header=BB130_21 Depth=1
	v_dual_mov_b32 v1, 0 :: v_dual_mov_b32 v2, 0
	v_dual_mov_b32 v3, 0 :: v_dual_mov_b32 v4, 0
	s_mov_b32 s19, 0
	s_and_saveexec_b32 s18, s4
	s_cbranch_execnz .LBB130_53
; %bb.50:                               ;   in Loop: Header=BB130_21 Depth=1
	s_or_b32 exec_lo, exec_lo, s18
	v_mov_b32_e32 v29, 0
	s_and_saveexec_b32 s7, s5
	s_cbranch_execnz .LBB130_56
.LBB130_51:                             ;   in Loop: Header=BB130_21 Depth=1
	s_or_b32 exec_lo, exec_lo, s7
	s_and_saveexec_b32 s11, s5
	s_cbranch_execnz .LBB130_57
	s_branch .LBB130_62
.LBB130_52:                             ;   in Loop: Header=BB130_21 Depth=1
                                        ; implicit-def: $vgpr4
	s_cbranch_execnz .LBB130_63
	s_branch .LBB130_72
.LBB130_53:                             ;   in Loop: Header=BB130_21 Depth=1
	v_mov_b32_e32 v28, v14
	s_and_b32 s20, s70, 0xfe
	s_mov_b32 s79, 0
	s_mov_b32 s80, 0
	;; [unrolled: 1-line block ×5, first 2 shown]
.LBB130_54:                             ;   Parent Loop BB130_21 Depth=1
                                        ; =>  This Inner Loop Header: Depth=2
	v_add_nc_u32_e32 v6, s79, v22
	v_add_nc_u32_e32 v28, s50, v28
	s_delay_alu instid0(VALU_DEP_2) | instskip(SKIP_1) | instid1(VALU_DEP_1)
	v_lshlrev_b64 v[1:2], 1, v[6:7]
	v_add_nc_u32_e32 v6, s79, v8
	v_lshlrev_b64 v[3:4], 1, v[6:7]
	s_delay_alu instid0(VALU_DEP_3) | instskip(SKIP_2) | instid1(VALU_DEP_4)
	v_add_co_u32 v1, vcc_lo, s33, v1
	v_add_nc_u32_e32 v6, s79, v20
	v_add_co_ci_u32_e32 v2, vcc_lo, s39, v2, vcc_lo
	v_add_co_u32 v3, vcc_lo, s33, v3
	s_delay_alu instid0(VALU_DEP_3)
	v_lshlrev_b64 v[29:30], 1, v[6:7]
	v_add_nc_u32_e32 v6, s79, v21
	v_add_co_ci_u32_e32 v4, vcc_lo, s39, v4, vcc_lo
	global_load_u16 v31, v[1:2], off
	s_add_i32 s79, s79, s62
	v_lshlrev_b64 v[1:2], 1, v[6:7]
	global_load_u16 v6, v[3:4], off
	v_add_co_u32 v3, vcc_lo, s33, v29
	v_add_co_ci_u32_e32 v4, vcc_lo, s39, v30, vcc_lo
	v_add_co_u32 v1, vcc_lo, s33, v1
	v_add_co_ci_u32_e32 v2, vcc_lo, s39, v2, vcc_lo
	global_load_u16 v3, v[3:4], off
	v_cmp_le_u32_e32 vcc_lo, s60, v28
	global_load_u16 v1, v[1:2], off
	s_waitcnt vmcnt(3)
	v_cmp_lt_i16_e64 s7, -1, v31
	v_and_b32_e32 v2, 0xffff, v31
	s_waitcnt vmcnt(2)
	v_and_b32_e32 v29, 0xffff, v6
	s_delay_alu instid0(VALU_DEP_3) | instskip(SKIP_1) | instid1(VALU_DEP_2)
	v_cndmask_b32_e64 v4, 0xffff, v26, s7
	v_cmp_lt_i16_e64 s7, -1, v6
	v_xor_b32_e32 v2, v4, v2
	s_delay_alu instid0(VALU_DEP_2)
	v_cndmask_b32_e64 v30, 0xffff, v26, s7
	v_cmp_o_f16_e64 s7, v31, v31
	s_waitcnt vmcnt(1)
	v_cmp_lt_i16_e64 s8, -1, v3
	s_waitcnt vmcnt(0)
	v_cmp_o_f16_e64 s12, v1, v1
	v_xor_b32_e32 v4, v30, v29
	v_cndmask_b32_e64 v2, 0xffff, v2, s7
	v_cmp_o_f16_e64 s7, v6, v6
	v_and_b32_e32 v29, 0xffff, v3
	v_cndmask_b32_e64 v30, 0xffff, v26, s8
	s_delay_alu instid0(VALU_DEP_4) | instskip(NEXT) | instid1(VALU_DEP_4)
	v_and_b32_e32 v31, s76, v2
	v_cndmask_b32_e64 v4, 0xffff, v4, s7
	v_cmp_lt_i16_e64 s7, -1, v1
	s_delay_alu instid0(VALU_DEP_4) | instskip(SKIP_2) | instid1(VALU_DEP_4)
	v_xor_b32_e32 v6, v30, v29
	v_bfe_u32 v2, v2, s20, 2
	v_and_b32_e32 v29, 0xffff, v1
	v_cndmask_b32_e64 v30, 0xffff, v26, s7
	v_cmp_o_f16_e64 s7, v3, v3
	s_delay_alu instid0(VALU_DEP_4)
	v_cmp_eq_u32_e64 s8, 0, v2
	v_cmp_eq_u32_e64 s9, 1, v2
	;; [unrolled: 1-line block ×4, first 2 shown]
	v_cndmask_b32_e64 v3, 0xffff, v6, s7
	v_cmp_eq_u32_e64 s7, s75, v31
	v_xor_b32_e32 v6, v30, v29
	v_and_b32_e32 v29, s76, v4
	v_bfe_u32 v4, v4, s20, 2
	v_and_b32_e32 v2, s76, v3
	s_and_b32 s8, s7, s8
	v_cndmask_b32_e64 v1, 0xffff, v6, s12
	v_cmp_eq_u32_e64 s12, s75, v29
	v_cmp_eq_u32_e64 s13, 0, v4
	v_cndmask_b32_e64 v6, 0, 1, s8
	v_cmp_eq_u32_e64 s8, 1, v4
	s_and_b32 s9, s7, s9
	v_bfe_u32 v3, v3, s20, 2
	v_cndmask_b32_e64 v29, 0, 1, s9
	v_cmp_eq_u32_e64 s9, 2, v4
	s_and_b32 s10, s7, s10
	s_and_b32 s7, s7, s11
	v_cndmask_b32_e64 v30, 0, 1, s10
	s_and_b32 s13, s12, s13
	s_and_b32 s8, s12, s8
	v_cmp_eq_u32_e64 s10, 3, v4
	v_cndmask_b32_e64 v4, 0, 1, s7
	v_cmp_eq_u32_e64 s7, s75, v2
	v_cmp_eq_u32_e64 s11, 0, v3
	v_cmp_ne_u32_e64 s14, 0, v6
	v_cndmask_b32_e64 v6, 0, 1, s13
	v_cmp_eq_u32_e64 s13, 1, v3
	v_cmp_ne_u32_e64 s15, 0, v29
	v_cndmask_b32_e64 v29, 0, 1, s8
	v_cmp_eq_u32_e64 s8, 2, v3
	s_and_b32 s9, s12, s9
	v_and_b32_e32 v2, s76, v1
	v_bfe_u32 v1, v1, s20, 2
	v_cmp_ne_u32_e64 s16, 0, v30
	v_cndmask_b32_e64 v30, 0, 1, s9
	v_cmp_eq_u32_e64 s9, 3, v3
	s_and_b32 s10, s12, s10
	s_and_b32 s11, s7, s11
	;; [unrolled: 1-line block ×4, first 2 shown]
	v_cmp_ne_u32_e64 s17, 0, v4
	v_cndmask_b32_e64 v3, 0, 1, s10
	v_cmp_eq_u32_e64 s10, s75, v2
	v_cmp_eq_u32_e64 s12, 0, v1
	s_bcnt1_i32_b32 s84, s14
	v_cmp_ne_u32_e64 s14, 0, v6
	v_cndmask_b32_e64 v2, 0, 1, s11
	v_cmp_eq_u32_e64 s11, 1, v1
	v_cndmask_b32_e64 v4, 0, 1, s13
	v_cmp_eq_u32_e64 s13, 2, v1
	;; [unrolled: 2-line block ×3, first 2 shown]
	s_and_b32 s7, s7, s9
	s_bcnt1_i32_b32 s87, s17
	v_cndmask_b32_e64 v1, 0, 1, s7
	v_cmp_ne_u32_e64 s17, 0, v3
	s_and_b32 s9, s10, s12
	s_and_b32 s11, s10, s11
	;; [unrolled: 1-line block ×4, first 2 shown]
	v_cmp_ne_u32_e64 s7, 0, v2
	v_cndmask_b32_e64 v2, 0, 1, s9
	v_cmp_ne_u32_e64 s9, 0, v4
	v_cndmask_b32_e64 v3, 0, 1, s11
	v_cndmask_b32_e64 v4, 0, 1, s12
	v_cmp_ne_u32_e64 s12, 0, v1
	v_cndmask_b32_e64 v1, 0, 1, s8
	s_bcnt1_i32_b32 s85, s15
	v_cmp_ne_u32_e64 s15, 0, v29
	s_bcnt1_i32_b32 s86, s16
	v_cmp_ne_u32_e64 s16, 0, v30
	s_add_i32 s80, s87, s80
	v_cmp_ne_u32_e64 s11, 0, v6
	s_bcnt1_i32_b32 s13, s17
	s_bcnt1_i32_b32 s17, s7
	s_add_i32 s13, s80, s13
	v_cmp_ne_u32_e64 s7, 0, v2
	s_bcnt1_i32_b32 s80, s9
	v_cmp_ne_u32_e64 s8, 0, v3
	v_cmp_ne_u32_e64 s9, 0, v4
	;; [unrolled: 1-line block ×3, first 2 shown]
	s_add_i32 s83, s84, s83
	s_add_i32 s82, s85, s82
	;; [unrolled: 1-line block ×3, first 2 shown]
	s_bcnt1_i32_b32 s14, s14
	s_bcnt1_i32_b32 s15, s15
	;; [unrolled: 1-line block ×3, first 2 shown]
	s_add_i32 s14, s83, s14
	s_add_i32 s15, s82, s15
	;; [unrolled: 1-line block ×3, first 2 shown]
	s_bcnt1_i32_b32 s11, s11
	s_bcnt1_i32_b32 s12, s12
	s_add_i32 s14, s14, s17
	s_add_i32 s15, s15, s80
	;; [unrolled: 1-line block ×4, first 2 shown]
	s_bcnt1_i32_b32 s7, s7
	s_bcnt1_i32_b32 s8, s8
	;; [unrolled: 1-line block ×4, first 2 shown]
	s_add_i32 s83, s14, s7
	s_add_i32 s82, s15, s8
	;; [unrolled: 1-line block ×4, first 2 shown]
	s_delay_alu instid0(SALU_CYCLE_1) | instskip(SKIP_2) | instid1(SALU_CYCLE_1)
	v_dual_mov_b32 v1, s83 :: v_dual_mov_b32 v4, s80
	v_dual_mov_b32 v2, s82 :: v_dual_mov_b32 v3, s81
	s_or_b32 s19, vcc_lo, s19
	s_and_not1_b32 exec_lo, exec_lo, s19
	s_cbranch_execnz .LBB130_54
; %bb.55:                               ;   in Loop: Header=BB130_21 Depth=1
	s_or_b32 exec_lo, exec_lo, s19
	s_delay_alu instid0(SALU_CYCLE_1)
	s_or_b32 exec_lo, exec_lo, s18
	v_mov_b32_e32 v29, 0
	s_and_saveexec_b32 s7, s5
	s_cbranch_execz .LBB130_51
.LBB130_56:                             ;   in Loop: Header=BB130_21 Depth=1
	global_load_u16 v29, v[11:12], off
	s_or_b32 exec_lo, exec_lo, s7
	s_and_saveexec_b32 s11, s5
	s_cbranch_execz .LBB130_62
.LBB130_57:                             ;   in Loop: Header=BB130_21 Depth=1
	v_mov_b32_e32 v6, v23
	v_mov_b32_e32 v28, v19
	s_and_b32 s13, s70, 0xfe
	s_mov_b32 s12, 0
	s_branch .LBB130_59
.LBB130_58:                             ;   in Loop: Header=BB130_59 Depth=2
	s_or_b32 exec_lo, exec_lo, s8
	s_waitcnt vmcnt(0)
	v_cmp_lt_i16_e64 s7, -1, v29
	v_and_b32_e32 v31, 0xffff, v29
	s_and_b32 s8, exec_lo, vcc_lo
	v_add_nc_u32_e32 v6, s49, v6
	s_or_b32 s12, s8, s12
	v_cndmask_b32_e64 v32, 0xffff, v26, s7
	v_cmp_o_f16_e64 s7, v29, v29
	s_delay_alu instid0(VALU_DEP_2) | instskip(NEXT) | instid1(VALU_DEP_1)
	v_xor_b32_e32 v31, v32, v31
	v_cndmask_b32_e64 v29, 0xffff, v31, s7
	s_delay_alu instid0(VALU_DEP_1) | instskip(SKIP_1) | instid1(VALU_DEP_2)
	v_and_b32_e32 v31, s76, v29
	v_bfe_u32 v29, v29, s13, 2
	v_cmp_eq_u32_e32 vcc_lo, s75, v31
	s_delay_alu instid0(VALU_DEP_2) | instskip(SKIP_3) | instid1(VALU_DEP_4)
	v_cmp_eq_u32_e64 s7, 0, v29
	v_cmp_eq_u32_e64 s8, 1, v29
	;; [unrolled: 1-line block ×4, first 2 shown]
	s_and_b32 s7, vcc_lo, s7
	s_delay_alu instid0(SALU_CYCLE_1) | instskip(SKIP_1) | instid1(SALU_CYCLE_1)
	v_cndmask_b32_e64 v29, 0, 1, s7
	s_and_b32 s7, vcc_lo, s8
	v_cndmask_b32_e64 v31, 0, 1, s7
	s_and_b32 s7, vcc_lo, s9
	s_delay_alu instid0(SALU_CYCLE_1)
	v_cndmask_b32_e64 v32, 0, 1, s7
	s_and_b32 s7, vcc_lo, s10
	v_cmp_ne_u32_e32 vcc_lo, 0, v29
	v_mov_b32_e32 v29, v30
	v_cndmask_b32_e64 v33, 0, 1, s7
	v_cmp_ne_u32_e64 s7, 0, v31
	v_cmp_ne_u32_e64 s8, 0, v32
	s_bcnt1_i32_b32 s10, vcc_lo
	s_delay_alu instid0(VALU_DEP_3) | instskip(NEXT) | instid1(VALU_DEP_3)
	v_cmp_ne_u32_e64 s9, 0, v33
	s_bcnt1_i32_b32 s7, s7
	s_delay_alu instid0(VALU_DEP_2)
	s_bcnt1_i32_b32 s8, s8
	v_add_nc_u32_e32 v1, s10, v1
	v_add_nc_u32_e32 v2, s7, v2
	s_bcnt1_i32_b32 s9, s9
	v_add_nc_u32_e32 v3, s8, v3
	v_add_nc_u32_e32 v4, s9, v4
	s_and_not1_b32 exec_lo, exec_lo, s12
	s_cbranch_execz .LBB130_61
.LBB130_59:                             ;   Parent Loop BB130_21 Depth=1
                                        ; =>  This Inner Loop Header: Depth=2
	s_delay_alu instid0(VALU_DEP_1) | instskip(SKIP_2) | instid1(VALU_DEP_2)
	v_add_nc_u32_e32 v28, s27, v28
	v_mov_b32_e32 v30, 0
	s_mov_b32 s8, exec_lo
	v_cmp_le_u32_e32 vcc_lo, s24, v28
	v_cmpx_gt_u32_e64 s24, v28
	s_cbranch_execz .LBB130_58
; %bb.60:                               ;   in Loop: Header=BB130_59 Depth=2
	v_lshlrev_b64 v[30:31], 1, v[6:7]
	s_delay_alu instid0(VALU_DEP_1) | instskip(NEXT) | instid1(VALU_DEP_1)
	v_add_co_u32 v30, s7, s33, v30
	v_add_co_ci_u32_e64 v31, s7, s39, v31, s7
	global_load_u16 v30, v[30:31], off
	s_branch .LBB130_58
.LBB130_61:                             ;   in Loop: Header=BB130_21 Depth=1
	s_or_b32 exec_lo, exec_lo, s12
.LBB130_62:                             ;   in Loop: Header=BB130_21 Depth=1
	s_delay_alu instid0(SALU_CYCLE_1)
	s_or_b32 exec_lo, exec_lo, s11
	s_branch .LBB130_72
.LBB130_63:                             ;   in Loop: Header=BB130_21 Depth=1
	s_mul_hi_u32 s7, s78, s59
	v_dual_mov_b32 v1, 0 :: v_dual_mov_b32 v2, 0
	s_mul_i32 s7, s7, s50
	v_dual_mov_b32 v3, 0 :: v_dual_mov_b32 v4, 0
	s_sub_i32 s7, s78, s7
	s_mov_b32 s81, 0
	s_sub_i32 s8, s7, s50
	s_cmp_ge_u32 s7, s50
	s_mov_b32 s80, exec_lo
	s_cselect_b32 s7, s8, s7
	s_delay_alu instid0(SALU_CYCLE_1) | instskip(SKIP_2) | instid1(SALU_CYCLE_1)
	s_sub_i32 s8, s7, s50
	s_cmp_ge_u32 s7, s50
	s_cselect_b32 s7, s8, s7
	s_sub_i32 s79, s78, s7
	s_delay_alu instid0(SALU_CYCLE_1)
	v_cmpx_gt_u32_e64 s79, v14
	s_cbranch_execz .LBB130_67
; %bb.64:                               ;   in Loop: Header=BB130_21 Depth=1
	v_mov_b32_e32 v6, v24
	v_mov_b32_e32 v28, v14
	s_and_b32 s82, s70, 0xfe
	s_mov_b32 s83, 0
	s_mov_b32 s84, 0
	;; [unrolled: 1-line block ×4, first 2 shown]
.LBB130_65:                             ;   Parent Loop BB130_21 Depth=1
                                        ; =>  This Inner Loop Header: Depth=2
	ds_load_b64 v[1:2], v6
	s_waitcnt lgkmcnt(0)
	v_cmp_lt_i16_e64 s7, -1, v1
	v_lshrrev_b32_e32 v3, 16, v1
	v_lshrrev_b32_e32 v32, 16, v2
	v_and_b32_e32 v4, 0xffff, v1
	v_and_b32_e32 v30, 0xffff, v2
	s_waitcnt vmcnt(0)
	v_cndmask_b32_e64 v29, 0xffff, v26, s7
	v_cmp_lt_i16_e64 s7, -1, v2
	v_cmp_lt_i16_e64 s8, -1, v32
	s_delay_alu instid0(VALU_DEP_3) | instskip(NEXT) | instid1(VALU_DEP_3)
	v_xor_b32_e32 v4, v29, v4
	v_cndmask_b32_e64 v31, 0xffff, v26, s7
	v_cmp_lt_i16_e64 s7, -1, v3
	s_delay_alu instid0(VALU_DEP_2) | instskip(NEXT) | instid1(VALU_DEP_2)
	v_xor_b32_e32 v30, v31, v30
	v_cndmask_b32_e64 v29, 0xffff, v26, s7
	v_cmp_o_f16_e64 s7, v2, v2
	v_cndmask_b32_e64 v2, 0xffff, v26, s8
	v_cmp_o_f16_e64 s8, v1, v1
	s_delay_alu instid0(VALU_DEP_2) | instskip(NEXT) | instid1(VALU_DEP_2)
	v_xor_b32_e32 v2, v2, v32
	v_cndmask_b32_e64 v1, 0xffff, v4, s8
	v_xor_b32_e32 v4, v29, v3
	v_cmp_o_f16_e64 s8, v3, v3
	v_cndmask_b32_e64 v29, 0xffff, v30, s7
	v_cmp_o_f16_e64 s7, v32, v32
	s_delay_alu instid0(VALU_DEP_3)
	v_cndmask_b32_e64 v3, 0xffff, v4, s8
	v_and_b32_e32 v4, s76, v1
	v_bfe_u32 v1, v1, s82, 2
	v_and_b32_e32 v30, s76, v29
	v_bfe_u32 v29, v29, s82, 2
	v_cndmask_b32_e64 v2, 0xffff, v2, s7
	v_cmp_eq_u32_e64 s7, s75, v4
	v_and_b32_e32 v4, s76, v3
	v_bfe_u32 v3, v3, s82, 2
	v_cmp_eq_u32_e64 s9, 0, v1
	v_cmp_eq_u32_e64 s11, 1, v1
	;; [unrolled: 1-line block ×8, first 2 shown]
	v_and_b32_e32 v30, s76, v2
	v_bfe_u32 v2, v2, s82, 2
	v_cmp_eq_u32_e64 s16, 3, v29
	v_cmp_eq_u32_e64 s17, s75, v4
	;; [unrolled: 1-line block ×3, first 2 shown]
	s_and_b32 s9, s7, s9
	s_and_b32 s11, s7, s11
	;; [unrolled: 1-line block ×3, first 2 shown]
	v_cndmask_b32_e64 v1, 0, 1, s9
	s_and_b32 s9, s8, s10
	v_cndmask_b32_e64 v29, 0, 1, s11
	s_and_b32 s11, s8, s12
	;; [unrolled: 2-line block ×3, first 2 shown]
	s_and_b32 s7, s7, s15
	v_cmp_eq_u32_e64 s18, s75, v30
	v_cmp_eq_u32_e64 s20, 0, v2
	v_cndmask_b32_e64 v4, 0, 1, s9
	v_cmp_eq_u32_e64 s9, 1, v3
	v_cmp_eq_u32_e64 s10, 1, v2
	v_cndmask_b32_e64 v30, 0, 1, s11
	;; [unrolled: 3-line block ×4, first 2 shown]
	s_and_b32 s7, s8, s16
	s_and_b32 s8, s17, s19
	v_cndmask_b32_e64 v3, 0, 1, s7
	v_cmp_ne_u32_e64 s7, 0, v1
	v_cndmask_b32_e64 v1, 0, 1, s8
	s_and_b32 s15, s18, s20
	s_and_b32 s9, s17, s9
	;; [unrolled: 1-line block ×6, first 2 shown]
	v_cmp_ne_u32_e64 s8, 0, v4
	v_cndmask_b32_e64 v4, 0, 1, s15
	v_cmp_ne_u32_e64 s15, 0, v29
	v_cndmask_b32_e64 v29, 0, 1, s9
	;; [unrolled: 2-line block ×6, first 2 shown]
	s_bcnt1_i32_b32 s16, s7
	v_cmp_ne_u32_e64 s7, 0, v1
	s_and_b32 s14, s18, s14
	v_cmp_ne_u32_e64 s13, 0, v3
	v_cndmask_b32_e64 v3, 0, 1, s14
	s_bcnt1_i32_b32 s17, s8
	v_cmp_ne_u32_e64 s8, 0, v4
	v_cmp_ne_u32_e64 s14, 0, v29
	s_bcnt1_i32_b32 s19, s10
	v_cmp_ne_u32_e64 s10, 0, v31
	s_bcnt1_i32_b32 s87, s12
	v_cmp_ne_u32_e64 s12, 0, v2
	s_add_i32 s16, s16, s86
	s_bcnt1_i32_b32 s7, s7
	s_bcnt1_i32_b32 s15, s15
	s_add_i32 s7, s16, s7
	s_bcnt1_i32_b32 s18, s9
	v_cmp_ne_u32_e64 s9, 0, v30
	s_bcnt1_i32_b32 s20, s11
	v_cmp_ne_u32_e64 s11, 0, v32
	;; [unrolled: 2-line block ×3, first 2 shown]
	s_bcnt1_i32_b32 s8, s8
	s_add_i32 s7, s7, s17
	s_add_i32 s15, s15, s85
	;; [unrolled: 1-line block ×4, first 2 shown]
	s_bcnt1_i32_b32 s14, s14
	s_bcnt1_i32_b32 s10, s10
	;; [unrolled: 1-line block ×3, first 2 shown]
	s_add_i32 s86, s7, s8
	s_delay_alu instid0(SALU_CYCLE_1)
	v_dual_mov_b32 v1, s86 :: v_dual_add_nc_u32 v28, s50, v28
	s_add_i32 s14, s15, s14
	s_add_i32 s10, s19, s10
	;; [unrolled: 1-line block ×3, first 2 shown]
	s_bcnt1_i32_b32 s9, s9
	s_bcnt1_i32_b32 s11, s11
	;; [unrolled: 1-line block ×3, first 2 shown]
	s_add_i32 s14, s14, s18
	s_add_i32 s10, s10, s20
	;; [unrolled: 1-line block ×3, first 2 shown]
	v_cmp_le_u32_e32 vcc_lo, s79, v28
	s_add_i32 s85, s14, s9
	s_add_i32 s84, s10, s11
	;; [unrolled: 1-line block ×3, first 2 shown]
	v_dual_mov_b32 v3, s84 :: v_dual_add_nc_u32 v6, s64, v6
	v_mov_b32_e32 v2, s85
	v_mov_b32_e32 v4, s83
	s_or_b32 s81, vcc_lo, s81
	s_delay_alu instid0(SALU_CYCLE_1)
	s_and_not1_b32 exec_lo, exec_lo, s81
	s_cbranch_execnz .LBB130_65
; %bb.66:                               ;   in Loop: Header=BB130_21 Depth=1
	s_or_b32 exec_lo, exec_lo, s81
.LBB130_67:                             ;   in Loop: Header=BB130_21 Depth=1
	s_delay_alu instid0(SALU_CYCLE_1) | instskip(SKIP_2) | instid1(VALU_DEP_1)
	s_or_b32 exec_lo, exec_lo, s80
	v_add_nc_u32_e32 v6, s79, v0
	s_mov_b32 s12, exec_lo
	v_cmpx_gt_u32_e64 s78, v6
	s_cbranch_execz .LBB130_71
; %bb.68:                               ;   in Loop: Header=BB130_21 Depth=1
	v_lshlrev_b32_e32 v28, 1, v6
	s_and_b32 s14, s70, 0xfe
	s_mov_b32 s13, 0
.LBB130_69:                             ;   Parent Loop BB130_21 Depth=1
                                        ; =>  This Inner Loop Header: Depth=2
	s_waitcnt vmcnt(0)
	ds_load_u16 v29, v28
	v_add_nc_u32_e32 v6, s27, v6
	v_add_nc_u32_e32 v28, s65, v28
	s_delay_alu instid0(VALU_DEP_2) | instskip(SKIP_3) | instid1(VALU_DEP_2)
	v_cmp_le_u32_e32 vcc_lo, s78, v6
	s_waitcnt lgkmcnt(0)
	v_cmp_lt_i16_e64 s7, -1, v29
	v_and_b32_e32 v30, 0xffff, v29
	v_cndmask_b32_e64 v31, 0xffff, v26, s7
	v_cmp_o_f16_e64 s7, v29, v29
	s_delay_alu instid0(VALU_DEP_2) | instskip(NEXT) | instid1(VALU_DEP_1)
	v_xor_b32_e32 v30, v31, v30
	v_cndmask_b32_e64 v29, 0xffff, v30, s7
	s_delay_alu instid0(VALU_DEP_1) | instskip(SKIP_1) | instid1(VALU_DEP_2)
	v_and_b32_e32 v30, s76, v29
	v_bfe_u32 v29, v29, s14, 2
	v_cmp_eq_u32_e64 s7, s75, v30
	s_delay_alu instid0(VALU_DEP_2) | instskip(SKIP_3) | instid1(VALU_DEP_4)
	v_cmp_eq_u32_e64 s8, 0, v29
	v_cmp_eq_u32_e64 s9, 1, v29
	v_cmp_eq_u32_e64 s10, 2, v29
	v_cmp_eq_u32_e64 s11, 3, v29
	s_and_b32 s8, s7, s8
	s_delay_alu instid0(SALU_CYCLE_1) | instskip(SKIP_1) | instid1(SALU_CYCLE_1)
	v_cndmask_b32_e64 v29, 0, 1, s8
	s_and_b32 s8, s7, s9
	v_cndmask_b32_e64 v30, 0, 1, s8
	s_and_b32 s8, s7, s10
	s_and_b32 s7, s7, s11
	v_cndmask_b32_e64 v31, 0, 1, s8
	v_cndmask_b32_e64 v32, 0, 1, s7
	v_cmp_ne_u32_e64 s7, 0, v29
	v_cmp_ne_u32_e64 s8, 0, v30
	s_delay_alu instid0(VALU_DEP_4) | instskip(NEXT) | instid1(VALU_DEP_4)
	v_cmp_ne_u32_e64 s9, 0, v31
	v_cmp_ne_u32_e64 s10, 0, v32
	s_delay_alu instid0(VALU_DEP_4) | instskip(NEXT) | instid1(VALU_DEP_3)
	s_bcnt1_i32_b32 s7, s7
	s_bcnt1_i32_b32 s8, s8
	v_add_nc_u32_e32 v1, s7, v1
	s_bcnt1_i32_b32 s9, s9
	s_bcnt1_i32_b32 s10, s10
	v_add_nc_u32_e32 v2, s8, v2
	v_add_nc_u32_e32 v3, s9, v3
	;; [unrolled: 1-line block ×3, first 2 shown]
	s_or_b32 s13, vcc_lo, s13
	s_delay_alu instid0(SALU_CYCLE_1)
	s_and_not1_b32 exec_lo, exec_lo, s13
	s_cbranch_execnz .LBB130_69
; %bb.70:                               ;   in Loop: Header=BB130_21 Depth=1
	s_or_b32 exec_lo, exec_lo, s13
.LBB130_71:                             ;   in Loop: Header=BB130_21 Depth=1
	s_delay_alu instid0(SALU_CYCLE_1)
	s_or_b32 exec_lo, exec_lo, s12
.LBB130_72:                             ;   in Loop: Header=BB130_21 Depth=1
	s_lshl_b32 s7, s73, 7
	s_and_saveexec_b32 s8, s3
	s_cbranch_execz .LBB130_74
; %bb.73:                               ;   in Loop: Header=BB130_21 Depth=1
	v_or_b32_e32 v6, s7, v17
	s_delay_alu instid0(VALU_DEP_1)
	v_lshlrev_b32_e32 v6, 2, v6
	ds_store_b128 v6, v[1:4] offset:3072
.LBB130_74:                             ;   in Loop: Header=BB130_21 Depth=1
	s_or_b32 exec_lo, exec_lo, s8
	s_waitcnt vmcnt(0) lgkmcnt(0)
	s_barrier
	buffer_gl0_inv
	s_and_saveexec_b32 s8, s51
	s_cbranch_execz .LBB130_84
; %bb.75:                               ;   in Loop: Header=BB130_21 Depth=1
	v_mov_b32_e32 v1, 0
	s_and_not1_b32 vcc_lo, exec_lo, s54
	s_cbranch_vccnz .LBB130_83
; %bb.76:                               ;   in Loop: Header=BB130_21 Depth=1
	v_mov_b32_e32 v1, 0
	s_and_not1_b32 vcc_lo, exec_lo, s56
	s_mov_b32 s9, 0
	s_cbranch_vccnz .LBB130_80
; %bb.77:                               ;   in Loop: Header=BB130_21 Depth=1
	v_lshl_add_u32 v2, s73, 9, v25
	v_mov_b32_e32 v1, 0
	.p2align	6
.LBB130_78:                             ;   Parent Loop BB130_21 Depth=1
                                        ; =>  This Inner Loop Header: Depth=2
	ds_load_2addr_b32 v[3:4], v2 offset1:4
	ds_load_2addr_b32 v[28:29], v2 offset0:8 offset1:12
	ds_load_2addr_b32 v[30:31], v2 offset0:16 offset1:20
	;; [unrolled: 1-line block ×3, first 2 shown]
	v_add_nc_u32_e32 v2, 0x80, v2
	s_add_i32 s9, s9, 8
	s_delay_alu instid0(SALU_CYCLE_1) | instskip(SKIP_3) | instid1(VALU_DEP_1)
	s_cmp_eq_u32 s57, s9
	s_waitcnt lgkmcnt(3)
	v_add3_u32 v1, v3, v1, v4
	s_waitcnt lgkmcnt(2)
	v_add3_u32 v1, v28, v1, v29
	s_waitcnt lgkmcnt(1)
	s_delay_alu instid0(VALU_DEP_1) | instskip(SKIP_1) | instid1(VALU_DEP_1)
	v_add3_u32 v1, v30, v1, v31
	s_waitcnt lgkmcnt(0)
	v_add3_u32 v1, v32, v1, v33
	s_cbranch_scc0 .LBB130_78
; %bb.79:                               ;   in Loop: Header=BB130_21 Depth=1
	s_mov_b32 s9, s57
.LBB130_80:                             ;   in Loop: Header=BB130_21 Depth=1
	s_and_not1_b32 vcc_lo, exec_lo, s58
	s_cbranch_vccnz .LBB130_83
; %bb.81:                               ;   in Loop: Header=BB130_21 Depth=1
	s_lshl_b32 s10, s73, 9
	s_lshl_b32 s9, s9, 4
	s_delay_alu instid0(SALU_CYCLE_1)
	v_add3_u32 v2, s10, s9, v25
	s_mov_b32 s9, s55
.LBB130_82:                             ;   Parent Loop BB130_21 Depth=1
                                        ; =>  This Inner Loop Header: Depth=2
	ds_load_b32 v3, v2
	v_add_nc_u32_e32 v2, 16, v2
	s_add_i32 s9, s9, -1
	s_delay_alu instid0(SALU_CYCLE_1)
	s_cmp_lg_u32 s9, 0
	s_waitcnt lgkmcnt(0)
	v_add_nc_u32_e32 v1, v3, v1
	s_cbranch_scc1 .LBB130_82
.LBB130_83:                             ;   in Loop: Header=BB130_21 Depth=1
	v_add_lshl_u32 v2, s7, v13, 2
	ds_store_b32 v2, v1 offset:3072
.LBB130_84:                             ;   in Loop: Header=BB130_21 Depth=1
	s_or_b32 exec_lo, exec_lo, s8
	s_lshl_b32 s7, s7, 2
	s_waitcnt lgkmcnt(0)
	v_mov_b32_e32 v1, s7
	s_barrier
	buffer_gl0_inv
	s_and_b32 s16, s70, 0xfe
	s_mov_b32 s12, -1
	ds_load_b128 v[1:4], v1 offset:3072
	s_lshl_b32 s9, 3, s16
	s_delay_alu instid0(SALU_CYCLE_1) | instskip(SKIP_4) | instid1(VALU_DEP_3)
	s_not_b32 s17, s9
	s_waitcnt lgkmcnt(0)
	v_readfirstlane_b32 s11, v1
	v_readfirstlane_b32 s19, v2
	v_readfirstlane_b32 s14, v3
	s_cmp_eq_u32 s11, 1
	s_cselect_b32 s7, -1, 0
	s_cmp_eq_u32 s77, 1
	s_cselect_b32 s8, -1, 0
	s_delay_alu instid0(SALU_CYCLE_1)
	s_and_b32 s13, s7, s8
	v_readfirstlane_b32 s8, v4
	s_and_b32 vcc_lo, exec_lo, s13
	s_cbranch_vccz .LBB130_96
; %bb.85:                               ;   in Loop: Header=BB130_21 Depth=1
	ds_load_b32 v1, v7 offset:4104
	s_waitcnt lgkmcnt(0)
	s_barrier
	buffer_gl0_inv
	v_readfirstlane_b32 s10, v1
	s_and_saveexec_b32 s7, s2
	s_cbranch_execz .LBB130_87
; %bb.86:                               ;   in Loop: Header=BB130_21 Depth=1
	ds_store_b16 v16, v7
.LBB130_87:                             ;   in Loop: Header=BB130_21 Depth=1
	s_or_b32 exec_lo, exec_lo, s7
	s_and_b32 s75, s75, s17
	s_or_b32 s76, s76, s9
	s_cmp_eq_u32 s10, 0
	s_waitcnt lgkmcnt(0)
	s_barrier
	buffer_gl0_inv
	s_cbranch_scc1 .LBB130_97
; %bb.88:                               ;   in Loop: Header=BB130_21 Depth=1
	s_add_i32 s7, s10, s52
                                        ; implicit-def: $vgpr27
	s_delay_alu instid0(SALU_CYCLE_1) | instskip(NEXT) | instid1(SALU_CYCLE_1)
	s_mul_hi_u32 s15, s7, s61
	s_mul_i32 s15, s15, s27
	s_delay_alu instid0(SALU_CYCLE_1) | instskip(NEXT) | instid1(SALU_CYCLE_1)
	s_sub_i32 s15, s7, s15
	s_sub_i32 s18, s15, s27
	s_cmp_ge_u32 s15, s27
	s_cselect_b32 s15, s18, s15
	s_delay_alu instid0(SALU_CYCLE_1) | instskip(SKIP_2) | instid1(SALU_CYCLE_1)
	s_sub_i32 s18, s15, s27
	s_cmp_ge_u32 s15, s27
	s_cselect_b32 s15, s18, s15
	s_sub_i32 s18, s7, s15
	s_mov_b32 s7, 0
	s_mov_b32 s15, exec_lo
	v_cmpx_gt_u32_e64 s18, v0
	s_cbranch_execz .LBB130_99
; %bb.89:                               ;   in Loop: Header=BB130_21 Depth=1
	v_dual_mov_b32 v1, v15 :: v_dual_mov_b32 v2, v0
	s_mov_b32 s20, 0
                                        ; implicit-def: $sgpr78
	s_set_inst_prefetch_distance 0x1
	s_branch .LBB130_91
	.p2align	6
.LBB130_90:                             ;   in Loop: Header=BB130_91 Depth=2
	s_or_b32 exec_lo, exec_lo, s7
	s_waitcnt lgkmcnt(0)
	s_barrier
	buffer_gl0_inv
	ds_load_b32 v3, v7 offset:3072
	v_add_nc_u32_e32 v2, s27, v2
	v_add_nc_u32_e32 v1, s65, v1
	s_waitcnt lgkmcnt(0)
	s_barrier
	buffer_gl0_inv
	v_cmp_le_u32_e32 vcc_lo, s18, v2
	v_cmp_neq_f16_e64 s7, 0, v3
	s_delay_alu instid0(VALU_DEP_1) | instskip(NEXT) | instid1(SALU_CYCLE_1)
	s_or_b32 s79, vcc_lo, s7
	s_and_b32 s79, exec_lo, s79
	s_delay_alu instid0(SALU_CYCLE_1) | instskip(SKIP_2) | instid1(SALU_CYCLE_1)
	s_or_b32 s20, s79, s20
	s_and_not1_b32 s78, s78, exec_lo
	s_and_b32 s7, s7, exec_lo
	s_or_b32 s78, s78, s7
	s_and_not1_b32 exec_lo, exec_lo, s20
	s_cbranch_execz .LBB130_98
.LBB130_91:                             ;   Parent Loop BB130_21 Depth=1
                                        ; =>  This Inner Loop Header: Depth=2
	s_delay_alu instid0(VALU_DEP_1)
	v_cmp_gt_u32_e32 vcc_lo, s10, v2
	v_mov_b32_e32 v3, 0
	s_and_saveexec_b32 s7, vcc_lo
	s_cbranch_execz .LBB130_93
; %bb.92:                               ;   in Loop: Header=BB130_91 Depth=2
	ds_load_u16 v3, v1
.LBB130_93:                             ;   in Loop: Header=BB130_91 Depth=2
	s_or_b32 exec_lo, exec_lo, s7
	s_and_saveexec_b32 s7, vcc_lo
	s_cbranch_execz .LBB130_90
; %bb.94:                               ;   in Loop: Header=BB130_91 Depth=2
	s_waitcnt lgkmcnt(0)
	v_cmp_lt_i16_e32 vcc_lo, -1, v3
	v_and_b32_e32 v4, 0xffff, v3
	v_cndmask_b32_e32 v6, 0xffff, v26, vcc_lo
	v_cmp_o_f16_e32 vcc_lo, v3, v3
	s_delay_alu instid0(VALU_DEP_2) | instskip(NEXT) | instid1(VALU_DEP_1)
	v_xor_b32_e32 v4, v6, v4
	v_cndmask_b32_e32 v4, 0xffff, v4, vcc_lo
	s_delay_alu instid0(VALU_DEP_1) | instskip(NEXT) | instid1(VALU_DEP_1)
	v_and_b32_e32 v4, s76, v4
	v_cmp_eq_u32_e32 vcc_lo, s75, v4
	s_and_b32 exec_lo, exec_lo, vcc_lo
	s_cbranch_execz .LBB130_90
; %bb.95:                               ;   in Loop: Header=BB130_91 Depth=2
	v_perm_b32 v3, v3, s66, 0x5040100
	ds_store_b32 v7, v3 offset:3072
	s_branch .LBB130_90
.LBB130_96:                             ;   in Loop: Header=BB130_21 Depth=1
	s_mov_b32 s7, -1
                                        ; implicit-def: $sgpr10
                                        ; implicit-def: $sgpr18
                                        ; implicit-def: $sgpr15
	s_branch .LBB130_110
.LBB130_97:                             ;   in Loop: Header=BB130_21 Depth=1
	s_mov_b32 s10, -1
	s_mov_b32 s7, 0
                                        ; implicit-def: $sgpr15
                                        ; implicit-def: $vgpr27
	s_mov_b32 s18, s10
	s_cbranch_execnz .LBB130_100
	s_branch .LBB130_110
.LBB130_98:                             ;   in Loop: Header=BB130_21 Depth=1
	s_set_inst_prefetch_distance 0x2
	s_or_b32 exec_lo, exec_lo, s20
	v_lshrrev_b32_e32 v27, 16, v3
	s_and_b32 s7, s78, exec_lo
.LBB130_99:                             ;   in Loop: Header=BB130_21 Depth=1
	s_or_b32 exec_lo, exec_lo, s15
	s_mov_b32 s15, -1
	s_mov_b32 s10, 0
	s_delay_alu instid0(SALU_CYCLE_1)
	s_mov_b32 s18, s10
	s_branch .LBB130_110
.LBB130_100:                            ;   in Loop: Header=BB130_21 Depth=1
	s_mov_b32 s7, 0
                                        ; implicit-def: $vgpr27
	s_and_saveexec_b32 s10, s6
	s_cbranch_execz .LBB130_109
; %bb.101:                              ;   in Loop: Header=BB130_21 Depth=1
	v_dual_mov_b32 v6, v5 :: v_dual_mov_b32 v1, v0
	s_mov_b32 s15, 0
                                        ; implicit-def: $sgpr18
	s_branch .LBB130_103
.LBB130_102:                            ;   in Loop: Header=BB130_103 Depth=2
	s_or_b32 exec_lo, exec_lo, s7
	s_waitcnt vmcnt(0) lgkmcnt(0)
	s_barrier
	buffer_gl0_inv
	ds_load_b32 v2, v7 offset:3072
	v_add_nc_u32_e32 v1, s27, v1
	v_add_nc_u32_e32 v6, s49, v6
	s_waitcnt lgkmcnt(0)
	s_barrier
	buffer_gl0_inv
	v_cmp_le_u32_e32 vcc_lo, s63, v1
	v_cmp_neq_f16_e64 s7, 0, v2
	s_delay_alu instid0(VALU_DEP_1) | instskip(NEXT) | instid1(SALU_CYCLE_1)
	s_or_b32 s20, vcc_lo, s7
	s_and_b32 s20, exec_lo, s20
	s_delay_alu instid0(SALU_CYCLE_1) | instskip(SKIP_2) | instid1(SALU_CYCLE_1)
	s_or_b32 s15, s20, s15
	s_and_not1_b32 s18, s18, exec_lo
	s_and_b32 s7, s7, exec_lo
	s_or_b32 s18, s18, s7
	s_and_not1_b32 exec_lo, exec_lo, s15
	s_cbranch_execz .LBB130_108
.LBB130_103:                            ;   Parent Loop BB130_21 Depth=1
                                        ; =>  This Inner Loop Header: Depth=2
	s_delay_alu instid0(VALU_DEP_1)
	v_cmp_gt_u32_e32 vcc_lo, s24, v1
	v_mov_b32_e32 v2, 0
	s_and_saveexec_b32 s20, vcc_lo
	s_cbranch_execz .LBB130_105
; %bb.104:                              ;   in Loop: Header=BB130_103 Depth=2
	v_lshlrev_b64 v[2:3], 1, v[6:7]
	s_delay_alu instid0(VALU_DEP_1) | instskip(NEXT) | instid1(VALU_DEP_1)
	v_add_co_u32 v2, s7, s33, v2
	v_add_co_ci_u32_e64 v3, s7, s39, v3, s7
	global_load_u16 v2, v[2:3], off
.LBB130_105:                            ;   in Loop: Header=BB130_103 Depth=2
	s_or_b32 exec_lo, exec_lo, s20
	s_and_saveexec_b32 s7, vcc_lo
	s_cbranch_execz .LBB130_102
; %bb.106:                              ;   in Loop: Header=BB130_103 Depth=2
	s_waitcnt vmcnt(0)
	v_cmp_lt_i16_e32 vcc_lo, -1, v2
	v_and_b32_e32 v3, 0xffff, v2
	v_cndmask_b32_e32 v4, 0xffff, v26, vcc_lo
	v_cmp_o_f16_e32 vcc_lo, v2, v2
	s_delay_alu instid0(VALU_DEP_2) | instskip(NEXT) | instid1(VALU_DEP_1)
	v_xor_b32_e32 v3, v4, v3
	v_cndmask_b32_e32 v3, 0xffff, v3, vcc_lo
	s_delay_alu instid0(VALU_DEP_1) | instskip(NEXT) | instid1(VALU_DEP_1)
	v_and_b32_e32 v3, s76, v3
	v_cmp_eq_u32_e32 vcc_lo, s75, v3
	s_and_b32 exec_lo, exec_lo, vcc_lo
	s_cbranch_execz .LBB130_102
; %bb.107:                              ;   in Loop: Header=BB130_103 Depth=2
	v_perm_b32 v2, v2, s66, 0x5040100
	ds_store_b32 v7, v2 offset:3072
	s_branch .LBB130_102
.LBB130_108:                            ;   in Loop: Header=BB130_21 Depth=1
	s_or_b32 exec_lo, exec_lo, s15
	v_lshrrev_b32_e32 v27, 16, v2
	s_and_b32 s7, s18, exec_lo
.LBB130_109:                            ;   in Loop: Header=BB130_21 Depth=1
	s_or_b32 exec_lo, exec_lo, s10
	s_mov_b32 s18, -1
	s_mov_b32 s10, 0
	s_mov_b32 s15, 0
.LBB130_110:                            ;   in Loop: Header=BB130_21 Depth=1
	s_and_not1_b32 s20, s71, exec_lo
	s_and_b32 s10, s10, exec_lo
	s_and_b32 s18, s18, exec_lo
	s_or_b32 s71, s20, s10
	s_and_not1_b32 s10, s74, exec_lo
	s_and_not1_b32 s20, s72, exec_lo
	s_and_b32 s15, s15, exec_lo
	s_or_b32 s74, s10, s18
	s_or_b32 s72, s20, s15
	s_and_saveexec_b32 s10, s7
	s_cbranch_execz .LBB130_20
; %bb.111:                              ;   in Loop: Header=BB130_21 Depth=1
	s_xor_b32 s7, s13, -1
	s_mov_b32 s12, 0
	s_and_not1_b32 vcc_lo, exec_lo, s7
	s_mov_b32 s20, 1
	s_cbranch_vccnz .LBB130_122
; %bb.112:                              ;   in Loop: Header=BB130_21 Depth=1
	s_cmp_gt_u32 s77, s11
	s_mov_b32 s12, -1
                                        ; implicit-def: $sgpr7
                                        ; implicit-def: $sgpr13
                                        ; implicit-def: $sgpr15
	s_cbranch_scc1 .LBB130_118
; %bb.113:                              ;   in Loop: Header=BB130_21 Depth=1
	ds_load_b32 v1, v7 offset:4104
	s_waitcnt lgkmcnt(0)
	v_cmp_ne_u32_e32 vcc_lo, 0, v1
	s_cbranch_vccnz .LBB130_117
; %bb.114:                              ;   in Loop: Header=BB130_21 Depth=1
	s_and_saveexec_b32 s7, s1
	s_cbranch_execz .LBB130_116
; %bb.115:                              ;   in Loop: Header=BB130_21 Depth=1
	v_mov_b32_e32 v1, s11
	ds_store_b32 v7, v1 offset:4108
.LBB130_116:                            ;   in Loop: Header=BB130_21 Depth=1
	s_or_b32 exec_lo, exec_lo, s7
	s_waitcnt lgkmcnt(0)
	s_barrier
	buffer_gl0_inv
.LBB130_117:                            ;   in Loop: Header=BB130_21 Depth=1
	s_and_b32 s13, s75, s17
	s_or_b32 s15, s76, s9
	s_mov_b32 s12, 0
	s_mov_b32 s7, 8
.LBB130_118:                            ;   in Loop: Header=BB130_21 Depth=1
	s_and_not1_b32 vcc_lo, exec_lo, s12
	s_cbranch_vccnz .LBB130_120
; %bb.119:                              ;   in Loop: Header=BB130_21 Depth=1
	s_sub_i32 s77, s77, s11
	s_mov_b32 s12, -1
	s_mov_b32 s7, 0
	s_mov_b32 s13, s75
	;; [unrolled: 1-line block ×3, first 2 shown]
.LBB130_120:                            ;   in Loop: Header=BB130_21 Depth=1
	s_delay_alu instid0(SALU_CYCLE_1)
	s_mov_b32 s76, s15
	s_mov_b32 s75, s13
	;; [unrolled: 1-line block ×3, first 2 shown]
	s_and_b32 vcc_lo, exec_lo, s12
	s_mov_b32 s11, -1
	s_cbranch_vccnz .LBB130_123
.LBB130_121:                            ;   in Loop: Header=BB130_21 Depth=1
	s_mov_b32 s79, -1
                                        ; implicit-def: $sgpr12
                                        ; implicit-def: $sgpr15
                                        ; implicit-def: $sgpr13
                                        ; implicit-def: $sgpr77
	s_delay_alu instid0(SALU_CYCLE_1) | instskip(NEXT) | instid1(SALU_CYCLE_1)
	s_and_saveexec_b32 s8, s79
	s_xor_b32 s8, exec_lo, s8
	s_cbranch_execz .LBB130_19
	s_branch .LBB130_249
.LBB130_122:                            ;   in Loop: Header=BB130_21 Depth=1
	s_mov_b32 s7, 1
	s_and_b32 vcc_lo, exec_lo, s12
	s_mov_b32 s11, -1
	s_cbranch_vccz .LBB130_121
.LBB130_123:                            ;   in Loop: Header=BB130_21 Depth=1
	s_cmp_eq_u32 s19, 1
	s_mov_b32 s78, -1
	s_cselect_b32 s7, -1, 0
	s_cmp_eq_u32 s20, 1
	s_cselect_b32 s12, -1, 0
	s_delay_alu instid0(SALU_CYCLE_1) | instskip(NEXT) | instid1(SALU_CYCLE_1)
	s_and_b32 s77, s7, s12
	s_and_b32 vcc_lo, exec_lo, s77
	s_cbranch_vccz .LBB130_135
; %bb.124:                              ;   in Loop: Header=BB130_21 Depth=1
	ds_load_b32 v1, v7 offset:4104
	s_waitcnt lgkmcnt(0)
	s_barrier
	buffer_gl0_inv
	v_readfirstlane_b32 s12, v1
	s_and_saveexec_b32 s7, s2
	s_cbranch_execz .LBB130_126
; %bb.125:                              ;   in Loop: Header=BB130_21 Depth=1
	ds_store_b16 v16, v7
.LBB130_126:                            ;   in Loop: Header=BB130_21 Depth=1
	s_or_b32 exec_lo, exec_lo, s7
	s_lshl_b32 s7, 1, s16
	s_and_b32 s13, s75, s17
	s_or_b32 s76, s76, s9
	s_or_b32 s75, s13, s7
	s_cmp_eq_u32 s12, 0
	s_waitcnt lgkmcnt(0)
	s_barrier
	buffer_gl0_inv
	s_cbranch_scc1 .LBB130_139
; %bb.127:                              ;   in Loop: Header=BB130_21 Depth=1
	s_add_i32 s7, s12, s52
	s_mov_b32 s78, 0
	s_mul_hi_u32 s13, s7, s61
                                        ; implicit-def: $vgpr27
	s_delay_alu instid0(SALU_CYCLE_1) | instskip(NEXT) | instid1(SALU_CYCLE_1)
	s_mul_i32 s13, s13, s27
	s_sub_i32 s13, s7, s13
	s_delay_alu instid0(SALU_CYCLE_1) | instskip(SKIP_2) | instid1(SALU_CYCLE_1)
	s_sub_i32 s15, s13, s27
	s_cmp_ge_u32 s13, s27
	s_cselect_b32 s13, s15, s13
	s_sub_i32 s15, s13, s27
	s_cmp_ge_u32 s13, s27
	s_cselect_b32 s13, s15, s13
	s_delay_alu instid0(SALU_CYCLE_1)
	s_sub_i32 s15, s7, s13
	s_mov_b32 s13, exec_lo
	v_cmpx_gt_u32_e64 s15, v0
	s_cbranch_execz .LBB130_141
; %bb.128:                              ;   in Loop: Header=BB130_21 Depth=1
	v_dual_mov_b32 v1, v15 :: v_dual_mov_b32 v2, v0
	s_mov_b32 s18, 0
                                        ; implicit-def: $sgpr78
	s_set_inst_prefetch_distance 0x1
	s_branch .LBB130_130
	.p2align	6
.LBB130_129:                            ;   in Loop: Header=BB130_130 Depth=2
	s_or_b32 exec_lo, exec_lo, s7
	s_waitcnt lgkmcnt(0)
	s_barrier
	buffer_gl0_inv
	ds_load_b32 v3, v7 offset:3072
	v_add_nc_u32_e32 v2, s27, v2
	v_add_nc_u32_e32 v1, s65, v1
	s_waitcnt lgkmcnt(0)
	s_barrier
	buffer_gl0_inv
	v_cmp_le_u32_e32 vcc_lo, s15, v2
	v_cmp_neq_f16_e64 s7, 0, v3
	s_delay_alu instid0(VALU_DEP_1) | instskip(NEXT) | instid1(SALU_CYCLE_1)
	s_or_b32 s79, vcc_lo, s7
	s_and_b32 s79, exec_lo, s79
	s_delay_alu instid0(SALU_CYCLE_1) | instskip(SKIP_2) | instid1(SALU_CYCLE_1)
	s_or_b32 s18, s79, s18
	s_and_not1_b32 s78, s78, exec_lo
	s_and_b32 s7, s7, exec_lo
	s_or_b32 s78, s78, s7
	s_and_not1_b32 exec_lo, exec_lo, s18
	s_cbranch_execz .LBB130_140
.LBB130_130:                            ;   Parent Loop BB130_21 Depth=1
                                        ; =>  This Inner Loop Header: Depth=2
	s_delay_alu instid0(VALU_DEP_1)
	v_cmp_gt_u32_e32 vcc_lo, s12, v2
	v_mov_b32_e32 v3, 0
	s_and_saveexec_b32 s7, vcc_lo
	s_cbranch_execz .LBB130_132
; %bb.131:                              ;   in Loop: Header=BB130_130 Depth=2
	ds_load_u16 v3, v1
.LBB130_132:                            ;   in Loop: Header=BB130_130 Depth=2
	s_or_b32 exec_lo, exec_lo, s7
	s_and_saveexec_b32 s7, vcc_lo
	s_cbranch_execz .LBB130_129
; %bb.133:                              ;   in Loop: Header=BB130_130 Depth=2
	s_waitcnt lgkmcnt(0)
	v_cmp_lt_i16_e32 vcc_lo, -1, v3
	v_and_b32_e32 v4, 0xffff, v3
	v_cndmask_b32_e32 v6, 0xffff, v26, vcc_lo
	v_cmp_o_f16_e32 vcc_lo, v3, v3
	s_delay_alu instid0(VALU_DEP_2) | instskip(NEXT) | instid1(VALU_DEP_1)
	v_xor_b32_e32 v4, v6, v4
	v_cndmask_b32_e32 v4, 0xffff, v4, vcc_lo
	s_delay_alu instid0(VALU_DEP_1) | instskip(NEXT) | instid1(VALU_DEP_1)
	v_and_b32_e32 v4, s76, v4
	v_cmp_eq_u32_e32 vcc_lo, s75, v4
	s_and_b32 exec_lo, exec_lo, vcc_lo
	s_cbranch_execz .LBB130_129
; %bb.134:                              ;   in Loop: Header=BB130_130 Depth=2
	v_perm_b32 v3, v3, s66, 0x5040100
	ds_store_b32 v7, v3 offset:3072
	s_branch .LBB130_129
.LBB130_135:                            ;   in Loop: Header=BB130_21 Depth=1
                                        ; implicit-def: $sgpr13
                                        ; implicit-def: $sgpr15
                                        ; implicit-def: $sgpr12
	s_branch .LBB130_152
.LBB130_136:                            ;   in Loop: Header=BB130_21 Depth=1
	s_or_b32 exec_lo, exec_lo, s9
	s_waitcnt lgkmcnt(0)
	s_barrier
	buffer_gl0_inv
	s_and_saveexec_b32 s7, s1
	s_cbranch_execz .LBB130_138
; %bb.137:                              ;   in Loop: Header=BB130_21 Depth=1
	ds_load_b32 v1, v7 offset:4112
	s_waitcnt lgkmcnt(0)
	ds_store_b32 v7, v1 offset:4104
.LBB130_138:                            ;   in Loop: Header=BB130_21 Depth=1
	s_or_b32 exec_lo, exec_lo, s7
	s_waitcnt lgkmcnt(0)
	s_mov_b32 s7, -1
	s_barrier
	s_and_b32 vcc_lo, exec_lo, s78
	s_cbranch_vccnz .LBB130_36
	s_branch .LBB130_46
.LBB130_139:                            ;   in Loop: Header=BB130_21 Depth=1
	s_mov_b32 s13, -1
	s_mov_b32 s78, 0
                                        ; implicit-def: $sgpr12
                                        ; implicit-def: $vgpr27
	s_mov_b32 s15, s13
	s_cbranch_execnz .LBB130_142
	s_branch .LBB130_152
.LBB130_140:                            ;   in Loop: Header=BB130_21 Depth=1
	s_set_inst_prefetch_distance 0x2
	s_or_b32 exec_lo, exec_lo, s18
	v_lshrrev_b32_e32 v27, 16, v3
	s_and_b32 s78, s78, exec_lo
.LBB130_141:                            ;   in Loop: Header=BB130_21 Depth=1
	s_or_b32 exec_lo, exec_lo, s13
	s_mov_b32 s12, -1
	s_mov_b32 s13, 0
	s_delay_alu instid0(SALU_CYCLE_1)
	s_mov_b32 s15, s13
	s_branch .LBB130_152
.LBB130_142:                            ;   in Loop: Header=BB130_21 Depth=1
	s_mov_b32 s78, 0
                                        ; implicit-def: $vgpr27
	s_and_saveexec_b32 s12, s6
	s_cbranch_execz .LBB130_151
; %bb.143:                              ;   in Loop: Header=BB130_21 Depth=1
	v_dual_mov_b32 v6, v5 :: v_dual_mov_b32 v1, v0
	s_mov_b32 s13, 0
                                        ; implicit-def: $sgpr15
	s_branch .LBB130_145
.LBB130_144:                            ;   in Loop: Header=BB130_145 Depth=2
	s_or_b32 exec_lo, exec_lo, s7
	s_waitcnt vmcnt(0) lgkmcnt(0)
	s_barrier
	buffer_gl0_inv
	ds_load_b32 v2, v7 offset:3072
	v_add_nc_u32_e32 v1, s27, v1
	v_add_nc_u32_e32 v6, s49, v6
	s_waitcnt lgkmcnt(0)
	s_barrier
	buffer_gl0_inv
	v_cmp_le_u32_e32 vcc_lo, s63, v1
	v_cmp_neq_f16_e64 s7, 0, v2
	s_delay_alu instid0(VALU_DEP_1) | instskip(NEXT) | instid1(SALU_CYCLE_1)
	s_or_b32 s18, vcc_lo, s7
	s_and_b32 s18, exec_lo, s18
	s_delay_alu instid0(SALU_CYCLE_1) | instskip(SKIP_2) | instid1(SALU_CYCLE_1)
	s_or_b32 s13, s18, s13
	s_and_not1_b32 s15, s15, exec_lo
	s_and_b32 s7, s7, exec_lo
	s_or_b32 s15, s15, s7
	s_and_not1_b32 exec_lo, exec_lo, s13
	s_cbranch_execz .LBB130_150
.LBB130_145:                            ;   Parent Loop BB130_21 Depth=1
                                        ; =>  This Inner Loop Header: Depth=2
	s_delay_alu instid0(VALU_DEP_1)
	v_cmp_gt_u32_e32 vcc_lo, s24, v1
	v_mov_b32_e32 v2, 0
	s_and_saveexec_b32 s18, vcc_lo
	s_cbranch_execz .LBB130_147
; %bb.146:                              ;   in Loop: Header=BB130_145 Depth=2
	v_lshlrev_b64 v[2:3], 1, v[6:7]
	s_delay_alu instid0(VALU_DEP_1) | instskip(NEXT) | instid1(VALU_DEP_1)
	v_add_co_u32 v2, s7, s33, v2
	v_add_co_ci_u32_e64 v3, s7, s39, v3, s7
	global_load_u16 v2, v[2:3], off
.LBB130_147:                            ;   in Loop: Header=BB130_145 Depth=2
	s_or_b32 exec_lo, exec_lo, s18
	s_and_saveexec_b32 s7, vcc_lo
	s_cbranch_execz .LBB130_144
; %bb.148:                              ;   in Loop: Header=BB130_145 Depth=2
	s_waitcnt vmcnt(0)
	v_cmp_lt_i16_e32 vcc_lo, -1, v2
	v_and_b32_e32 v3, 0xffff, v2
	v_cndmask_b32_e32 v4, 0xffff, v26, vcc_lo
	v_cmp_o_f16_e32 vcc_lo, v2, v2
	s_delay_alu instid0(VALU_DEP_2) | instskip(NEXT) | instid1(VALU_DEP_1)
	v_xor_b32_e32 v3, v4, v3
	v_cndmask_b32_e32 v3, 0xffff, v3, vcc_lo
	s_delay_alu instid0(VALU_DEP_1) | instskip(NEXT) | instid1(VALU_DEP_1)
	v_and_b32_e32 v3, s76, v3
	v_cmp_eq_u32_e32 vcc_lo, s75, v3
	s_and_b32 exec_lo, exec_lo, vcc_lo
	s_cbranch_execz .LBB130_144
; %bb.149:                              ;   in Loop: Header=BB130_145 Depth=2
	v_perm_b32 v2, v2, s66, 0x5040100
	ds_store_b32 v7, v2 offset:3072
	s_branch .LBB130_144
.LBB130_150:                            ;   in Loop: Header=BB130_21 Depth=1
	s_or_b32 exec_lo, exec_lo, s13
	v_lshrrev_b32_e32 v27, 16, v2
	s_and_b32 s78, s15, exec_lo
.LBB130_151:                            ;   in Loop: Header=BB130_21 Depth=1
	s_or_b32 exec_lo, exec_lo, s12
	s_mov_b32 s15, -1
	s_mov_b32 s13, 0
	s_mov_b32 s12, 0
.LBB130_152:                            ;   in Loop: Header=BB130_21 Depth=1
	s_mov_b32 s79, 0
                                        ; implicit-def: $sgpr7
	s_and_saveexec_b32 s18, s78
	s_cbranch_execz .LBB130_248
; %bb.153:                              ;   in Loop: Header=BB130_21 Depth=1
	s_xor_b32 s7, s77, -1
	s_mov_b32 s77, 0
	s_and_not1_b32 vcc_lo, exec_lo, s7
	s_mov_b32 s80, 1
	s_cbranch_vccnz .LBB130_164
; %bb.154:                              ;   in Loop: Header=BB130_21 Depth=1
	s_cmp_gt_u32 s20, s19
	s_mov_b32 s77, -1
                                        ; implicit-def: $sgpr7
                                        ; implicit-def: $sgpr78
                                        ; implicit-def: $sgpr79
	s_cbranch_scc1 .LBB130_160
; %bb.155:                              ;   in Loop: Header=BB130_21 Depth=1
	ds_load_b32 v1, v7 offset:4104
	s_waitcnt lgkmcnt(0)
	v_cmp_ne_u32_e32 vcc_lo, 0, v1
	s_cbranch_vccnz .LBB130_159
; %bb.156:                              ;   in Loop: Header=BB130_21 Depth=1
	s_and_saveexec_b32 s7, s1
	s_cbranch_execz .LBB130_158
; %bb.157:                              ;   in Loop: Header=BB130_21 Depth=1
	v_mov_b32_e32 v1, s19
	ds_store_b32 v7, v1 offset:4108
.LBB130_158:                            ;   in Loop: Header=BB130_21 Depth=1
	s_or_b32 exec_lo, exec_lo, s7
	s_waitcnt lgkmcnt(0)
	s_barrier
	buffer_gl0_inv
.LBB130_159:                            ;   in Loop: Header=BB130_21 Depth=1
	s_lshl_b32 s7, 1, s16
	s_and_b32 s77, s75, s17
	s_or_b32 s79, s76, s9
	s_or_b32 s78, s77, s7
	s_mov_b32 s77, 0
	s_mov_b32 s7, 8
.LBB130_160:                            ;   in Loop: Header=BB130_21 Depth=1
	s_and_not1_b32 vcc_lo, exec_lo, s77
	s_cbranch_vccnz .LBB130_162
; %bb.161:                              ;   in Loop: Header=BB130_21 Depth=1
	s_sub_i32 s20, s20, s19
	s_mov_b32 s77, -1
	s_mov_b32 s7, 0
	s_mov_b32 s78, s75
	;; [unrolled: 1-line block ×3, first 2 shown]
.LBB130_162:                            ;   in Loop: Header=BB130_21 Depth=1
	s_delay_alu instid0(SALU_CYCLE_1)
	s_mov_b32 s76, s79
	s_mov_b32 s75, s78
	;; [unrolled: 1-line block ×3, first 2 shown]
	s_and_not1_b32 vcc_lo, exec_lo, s77
	s_mov_b32 s82, -1
	s_cbranch_vccz .LBB130_165
.LBB130_163:                            ;   in Loop: Header=BB130_21 Depth=1
                                        ; implicit-def: $sgpr20
                                        ; implicit-def: $sgpr77
                                        ; implicit-def: $sgpr19
	s_branch .LBB130_247
.LBB130_164:                            ;   in Loop: Header=BB130_21 Depth=1
	s_mov_b32 s7, 1
	s_and_not1_b32 vcc_lo, exec_lo, s77
	s_mov_b32 s82, -1
	s_cbranch_vccnz .LBB130_163
.LBB130_165:                            ;   in Loop: Header=BB130_21 Depth=1
	s_cmp_eq_u32 s14, 1
	s_mov_b32 s81, -1
	s_cselect_b32 s7, -1, 0
	s_cmp_eq_u32 s80, 1
	s_cselect_b32 s19, -1, 0
	s_delay_alu instid0(SALU_CYCLE_1) | instskip(NEXT) | instid1(SALU_CYCLE_1)
	s_and_b32 s79, s7, s19
	s_and_b32 vcc_lo, exec_lo, s79
	s_cbranch_vccz .LBB130_177
; %bb.166:                              ;   in Loop: Header=BB130_21 Depth=1
	ds_load_b32 v1, v7 offset:4104
	s_waitcnt lgkmcnt(0)
	s_barrier
	buffer_gl0_inv
	v_readfirstlane_b32 s19, v1
	s_and_saveexec_b32 s7, s2
	s_cbranch_execz .LBB130_168
; %bb.167:                              ;   in Loop: Header=BB130_21 Depth=1
	ds_store_b16 v16, v7
.LBB130_168:                            ;   in Loop: Header=BB130_21 Depth=1
	s_or_b32 exec_lo, exec_lo, s7
	s_lshl_b32 s7, 2, s16
	s_and_b32 s20, s75, s17
	s_or_b32 s76, s76, s9
	s_or_b32 s75, s20, s7
	s_cmp_eq_u32 s19, 0
	s_waitcnt lgkmcnt(0)
	s_barrier
	buffer_gl0_inv
	s_cbranch_scc1 .LBB130_178
; %bb.169:                              ;   in Loop: Header=BB130_21 Depth=1
	s_add_i32 s7, s19, s52
	s_mov_b32 s81, 0
	s_mul_hi_u32 s20, s7, s61
                                        ; implicit-def: $vgpr27
	s_delay_alu instid0(SALU_CYCLE_1) | instskip(NEXT) | instid1(SALU_CYCLE_1)
	s_mul_i32 s20, s20, s27
	s_sub_i32 s20, s7, s20
	s_delay_alu instid0(SALU_CYCLE_1) | instskip(SKIP_2) | instid1(SALU_CYCLE_1)
	s_sub_i32 s77, s20, s27
	s_cmp_ge_u32 s20, s27
	s_cselect_b32 s20, s77, s20
	s_sub_i32 s77, s20, s27
	s_cmp_ge_u32 s20, s27
	s_cselect_b32 s20, s77, s20
	s_delay_alu instid0(SALU_CYCLE_1)
	s_sub_i32 s77, s7, s20
	s_mov_b32 s20, exec_lo
	v_cmpx_gt_u32_e64 s77, v0
	s_cbranch_execz .LBB130_180
; %bb.170:                              ;   in Loop: Header=BB130_21 Depth=1
	v_dual_mov_b32 v1, v15 :: v_dual_mov_b32 v2, v0
	s_mov_b32 s78, 0
                                        ; implicit-def: $sgpr81
	s_set_inst_prefetch_distance 0x1
	s_branch .LBB130_172
	.p2align	6
.LBB130_171:                            ;   in Loop: Header=BB130_172 Depth=2
	s_or_b32 exec_lo, exec_lo, s7
	s_waitcnt lgkmcnt(0)
	s_barrier
	buffer_gl0_inv
	ds_load_b32 v3, v7 offset:3072
	v_add_nc_u32_e32 v2, s27, v2
	v_add_nc_u32_e32 v1, s65, v1
	s_waitcnt lgkmcnt(0)
	s_barrier
	buffer_gl0_inv
	v_cmp_le_u32_e32 vcc_lo, s77, v2
	v_cmp_neq_f16_e64 s7, 0, v3
	s_delay_alu instid0(VALU_DEP_1) | instskip(NEXT) | instid1(SALU_CYCLE_1)
	s_or_b32 s82, vcc_lo, s7
	s_and_b32 s82, exec_lo, s82
	s_delay_alu instid0(SALU_CYCLE_1) | instskip(SKIP_2) | instid1(SALU_CYCLE_1)
	s_or_b32 s78, s82, s78
	s_and_not1_b32 s81, s81, exec_lo
	s_and_b32 s7, s7, exec_lo
	s_or_b32 s81, s81, s7
	s_and_not1_b32 exec_lo, exec_lo, s78
	s_cbranch_execz .LBB130_179
.LBB130_172:                            ;   Parent Loop BB130_21 Depth=1
                                        ; =>  This Inner Loop Header: Depth=2
	s_delay_alu instid0(VALU_DEP_1)
	v_cmp_gt_u32_e32 vcc_lo, s19, v2
	v_mov_b32_e32 v3, 0
	s_and_saveexec_b32 s7, vcc_lo
	s_cbranch_execz .LBB130_174
; %bb.173:                              ;   in Loop: Header=BB130_172 Depth=2
	ds_load_u16 v3, v1
.LBB130_174:                            ;   in Loop: Header=BB130_172 Depth=2
	s_or_b32 exec_lo, exec_lo, s7
	s_and_saveexec_b32 s7, vcc_lo
	s_cbranch_execz .LBB130_171
; %bb.175:                              ;   in Loop: Header=BB130_172 Depth=2
	s_waitcnt lgkmcnt(0)
	v_cmp_lt_i16_e32 vcc_lo, -1, v3
	v_and_b32_e32 v4, 0xffff, v3
	v_cndmask_b32_e32 v6, 0xffff, v26, vcc_lo
	v_cmp_o_f16_e32 vcc_lo, v3, v3
	s_delay_alu instid0(VALU_DEP_2) | instskip(NEXT) | instid1(VALU_DEP_1)
	v_xor_b32_e32 v4, v6, v4
	v_cndmask_b32_e32 v4, 0xffff, v4, vcc_lo
	s_delay_alu instid0(VALU_DEP_1) | instskip(NEXT) | instid1(VALU_DEP_1)
	v_and_b32_e32 v4, s76, v4
	v_cmp_eq_u32_e32 vcc_lo, s75, v4
	s_and_b32 exec_lo, exec_lo, vcc_lo
	s_cbranch_execz .LBB130_171
; %bb.176:                              ;   in Loop: Header=BB130_172 Depth=2
	v_perm_b32 v3, v3, s66, 0x5040100
	ds_store_b32 v7, v3 offset:3072
	s_branch .LBB130_171
.LBB130_177:                            ;   in Loop: Header=BB130_21 Depth=1
                                        ; implicit-def: $sgpr19
                                        ; implicit-def: $sgpr77
                                        ; implicit-def: $sgpr20
	s_branch .LBB130_191
.LBB130_178:                            ;   in Loop: Header=BB130_21 Depth=1
	s_mov_b32 s19, -1
	s_mov_b32 s81, 0
                                        ; implicit-def: $sgpr20
                                        ; implicit-def: $vgpr27
	s_mov_b32 s77, s19
	s_cbranch_execnz .LBB130_181
	s_branch .LBB130_191
.LBB130_179:                            ;   in Loop: Header=BB130_21 Depth=1
	s_set_inst_prefetch_distance 0x2
	s_or_b32 exec_lo, exec_lo, s78
	v_lshrrev_b32_e32 v27, 16, v3
	s_and_b32 s81, s81, exec_lo
.LBB130_180:                            ;   in Loop: Header=BB130_21 Depth=1
	s_or_b32 exec_lo, exec_lo, s20
	s_mov_b32 s20, -1
	s_mov_b32 s19, 0
	s_delay_alu instid0(SALU_CYCLE_1)
	s_mov_b32 s77, s19
	s_branch .LBB130_191
.LBB130_181:                            ;   in Loop: Header=BB130_21 Depth=1
	s_mov_b32 s81, 0
                                        ; implicit-def: $vgpr27
	s_and_saveexec_b32 s19, s6
	s_cbranch_execz .LBB130_190
; %bb.182:                              ;   in Loop: Header=BB130_21 Depth=1
	v_dual_mov_b32 v6, v5 :: v_dual_mov_b32 v1, v0
	s_mov_b32 s20, 0
                                        ; implicit-def: $sgpr77
	s_branch .LBB130_184
.LBB130_183:                            ;   in Loop: Header=BB130_184 Depth=2
	s_or_b32 exec_lo, exec_lo, s7
	s_waitcnt vmcnt(0) lgkmcnt(0)
	s_barrier
	buffer_gl0_inv
	ds_load_b32 v2, v7 offset:3072
	v_add_nc_u32_e32 v1, s27, v1
	v_add_nc_u32_e32 v6, s49, v6
	s_waitcnt lgkmcnt(0)
	s_barrier
	buffer_gl0_inv
	v_cmp_le_u32_e32 vcc_lo, s63, v1
	v_cmp_neq_f16_e64 s7, 0, v2
	s_delay_alu instid0(VALU_DEP_1) | instskip(NEXT) | instid1(SALU_CYCLE_1)
	s_or_b32 s78, vcc_lo, s7
	s_and_b32 s78, exec_lo, s78
	s_delay_alu instid0(SALU_CYCLE_1) | instskip(SKIP_2) | instid1(SALU_CYCLE_1)
	s_or_b32 s20, s78, s20
	s_and_not1_b32 s77, s77, exec_lo
	s_and_b32 s7, s7, exec_lo
	s_or_b32 s77, s77, s7
	s_and_not1_b32 exec_lo, exec_lo, s20
	s_cbranch_execz .LBB130_189
.LBB130_184:                            ;   Parent Loop BB130_21 Depth=1
                                        ; =>  This Inner Loop Header: Depth=2
	s_delay_alu instid0(VALU_DEP_1)
	v_cmp_gt_u32_e32 vcc_lo, s24, v1
	v_mov_b32_e32 v2, 0
	s_and_saveexec_b32 s78, vcc_lo
	s_cbranch_execz .LBB130_186
; %bb.185:                              ;   in Loop: Header=BB130_184 Depth=2
	v_lshlrev_b64 v[2:3], 1, v[6:7]
	s_delay_alu instid0(VALU_DEP_1) | instskip(NEXT) | instid1(VALU_DEP_1)
	v_add_co_u32 v2, s7, s33, v2
	v_add_co_ci_u32_e64 v3, s7, s39, v3, s7
	global_load_u16 v2, v[2:3], off
.LBB130_186:                            ;   in Loop: Header=BB130_184 Depth=2
	s_or_b32 exec_lo, exec_lo, s78
	s_and_saveexec_b32 s7, vcc_lo
	s_cbranch_execz .LBB130_183
; %bb.187:                              ;   in Loop: Header=BB130_184 Depth=2
	s_waitcnt vmcnt(0)
	v_cmp_lt_i16_e32 vcc_lo, -1, v2
	v_and_b32_e32 v3, 0xffff, v2
	v_cndmask_b32_e32 v4, 0xffff, v26, vcc_lo
	v_cmp_o_f16_e32 vcc_lo, v2, v2
	s_delay_alu instid0(VALU_DEP_2) | instskip(NEXT) | instid1(VALU_DEP_1)
	v_xor_b32_e32 v3, v4, v3
	v_cndmask_b32_e32 v3, 0xffff, v3, vcc_lo
	s_delay_alu instid0(VALU_DEP_1) | instskip(NEXT) | instid1(VALU_DEP_1)
	v_and_b32_e32 v3, s76, v3
	v_cmp_eq_u32_e32 vcc_lo, s75, v3
	s_and_b32 exec_lo, exec_lo, vcc_lo
	s_cbranch_execz .LBB130_183
; %bb.188:                              ;   in Loop: Header=BB130_184 Depth=2
	v_perm_b32 v2, v2, s66, 0x5040100
	ds_store_b32 v7, v2 offset:3072
	s_branch .LBB130_183
.LBB130_189:                            ;   in Loop: Header=BB130_21 Depth=1
	s_or_b32 exec_lo, exec_lo, s20
	v_lshrrev_b32_e32 v27, 16, v2
	s_and_b32 s81, s77, exec_lo
.LBB130_190:                            ;   in Loop: Header=BB130_21 Depth=1
	s_or_b32 exec_lo, exec_lo, s19
	s_mov_b32 s77, -1
	s_mov_b32 s19, 0
	s_mov_b32 s20, 0
.LBB130_191:                            ;   in Loop: Header=BB130_21 Depth=1
	s_mov_b32 s82, 0
                                        ; implicit-def: $sgpr7
	s_and_saveexec_b32 s78, s81
	s_cbranch_execz .LBB130_246
; %bb.192:                              ;   in Loop: Header=BB130_21 Depth=1
	s_xor_b32 s7, s79, -1
	s_mov_b32 s81, 0
	s_and_not1_b32 vcc_lo, exec_lo, s7
	s_mov_b32 s79, 1
	s_cbranch_vccnz .LBB130_203
; %bb.193:                              ;   in Loop: Header=BB130_21 Depth=1
	s_cmp_gt_u32 s80, s14
	s_mov_b32 s81, -1
                                        ; implicit-def: $sgpr7
                                        ; implicit-def: $sgpr79
                                        ; implicit-def: $sgpr82
	s_cbranch_scc1 .LBB130_199
; %bb.194:                              ;   in Loop: Header=BB130_21 Depth=1
	ds_load_b32 v1, v7 offset:4104
	s_waitcnt lgkmcnt(0)
	v_cmp_ne_u32_e32 vcc_lo, 0, v1
	s_cbranch_vccnz .LBB130_198
; %bb.195:                              ;   in Loop: Header=BB130_21 Depth=1
	s_and_saveexec_b32 s7, s1
	s_cbranch_execz .LBB130_197
; %bb.196:                              ;   in Loop: Header=BB130_21 Depth=1
	v_mov_b32_e32 v1, s14
	ds_store_b32 v7, v1 offset:4108
.LBB130_197:                            ;   in Loop: Header=BB130_21 Depth=1
	s_or_b32 exec_lo, exec_lo, s7
	s_waitcnt lgkmcnt(0)
	s_barrier
	buffer_gl0_inv
.LBB130_198:                            ;   in Loop: Header=BB130_21 Depth=1
	s_lshl_b32 s7, 2, s16
	s_and_b32 s16, s75, s17
	s_or_b32 s82, s76, s9
	s_or_b32 s79, s16, s7
	s_mov_b32 s81, 0
	s_mov_b32 s7, 8
.LBB130_199:                            ;   in Loop: Header=BB130_21 Depth=1
	s_and_not1_b32 vcc_lo, exec_lo, s81
	s_cbranch_vccnz .LBB130_201
; %bb.200:                              ;   in Loop: Header=BB130_21 Depth=1
	s_sub_i32 s80, s80, s14
	s_mov_b32 s81, -1
	s_mov_b32 s7, 0
	s_mov_b32 s79, s75
	;; [unrolled: 1-line block ×3, first 2 shown]
.LBB130_201:                            ;   in Loop: Header=BB130_21 Depth=1
	s_delay_alu instid0(SALU_CYCLE_1)
	s_mov_b32 s76, s82
	s_mov_b32 s75, s79
	;; [unrolled: 1-line block ×3, first 2 shown]
	s_and_not1_b32 vcc_lo, exec_lo, s81
	s_mov_b32 s83, -1
	s_cbranch_vccz .LBB130_204
.LBB130_202:                            ;   in Loop: Header=BB130_21 Depth=1
                                        ; implicit-def: $sgpr16
                                        ; implicit-def: $sgpr80
                                        ; implicit-def: $sgpr17
	s_branch .LBB130_245
.LBB130_203:                            ;   in Loop: Header=BB130_21 Depth=1
	s_mov_b32 s7, 1
	s_and_not1_b32 vcc_lo, exec_lo, s81
	s_mov_b32 s83, -1
	s_cbranch_vccnz .LBB130_202
.LBB130_204:                            ;   in Loop: Header=BB130_21 Depth=1
	s_cmp_eq_u32 s8, 1
	s_mov_b32 s81, -1
	s_cselect_b32 s7, -1, 0
	s_cmp_eq_u32 s79, 1
	s_cselect_b32 s14, -1, 0
	s_delay_alu instid0(SALU_CYCLE_1) | instskip(NEXT) | instid1(SALU_CYCLE_1)
	s_and_b32 s14, s7, s14
	s_and_b32 vcc_lo, exec_lo, s14
	s_cbranch_vccz .LBB130_216
; %bb.205:                              ;   in Loop: Header=BB130_21 Depth=1
	ds_load_b32 v1, v7 offset:4104
	s_waitcnt lgkmcnt(0)
	s_barrier
	buffer_gl0_inv
	v_readfirstlane_b32 s16, v1
	s_and_saveexec_b32 s7, s2
	s_cbranch_execz .LBB130_207
; %bb.206:                              ;   in Loop: Header=BB130_21 Depth=1
	ds_store_b16 v16, v7
.LBB130_207:                            ;   in Loop: Header=BB130_21 Depth=1
	s_or_b32 exec_lo, exec_lo, s7
	s_or_b32 s75, s75, s9
	s_or_b32 s76, s76, s9
	s_cmp_eq_u32 s16, 0
	s_waitcnt lgkmcnt(0)
	s_barrier
	buffer_gl0_inv
	s_cbranch_scc1 .LBB130_217
; %bb.208:                              ;   in Loop: Header=BB130_21 Depth=1
	s_add_i32 s7, s16, s52
	s_mov_b32 s81, 0
	s_mul_hi_u32 s17, s7, s61
                                        ; implicit-def: $vgpr27
	s_delay_alu instid0(SALU_CYCLE_1) | instskip(NEXT) | instid1(SALU_CYCLE_1)
	s_mul_i32 s17, s17, s27
	s_sub_i32 s17, s7, s17
	s_delay_alu instid0(SALU_CYCLE_1) | instskip(SKIP_2) | instid1(SALU_CYCLE_1)
	s_sub_i32 s80, s17, s27
	s_cmp_ge_u32 s17, s27
	s_cselect_b32 s17, s80, s17
	s_sub_i32 s80, s17, s27
	s_cmp_ge_u32 s17, s27
	s_cselect_b32 s17, s80, s17
	s_delay_alu instid0(SALU_CYCLE_1)
	s_sub_i32 s80, s7, s17
	s_mov_b32 s17, exec_lo
	v_cmpx_gt_u32_e64 s80, v0
	s_cbranch_execz .LBB130_219
; %bb.209:                              ;   in Loop: Header=BB130_21 Depth=1
	v_dual_mov_b32 v1, v15 :: v_dual_mov_b32 v2, v0
                                        ; implicit-def: $sgpr82
	s_set_inst_prefetch_distance 0x1
	s_branch .LBB130_211
	.p2align	6
.LBB130_210:                            ;   in Loop: Header=BB130_211 Depth=2
	s_or_b32 exec_lo, exec_lo, s7
	s_waitcnt lgkmcnt(0)
	s_barrier
	buffer_gl0_inv
	ds_load_b32 v3, v7 offset:3072
	v_add_nc_u32_e32 v2, s27, v2
	v_add_nc_u32_e32 v1, s65, v1
	s_waitcnt lgkmcnt(0)
	s_barrier
	buffer_gl0_inv
	v_cmp_le_u32_e32 vcc_lo, s80, v2
	v_cmp_neq_f16_e64 s7, 0, v3
	s_delay_alu instid0(VALU_DEP_1) | instskip(NEXT) | instid1(SALU_CYCLE_1)
	s_or_b32 s83, vcc_lo, s7
	s_and_b32 s83, exec_lo, s83
	s_delay_alu instid0(SALU_CYCLE_1) | instskip(SKIP_2) | instid1(SALU_CYCLE_1)
	s_or_b32 s81, s83, s81
	s_and_not1_b32 s82, s82, exec_lo
	s_and_b32 s7, s7, exec_lo
	s_or_b32 s82, s82, s7
	s_and_not1_b32 exec_lo, exec_lo, s81
	s_cbranch_execz .LBB130_218
.LBB130_211:                            ;   Parent Loop BB130_21 Depth=1
                                        ; =>  This Inner Loop Header: Depth=2
	s_delay_alu instid0(VALU_DEP_1)
	v_cmp_gt_u32_e32 vcc_lo, s16, v2
	v_mov_b32_e32 v3, 0
	s_and_saveexec_b32 s7, vcc_lo
	s_cbranch_execz .LBB130_213
; %bb.212:                              ;   in Loop: Header=BB130_211 Depth=2
	ds_load_u16 v3, v1
.LBB130_213:                            ;   in Loop: Header=BB130_211 Depth=2
	s_or_b32 exec_lo, exec_lo, s7
	s_and_saveexec_b32 s7, vcc_lo
	s_cbranch_execz .LBB130_210
; %bb.214:                              ;   in Loop: Header=BB130_211 Depth=2
	s_waitcnt lgkmcnt(0)
	v_cmp_lt_i16_e32 vcc_lo, -1, v3
	v_and_b32_e32 v4, 0xffff, v3
	v_cndmask_b32_e32 v6, 0xffff, v26, vcc_lo
	v_cmp_o_f16_e32 vcc_lo, v3, v3
	s_delay_alu instid0(VALU_DEP_2) | instskip(NEXT) | instid1(VALU_DEP_1)
	v_xor_b32_e32 v4, v6, v4
	v_cndmask_b32_e32 v4, 0xffff, v4, vcc_lo
	s_delay_alu instid0(VALU_DEP_1) | instskip(NEXT) | instid1(VALU_DEP_1)
	v_and_b32_e32 v4, s76, v4
	v_cmp_eq_u32_e32 vcc_lo, s75, v4
	s_and_b32 exec_lo, exec_lo, vcc_lo
	s_cbranch_execz .LBB130_210
; %bb.215:                              ;   in Loop: Header=BB130_211 Depth=2
	v_perm_b32 v3, v3, s66, 0x5040100
	ds_store_b32 v7, v3 offset:3072
	s_branch .LBB130_210
.LBB130_216:                            ;   in Loop: Header=BB130_21 Depth=1
                                        ; implicit-def: $sgpr16
                                        ; implicit-def: $sgpr80
                                        ; implicit-def: $sgpr17
	s_branch .LBB130_230
.LBB130_217:                            ;   in Loop: Header=BB130_21 Depth=1
	s_mov_b32 s16, -1
	s_mov_b32 s81, 0
                                        ; implicit-def: $sgpr17
                                        ; implicit-def: $vgpr27
	s_mov_b32 s80, s16
	s_cbranch_execnz .LBB130_220
	s_branch .LBB130_230
.LBB130_218:                            ;   in Loop: Header=BB130_21 Depth=1
	s_set_inst_prefetch_distance 0x2
	s_or_b32 exec_lo, exec_lo, s81
	v_lshrrev_b32_e32 v27, 16, v3
	s_and_b32 s81, s82, exec_lo
.LBB130_219:                            ;   in Loop: Header=BB130_21 Depth=1
	s_or_b32 exec_lo, exec_lo, s17
	s_mov_b32 s17, -1
	s_mov_b32 s16, 0
	s_delay_alu instid0(SALU_CYCLE_1)
	s_mov_b32 s80, s16
	s_branch .LBB130_230
.LBB130_220:                            ;   in Loop: Header=BB130_21 Depth=1
	s_mov_b32 s81, 0
                                        ; implicit-def: $vgpr27
	s_and_saveexec_b32 s16, s6
	s_cbranch_execz .LBB130_229
; %bb.221:                              ;   in Loop: Header=BB130_21 Depth=1
	v_dual_mov_b32 v6, v5 :: v_dual_mov_b32 v1, v0
	s_mov_b32 s17, 0
                                        ; implicit-def: $sgpr80
	s_branch .LBB130_223
.LBB130_222:                            ;   in Loop: Header=BB130_223 Depth=2
	s_or_b32 exec_lo, exec_lo, s7
	s_waitcnt vmcnt(0) lgkmcnt(0)
	s_barrier
	buffer_gl0_inv
	ds_load_b32 v2, v7 offset:3072
	v_add_nc_u32_e32 v1, s27, v1
	v_add_nc_u32_e32 v6, s49, v6
	s_waitcnt lgkmcnt(0)
	s_barrier
	buffer_gl0_inv
	v_cmp_le_u32_e32 vcc_lo, s63, v1
	v_cmp_neq_f16_e64 s7, 0, v2
	s_delay_alu instid0(VALU_DEP_1) | instskip(NEXT) | instid1(SALU_CYCLE_1)
	s_or_b32 s81, vcc_lo, s7
	s_and_b32 s81, exec_lo, s81
	s_delay_alu instid0(SALU_CYCLE_1) | instskip(SKIP_2) | instid1(SALU_CYCLE_1)
	s_or_b32 s17, s81, s17
	s_and_not1_b32 s80, s80, exec_lo
	s_and_b32 s7, s7, exec_lo
	s_or_b32 s80, s80, s7
	s_and_not1_b32 exec_lo, exec_lo, s17
	s_cbranch_execz .LBB130_228
.LBB130_223:                            ;   Parent Loop BB130_21 Depth=1
                                        ; =>  This Inner Loop Header: Depth=2
	s_delay_alu instid0(VALU_DEP_1)
	v_cmp_gt_u32_e32 vcc_lo, s24, v1
	v_mov_b32_e32 v2, 0
	s_and_saveexec_b32 s81, vcc_lo
	s_cbranch_execz .LBB130_225
; %bb.224:                              ;   in Loop: Header=BB130_223 Depth=2
	v_lshlrev_b64 v[2:3], 1, v[6:7]
	s_delay_alu instid0(VALU_DEP_1) | instskip(NEXT) | instid1(VALU_DEP_1)
	v_add_co_u32 v2, s7, s33, v2
	v_add_co_ci_u32_e64 v3, s7, s39, v3, s7
	global_load_u16 v2, v[2:3], off
.LBB130_225:                            ;   in Loop: Header=BB130_223 Depth=2
	s_or_b32 exec_lo, exec_lo, s81
	s_and_saveexec_b32 s7, vcc_lo
	s_cbranch_execz .LBB130_222
; %bb.226:                              ;   in Loop: Header=BB130_223 Depth=2
	s_waitcnt vmcnt(0)
	v_cmp_lt_i16_e32 vcc_lo, -1, v2
	v_and_b32_e32 v3, 0xffff, v2
	v_cndmask_b32_e32 v4, 0xffff, v26, vcc_lo
	v_cmp_o_f16_e32 vcc_lo, v2, v2
	s_delay_alu instid0(VALU_DEP_2) | instskip(NEXT) | instid1(VALU_DEP_1)
	v_xor_b32_e32 v3, v4, v3
	v_cndmask_b32_e32 v3, 0xffff, v3, vcc_lo
	s_delay_alu instid0(VALU_DEP_1) | instskip(NEXT) | instid1(VALU_DEP_1)
	v_and_b32_e32 v3, s76, v3
	v_cmp_eq_u32_e32 vcc_lo, s75, v3
	s_and_b32 exec_lo, exec_lo, vcc_lo
	s_cbranch_execz .LBB130_222
; %bb.227:                              ;   in Loop: Header=BB130_223 Depth=2
	v_perm_b32 v2, v2, s66, 0x5040100
	ds_store_b32 v7, v2 offset:3072
	s_branch .LBB130_222
.LBB130_228:                            ;   in Loop: Header=BB130_21 Depth=1
	s_or_b32 exec_lo, exec_lo, s17
	v_lshrrev_b32_e32 v27, 16, v2
	s_and_b32 s81, s80, exec_lo
.LBB130_229:                            ;   in Loop: Header=BB130_21 Depth=1
	s_or_b32 exec_lo, exec_lo, s16
	s_mov_b32 s80, -1
	s_mov_b32 s16, 0
	s_mov_b32 s17, 0
.LBB130_230:                            ;   in Loop: Header=BB130_21 Depth=1
	s_mov_b32 s83, 0
                                        ; implicit-def: $sgpr7
	s_and_saveexec_b32 s82, s81
	s_cbranch_execz .LBB130_244
; %bb.231:                              ;   in Loop: Header=BB130_21 Depth=1
	s_xor_b32 s7, s14, -1
	s_delay_alu instid0(SALU_CYCLE_1)
	s_and_not1_b32 vcc_lo, exec_lo, s7
	s_mov_b32 s7, 1
	s_cbranch_vccnz .LBB130_238
; %bb.232:                              ;   in Loop: Header=BB130_21 Depth=1
	s_cmp_gt_u32 s79, s8
	s_cbranch_scc1 .LBB130_239
; %bb.233:                              ;   in Loop: Header=BB130_21 Depth=1
	ds_load_b32 v1, v7 offset:4104
	s_waitcnt lgkmcnt(0)
	v_cmp_ne_u32_e32 vcc_lo, 0, v1
	s_cbranch_vccnz .LBB130_237
; %bb.234:                              ;   in Loop: Header=BB130_21 Depth=1
	s_and_saveexec_b32 s7, s1
	s_cbranch_execz .LBB130_236
; %bb.235:                              ;   in Loop: Header=BB130_21 Depth=1
	v_mov_b32_e32 v1, s8
	ds_store_b32 v7, v1 offset:4108
.LBB130_236:                            ;   in Loop: Header=BB130_21 Depth=1
	s_or_b32 exec_lo, exec_lo, s7
	s_waitcnt lgkmcnt(0)
	s_barrier
	buffer_gl0_inv
.LBB130_237:                            ;   in Loop: Header=BB130_21 Depth=1
	s_or_b32 s14, s75, s9
	s_or_b32 s9, s76, s9
	s_mov_b32 s81, 0
	s_mov_b32 s7, 8
	s_branch .LBB130_240
.LBB130_238:                            ;   in Loop: Header=BB130_21 Depth=1
	s_mov_b32 s79, 1
	s_branch .LBB130_243
.LBB130_239:                            ;   in Loop: Header=BB130_21 Depth=1
	s_mov_b32 s81, -1
                                        ; implicit-def: $sgpr7
                                        ; implicit-def: $sgpr14
                                        ; implicit-def: $sgpr9
.LBB130_240:                            ;   in Loop: Header=BB130_21 Depth=1
	s_delay_alu instid0(SALU_CYCLE_1)
	s_and_not1_b32 vcc_lo, exec_lo, s81
	s_cbranch_vccnz .LBB130_242
; %bb.241:                              ;   in Loop: Header=BB130_21 Depth=1
	s_sub_i32 s79, s79, s8
	s_mov_b32 s7, 8
	s_mov_b32 s14, s75
	s_mov_b32 s9, s76
.LBB130_242:                            ;   in Loop: Header=BB130_21 Depth=1
	s_mov_b32 s75, s14
	s_mov_b32 s76, s9
.LBB130_243:                            ;   in Loop: Header=BB130_21 Depth=1
	s_mov_b32 s83, exec_lo
.LBB130_244:                            ;   in Loop: Header=BB130_21 Depth=1
	s_or_b32 exec_lo, exec_lo, s82
.LBB130_245:                            ;   in Loop: Header=BB130_21 Depth=1
	s_delay_alu instid0(SALU_CYCLE_1)
	s_and_not1_b32 s8, s19, exec_lo
	s_and_b32 s9, s16, exec_lo
	s_and_not1_b32 s14, s20, exec_lo
	s_or_b32 s19, s8, s9
	s_and_not1_b32 s8, s77, exec_lo
	s_and_b32 s9, s80, exec_lo
	s_and_b32 s16, s17, exec_lo
	s_or_b32 s77, s8, s9
	s_or_b32 s20, s14, s16
	s_and_b32 s82, s83, exec_lo
	s_mov_b32 s80, s79
.LBB130_246:                            ;   in Loop: Header=BB130_21 Depth=1
	s_or_b32 exec_lo, exec_lo, s78
.LBB130_247:                            ;   in Loop: Header=BB130_21 Depth=1
	s_delay_alu instid0(SALU_CYCLE_1)
	s_and_not1_b32 s8, s13, exec_lo
	s_and_b32 s9, s19, exec_lo
	s_and_not1_b32 s12, s12, exec_lo
	s_or_b32 s13, s8, s9
	s_and_not1_b32 s8, s15, exec_lo
	s_and_b32 s9, s77, exec_lo
	s_and_b32 s14, s20, exec_lo
	s_or_b32 s15, s8, s9
	s_or_b32 s12, s12, s14
	s_and_b32 s79, s82, exec_lo
	s_mov_b32 s20, s80
.LBB130_248:                            ;   in Loop: Header=BB130_21 Depth=1
	s_or_b32 exec_lo, exec_lo, s18
                                        ; implicit-def: $sgpr77
	s_and_saveexec_b32 s8, s79
	s_delay_alu instid0(SALU_CYCLE_1)
	s_xor_b32 s8, exec_lo, s8
	s_cbranch_execz .LBB130_19
.LBB130_249:                            ;   in Loop: Header=BB130_21 Depth=1
	s_and_b32 s7, s7, -9
	s_delay_alu instid0(SALU_CYCLE_1)
	s_cmp_eq_u32 s7, 0
	s_cbranch_scc1 .LBB130_17
; %bb.250:                              ;   in Loop: Header=BB130_21 Depth=1
	s_mov_b32 s7, -1
	s_mov_b32 s9, -1
                                        ; implicit-def: $sgpr76
                                        ; implicit-def: $sgpr20
                                        ; implicit-def: $sgpr70
                                        ; implicit-def: $sgpr73
	s_branch .LBB130_18
.LBB130_251:
	s_or_b32 exec_lo, exec_lo, s48
	s_xor_b32 s4, s69, -1
	s_xor_b32 s1, s67, -1
	;; [unrolled: 1-line block ×3, first 2 shown]
	s_mov_b32 s2, 0
	s_and_saveexec_b32 s5, s1
	s_delay_alu instid0(SALU_CYCLE_1)
	s_xor_b32 s1, exec_lo, s5
	s_cbranch_execz .LBB130_265
; %bb.252:
	s_and_saveexec_b32 s2, s4
	s_delay_alu instid0(SALU_CYCLE_1)
	s_xor_b32 s4, exec_lo, s2
	s_cbranch_execz .LBB130_263
; %bb.253:
	s_and_saveexec_b32 s2, s3
	s_delay_alu instid0(SALU_CYCLE_1)
	s_xor_b32 s2, exec_lo, s2
; %bb.254:
	v_and_b32_e32 v2, 0x8000, v1
	v_mov_b32_e32 v3, 0xffff
	s_delay_alu instid0(VALU_DEP_2) | instskip(NEXT) | instid1(VALU_DEP_2)
	v_cmp_eq_u32_e32 vcc_lo, 0, v2
	v_cndmask_b32_e32 v2, 0x8000, v3, vcc_lo
	s_delay_alu instid0(VALU_DEP_1)
	v_xor_b32_e32 v27, v2, v1
; %bb.255:
	s_or_b32 exec_lo, exec_lo, s2
	s_mul_i32 s3, s47, s34
	s_mul_i32 s2, s46, s35
	s_sub_i32 s3, s46, s3
	s_sub_i32 s2, s21, s2
	s_add_i32 s5, s47, 1
	s_sub_i32 s6, s3, s34
	s_cmp_ge_u32 s3, s34
	s_mul_i32 s2, s2, s38
	s_cselect_b32 s5, s5, s47
	s_cselect_b32 s3, s6, s3
	s_add_i32 s6, s5, 1
	s_cmp_ge_u32 s3, s34
	v_mov_b32_e32 v6, 0
	s_cselect_b32 s3, s6, s5
	s_delay_alu instid0(SALU_CYCLE_1) | instskip(SKIP_4) | instid1(SALU_CYCLE_1)
	s_mul_i32 s5, s3, s34
	s_mul_i32 s6, s3, s36
	s_sub_i32 s5, s46, s5
	s_mov_b32 s3, 0
	s_mul_i32 s5, s5, s37
	s_add_i32 s2, s5, s2
	s_delay_alu instid0(SALU_CYCLE_1) | instskip(NEXT) | instid1(SALU_CYCLE_1)
	s_add_i32 s2, s2, s6
	s_lshl_b64 s[6:7], s[2:3], 1
	s_delay_alu instid0(SALU_CYCLE_1)
	s_add_u32 s6, s42, s6
	s_addc_u32 s7, s43, s7
	global_store_b16 v6, v27, s[6:7]
	s_and_saveexec_b32 s2, s0
	s_cbranch_execz .LBB130_262
; %bb.256:
	v_cmp_u_f16_e32 vcc_lo, v27, v27
                                        ; implicit-def: $sgpr5
                                        ; implicit-def: $sgpr8
                                        ; implicit-def: $sgpr7
	s_xor_b32 s6, vcc_lo, -1
	s_set_inst_prefetch_distance 0x1
	s_branch .LBB130_258
	.p2align	6
.LBB130_257:                            ;   in Loop: Header=BB130_258 Depth=1
	s_or_b32 exec_lo, exec_lo, s0
	s_delay_alu instid0(SALU_CYCLE_1) | instskip(NEXT) | instid1(SALU_CYCLE_1)
	s_and_b32 s0, exec_lo, s8
	s_or_b32 s3, s0, s3
	s_and_not1_b32 s0, s5, exec_lo
	s_and_b32 s5, s7, exec_lo
	s_delay_alu instid0(SALU_CYCLE_1)
	s_or_b32 s5, s0, s5
	s_and_not1_b32 exec_lo, exec_lo, s3
	s_cbranch_execz .LBB130_260
.LBB130_258:                            ; =>This Inner Loop Header: Depth=1
	v_lshlrev_b64 v[1:2], 1, v[5:6]
	s_or_b32 s7, s7, exec_lo
	s_or_b32 s8, s8, exec_lo
	s_delay_alu instid0(VALU_DEP_1) | instskip(NEXT) | instid1(VALU_DEP_2)
	v_add_co_u32 v1, vcc_lo, s33, v1
	v_add_co_ci_u32_e32 v2, vcc_lo, s39, v2, vcc_lo
	global_load_u16 v1, v[1:2], off
	s_waitcnt vmcnt(0)
	v_cmp_o_f16_e32 vcc_lo, v1, v1
	v_cmp_neq_f16_e64 s0, v1, v27
	v_mov_b32_e32 v1, v0
                                        ; implicit-def: $vgpr0
	s_or_b32 s9, s6, vcc_lo
	s_delay_alu instid0(VALU_DEP_2) | instid1(SALU_CYCLE_1)
	s_and_b32 s9, s0, s9
	s_delay_alu instid0(SALU_CYCLE_1)
	s_and_saveexec_b32 s0, s9
	s_cbranch_execz .LBB130_257
; %bb.259:                              ;   in Loop: Header=BB130_258 Depth=1
	v_add_nc_u32_e32 v0, s27, v1
	s_and_not1_b32 s8, s8, exec_lo
	v_add_nc_u32_e32 v5, s49, v5
	s_and_not1_b32 s7, s7, exec_lo
	s_delay_alu instid0(VALU_DEP_2) | instskip(SKIP_1) | instid1(SALU_CYCLE_1)
	v_cmp_le_u32_e32 vcc_lo, s24, v0
	s_and_b32 s9, vcc_lo, exec_lo
	s_or_b32 s8, s8, s9
	s_branch .LBB130_257
.LBB130_260:
	s_set_inst_prefetch_distance 0x2
	s_or_b32 exec_lo, exec_lo, s3
	s_and_saveexec_b32 s0, s5
	s_delay_alu instid0(SALU_CYCLE_1)
	s_xor_b32 s0, exec_lo, s0
	s_cbranch_execz .LBB130_262
; %bb.261:
	s_mul_i32 s3, s31, s22
	s_mul_i32 s0, s25, s23
	s_sub_i32 s3, s25, s3
	s_sub_i32 s0, s21, s0
	s_add_i32 s5, s31, 1
	s_sub_i32 s6, s3, s22
	s_cmp_ge_u32 s3, s22
	s_mul_i32 s0, s0, s30
	s_cselect_b32 s5, s5, s31
	s_cselect_b32 s3, s6, s3
	s_add_i32 s6, s5, 1
	s_cmp_ge_u32 s3, s22
	s_mov_b32 s7, 0
	s_cselect_b32 s3, s6, s5
	v_mov_b32_e32 v2, 0
	s_mul_i32 s5, s3, s22
	s_mul_i32 s3, s3, s28
	s_sub_i32 s5, s25, s5
	s_delay_alu instid0(SALU_CYCLE_1) | instskip(NEXT) | instid1(SALU_CYCLE_1)
	s_mul_i32 s5, s5, s29
	s_add_i32 s0, s5, s0
	s_delay_alu instid0(SALU_CYCLE_1) | instskip(NEXT) | instid1(SALU_CYCLE_1)
	s_add_i32 s6, s0, s3
	s_lshl_b64 s[6:7], s[6:7], 3
	s_delay_alu instid0(SALU_CYCLE_1)
	s_add_u32 s6, s40, s6
	s_addc_u32 s7, s41, s7
	global_store_b64 v2, v[1:2], s[6:7]
.LBB130_262:
	s_or_b32 exec_lo, exec_lo, s2
.LBB130_263:
	s_or_saveexec_b32 s0, s4
	s_mov_b32 s2, 0
	s_xor_b32 exec_lo, exec_lo, s0
	s_cbranch_execnz .LBB130_271
.LBB130_264:
	s_or_b32 exec_lo, exec_lo, s0
	s_delay_alu instid0(SALU_CYCLE_1)
	s_and_b32 s2, s2, exec_lo
.LBB130_265:
	s_and_not1_saveexec_b32 s0, s1
	s_cbranch_execnz .LBB130_269
; %bb.266:
	s_or_b32 exec_lo, exec_lo, s0
	s_and_saveexec_b32 s0, s2
.LBB130_267:
	; divergent unreachable
.LBB130_268:
	s_nop 0
	s_sendmsg sendmsg(MSG_DEALLOC_VGPRS)
	s_endpgm
.LBB130_269:
	s_cbranch_execnz .LBB130_273
; %bb.270:
	s_or_b32 s2, s2, exec_lo
	s_or_b32 exec_lo, exec_lo, s0
	s_and_saveexec_b32 s0, s2
	s_cbranch_execnz .LBB130_267
	s_branch .LBB130_268
.LBB130_271:
	s_cbranch_execnz .LBB130_275
; %bb.272:
	s_mov_b32 s2, exec_lo
	s_branch .LBB130_264
.LBB130_273:
	s_trap 2
	s_sendmsg_rtn_b32 s0, sendmsg(MSG_RTN_GET_DOORBELL)
	s_mov_b32 ttmp2, m0
	s_waitcnt lgkmcnt(0)
	s_and_b32 s0, s0, 0x3ff
	s_delay_alu instid0(SALU_CYCLE_1) | instskip(NEXT) | instid1(SALU_CYCLE_1)
	s_bitset1_b32 s0, 10
	s_mov_b32 m0, s0
	s_sendmsg sendmsg(MSG_INTERRUPT)
	s_mov_b32 m0, ttmp2
.LBB130_274:                            ; =>This Inner Loop Header: Depth=1
	s_sethalt 5
	s_branch .LBB130_274
.LBB130_275:
	s_trap 2
	s_sendmsg_rtn_b32 s0, sendmsg(MSG_RTN_GET_DOORBELL)
	s_mov_b32 ttmp2, m0
	s_waitcnt lgkmcnt(0)
	s_and_b32 s0, s0, 0x3ff
	s_delay_alu instid0(SALU_CYCLE_1) | instskip(NEXT) | instid1(SALU_CYCLE_1)
	s_bitset1_b32 s0, 10
	s_mov_b32 m0, s0
	s_sendmsg sendmsg(MSG_INTERRUPT)
	s_mov_b32 m0, ttmp2
.LBB130_276:                            ; =>This Inner Loop Header: Depth=1
	s_sethalt 5
	s_branch .LBB130_276
	.section	.rodata,"a",@progbits
	.p2align	6, 0x0
	.amdhsa_kernel _ZN2at6native12_GLOBAL__N_112gatherMedianIN3c104HalfEjLi3EEEvNS_4cuda6detail10TensorInfoIT_T0_EENS7_IlS9_EENS7_IKS8_S9_EES9_S9_S9_b
		.amdhsa_group_segment_fixed_size 4120
		.amdhsa_private_segment_fixed_size 0
		.amdhsa_kernarg_size 920
		.amdhsa_user_sgpr_count 13
		.amdhsa_user_sgpr_dispatch_ptr 0
		.amdhsa_user_sgpr_queue_ptr 0
		.amdhsa_user_sgpr_kernarg_segment_ptr 1
		.amdhsa_user_sgpr_dispatch_id 0
		.amdhsa_user_sgpr_private_segment_size 0
		.amdhsa_wavefront_size32 1
		.amdhsa_uses_dynamic_stack 0
		.amdhsa_enable_private_segment 0
		.amdhsa_system_sgpr_workgroup_id_x 1
		.amdhsa_system_sgpr_workgroup_id_y 1
		.amdhsa_system_sgpr_workgroup_id_z 1
		.amdhsa_system_sgpr_workgroup_info 0
		.amdhsa_system_vgpr_workitem_id 0
		.amdhsa_next_free_vgpr 34
		.amdhsa_next_free_sgpr 89
		.amdhsa_reserve_vcc 1
		.amdhsa_float_round_mode_32 0
		.amdhsa_float_round_mode_16_64 0
		.amdhsa_float_denorm_mode_32 3
		.amdhsa_float_denorm_mode_16_64 3
		.amdhsa_dx10_clamp 1
		.amdhsa_ieee_mode 1
		.amdhsa_fp16_overflow 0
		.amdhsa_workgroup_processor_mode 1
		.amdhsa_memory_ordered 1
		.amdhsa_forward_progress 0
		.amdhsa_shared_vgpr_count 0
		.amdhsa_exception_fp_ieee_invalid_op 0
		.amdhsa_exception_fp_denorm_src 0
		.amdhsa_exception_fp_ieee_div_zero 0
		.amdhsa_exception_fp_ieee_overflow 0
		.amdhsa_exception_fp_ieee_underflow 0
		.amdhsa_exception_fp_ieee_inexact 0
		.amdhsa_exception_int_div_zero 0
	.end_amdhsa_kernel
	.section	.text._ZN2at6native12_GLOBAL__N_112gatherMedianIN3c104HalfEjLi3EEEvNS_4cuda6detail10TensorInfoIT_T0_EENS7_IlS9_EENS7_IKS8_S9_EES9_S9_S9_b,"axG",@progbits,_ZN2at6native12_GLOBAL__N_112gatherMedianIN3c104HalfEjLi3EEEvNS_4cuda6detail10TensorInfoIT_T0_EENS7_IlS9_EENS7_IKS8_S9_EES9_S9_S9_b,comdat
.Lfunc_end130:
	.size	_ZN2at6native12_GLOBAL__N_112gatherMedianIN3c104HalfEjLi3EEEvNS_4cuda6detail10TensorInfoIT_T0_EENS7_IlS9_EENS7_IKS8_S9_EES9_S9_S9_b, .Lfunc_end130-_ZN2at6native12_GLOBAL__N_112gatherMedianIN3c104HalfEjLi3EEEvNS_4cuda6detail10TensorInfoIT_T0_EENS7_IlS9_EENS7_IKS8_S9_EES9_S9_S9_b
                                        ; -- End function
	.section	.AMDGPU.csdata,"",@progbits
; Kernel info:
; codeLenInByte = 11256
; NumSgprs: 91
; NumVgprs: 34
; ScratchSize: 0
; MemoryBound: 0
; FloatMode: 240
; IeeeMode: 1
; LDSByteSize: 4120 bytes/workgroup (compile time only)
; SGPRBlocks: 11
; VGPRBlocks: 4
; NumSGPRsForWavesPerEU: 91
; NumVGPRsForWavesPerEU: 34
; Occupancy: 16
; WaveLimiterHint : 1
; COMPUTE_PGM_RSRC2:SCRATCH_EN: 0
; COMPUTE_PGM_RSRC2:USER_SGPR: 13
; COMPUTE_PGM_RSRC2:TRAP_HANDLER: 0
; COMPUTE_PGM_RSRC2:TGID_X_EN: 1
; COMPUTE_PGM_RSRC2:TGID_Y_EN: 1
; COMPUTE_PGM_RSRC2:TGID_Z_EN: 1
; COMPUTE_PGM_RSRC2:TIDIG_COMP_CNT: 0
	.section	.text._ZN2at6native12_GLOBAL__N_112gatherMedianIN3c104HalfEjLin1EEEvNS_4cuda6detail10TensorInfoIT_T0_EENS7_IlS9_EENS7_IKS8_S9_EES9_S9_S9_b,"axG",@progbits,_ZN2at6native12_GLOBAL__N_112gatherMedianIN3c104HalfEjLin1EEEvNS_4cuda6detail10TensorInfoIT_T0_EENS7_IlS9_EENS7_IKS8_S9_EES9_S9_S9_b,comdat
	.globl	_ZN2at6native12_GLOBAL__N_112gatherMedianIN3c104HalfEjLin1EEEvNS_4cuda6detail10TensorInfoIT_T0_EENS7_IlS9_EENS7_IKS8_S9_EES9_S9_S9_b ; -- Begin function _ZN2at6native12_GLOBAL__N_112gatherMedianIN3c104HalfEjLin1EEEvNS_4cuda6detail10TensorInfoIT_T0_EENS7_IlS9_EENS7_IKS8_S9_EES9_S9_S9_b
	.p2align	8
	.type	_ZN2at6native12_GLOBAL__N_112gatherMedianIN3c104HalfEjLin1EEEvNS_4cuda6detail10TensorInfoIT_T0_EENS7_IlS9_EENS7_IKS8_S9_EES9_S9_S9_b,@function
_ZN2at6native12_GLOBAL__N_112gatherMedianIN3c104HalfEjLin1EEEvNS_4cuda6detail10TensorInfoIT_T0_EENS7_IlS9_EENS7_IKS8_S9_EES9_S9_S9_b: ; @_ZN2at6native12_GLOBAL__N_112gatherMedianIN3c104HalfEjLin1EEEvNS_4cuda6detail10TensorInfoIT_T0_EENS7_IlS9_EENS7_IKS8_S9_EES9_S9_S9_b
; %bb.0:
	s_clause 0x1
	s_load_b64 s[6:7], s[0:1], 0x298
	s_load_b128 s[24:27], s[0:1], 0x288
	s_add_u32 s4, s0, 0x298
	s_addc_u32 s5, s1, 0
	s_waitcnt lgkmcnt(0)
	s_mul_i32 s2, s7, s15
	s_delay_alu instid0(SALU_CYCLE_1) | instskip(NEXT) | instid1(SALU_CYCLE_1)
	s_add_i32 s2, s2, s14
	s_mul_i32 s2, s2, s6
	s_delay_alu instid0(SALU_CYCLE_1) | instskip(NEXT) | instid1(SALU_CYCLE_1)
	s_add_i32 s7, s2, s13
	s_cmp_ge_u32 s7, s25
	s_cbranch_scc1 .LBB131_277
; %bb.1:
	s_load_b32 s2, s[0:1], 0xd0
	s_mov_b32 s21, 0
	s_mov_b32 s25, s7
	s_waitcnt lgkmcnt(0)
	s_cmp_lt_i32 s2, 2
	s_cbranch_scc1 .LBB131_4
; %bb.2:
	s_add_i32 s20, s2, -1
	s_add_i32 s8, s2, 1
	s_lshl_b64 s[10:11], s[20:21], 2
	s_mov_b32 s25, s7
	s_add_u32 s2, s10, s0
	s_addc_u32 s3, s11, s1
	s_add_u32 s2, s2, 8
	s_addc_u32 s3, s3, 0
	s_set_inst_prefetch_distance 0x1
	.p2align	6
.LBB131_3:                              ; =>This Inner Loop Header: Depth=1
	s_clause 0x1
	s_load_b32 s9, s[2:3], 0x0
	s_load_b32 s10, s[2:3], 0x64
	s_mov_b32 s14, s25
	s_waitcnt lgkmcnt(0)
	v_cvt_f32_u32_e32 v1, s9
	s_sub_i32 s12, 0, s9
	s_waitcnt_depctr 0xfff
	v_rcp_iflag_f32_e32 v1, v1
	s_waitcnt_depctr 0xfff
	v_mul_f32_e32 v1, 0x4f7ffffe, v1
	s_delay_alu instid0(VALU_DEP_1) | instskip(NEXT) | instid1(VALU_DEP_1)
	v_cvt_u32_f32_e32 v1, v1
	v_readfirstlane_b32 s11, v1
	s_delay_alu instid0(VALU_DEP_1) | instskip(NEXT) | instid1(SALU_CYCLE_1)
	s_mul_i32 s12, s12, s11
	s_mul_hi_u32 s12, s11, s12
	s_delay_alu instid0(SALU_CYCLE_1) | instskip(NEXT) | instid1(SALU_CYCLE_1)
	s_add_i32 s11, s11, s12
	s_mul_hi_u32 s11, s25, s11
	s_delay_alu instid0(SALU_CYCLE_1) | instskip(SKIP_2) | instid1(SALU_CYCLE_1)
	s_mul_i32 s12, s11, s9
	s_add_i32 s15, s11, 1
	s_sub_i32 s12, s25, s12
	s_sub_i32 s16, s12, s9
	s_cmp_ge_u32 s12, s9
	s_cselect_b32 s11, s15, s11
	s_cselect_b32 s12, s16, s12
	s_add_i32 s15, s11, 1
	s_cmp_ge_u32 s12, s9
	s_cselect_b32 s25, s15, s11
	s_add_i32 s8, s8, -1
	s_mul_i32 s9, s25, s9
	s_delay_alu instid0(SALU_CYCLE_1) | instskip(NEXT) | instid1(SALU_CYCLE_1)
	s_sub_i32 s9, s14, s9
	s_mul_i32 s9, s10, s9
	s_delay_alu instid0(SALU_CYCLE_1)
	s_add_i32 s21, s9, s21
	s_add_u32 s2, s2, -4
	s_addc_u32 s3, s3, -1
	s_cmp_gt_u32 s8, 2
	s_cbranch_scc1 .LBB131_3
.LBB131_4:
	s_set_inst_prefetch_distance 0x2
	s_load_b32 s8, s[0:1], 0x1a8
	s_add_u32 s2, s0, 0xd8
	s_addc_u32 s3, s1, 0
	s_mov_b32 s23, 0
	s_mov_b32 s22, s7
	s_waitcnt lgkmcnt(0)
	s_cmp_lt_i32 s8, 2
	s_cbranch_scc1 .LBB131_7
; %bb.5:
	s_add_i32 s22, s8, -1
	s_add_i32 s10, s8, 1
	s_lshl_b64 s[14:15], s[22:23], 2
	s_mov_b32 s22, s7
	s_add_u32 s8, s14, s2
	s_addc_u32 s9, s15, s3
	s_add_u32 s8, s8, 8
	s_addc_u32 s9, s9, 0
	s_set_inst_prefetch_distance 0x1
	.p2align	6
.LBB131_6:                              ; =>This Inner Loop Header: Depth=1
	s_clause 0x1
	s_load_b32 s11, s[8:9], 0x0
	s_load_b32 s12, s[8:9], 0x64
	s_mov_b32 s16, s22
	s_waitcnt lgkmcnt(0)
	v_cvt_f32_u32_e32 v1, s11
	s_sub_i32 s15, 0, s11
	s_waitcnt_depctr 0xfff
	v_rcp_iflag_f32_e32 v1, v1
	s_waitcnt_depctr 0xfff
	v_mul_f32_e32 v1, 0x4f7ffffe, v1
	s_delay_alu instid0(VALU_DEP_1) | instskip(NEXT) | instid1(VALU_DEP_1)
	v_cvt_u32_f32_e32 v1, v1
	v_readfirstlane_b32 s14, v1
	s_delay_alu instid0(VALU_DEP_1) | instskip(NEXT) | instid1(SALU_CYCLE_1)
	s_mul_i32 s15, s15, s14
	s_mul_hi_u32 s15, s14, s15
	s_delay_alu instid0(SALU_CYCLE_1) | instskip(NEXT) | instid1(SALU_CYCLE_1)
	s_add_i32 s14, s14, s15
	s_mul_hi_u32 s14, s22, s14
	s_delay_alu instid0(SALU_CYCLE_1) | instskip(SKIP_2) | instid1(SALU_CYCLE_1)
	s_mul_i32 s15, s14, s11
	s_add_i32 s17, s14, 1
	s_sub_i32 s15, s22, s15
	s_sub_i32 s18, s15, s11
	s_cmp_ge_u32 s15, s11
	s_cselect_b32 s14, s17, s14
	s_cselect_b32 s15, s18, s15
	s_add_i32 s17, s14, 1
	s_cmp_ge_u32 s15, s11
	s_cselect_b32 s22, s17, s14
	s_add_i32 s10, s10, -1
	s_mul_i32 s11, s22, s11
	s_delay_alu instid0(SALU_CYCLE_1) | instskip(NEXT) | instid1(SALU_CYCLE_1)
	s_sub_i32 s11, s16, s11
	s_mul_i32 s11, s12, s11
	s_delay_alu instid0(SALU_CYCLE_1)
	s_add_i32 s23, s11, s23
	s_add_u32 s8, s8, -4
	s_addc_u32 s9, s9, -1
	s_cmp_gt_u32 s10, 2
	s_cbranch_scc1 .LBB131_6
.LBB131_7:
	s_set_inst_prefetch_distance 0x2
	s_clause 0x1
	s_load_b32 s33, s[0:1], 0x6c
	s_load_b32 s10, s[0:1], 0x280
	s_add_u32 s11, s0, 0x1b0
	s_addc_u32 s12, s1, 0
	s_mov_b32 s9, 0
	s_waitcnt lgkmcnt(0)
	s_cmp_lt_i32 s10, 2
	s_cbranch_scc1 .LBB131_10
; %bb.8:
	s_add_i32 s8, s10, -1
	s_delay_alu instid0(SALU_CYCLE_1)
	s_lshl_b64 s[14:15], s[8:9], 2
	s_add_i32 s8, s10, 1
	s_add_u32 s10, s14, s11
	s_addc_u32 s11, s15, s12
	s_add_u32 s10, s10, 8
	s_addc_u32 s11, s11, 0
	s_set_inst_prefetch_distance 0x1
	.p2align	6
.LBB131_9:                              ; =>This Inner Loop Header: Depth=1
	s_clause 0x1
	s_load_b32 s12, s[10:11], 0x0
	s_load_b32 s14, s[10:11], 0x64
	s_mov_b32 s17, s7
	s_waitcnt lgkmcnt(0)
	v_cvt_f32_u32_e32 v1, s12
	s_sub_i32 s16, 0, s12
	s_waitcnt_depctr 0xfff
	v_rcp_iflag_f32_e32 v1, v1
	s_waitcnt_depctr 0xfff
	v_mul_f32_e32 v1, 0x4f7ffffe, v1
	s_delay_alu instid0(VALU_DEP_1) | instskip(NEXT) | instid1(VALU_DEP_1)
	v_cvt_u32_f32_e32 v1, v1
	v_readfirstlane_b32 s15, v1
	s_delay_alu instid0(VALU_DEP_1) | instskip(NEXT) | instid1(SALU_CYCLE_1)
	s_mul_i32 s16, s16, s15
	s_mul_hi_u32 s16, s15, s16
	s_delay_alu instid0(SALU_CYCLE_1) | instskip(NEXT) | instid1(SALU_CYCLE_1)
	s_add_i32 s15, s15, s16
	s_mul_hi_u32 s7, s7, s15
	s_delay_alu instid0(SALU_CYCLE_1) | instskip(SKIP_2) | instid1(SALU_CYCLE_1)
	s_mul_i32 s15, s7, s12
	s_add_i32 s16, s7, 1
	s_sub_i32 s15, s17, s15
	s_sub_i32 s18, s15, s12
	s_cmp_ge_u32 s15, s12
	s_cselect_b32 s7, s16, s7
	s_cselect_b32 s15, s18, s15
	s_add_i32 s16, s7, 1
	s_cmp_ge_u32 s15, s12
	s_cselect_b32 s7, s16, s7
	s_add_i32 s8, s8, -1
	s_mul_i32 s12, s7, s12
	s_delay_alu instid0(SALU_CYCLE_1) | instskip(NEXT) | instid1(SALU_CYCLE_1)
	s_sub_i32 s12, s17, s12
	s_mul_i32 s12, s14, s12
	s_delay_alu instid0(SALU_CYCLE_1)
	s_add_i32 s9, s12, s9
	s_add_u32 s10, s10, -4
	s_addc_u32 s11, s11, -1
	s_cmp_gt_u32 s8, 2
	s_cbranch_scc1 .LBB131_9
.LBB131_10:
	s_set_inst_prefetch_distance 0x2
	s_clause 0x4
	s_load_b32 s36, s[2:3], 0x6c
	s_load_b32 s2, s[0:1], 0x21c
	s_load_b64 s[10:11], s[0:1], 0x1b0
	s_load_b64 s[30:31], s[0:1], 0x0
	;; [unrolled: 1-line block ×3, first 2 shown]
	v_mul_lo_u32 v5, v0, s26
	s_mov_b32 s3, 0
	v_mov_b32_e32 v3, 0
	s_waitcnt lgkmcnt(0)
	s_mul_i32 s0, s2, s7
	s_delay_alu instid0(SALU_CYCLE_1) | instskip(SKIP_2) | instid1(SALU_CYCLE_1)
	s_add_i32 s2, s0, s9
	v_cmp_gt_u32_e64 s0, s24, v0
	s_lshl_b64 s[8:9], s[2:3], 1
	s_add_u32 s37, s10, s8
	s_addc_u32 s38, s11, s9
	s_delay_alu instid0(VALU_DEP_1)
	s_and_saveexec_b32 s2, s0
	s_cbranch_execz .LBB131_14
; %bb.11:
	s_load_b32 s1, s[4:5], 0xc
	v_mul_lo_u32 v1, v0, s26
	v_dual_mov_b32 v3, 0 :: v_dual_mov_b32 v2, 0
	v_mov_b32_e32 v4, v0
	s_waitcnt lgkmcnt(0)
	s_and_b32 s7, s1, 0xffff
	s_delay_alu instid0(SALU_CYCLE_1)
	s_mul_i32 s8, s26, s7
	.p2align	6
.LBB131_12:                             ; =>This Inner Loop Header: Depth=1
	s_delay_alu instid0(VALU_DEP_3) | instskip(SKIP_2) | instid1(VALU_DEP_3)
	v_lshlrev_b64 v[6:7], 1, v[1:2]
	v_add_nc_u32_e32 v4, s7, v4
	v_add_nc_u32_e32 v1, s8, v1
	v_add_co_u32 v6, vcc_lo, s37, v6
	s_delay_alu instid0(VALU_DEP_4) | instskip(NEXT) | instid1(VALU_DEP_4)
	v_add_co_ci_u32_e32 v7, vcc_lo, s38, v7, vcc_lo
	v_cmp_le_u32_e32 vcc_lo, s24, v4
	global_load_u16 v6, v[6:7], off
	s_or_b32 s3, vcc_lo, s3
	s_waitcnt vmcnt(0)
	v_cmp_u_f16_e64 s1, v6, v6
	s_delay_alu instid0(VALU_DEP_1)
	v_add_co_ci_u32_e64 v3, s1, 0, v3, s1
	s_and_not1_b32 exec_lo, exec_lo, s3
	s_cbranch_execnz .LBB131_12
; %bb.13:
	s_or_b32 exec_lo, exec_lo, s3
.LBB131_14:
	s_delay_alu instid0(SALU_CYCLE_1) | instskip(SKIP_1) | instid1(VALU_DEP_1)
	s_or_b32 exec_lo, exec_lo, s2
	v_cmp_eq_u32_e64 s1, 0, v0
	s_and_saveexec_b32 s2, s1
	s_cbranch_execz .LBB131_16
; %bb.15:
	v_mov_b32_e32 v1, 0
	s_delay_alu instid0(VALU_DEP_1)
	v_mov_b32_e32 v2, v1
	ds_store_b64 v1, v[1:2] offset:4096
.LBB131_16:
	s_or_b32 exec_lo, exec_lo, s2
	s_delay_alu instid0(SALU_CYCLE_1)
	s_mov_b32 s7, exec_lo
	s_waitcnt lgkmcnt(0)
	s_barrier
	buffer_gl0_inv
	v_cmpx_ne_u32_e32 0, v3
	s_cbranch_execz .LBB131_21
; %bb.17:
	v_mov_b32_e32 v1, 0
	s_mov_b32 s8, exec_lo
	s_mov_b64 s[2:3], 0
.LBB131_18:                             ; =>This Inner Loop Header: Depth=1
	s_ctz_i32_b32 s9, s8
	s_delay_alu instid0(SALU_CYCLE_1) | instskip(SKIP_1) | instid1(VALU_DEP_2)
	v_readlane_b32 s10, v3, s9
	v_readlane_b32 s11, v1, s9
	s_add_u32 s2, s2, s10
	s_delay_alu instid0(VALU_DEP_1) | instskip(SKIP_1) | instid1(SALU_CYCLE_1)
	s_addc_u32 s3, s3, s11
	s_lshl_b32 s9, 1, s9
	s_and_not1_b32 s8, s8, s9
	s_delay_alu instid0(SALU_CYCLE_1)
	s_cmp_lg_u32 s8, 0
	s_cbranch_scc1 .LBB131_18
; %bb.19:
	v_mbcnt_lo_u32_b32 v1, exec_lo, 0
	s_mov_b32 s8, exec_lo
	s_delay_alu instid0(VALU_DEP_1)
	v_cmpx_eq_u32_e32 0, v1
	s_xor_b32 s8, exec_lo, s8
	s_cbranch_execz .LBB131_21
; %bb.20:
	v_mov_b32_e32 v1, s2
	v_dual_mov_b32 v3, 0 :: v_dual_mov_b32 v2, s3
	ds_add_u64 v3, v[1:2] offset:4096
.LBB131_21:
	s_or_b32 exec_lo, exec_lo, s7
	v_mov_b32_e32 v1, 0
	s_waitcnt lgkmcnt(0)
	s_barrier
	buffer_gl0_inv
	s_bitcmp1_b32 s27, 0
	ds_load_b64 v[1:2], v1 offset:4096
	s_cselect_b32 s2, -1, 0
	s_mov_b32 s68, s24
	s_waitcnt lgkmcnt(0)
	v_cmp_gt_i64_e32 vcc_lo, 1, v[1:2]
	s_or_b32 s2, s2, vcc_lo
	s_delay_alu instid0(SALU_CYCLE_1)
	s_and_not1_b32 vcc_lo, exec_lo, s2
	s_cbranch_vccnz .LBB131_23
; %bb.22:
	v_not_b32_e32 v1, v1
	v_not_b32_e32 v2, v2
	s_delay_alu instid0(VALU_DEP_2) | instskip(NEXT) | instid1(VALU_DEP_2)
	v_add_co_u32 v1, vcc_lo, v1, s24
	v_add_co_ci_u32_e32 v2, vcc_lo, 0, v2, vcc_lo
	s_delay_alu instid0(VALU_DEP_1) | instskip(NEXT) | instid1(VALU_DEP_1)
	v_lshrrev_b32_e32 v3, 31, v2
	v_add_co_u32 v1, vcc_lo, v1, v3
	v_add_co_ci_u32_e32 v2, vcc_lo, 0, v2, vcc_lo
	s_delay_alu instid0(VALU_DEP_1) | instskip(NEXT) | instid1(VALU_DEP_1)
	v_alignbit_b32 v1, v2, v1, 1
	v_readfirstlane_b32 s2, v1
	s_delay_alu instid0(VALU_DEP_1)
	s_add_i32 s68, s2, 1
.LBB131_23:
	s_and_saveexec_b32 s2, s1
	s_cbranch_execz .LBB131_25
; %bb.24:
	v_dual_mov_b32 v1, 0 :: v_dual_mov_b32 v2, s24
	ds_store_b32 v1, v1 offset:4112
	ds_store_b64 v1, v[1:2] offset:4104
.LBB131_25:
	s_or_b32 exec_lo, exec_lo, s2
	s_waitcnt lgkmcnt(0)
	s_barrier
	buffer_gl0_inv
	s_load_b32 s7, s[4:5], 0xc
	v_mbcnt_lo_u32_b32 v13, -1, 0
	v_cmp_gt_u32_e32 vcc_lo, 32, v0
	v_lshrrev_b32_e32 v1, 3, v0
	v_dual_mov_b32 v7, 0 :: v_dual_lshlrev_b32 v14, 2, v0
	s_delay_alu instid0(VALU_DEP_4) | instskip(SKIP_1) | instid1(VALU_DEP_4)
	v_cmp_gt_i32_e64 s3, 4, v13
	v_lshlrev_b32_e32 v15, 1, v0
	v_and_b32_e32 v17, 0x7c, v1
	s_delay_alu instid0(VALU_DEP_4)
	v_or_b32_e32 v4, 2, v14
	v_mov_b32_e32 v6, v7
	s_and_b32 s42, vcc_lo, s3
	v_or_b32_e32 v21, 3, v14
	v_cmp_gt_u32_e64 s2, 2, v0
	v_mul_lo_u32 v20, s26, v4
	v_cmp_eq_u32_e64 s3, 0, v13
	v_dual_mov_b32 v27, 0 :: v_dual_add_nc_u32 v16, 0xc00, v15
	v_mul_lo_u32 v21, s26, v21
	v_lshlrev_b32_e32 v22, 2, v5
	s_waitcnt lgkmcnt(0)
	s_and_b32 s27, s7, 0xffff
	s_bfe_u32 s7, s7, 0xb0005
	s_lshl_b32 s41, s27, 2
	s_add_i32 s43, s27, -1
	v_cvt_f32_u32_e32 v2, s41
	s_add_i32 s8, s43, s24
	s_cmpk_gt_u32 s24, 0x600
	v_cvt_f32_u32_e32 v3, s27
	s_cselect_b32 s44, -1, 0
	v_rcp_iflag_f32_e32 v2, v2
	s_cmp_gt_u32 s27, 31
	v_mad_u64_u32 v[8:9], null, s26, v14, s[26:27]
	s_cselect_b32 s45, -1, 0
	s_cmp_lt_u32 s13, s6
	v_rcp_iflag_f32_e32 v3, v3
	s_cselect_b32 s6, 12, 18
	v_lshlrev_b32_e32 v24, 3, v0
	s_add_u32 s34, s4, s6
	s_waitcnt_depctr 0xfff
	v_mul_f32_e32 v2, 0x4f7ffffe, v2
	s_addc_u32 s35, s5, 0
	s_add_i32 s4, s7, -1
	s_bfe_u32 s46, s27, 0x30005
	s_cmp_gt_u32 s4, 6
	v_cvt_u32_f32_e32 v2, v2
	s_cselect_b32 s47, -1, 0
	s_and_b32 s48, s7, 0x7f8
	s_cmp_lg_u32 s46, 0
	v_lshl_or_b32 v25, v13, 2, 0xc00
	v_readfirstlane_b32 s4, v2
	s_cselect_b32 s49, -1, 0
	s_sub_i32 s5, 0, s41
	v_lshlrev_b64 v[1:2], v13, -1
	v_mul_f32_e32 v2, 0x4f7ffffe, v3
	s_mul_i32 s5, s5, s4
	v_mov_b32_e32 v26, 0x8000
	s_mul_hi_u32 s5, s4, s5
	s_mul_i32 s40, s26, s27
	s_add_i32 s50, s4, s5
	v_cvt_u32_f32_e32 v9, v2
	s_mul_hi_u32 s4, s24, s50
	v_lshlrev_b64 v[2:3], 1, v[5:6]
	s_mul_i32 s4, s4, s41
	v_not_b32_e32 v18, v1
	s_sub_i32 s4, s24, s4
	v_add3_u32 v1, s27, s24, v0
	s_sub_i32 s5, s4, s41
	s_cmp_ge_u32 s4, s41
	s_mov_b32 s39, 0
	s_cselect_b32 s4, s5, s4
	v_readfirstlane_b32 s5, v9
	s_sub_i32 s6, s4, s41
	s_cmp_ge_u32 s4, s41
	v_add_co_u32 v9, vcc_lo, s37, v2
	s_cselect_b32 s4, s6, s4
	s_sub_i32 s6, 0, s27
	s_sub_i32 s51, s24, s4
	s_mul_i32 s6, s6, s5
	v_add_nc_u32_e32 v19, s51, v0
	s_mul_hi_u32 s6, s5, s6
	v_add_co_ci_u32_e32 v10, vcc_lo, s38, v3, vcc_lo
	s_add_i32 s52, s5, s6
	s_delay_alu instid0(VALU_DEP_2)
	v_mul_lo_u32 v6, v19, s26
	s_mul_hi_u32 s5, s8, s52
	v_subrev_nc_u32_e32 v3, s4, v1
	s_mul_i32 s5, s5, s27
	v_cmp_gt_u32_e64 s4, s51, v14
	s_sub_i32 s5, s8, s5
	s_mov_b32 s61, 14
	s_sub_i32 s6, s5, s27
	s_cmp_ge_u32 s5, s27
	v_lshlrev_b64 v[1:2], 1, v[6:7]
	s_cselect_b32 s6, s6, s5
	v_mul_lo_u32 v23, s26, v3
	s_sub_i32 s7, s6, s27
	s_cmp_ge_u32 s6, s27
	v_cmp_gt_u32_e64 s5, s24, v19
	s_cselect_b32 s6, s7, s6
	v_add_co_u32 v11, vcc_lo, s37, v1
	s_sub_i32 s54, s8, s6
	v_add_co_ci_u32_e32 v12, vcc_lo, s38, v2, vcc_lo
	v_cmp_gt_u32_e64 s6, s54, v0
	s_lshl_b32 s53, s40, 2
	s_lshl_b32 s55, s27, 3
	;; [unrolled: 1-line block ×3, first 2 shown]
	s_movk_i32 s57, 0x3c00
	s_mov_b32 s64, 0
	s_mov_b32 s66, 0
	;; [unrolled: 1-line block ×3, first 2 shown]
                                        ; implicit-def: $sgpr58
                                        ; implicit-def: $sgpr60
                                        ; implicit-def: $sgpr59
                                        ; implicit-def: $sgpr63
                                        ; implicit-def: $sgpr65
                                        ; implicit-def: $sgpr62
	s_branch .LBB131_30
.LBB131_26:                             ;   in Loop: Header=BB131_30 Depth=1
	s_xor_b32 s64, s64, 1
	s_add_i32 s11, s61, -2
	s_cmp_eq_u32 s61, 0
	s_mov_b32 s7, 0
	s_cselect_b32 s9, -1, 0
	s_mov_b32 s61, s11
.LBB131_27:                             ;   in Loop: Header=BB131_30 Depth=1
	s_and_not1_b32 s11, s13, exec_lo
	s_and_b32 s7, s7, exec_lo
	s_and_not1_b32 s15, s15, exec_lo
	s_or_b32 s13, s11, s7
	s_and_not1_b32 s12, s12, exec_lo
	s_or_not1_b32 s11, s9, exec_lo
	s_mov_b32 s68, s20
.LBB131_28:                             ;   in Loop: Header=BB131_30 Depth=1
	s_or_b32 exec_lo, exec_lo, s8
	s_delay_alu instid0(SALU_CYCLE_1)
	s_and_not1_b32 s7, s62, exec_lo
	s_and_b32 s8, s13, exec_lo
	s_and_not1_b32 s9, s63, exec_lo
	s_or_b32 s62, s7, s8
	s_and_not1_b32 s7, s65, exec_lo
	s_and_b32 s8, s15, exec_lo
	s_and_b32 s12, s12, exec_lo
	s_or_b32 s65, s7, s8
	s_or_b32 s63, s9, s12
	s_or_not1_b32 s12, s11, exec_lo
.LBB131_29:                             ;   in Loop: Header=BB131_30 Depth=1
	s_or_b32 exec_lo, exec_lo, s10
	s_delay_alu instid0(SALU_CYCLE_1)
	s_and_b32 s7, exec_lo, s12
	v_mov_b32_e32 v1, s66
	s_or_b32 s39, s7, s39
	s_and_not1_b32 s7, s59, exec_lo
	s_and_b32 s8, s62, exec_lo
	s_and_not1_b32 s9, s58, exec_lo
	s_or_b32 s59, s7, s8
	s_and_not1_b32 s7, s60, exec_lo
	s_and_b32 s8, s65, exec_lo
	s_and_b32 s10, s63, exec_lo
	s_or_b32 s60, s7, s8
	s_or_b32 s58, s9, s10
	s_and_not1_b32 exec_lo, exec_lo, s39
	s_cbranch_execz .LBB131_260
.LBB131_30:                             ; =>This Loop Header: Depth=1
                                        ;     Child Loop BB131_35 Depth 2
                                        ;     Child Loop BB131_50 Depth 2
	;; [unrolled: 1-line block ×16, first 2 shown]
	ds_load_b64 v[1:2], v7 offset:4104
	s_waitcnt lgkmcnt(0)
	v_readfirstlane_b32 s69, v1
	s_delay_alu instid0(VALU_DEP_1)
	s_cmp_lg_u32 s69, 0
	s_cbranch_scc1 .LBB131_57
; %bb.31:                               ;   in Loop: Header=BB131_30 Depth=1
	s_and_b32 vcc_lo, exec_lo, s44
	s_cbranch_vccz .LBB131_43
; %bb.32:                               ;   in Loop: Header=BB131_30 Depth=1
	v_cmp_gt_u32_e32 vcc_lo, 0x601, v2
	s_mov_b32 s69, 0
	s_mov_b32 s7, 0
	s_cbranch_vccz .LBB131_44
; %bb.33:                               ;   in Loop: Header=BB131_30 Depth=1
	global_load_u16 v1, v7, s[34:35]
	global_load_u16 v4, v[9:10], off
	v_mov_b32_e32 v3, v0
	s_mov_b32 s9, 0
	s_waitcnt vmcnt(1)
	v_add_nc_u32_e32 v2, v0, v1
	s_delay_alu instid0(VALU_DEP_1)
	v_mul_lo_u32 v6, s26, v2
	v_mul_lo_u32 v2, s26, v1
	s_branch .LBB131_35
.LBB131_34:                             ;   in Loop: Header=BB131_35 Depth=2
	s_or_b32 exec_lo, exec_lo, s8
	v_add_nc_u32_e32 v6, v6, v2
	v_mov_b32_e32 v4, v28
	s_and_not1_b32 exec_lo, exec_lo, s9
	s_cbranch_execz .LBB131_145
.LBB131_35:                             ;   Parent Loop BB131_30 Depth=1
                                        ; =>  This Inner Loop Header: Depth=2
	v_dual_mov_b32 v28, 0 :: v_dual_add_nc_u32 v3, v3, v1
	s_waitcnt lgkmcnt(0)
	v_mov_b32_e32 v29, 0
	s_mov_b32 s8, exec_lo
	s_delay_alu instid0(VALU_DEP_2)
	v_cmp_le_u32_e32 vcc_lo, s24, v3
	v_cmpx_gt_u32_e64 s24, v3
	s_cbranch_execz .LBB131_37
; %bb.36:                               ;   in Loop: Header=BB131_35 Depth=2
	v_lshlrev_b64 v[30:31], 1, v[6:7]
	s_delay_alu instid0(VALU_DEP_1) | instskip(NEXT) | instid1(VALU_DEP_1)
	v_add_co_u32 v30, s7, s37, v30
	v_add_co_ci_u32_e64 v31, s7, s38, v31, s7
	global_load_u16 v28, v[30:31], off
.LBB131_37:                             ;   in Loop: Header=BB131_35 Depth=2
	s_or_b32 exec_lo, exec_lo, s8
	s_waitcnt vmcnt(0)
	v_cmp_lt_i16_e64 s7, -1, v4
	v_and_b32_e32 v30, 0xffff, v4
	s_delay_alu instid0(VALU_DEP_2) | instskip(SKIP_1) | instid1(VALU_DEP_2)
	v_cndmask_b32_e64 v31, 0xffff, v26, s7
	v_cmp_o_f16_e64 s7, v4, v4
	v_xor_b32_e32 v30, v31, v30
	s_delay_alu instid0(VALU_DEP_1) | instskip(NEXT) | instid1(VALU_DEP_1)
	v_cndmask_b32_e64 v30, 0xffff, v30, s7
	v_and_b32_e32 v30, s67, v30
	s_delay_alu instid0(VALU_DEP_1) | instskip(NEXT) | instid1(VALU_DEP_1)
	v_cmp_eq_u32_e64 s7, s66, v30
	s_cmp_lg_u32 s7, 0
	s_cselect_b32 s8, -1, 0
	s_delay_alu instid0(SALU_CYCLE_1) | instskip(NEXT) | instid1(SALU_CYCLE_1)
	s_and_b32 s8, s3, s8
	s_and_saveexec_b32 s10, s8
	s_cbranch_execz .LBB131_41
; %bb.38:                               ;   in Loop: Header=BB131_35 Depth=2
	s_mov_b32 s13, exec_lo
	s_bcnt1_i32_b32 s11, s7
	v_mbcnt_lo_u32_b32 v29, s13, 0
	s_mov_b32 s12, exec_lo
                                        ; implicit-def: $vgpr30
	s_delay_alu instid0(VALU_DEP_1)
	v_cmpx_eq_u32_e32 0, v29
	s_cbranch_execz .LBB131_40
; %bb.39:                               ;   in Loop: Header=BB131_35 Depth=2
	s_bcnt1_i32_b32 s8, s13
	s_delay_alu instid0(SALU_CYCLE_1) | instskip(NEXT) | instid1(SALU_CYCLE_1)
	s_mul_i32 s8, s11, s8
	v_mov_b32_e32 v30, s8
	ds_add_rtn_u32 v30, v7, v30 offset:4112
.LBB131_40:                             ;   in Loop: Header=BB131_35 Depth=2
	s_or_b32 exec_lo, exec_lo, s12
	s_waitcnt lgkmcnt(0)
	v_readfirstlane_b32 s8, v30
	s_delay_alu instid0(VALU_DEP_1)
	v_mad_u32_u24 v29, s11, v29, s8
.LBB131_41:                             ;   in Loop: Header=BB131_35 Depth=2
	s_or_b32 exec_lo, exec_lo, s10
	ds_bpermute_b32 v29, v7, v29
	s_and_b32 s8, exec_lo, vcc_lo
	s_delay_alu instid0(SALU_CYCLE_1)
	s_or_b32 s9, s8, s9
	s_and_saveexec_b32 s8, s7
	s_cbranch_execz .LBB131_34
; %bb.42:                               ;   in Loop: Header=BB131_35 Depth=2
	v_and_b32_e32 v30, s7, v18
	s_delay_alu instid0(VALU_DEP_1) | instskip(NEXT) | instid1(VALU_DEP_1)
	v_bcnt_u32_b32 v30, v30, 0
	v_lshlrev_b32_e32 v30, 1, v30
	s_waitcnt lgkmcnt(0)
	s_delay_alu instid0(VALU_DEP_1)
	v_lshl_add_u32 v29, v29, 1, v30
	ds_store_b16 v29, v4
	s_branch .LBB131_34
.LBB131_43:                             ;   in Loop: Header=BB131_30 Depth=1
	s_mov_b32 s69, -1
	s_mov_b32 s7, 0
.LBB131_44:                             ;   in Loop: Header=BB131_30 Depth=1
	s_and_b32 vcc_lo, exec_lo, s69
	s_cbranch_vccz .LBB131_55
.LBB131_45:                             ;   in Loop: Header=BB131_30 Depth=1
	v_mov_b32_e32 v1, 0
	s_and_saveexec_b32 s7, s0
	s_cbranch_execz .LBB131_47
; %bb.46:                               ;   in Loop: Header=BB131_30 Depth=1
	global_load_u16 v1, v[9:10], off
.LBB131_47:                             ;   in Loop: Header=BB131_30 Depth=1
	s_or_b32 exec_lo, exec_lo, s7
	s_and_saveexec_b32 s8, s0
	s_cbranch_execz .LBB131_52
; %bb.48:                               ;   in Loop: Header=BB131_30 Depth=1
	global_load_u16 v2, v7, s[34:35]
	s_mov_b32 s9, 0
	v_dual_mov_b32 v28, v15 :: v_dual_mov_b32 v29, v0
	s_waitcnt vmcnt(0)
	v_add_nc_u32_e32 v3, v0, v2
	v_lshlrev_b32_e32 v4, 1, v2
	s_delay_alu instid0(VALU_DEP_2)
	v_mul_lo_u32 v6, s26, v3
	v_mul_lo_u32 v3, s26, v2
	s_set_inst_prefetch_distance 0x1
	s_branch .LBB131_50
	.p2align	6
.LBB131_49:                             ;   in Loop: Header=BB131_50 Depth=2
	s_or_b32 exec_lo, exec_lo, s10
	ds_store_b16 v28, v1
	s_waitcnt vmcnt(0)
	v_dual_mov_b32 v1, v30 :: v_dual_add_nc_u32 v28, v28, v4
	v_add_nc_u32_e32 v6, v6, v3
	s_and_b32 s7, exec_lo, vcc_lo
	s_delay_alu instid0(SALU_CYCLE_1) | instskip(NEXT) | instid1(SALU_CYCLE_1)
	s_or_b32 s9, s7, s9
	s_and_not1_b32 exec_lo, exec_lo, s9
	s_cbranch_execz .LBB131_52
.LBB131_50:                             ;   Parent Loop BB131_30 Depth=1
                                        ; =>  This Inner Loop Header: Depth=2
	v_dual_mov_b32 v30, 0 :: v_dual_add_nc_u32 v29, v29, v2
	s_mov_b32 s10, exec_lo
	s_delay_alu instid0(VALU_DEP_1)
	v_cmp_le_u32_e32 vcc_lo, s24, v29
	v_cmpx_gt_u32_e64 s24, v29
	s_cbranch_execz .LBB131_49
; %bb.51:                               ;   in Loop: Header=BB131_50 Depth=2
	v_lshlrev_b64 v[30:31], 1, v[6:7]
	s_delay_alu instid0(VALU_DEP_1) | instskip(NEXT) | instid1(VALU_DEP_1)
	v_add_co_u32 v30, s7, s37, v30
	v_add_co_ci_u32_e64 v31, s7, s38, v31, s7
	global_load_u16 v30, v[30:31], off
	s_branch .LBB131_49
.LBB131_52:                             ;   in Loop: Header=BB131_30 Depth=1
	s_set_inst_prefetch_distance 0x2
	s_or_b32 exec_lo, exec_lo, s8
	s_waitcnt vmcnt(0) lgkmcnt(0)
	s_barrier
	buffer_gl0_inv
	s_and_saveexec_b32 s7, s1
	s_cbranch_execz .LBB131_54
; %bb.53:                               ;   in Loop: Header=BB131_30 Depth=1
	v_mov_b32_e32 v1, s24
	ds_store_b32 v7, v1 offset:4104
.LBB131_54:                             ;   in Loop: Header=BB131_30 Depth=1
	s_or_b32 exec_lo, exec_lo, s7
	s_mov_b32 s7, -1
	s_waitcnt lgkmcnt(0)
	s_barrier
                                        ; implicit-def: $sgpr69
.LBB131_55:                             ;   in Loop: Header=BB131_30 Depth=1
	s_and_b32 vcc_lo, exec_lo, s7
	s_cbranch_vccz .LBB131_57
; %bb.56:                               ;   in Loop: Header=BB131_30 Depth=1
	buffer_gl0_inv
	ds_load_b32 v1, v7 offset:4104
	s_waitcnt lgkmcnt(0)
	v_readfirstlane_b32 s69, v1
.LBB131_57:                             ;   in Loop: Header=BB131_30 Depth=1
	s_delay_alu instid0(VALU_DEP_1)
	s_cmp_lt_i32 s69, 1
	s_cbranch_scc0 .LBB131_61
; %bb.58:                               ;   in Loop: Header=BB131_30 Depth=1
	v_dual_mov_b32 v1, 0 :: v_dual_mov_b32 v2, 0
	v_dual_mov_b32 v3, 0 :: v_dual_mov_b32 v4, 0
	s_mov_b32 s19, 0
	s_and_saveexec_b32 s18, s4
	s_cbranch_execnz .LBB131_62
; %bb.59:                               ;   in Loop: Header=BB131_30 Depth=1
	s_or_b32 exec_lo, exec_lo, s18
	v_mov_b32_e32 v29, 0
	s_and_saveexec_b32 s7, s5
	s_cbranch_execnz .LBB131_65
.LBB131_60:                             ;   in Loop: Header=BB131_30 Depth=1
	s_or_b32 exec_lo, exec_lo, s7
	s_and_saveexec_b32 s11, s5
	s_cbranch_execnz .LBB131_66
	s_branch .LBB131_71
.LBB131_61:                             ;   in Loop: Header=BB131_30 Depth=1
                                        ; implicit-def: $vgpr4
	s_cbranch_execnz .LBB131_72
	s_branch .LBB131_81
.LBB131_62:                             ;   in Loop: Header=BB131_30 Depth=1
	v_mov_b32_e32 v28, v14
	s_and_b32 s20, s61, 0xfe
	s_mov_b32 s70, 0
	s_mov_b32 s71, 0
	s_mov_b32 s72, 0
	s_mov_b32 s73, 0
	s_mov_b32 s74, 0
.LBB131_63:                             ;   Parent Loop BB131_30 Depth=1
                                        ; =>  This Inner Loop Header: Depth=2
	v_add_nc_u32_e32 v6, s70, v22
	v_add_nc_u32_e32 v28, s41, v28
	s_delay_alu instid0(VALU_DEP_2) | instskip(SKIP_1) | instid1(VALU_DEP_1)
	v_lshlrev_b64 v[1:2], 1, v[6:7]
	v_add_nc_u32_e32 v6, s70, v8
	v_lshlrev_b64 v[3:4], 1, v[6:7]
	s_delay_alu instid0(VALU_DEP_3) | instskip(SKIP_2) | instid1(VALU_DEP_4)
	v_add_co_u32 v1, vcc_lo, s37, v1
	v_add_nc_u32_e32 v6, s70, v20
	v_add_co_ci_u32_e32 v2, vcc_lo, s38, v2, vcc_lo
	v_add_co_u32 v3, vcc_lo, s37, v3
	s_delay_alu instid0(VALU_DEP_3)
	v_lshlrev_b64 v[29:30], 1, v[6:7]
	v_add_nc_u32_e32 v6, s70, v21
	v_add_co_ci_u32_e32 v4, vcc_lo, s38, v4, vcc_lo
	global_load_u16 v31, v[1:2], off
	s_add_i32 s70, s70, s53
	v_lshlrev_b64 v[1:2], 1, v[6:7]
	global_load_u16 v6, v[3:4], off
	v_add_co_u32 v3, vcc_lo, s37, v29
	v_add_co_ci_u32_e32 v4, vcc_lo, s38, v30, vcc_lo
	v_add_co_u32 v1, vcc_lo, s37, v1
	v_add_co_ci_u32_e32 v2, vcc_lo, s38, v2, vcc_lo
	global_load_u16 v3, v[3:4], off
	v_cmp_le_u32_e32 vcc_lo, s51, v28
	global_load_u16 v1, v[1:2], off
	s_waitcnt vmcnt(3)
	v_cmp_lt_i16_e64 s7, -1, v31
	v_and_b32_e32 v2, 0xffff, v31
	s_waitcnt vmcnt(2)
	v_and_b32_e32 v29, 0xffff, v6
	s_delay_alu instid0(VALU_DEP_3) | instskip(SKIP_1) | instid1(VALU_DEP_2)
	v_cndmask_b32_e64 v4, 0xffff, v26, s7
	v_cmp_lt_i16_e64 s7, -1, v6
	v_xor_b32_e32 v2, v4, v2
	s_delay_alu instid0(VALU_DEP_2)
	v_cndmask_b32_e64 v30, 0xffff, v26, s7
	v_cmp_o_f16_e64 s7, v31, v31
	s_waitcnt vmcnt(1)
	v_cmp_lt_i16_e64 s8, -1, v3
	s_waitcnt vmcnt(0)
	v_cmp_o_f16_e64 s12, v1, v1
	v_xor_b32_e32 v4, v30, v29
	v_cndmask_b32_e64 v2, 0xffff, v2, s7
	v_cmp_o_f16_e64 s7, v6, v6
	v_and_b32_e32 v29, 0xffff, v3
	v_cndmask_b32_e64 v30, 0xffff, v26, s8
	s_delay_alu instid0(VALU_DEP_4) | instskip(NEXT) | instid1(VALU_DEP_4)
	v_and_b32_e32 v31, s67, v2
	v_cndmask_b32_e64 v4, 0xffff, v4, s7
	v_cmp_lt_i16_e64 s7, -1, v1
	s_delay_alu instid0(VALU_DEP_4) | instskip(SKIP_2) | instid1(VALU_DEP_4)
	v_xor_b32_e32 v6, v30, v29
	v_bfe_u32 v2, v2, s20, 2
	v_and_b32_e32 v29, 0xffff, v1
	v_cndmask_b32_e64 v30, 0xffff, v26, s7
	v_cmp_o_f16_e64 s7, v3, v3
	s_delay_alu instid0(VALU_DEP_4)
	v_cmp_eq_u32_e64 s8, 0, v2
	v_cmp_eq_u32_e64 s9, 1, v2
	;; [unrolled: 1-line block ×4, first 2 shown]
	v_cndmask_b32_e64 v3, 0xffff, v6, s7
	v_cmp_eq_u32_e64 s7, s66, v31
	v_xor_b32_e32 v6, v30, v29
	v_and_b32_e32 v29, s67, v4
	v_bfe_u32 v4, v4, s20, 2
	v_and_b32_e32 v2, s67, v3
	s_and_b32 s8, s7, s8
	v_cndmask_b32_e64 v1, 0xffff, v6, s12
	v_cmp_eq_u32_e64 s12, s66, v29
	v_cmp_eq_u32_e64 s13, 0, v4
	v_cndmask_b32_e64 v6, 0, 1, s8
	v_cmp_eq_u32_e64 s8, 1, v4
	s_and_b32 s9, s7, s9
	v_bfe_u32 v3, v3, s20, 2
	v_cndmask_b32_e64 v29, 0, 1, s9
	v_cmp_eq_u32_e64 s9, 2, v4
	s_and_b32 s10, s7, s10
	s_and_b32 s7, s7, s11
	v_cndmask_b32_e64 v30, 0, 1, s10
	s_and_b32 s13, s12, s13
	s_and_b32 s8, s12, s8
	v_cmp_eq_u32_e64 s10, 3, v4
	v_cndmask_b32_e64 v4, 0, 1, s7
	v_cmp_eq_u32_e64 s7, s66, v2
	v_cmp_eq_u32_e64 s11, 0, v3
	v_cmp_ne_u32_e64 s14, 0, v6
	v_cndmask_b32_e64 v6, 0, 1, s13
	v_cmp_eq_u32_e64 s13, 1, v3
	v_cmp_ne_u32_e64 s15, 0, v29
	v_cndmask_b32_e64 v29, 0, 1, s8
	v_cmp_eq_u32_e64 s8, 2, v3
	s_and_b32 s9, s12, s9
	v_and_b32_e32 v2, s67, v1
	v_bfe_u32 v1, v1, s20, 2
	v_cmp_ne_u32_e64 s16, 0, v30
	v_cndmask_b32_e64 v30, 0, 1, s9
	v_cmp_eq_u32_e64 s9, 3, v3
	s_and_b32 s10, s12, s10
	s_and_b32 s11, s7, s11
	;; [unrolled: 1-line block ×4, first 2 shown]
	v_cmp_ne_u32_e64 s17, 0, v4
	v_cndmask_b32_e64 v3, 0, 1, s10
	v_cmp_eq_u32_e64 s10, s66, v2
	v_cmp_eq_u32_e64 s12, 0, v1
	s_bcnt1_i32_b32 s75, s14
	v_cmp_ne_u32_e64 s14, 0, v6
	v_cndmask_b32_e64 v2, 0, 1, s11
	v_cmp_eq_u32_e64 s11, 1, v1
	v_cndmask_b32_e64 v4, 0, 1, s13
	v_cmp_eq_u32_e64 s13, 2, v1
	;; [unrolled: 2-line block ×3, first 2 shown]
	s_and_b32 s7, s7, s9
	s_bcnt1_i32_b32 s78, s17
	v_cndmask_b32_e64 v1, 0, 1, s7
	v_cmp_ne_u32_e64 s17, 0, v3
	s_and_b32 s9, s10, s12
	s_and_b32 s11, s10, s11
	;; [unrolled: 1-line block ×4, first 2 shown]
	v_cmp_ne_u32_e64 s7, 0, v2
	v_cndmask_b32_e64 v2, 0, 1, s9
	v_cmp_ne_u32_e64 s9, 0, v4
	v_cndmask_b32_e64 v3, 0, 1, s11
	v_cndmask_b32_e64 v4, 0, 1, s12
	v_cmp_ne_u32_e64 s12, 0, v1
	v_cndmask_b32_e64 v1, 0, 1, s8
	s_bcnt1_i32_b32 s76, s15
	v_cmp_ne_u32_e64 s15, 0, v29
	s_bcnt1_i32_b32 s77, s16
	v_cmp_ne_u32_e64 s16, 0, v30
	s_add_i32 s71, s78, s71
	v_cmp_ne_u32_e64 s11, 0, v6
	s_bcnt1_i32_b32 s13, s17
	s_bcnt1_i32_b32 s17, s7
	s_add_i32 s13, s71, s13
	v_cmp_ne_u32_e64 s7, 0, v2
	s_bcnt1_i32_b32 s71, s9
	v_cmp_ne_u32_e64 s8, 0, v3
	v_cmp_ne_u32_e64 s9, 0, v4
	;; [unrolled: 1-line block ×3, first 2 shown]
	s_add_i32 s74, s75, s74
	s_add_i32 s73, s76, s73
	;; [unrolled: 1-line block ×3, first 2 shown]
	s_bcnt1_i32_b32 s14, s14
	s_bcnt1_i32_b32 s15, s15
	;; [unrolled: 1-line block ×3, first 2 shown]
	s_add_i32 s14, s74, s14
	s_add_i32 s15, s73, s15
	;; [unrolled: 1-line block ×3, first 2 shown]
	s_bcnt1_i32_b32 s11, s11
	s_bcnt1_i32_b32 s12, s12
	s_add_i32 s14, s14, s17
	s_add_i32 s15, s15, s71
	;; [unrolled: 1-line block ×4, first 2 shown]
	s_bcnt1_i32_b32 s7, s7
	s_bcnt1_i32_b32 s8, s8
	;; [unrolled: 1-line block ×4, first 2 shown]
	s_add_i32 s74, s14, s7
	s_add_i32 s73, s15, s8
	;; [unrolled: 1-line block ×4, first 2 shown]
	s_delay_alu instid0(SALU_CYCLE_1) | instskip(SKIP_2) | instid1(SALU_CYCLE_1)
	v_dual_mov_b32 v1, s74 :: v_dual_mov_b32 v4, s71
	v_dual_mov_b32 v2, s73 :: v_dual_mov_b32 v3, s72
	s_or_b32 s19, vcc_lo, s19
	s_and_not1_b32 exec_lo, exec_lo, s19
	s_cbranch_execnz .LBB131_63
; %bb.64:                               ;   in Loop: Header=BB131_30 Depth=1
	s_or_b32 exec_lo, exec_lo, s19
	s_delay_alu instid0(SALU_CYCLE_1)
	s_or_b32 exec_lo, exec_lo, s18
	v_mov_b32_e32 v29, 0
	s_and_saveexec_b32 s7, s5
	s_cbranch_execz .LBB131_60
.LBB131_65:                             ;   in Loop: Header=BB131_30 Depth=1
	global_load_u16 v29, v[11:12], off
	s_or_b32 exec_lo, exec_lo, s7
	s_and_saveexec_b32 s11, s5
	s_cbranch_execz .LBB131_71
.LBB131_66:                             ;   in Loop: Header=BB131_30 Depth=1
	v_mov_b32_e32 v6, v23
	v_mov_b32_e32 v28, v19
	s_and_b32 s13, s61, 0xfe
	s_mov_b32 s12, 0
	s_branch .LBB131_68
.LBB131_67:                             ;   in Loop: Header=BB131_68 Depth=2
	s_or_b32 exec_lo, exec_lo, s8
	s_waitcnt vmcnt(0)
	v_cmp_lt_i16_e64 s7, -1, v29
	v_and_b32_e32 v31, 0xffff, v29
	s_and_b32 s8, exec_lo, vcc_lo
	v_add_nc_u32_e32 v6, s40, v6
	s_or_b32 s12, s8, s12
	v_cndmask_b32_e64 v32, 0xffff, v26, s7
	v_cmp_o_f16_e64 s7, v29, v29
	s_delay_alu instid0(VALU_DEP_2) | instskip(NEXT) | instid1(VALU_DEP_1)
	v_xor_b32_e32 v31, v32, v31
	v_cndmask_b32_e64 v29, 0xffff, v31, s7
	s_delay_alu instid0(VALU_DEP_1) | instskip(SKIP_1) | instid1(VALU_DEP_2)
	v_and_b32_e32 v31, s67, v29
	v_bfe_u32 v29, v29, s13, 2
	v_cmp_eq_u32_e32 vcc_lo, s66, v31
	s_delay_alu instid0(VALU_DEP_2) | instskip(SKIP_3) | instid1(VALU_DEP_4)
	v_cmp_eq_u32_e64 s7, 0, v29
	v_cmp_eq_u32_e64 s8, 1, v29
	;; [unrolled: 1-line block ×4, first 2 shown]
	s_and_b32 s7, vcc_lo, s7
	s_delay_alu instid0(SALU_CYCLE_1) | instskip(SKIP_1) | instid1(SALU_CYCLE_1)
	v_cndmask_b32_e64 v29, 0, 1, s7
	s_and_b32 s7, vcc_lo, s8
	v_cndmask_b32_e64 v31, 0, 1, s7
	s_and_b32 s7, vcc_lo, s9
	s_delay_alu instid0(SALU_CYCLE_1)
	v_cndmask_b32_e64 v32, 0, 1, s7
	s_and_b32 s7, vcc_lo, s10
	v_cmp_ne_u32_e32 vcc_lo, 0, v29
	v_mov_b32_e32 v29, v30
	v_cndmask_b32_e64 v33, 0, 1, s7
	v_cmp_ne_u32_e64 s7, 0, v31
	v_cmp_ne_u32_e64 s8, 0, v32
	s_bcnt1_i32_b32 s10, vcc_lo
	s_delay_alu instid0(VALU_DEP_3) | instskip(NEXT) | instid1(VALU_DEP_3)
	v_cmp_ne_u32_e64 s9, 0, v33
	s_bcnt1_i32_b32 s7, s7
	s_delay_alu instid0(VALU_DEP_2)
	s_bcnt1_i32_b32 s8, s8
	v_add_nc_u32_e32 v1, s10, v1
	v_add_nc_u32_e32 v2, s7, v2
	s_bcnt1_i32_b32 s9, s9
	v_add_nc_u32_e32 v3, s8, v3
	v_add_nc_u32_e32 v4, s9, v4
	s_and_not1_b32 exec_lo, exec_lo, s12
	s_cbranch_execz .LBB131_70
.LBB131_68:                             ;   Parent Loop BB131_30 Depth=1
                                        ; =>  This Inner Loop Header: Depth=2
	s_delay_alu instid0(VALU_DEP_1) | instskip(SKIP_2) | instid1(VALU_DEP_2)
	v_add_nc_u32_e32 v28, s27, v28
	v_mov_b32_e32 v30, 0
	s_mov_b32 s8, exec_lo
	v_cmp_le_u32_e32 vcc_lo, s24, v28
	v_cmpx_gt_u32_e64 s24, v28
	s_cbranch_execz .LBB131_67
; %bb.69:                               ;   in Loop: Header=BB131_68 Depth=2
	v_lshlrev_b64 v[30:31], 1, v[6:7]
	s_delay_alu instid0(VALU_DEP_1) | instskip(NEXT) | instid1(VALU_DEP_1)
	v_add_co_u32 v30, s7, s37, v30
	v_add_co_ci_u32_e64 v31, s7, s38, v31, s7
	global_load_u16 v30, v[30:31], off
	s_branch .LBB131_67
.LBB131_70:                             ;   in Loop: Header=BB131_30 Depth=1
	s_or_b32 exec_lo, exec_lo, s12
.LBB131_71:                             ;   in Loop: Header=BB131_30 Depth=1
	s_delay_alu instid0(SALU_CYCLE_1)
	s_or_b32 exec_lo, exec_lo, s11
	s_branch .LBB131_81
.LBB131_72:                             ;   in Loop: Header=BB131_30 Depth=1
	s_mul_hi_u32 s7, s69, s50
	v_dual_mov_b32 v1, 0 :: v_dual_mov_b32 v2, 0
	s_mul_i32 s7, s7, s41
	v_dual_mov_b32 v3, 0 :: v_dual_mov_b32 v4, 0
	s_sub_i32 s7, s69, s7
	s_mov_b32 s72, 0
	s_sub_i32 s8, s7, s41
	s_cmp_ge_u32 s7, s41
	s_mov_b32 s71, exec_lo
	s_cselect_b32 s7, s8, s7
	s_delay_alu instid0(SALU_CYCLE_1) | instskip(SKIP_2) | instid1(SALU_CYCLE_1)
	s_sub_i32 s8, s7, s41
	s_cmp_ge_u32 s7, s41
	s_cselect_b32 s7, s8, s7
	s_sub_i32 s70, s69, s7
	s_delay_alu instid0(SALU_CYCLE_1)
	v_cmpx_gt_u32_e64 s70, v14
	s_cbranch_execz .LBB131_76
; %bb.73:                               ;   in Loop: Header=BB131_30 Depth=1
	v_mov_b32_e32 v6, v24
	v_mov_b32_e32 v28, v14
	s_and_b32 s73, s61, 0xfe
	s_mov_b32 s74, 0
	s_mov_b32 s75, 0
	;; [unrolled: 1-line block ×4, first 2 shown]
.LBB131_74:                             ;   Parent Loop BB131_30 Depth=1
                                        ; =>  This Inner Loop Header: Depth=2
	ds_load_b64 v[1:2], v6
	s_waitcnt lgkmcnt(0)
	v_cmp_lt_i16_e64 s7, -1, v1
	v_lshrrev_b32_e32 v3, 16, v1
	v_lshrrev_b32_e32 v32, 16, v2
	v_and_b32_e32 v4, 0xffff, v1
	v_and_b32_e32 v30, 0xffff, v2
	s_waitcnt vmcnt(0)
	v_cndmask_b32_e64 v29, 0xffff, v26, s7
	v_cmp_lt_i16_e64 s7, -1, v2
	v_cmp_lt_i16_e64 s8, -1, v32
	s_delay_alu instid0(VALU_DEP_3) | instskip(NEXT) | instid1(VALU_DEP_3)
	v_xor_b32_e32 v4, v29, v4
	v_cndmask_b32_e64 v31, 0xffff, v26, s7
	v_cmp_lt_i16_e64 s7, -1, v3
	s_delay_alu instid0(VALU_DEP_2) | instskip(NEXT) | instid1(VALU_DEP_2)
	v_xor_b32_e32 v30, v31, v30
	v_cndmask_b32_e64 v29, 0xffff, v26, s7
	v_cmp_o_f16_e64 s7, v2, v2
	v_cndmask_b32_e64 v2, 0xffff, v26, s8
	v_cmp_o_f16_e64 s8, v1, v1
	s_delay_alu instid0(VALU_DEP_2) | instskip(NEXT) | instid1(VALU_DEP_2)
	v_xor_b32_e32 v2, v2, v32
	v_cndmask_b32_e64 v1, 0xffff, v4, s8
	v_xor_b32_e32 v4, v29, v3
	v_cmp_o_f16_e64 s8, v3, v3
	v_cndmask_b32_e64 v29, 0xffff, v30, s7
	v_cmp_o_f16_e64 s7, v32, v32
	s_delay_alu instid0(VALU_DEP_3)
	v_cndmask_b32_e64 v3, 0xffff, v4, s8
	v_and_b32_e32 v4, s67, v1
	v_bfe_u32 v1, v1, s73, 2
	v_and_b32_e32 v30, s67, v29
	v_bfe_u32 v29, v29, s73, 2
	v_cndmask_b32_e64 v2, 0xffff, v2, s7
	v_cmp_eq_u32_e64 s7, s66, v4
	v_and_b32_e32 v4, s67, v3
	v_bfe_u32 v3, v3, s73, 2
	v_cmp_eq_u32_e64 s9, 0, v1
	v_cmp_eq_u32_e64 s11, 1, v1
	;; [unrolled: 1-line block ×8, first 2 shown]
	v_and_b32_e32 v30, s67, v2
	v_bfe_u32 v2, v2, s73, 2
	v_cmp_eq_u32_e64 s16, 3, v29
	v_cmp_eq_u32_e64 s17, s66, v4
	;; [unrolled: 1-line block ×3, first 2 shown]
	s_and_b32 s9, s7, s9
	s_and_b32 s11, s7, s11
	;; [unrolled: 1-line block ×3, first 2 shown]
	v_cndmask_b32_e64 v1, 0, 1, s9
	s_and_b32 s9, s8, s10
	v_cndmask_b32_e64 v29, 0, 1, s11
	s_and_b32 s11, s8, s12
	;; [unrolled: 2-line block ×3, first 2 shown]
	s_and_b32 s7, s7, s15
	v_cmp_eq_u32_e64 s18, s66, v30
	v_cmp_eq_u32_e64 s20, 0, v2
	v_cndmask_b32_e64 v4, 0, 1, s9
	v_cmp_eq_u32_e64 s9, 1, v3
	v_cmp_eq_u32_e64 s10, 1, v2
	v_cndmask_b32_e64 v30, 0, 1, s11
	;; [unrolled: 3-line block ×4, first 2 shown]
	s_and_b32 s7, s8, s16
	s_and_b32 s8, s17, s19
	v_cndmask_b32_e64 v3, 0, 1, s7
	v_cmp_ne_u32_e64 s7, 0, v1
	v_cndmask_b32_e64 v1, 0, 1, s8
	s_and_b32 s15, s18, s20
	s_and_b32 s9, s17, s9
	;; [unrolled: 1-line block ×6, first 2 shown]
	v_cmp_ne_u32_e64 s8, 0, v4
	v_cndmask_b32_e64 v4, 0, 1, s15
	v_cmp_ne_u32_e64 s15, 0, v29
	v_cndmask_b32_e64 v29, 0, 1, s9
	;; [unrolled: 2-line block ×6, first 2 shown]
	s_bcnt1_i32_b32 s16, s7
	v_cmp_ne_u32_e64 s7, 0, v1
	s_and_b32 s14, s18, s14
	v_cmp_ne_u32_e64 s13, 0, v3
	v_cndmask_b32_e64 v3, 0, 1, s14
	s_bcnt1_i32_b32 s17, s8
	v_cmp_ne_u32_e64 s8, 0, v4
	v_cmp_ne_u32_e64 s14, 0, v29
	s_bcnt1_i32_b32 s19, s10
	v_cmp_ne_u32_e64 s10, 0, v31
	s_bcnt1_i32_b32 s78, s12
	v_cmp_ne_u32_e64 s12, 0, v2
	s_add_i32 s16, s16, s77
	s_bcnt1_i32_b32 s7, s7
	s_bcnt1_i32_b32 s15, s15
	s_add_i32 s7, s16, s7
	s_bcnt1_i32_b32 s18, s9
	v_cmp_ne_u32_e64 s9, 0, v30
	s_bcnt1_i32_b32 s20, s11
	v_cmp_ne_u32_e64 s11, 0, v32
	;; [unrolled: 2-line block ×3, first 2 shown]
	s_bcnt1_i32_b32 s8, s8
	s_add_i32 s7, s7, s17
	s_add_i32 s15, s15, s76
	;; [unrolled: 1-line block ×4, first 2 shown]
	s_bcnt1_i32_b32 s14, s14
	s_bcnt1_i32_b32 s10, s10
	;; [unrolled: 1-line block ×3, first 2 shown]
	s_add_i32 s77, s7, s8
	s_delay_alu instid0(SALU_CYCLE_1)
	v_dual_mov_b32 v1, s77 :: v_dual_add_nc_u32 v28, s41, v28
	s_add_i32 s14, s15, s14
	s_add_i32 s10, s19, s10
	;; [unrolled: 1-line block ×3, first 2 shown]
	s_bcnt1_i32_b32 s9, s9
	s_bcnt1_i32_b32 s11, s11
	;; [unrolled: 1-line block ×3, first 2 shown]
	s_add_i32 s14, s14, s18
	s_add_i32 s10, s10, s20
	;; [unrolled: 1-line block ×3, first 2 shown]
	v_cmp_le_u32_e32 vcc_lo, s70, v28
	s_add_i32 s76, s14, s9
	s_add_i32 s75, s10, s11
	s_add_i32 s74, s12, s13
	v_dual_mov_b32 v3, s75 :: v_dual_add_nc_u32 v6, s55, v6
	v_mov_b32_e32 v2, s76
	v_mov_b32_e32 v4, s74
	s_or_b32 s72, vcc_lo, s72
	s_delay_alu instid0(SALU_CYCLE_1)
	s_and_not1_b32 exec_lo, exec_lo, s72
	s_cbranch_execnz .LBB131_74
; %bb.75:                               ;   in Loop: Header=BB131_30 Depth=1
	s_or_b32 exec_lo, exec_lo, s72
.LBB131_76:                             ;   in Loop: Header=BB131_30 Depth=1
	s_delay_alu instid0(SALU_CYCLE_1) | instskip(SKIP_2) | instid1(VALU_DEP_1)
	s_or_b32 exec_lo, exec_lo, s71
	v_add_nc_u32_e32 v6, s70, v0
	s_mov_b32 s12, exec_lo
	v_cmpx_gt_u32_e64 s69, v6
	s_cbranch_execz .LBB131_80
; %bb.77:                               ;   in Loop: Header=BB131_30 Depth=1
	v_lshlrev_b32_e32 v28, 1, v6
	s_and_b32 s14, s61, 0xfe
	s_mov_b32 s13, 0
.LBB131_78:                             ;   Parent Loop BB131_30 Depth=1
                                        ; =>  This Inner Loop Header: Depth=2
	s_waitcnt vmcnt(0)
	ds_load_u16 v29, v28
	v_add_nc_u32_e32 v6, s27, v6
	v_add_nc_u32_e32 v28, s56, v28
	s_delay_alu instid0(VALU_DEP_2) | instskip(SKIP_3) | instid1(VALU_DEP_2)
	v_cmp_le_u32_e32 vcc_lo, s69, v6
	s_waitcnt lgkmcnt(0)
	v_cmp_lt_i16_e64 s7, -1, v29
	v_and_b32_e32 v30, 0xffff, v29
	v_cndmask_b32_e64 v31, 0xffff, v26, s7
	v_cmp_o_f16_e64 s7, v29, v29
	s_delay_alu instid0(VALU_DEP_2) | instskip(NEXT) | instid1(VALU_DEP_1)
	v_xor_b32_e32 v30, v31, v30
	v_cndmask_b32_e64 v29, 0xffff, v30, s7
	s_delay_alu instid0(VALU_DEP_1) | instskip(SKIP_1) | instid1(VALU_DEP_2)
	v_and_b32_e32 v30, s67, v29
	v_bfe_u32 v29, v29, s14, 2
	v_cmp_eq_u32_e64 s7, s66, v30
	s_delay_alu instid0(VALU_DEP_2) | instskip(SKIP_3) | instid1(VALU_DEP_4)
	v_cmp_eq_u32_e64 s8, 0, v29
	v_cmp_eq_u32_e64 s9, 1, v29
	v_cmp_eq_u32_e64 s10, 2, v29
	v_cmp_eq_u32_e64 s11, 3, v29
	s_and_b32 s8, s7, s8
	s_delay_alu instid0(SALU_CYCLE_1) | instskip(SKIP_1) | instid1(SALU_CYCLE_1)
	v_cndmask_b32_e64 v29, 0, 1, s8
	s_and_b32 s8, s7, s9
	v_cndmask_b32_e64 v30, 0, 1, s8
	s_and_b32 s8, s7, s10
	s_and_b32 s7, s7, s11
	v_cndmask_b32_e64 v31, 0, 1, s8
	v_cndmask_b32_e64 v32, 0, 1, s7
	v_cmp_ne_u32_e64 s7, 0, v29
	v_cmp_ne_u32_e64 s8, 0, v30
	s_delay_alu instid0(VALU_DEP_4) | instskip(NEXT) | instid1(VALU_DEP_4)
	v_cmp_ne_u32_e64 s9, 0, v31
	v_cmp_ne_u32_e64 s10, 0, v32
	s_delay_alu instid0(VALU_DEP_4) | instskip(NEXT) | instid1(VALU_DEP_3)
	s_bcnt1_i32_b32 s7, s7
	s_bcnt1_i32_b32 s8, s8
	v_add_nc_u32_e32 v1, s7, v1
	s_bcnt1_i32_b32 s9, s9
	s_bcnt1_i32_b32 s10, s10
	v_add_nc_u32_e32 v2, s8, v2
	v_add_nc_u32_e32 v3, s9, v3
	;; [unrolled: 1-line block ×3, first 2 shown]
	s_or_b32 s13, vcc_lo, s13
	s_delay_alu instid0(SALU_CYCLE_1)
	s_and_not1_b32 exec_lo, exec_lo, s13
	s_cbranch_execnz .LBB131_78
; %bb.79:                               ;   in Loop: Header=BB131_30 Depth=1
	s_or_b32 exec_lo, exec_lo, s13
.LBB131_80:                             ;   in Loop: Header=BB131_30 Depth=1
	s_delay_alu instid0(SALU_CYCLE_1)
	s_or_b32 exec_lo, exec_lo, s12
.LBB131_81:                             ;   in Loop: Header=BB131_30 Depth=1
	s_lshl_b32 s7, s64, 7
	s_and_saveexec_b32 s8, s3
	s_cbranch_execz .LBB131_83
; %bb.82:                               ;   in Loop: Header=BB131_30 Depth=1
	v_or_b32_e32 v6, s7, v17
	s_delay_alu instid0(VALU_DEP_1)
	v_lshlrev_b32_e32 v6, 2, v6
	ds_store_b128 v6, v[1:4] offset:3072
.LBB131_83:                             ;   in Loop: Header=BB131_30 Depth=1
	s_or_b32 exec_lo, exec_lo, s8
	s_waitcnt vmcnt(0) lgkmcnt(0)
	s_barrier
	buffer_gl0_inv
	s_and_saveexec_b32 s8, s42
	s_cbranch_execz .LBB131_93
; %bb.84:                               ;   in Loop: Header=BB131_30 Depth=1
	v_mov_b32_e32 v1, 0
	s_and_not1_b32 vcc_lo, exec_lo, s45
	s_cbranch_vccnz .LBB131_92
; %bb.85:                               ;   in Loop: Header=BB131_30 Depth=1
	v_mov_b32_e32 v1, 0
	s_and_not1_b32 vcc_lo, exec_lo, s47
	s_mov_b32 s9, 0
	s_cbranch_vccnz .LBB131_89
; %bb.86:                               ;   in Loop: Header=BB131_30 Depth=1
	v_lshl_add_u32 v2, s64, 9, v25
	v_mov_b32_e32 v1, 0
	.p2align	6
.LBB131_87:                             ;   Parent Loop BB131_30 Depth=1
                                        ; =>  This Inner Loop Header: Depth=2
	ds_load_2addr_b32 v[3:4], v2 offset1:4
	ds_load_2addr_b32 v[28:29], v2 offset0:8 offset1:12
	ds_load_2addr_b32 v[30:31], v2 offset0:16 offset1:20
	;; [unrolled: 1-line block ×3, first 2 shown]
	v_add_nc_u32_e32 v2, 0x80, v2
	s_add_i32 s9, s9, 8
	s_delay_alu instid0(SALU_CYCLE_1) | instskip(SKIP_3) | instid1(VALU_DEP_1)
	s_cmp_eq_u32 s48, s9
	s_waitcnt lgkmcnt(3)
	v_add3_u32 v1, v3, v1, v4
	s_waitcnt lgkmcnt(2)
	v_add3_u32 v1, v28, v1, v29
	s_waitcnt lgkmcnt(1)
	s_delay_alu instid0(VALU_DEP_1) | instskip(SKIP_1) | instid1(VALU_DEP_1)
	v_add3_u32 v1, v30, v1, v31
	s_waitcnt lgkmcnt(0)
	v_add3_u32 v1, v32, v1, v33
	s_cbranch_scc0 .LBB131_87
; %bb.88:                               ;   in Loop: Header=BB131_30 Depth=1
	s_mov_b32 s9, s48
.LBB131_89:                             ;   in Loop: Header=BB131_30 Depth=1
	s_and_not1_b32 vcc_lo, exec_lo, s49
	s_cbranch_vccnz .LBB131_92
; %bb.90:                               ;   in Loop: Header=BB131_30 Depth=1
	s_lshl_b32 s10, s64, 9
	s_lshl_b32 s9, s9, 4
	s_delay_alu instid0(SALU_CYCLE_1)
	v_add3_u32 v2, s10, s9, v25
	s_mov_b32 s9, s46
.LBB131_91:                             ;   Parent Loop BB131_30 Depth=1
                                        ; =>  This Inner Loop Header: Depth=2
	ds_load_b32 v3, v2
	v_add_nc_u32_e32 v2, 16, v2
	s_add_i32 s9, s9, -1
	s_delay_alu instid0(SALU_CYCLE_1)
	s_cmp_lg_u32 s9, 0
	s_waitcnt lgkmcnt(0)
	v_add_nc_u32_e32 v1, v3, v1
	s_cbranch_scc1 .LBB131_91
.LBB131_92:                             ;   in Loop: Header=BB131_30 Depth=1
	v_add_lshl_u32 v2, s7, v13, 2
	ds_store_b32 v2, v1 offset:3072
.LBB131_93:                             ;   in Loop: Header=BB131_30 Depth=1
	s_or_b32 exec_lo, exec_lo, s8
	s_lshl_b32 s7, s7, 2
	s_waitcnt lgkmcnt(0)
	v_mov_b32_e32 v1, s7
	s_barrier
	buffer_gl0_inv
	s_and_b32 s16, s61, 0xfe
	s_mov_b32 s12, -1
	ds_load_b128 v[1:4], v1 offset:3072
	s_lshl_b32 s9, 3, s16
	s_delay_alu instid0(SALU_CYCLE_1) | instskip(SKIP_4) | instid1(VALU_DEP_3)
	s_not_b32 s17, s9
	s_waitcnt lgkmcnt(0)
	v_readfirstlane_b32 s11, v1
	v_readfirstlane_b32 s19, v2
	;; [unrolled: 1-line block ×3, first 2 shown]
	s_cmp_eq_u32 s11, 1
	s_cselect_b32 s7, -1, 0
	s_cmp_eq_u32 s68, 1
	s_cselect_b32 s8, -1, 0
	s_delay_alu instid0(SALU_CYCLE_1)
	s_and_b32 s13, s7, s8
	v_readfirstlane_b32 s8, v4
	s_and_b32 vcc_lo, exec_lo, s13
	s_cbranch_vccz .LBB131_105
; %bb.94:                               ;   in Loop: Header=BB131_30 Depth=1
	ds_load_b32 v1, v7 offset:4104
	s_waitcnt lgkmcnt(0)
	s_barrier
	buffer_gl0_inv
	v_readfirstlane_b32 s10, v1
	s_and_saveexec_b32 s7, s2
	s_cbranch_execz .LBB131_96
; %bb.95:                               ;   in Loop: Header=BB131_30 Depth=1
	ds_store_b16 v16, v7
.LBB131_96:                             ;   in Loop: Header=BB131_30 Depth=1
	s_or_b32 exec_lo, exec_lo, s7
	s_and_b32 s66, s66, s17
	s_or_b32 s67, s67, s9
	s_cmp_eq_u32 s10, 0
	s_waitcnt lgkmcnt(0)
	s_barrier
	buffer_gl0_inv
	s_cbranch_scc1 .LBB131_106
; %bb.97:                               ;   in Loop: Header=BB131_30 Depth=1
	s_add_i32 s7, s10, s43
                                        ; implicit-def: $vgpr27
	s_delay_alu instid0(SALU_CYCLE_1) | instskip(NEXT) | instid1(SALU_CYCLE_1)
	s_mul_hi_u32 s15, s7, s52
	s_mul_i32 s15, s15, s27
	s_delay_alu instid0(SALU_CYCLE_1) | instskip(NEXT) | instid1(SALU_CYCLE_1)
	s_sub_i32 s15, s7, s15
	s_sub_i32 s18, s15, s27
	s_cmp_ge_u32 s15, s27
	s_cselect_b32 s15, s18, s15
	s_delay_alu instid0(SALU_CYCLE_1) | instskip(SKIP_2) | instid1(SALU_CYCLE_1)
	s_sub_i32 s18, s15, s27
	s_cmp_ge_u32 s15, s27
	s_cselect_b32 s15, s18, s15
	s_sub_i32 s18, s7, s15
	s_mov_b32 s7, 0
	s_mov_b32 s15, exec_lo
	v_cmpx_gt_u32_e64 s18, v0
	s_cbranch_execz .LBB131_108
; %bb.98:                               ;   in Loop: Header=BB131_30 Depth=1
	v_dual_mov_b32 v1, v15 :: v_dual_mov_b32 v2, v0
	s_mov_b32 s20, 0
                                        ; implicit-def: $sgpr69
	s_set_inst_prefetch_distance 0x1
	s_branch .LBB131_100
	.p2align	6
.LBB131_99:                             ;   in Loop: Header=BB131_100 Depth=2
	s_or_b32 exec_lo, exec_lo, s7
	s_waitcnt lgkmcnt(0)
	s_barrier
	buffer_gl0_inv
	ds_load_b32 v3, v7 offset:3072
	v_add_nc_u32_e32 v2, s27, v2
	v_add_nc_u32_e32 v1, s56, v1
	s_waitcnt lgkmcnt(0)
	s_barrier
	buffer_gl0_inv
	v_cmp_le_u32_e32 vcc_lo, s18, v2
	v_cmp_neq_f16_e64 s7, 0, v3
	s_delay_alu instid0(VALU_DEP_1) | instskip(NEXT) | instid1(SALU_CYCLE_1)
	s_or_b32 s70, vcc_lo, s7
	s_and_b32 s70, exec_lo, s70
	s_delay_alu instid0(SALU_CYCLE_1) | instskip(SKIP_2) | instid1(SALU_CYCLE_1)
	s_or_b32 s20, s70, s20
	s_and_not1_b32 s69, s69, exec_lo
	s_and_b32 s7, s7, exec_lo
	s_or_b32 s69, s69, s7
	s_and_not1_b32 exec_lo, exec_lo, s20
	s_cbranch_execz .LBB131_107
.LBB131_100:                            ;   Parent Loop BB131_30 Depth=1
                                        ; =>  This Inner Loop Header: Depth=2
	s_delay_alu instid0(VALU_DEP_1)
	v_cmp_gt_u32_e32 vcc_lo, s10, v2
	v_mov_b32_e32 v3, 0
	s_and_saveexec_b32 s7, vcc_lo
	s_cbranch_execz .LBB131_102
; %bb.101:                              ;   in Loop: Header=BB131_100 Depth=2
	ds_load_u16 v3, v1
.LBB131_102:                            ;   in Loop: Header=BB131_100 Depth=2
	s_or_b32 exec_lo, exec_lo, s7
	s_and_saveexec_b32 s7, vcc_lo
	s_cbranch_execz .LBB131_99
; %bb.103:                              ;   in Loop: Header=BB131_100 Depth=2
	s_waitcnt lgkmcnt(0)
	v_cmp_lt_i16_e32 vcc_lo, -1, v3
	v_and_b32_e32 v4, 0xffff, v3
	v_cndmask_b32_e32 v6, 0xffff, v26, vcc_lo
	v_cmp_o_f16_e32 vcc_lo, v3, v3
	s_delay_alu instid0(VALU_DEP_2) | instskip(NEXT) | instid1(VALU_DEP_1)
	v_xor_b32_e32 v4, v6, v4
	v_cndmask_b32_e32 v4, 0xffff, v4, vcc_lo
	s_delay_alu instid0(VALU_DEP_1) | instskip(NEXT) | instid1(VALU_DEP_1)
	v_and_b32_e32 v4, s67, v4
	v_cmp_eq_u32_e32 vcc_lo, s66, v4
	s_and_b32 exec_lo, exec_lo, vcc_lo
	s_cbranch_execz .LBB131_99
; %bb.104:                              ;   in Loop: Header=BB131_100 Depth=2
	v_perm_b32 v3, v3, s57, 0x5040100
	ds_store_b32 v7, v3 offset:3072
	s_branch .LBB131_99
.LBB131_105:                            ;   in Loop: Header=BB131_30 Depth=1
	s_mov_b32 s7, -1
                                        ; implicit-def: $sgpr10
                                        ; implicit-def: $sgpr18
                                        ; implicit-def: $sgpr15
	s_branch .LBB131_119
.LBB131_106:                            ;   in Loop: Header=BB131_30 Depth=1
	s_mov_b32 s10, -1
	s_mov_b32 s7, 0
                                        ; implicit-def: $sgpr15
                                        ; implicit-def: $vgpr27
	s_mov_b32 s18, s10
	s_cbranch_execnz .LBB131_109
	s_branch .LBB131_119
.LBB131_107:                            ;   in Loop: Header=BB131_30 Depth=1
	s_set_inst_prefetch_distance 0x2
	s_or_b32 exec_lo, exec_lo, s20
	v_lshrrev_b32_e32 v27, 16, v3
	s_and_b32 s7, s69, exec_lo
.LBB131_108:                            ;   in Loop: Header=BB131_30 Depth=1
	s_or_b32 exec_lo, exec_lo, s15
	s_mov_b32 s15, -1
	s_mov_b32 s10, 0
	s_delay_alu instid0(SALU_CYCLE_1)
	s_mov_b32 s18, s10
	s_branch .LBB131_119
.LBB131_109:                            ;   in Loop: Header=BB131_30 Depth=1
	s_mov_b32 s7, 0
                                        ; implicit-def: $vgpr27
	s_and_saveexec_b32 s10, s6
	s_cbranch_execz .LBB131_118
; %bb.110:                              ;   in Loop: Header=BB131_30 Depth=1
	v_dual_mov_b32 v6, v5 :: v_dual_mov_b32 v1, v0
	s_mov_b32 s15, 0
                                        ; implicit-def: $sgpr18
	s_branch .LBB131_112
.LBB131_111:                            ;   in Loop: Header=BB131_112 Depth=2
	s_or_b32 exec_lo, exec_lo, s7
	s_waitcnt vmcnt(0) lgkmcnt(0)
	s_barrier
	buffer_gl0_inv
	ds_load_b32 v2, v7 offset:3072
	v_add_nc_u32_e32 v1, s27, v1
	v_add_nc_u32_e32 v6, s40, v6
	s_waitcnt lgkmcnt(0)
	s_barrier
	buffer_gl0_inv
	v_cmp_le_u32_e32 vcc_lo, s54, v1
	v_cmp_neq_f16_e64 s7, 0, v2
	s_delay_alu instid0(VALU_DEP_1) | instskip(NEXT) | instid1(SALU_CYCLE_1)
	s_or_b32 s20, vcc_lo, s7
	s_and_b32 s20, exec_lo, s20
	s_delay_alu instid0(SALU_CYCLE_1) | instskip(SKIP_2) | instid1(SALU_CYCLE_1)
	s_or_b32 s15, s20, s15
	s_and_not1_b32 s18, s18, exec_lo
	s_and_b32 s7, s7, exec_lo
	s_or_b32 s18, s18, s7
	s_and_not1_b32 exec_lo, exec_lo, s15
	s_cbranch_execz .LBB131_117
.LBB131_112:                            ;   Parent Loop BB131_30 Depth=1
                                        ; =>  This Inner Loop Header: Depth=2
	s_delay_alu instid0(VALU_DEP_1)
	v_cmp_gt_u32_e32 vcc_lo, s24, v1
	v_mov_b32_e32 v2, 0
	s_and_saveexec_b32 s20, vcc_lo
	s_cbranch_execz .LBB131_114
; %bb.113:                              ;   in Loop: Header=BB131_112 Depth=2
	v_lshlrev_b64 v[2:3], 1, v[6:7]
	s_delay_alu instid0(VALU_DEP_1) | instskip(NEXT) | instid1(VALU_DEP_1)
	v_add_co_u32 v2, s7, s37, v2
	v_add_co_ci_u32_e64 v3, s7, s38, v3, s7
	global_load_u16 v2, v[2:3], off
.LBB131_114:                            ;   in Loop: Header=BB131_112 Depth=2
	s_or_b32 exec_lo, exec_lo, s20
	s_and_saveexec_b32 s7, vcc_lo
	s_cbranch_execz .LBB131_111
; %bb.115:                              ;   in Loop: Header=BB131_112 Depth=2
	s_waitcnt vmcnt(0)
	v_cmp_lt_i16_e32 vcc_lo, -1, v2
	v_and_b32_e32 v3, 0xffff, v2
	v_cndmask_b32_e32 v4, 0xffff, v26, vcc_lo
	v_cmp_o_f16_e32 vcc_lo, v2, v2
	s_delay_alu instid0(VALU_DEP_2) | instskip(NEXT) | instid1(VALU_DEP_1)
	v_xor_b32_e32 v3, v4, v3
	v_cndmask_b32_e32 v3, 0xffff, v3, vcc_lo
	s_delay_alu instid0(VALU_DEP_1) | instskip(NEXT) | instid1(VALU_DEP_1)
	v_and_b32_e32 v3, s67, v3
	v_cmp_eq_u32_e32 vcc_lo, s66, v3
	s_and_b32 exec_lo, exec_lo, vcc_lo
	s_cbranch_execz .LBB131_111
; %bb.116:                              ;   in Loop: Header=BB131_112 Depth=2
	v_perm_b32 v2, v2, s57, 0x5040100
	ds_store_b32 v7, v2 offset:3072
	s_branch .LBB131_111
.LBB131_117:                            ;   in Loop: Header=BB131_30 Depth=1
	s_or_b32 exec_lo, exec_lo, s15
	v_lshrrev_b32_e32 v27, 16, v2
	s_and_b32 s7, s18, exec_lo
.LBB131_118:                            ;   in Loop: Header=BB131_30 Depth=1
	s_or_b32 exec_lo, exec_lo, s10
	s_mov_b32 s18, -1
	s_mov_b32 s10, 0
	s_mov_b32 s15, 0
.LBB131_119:                            ;   in Loop: Header=BB131_30 Depth=1
	s_and_not1_b32 s20, s62, exec_lo
	s_and_b32 s10, s10, exec_lo
	s_and_b32 s18, s18, exec_lo
	s_or_b32 s62, s20, s10
	s_and_not1_b32 s10, s65, exec_lo
	s_and_not1_b32 s20, s63, exec_lo
	s_and_b32 s15, s15, exec_lo
	s_or_b32 s65, s10, s18
	s_or_b32 s63, s20, s15
	s_and_saveexec_b32 s10, s7
	s_cbranch_execz .LBB131_29
; %bb.120:                              ;   in Loop: Header=BB131_30 Depth=1
	s_xor_b32 s7, s13, -1
	s_mov_b32 s12, 0
	s_and_not1_b32 vcc_lo, exec_lo, s7
	s_mov_b32 s20, 1
	s_cbranch_vccnz .LBB131_131
; %bb.121:                              ;   in Loop: Header=BB131_30 Depth=1
	s_cmp_gt_u32 s68, s11
	s_mov_b32 s12, -1
                                        ; implicit-def: $sgpr7
                                        ; implicit-def: $sgpr13
                                        ; implicit-def: $sgpr15
	s_cbranch_scc1 .LBB131_127
; %bb.122:                              ;   in Loop: Header=BB131_30 Depth=1
	ds_load_b32 v1, v7 offset:4104
	s_waitcnt lgkmcnt(0)
	v_cmp_ne_u32_e32 vcc_lo, 0, v1
	s_cbranch_vccnz .LBB131_126
; %bb.123:                              ;   in Loop: Header=BB131_30 Depth=1
	s_and_saveexec_b32 s7, s1
	s_cbranch_execz .LBB131_125
; %bb.124:                              ;   in Loop: Header=BB131_30 Depth=1
	v_mov_b32_e32 v1, s11
	ds_store_b32 v7, v1 offset:4108
.LBB131_125:                            ;   in Loop: Header=BB131_30 Depth=1
	s_or_b32 exec_lo, exec_lo, s7
	s_waitcnt lgkmcnt(0)
	s_barrier
	buffer_gl0_inv
.LBB131_126:                            ;   in Loop: Header=BB131_30 Depth=1
	s_and_b32 s13, s66, s17
	s_or_b32 s15, s67, s9
	s_mov_b32 s12, 0
	s_mov_b32 s7, 8
.LBB131_127:                            ;   in Loop: Header=BB131_30 Depth=1
	s_and_not1_b32 vcc_lo, exec_lo, s12
	s_cbranch_vccnz .LBB131_129
; %bb.128:                              ;   in Loop: Header=BB131_30 Depth=1
	s_sub_i32 s68, s68, s11
	s_mov_b32 s12, -1
	s_mov_b32 s7, 0
	s_mov_b32 s13, s66
	;; [unrolled: 1-line block ×3, first 2 shown]
.LBB131_129:                            ;   in Loop: Header=BB131_30 Depth=1
	s_delay_alu instid0(SALU_CYCLE_1)
	s_mov_b32 s67, s15
	s_mov_b32 s66, s13
	s_mov_b32 s20, s68
	s_and_b32 vcc_lo, exec_lo, s12
	s_mov_b32 s11, -1
	s_cbranch_vccnz .LBB131_132
.LBB131_130:                            ;   in Loop: Header=BB131_30 Depth=1
	s_mov_b32 s70, -1
                                        ; implicit-def: $sgpr12
                                        ; implicit-def: $sgpr15
                                        ; implicit-def: $sgpr13
                                        ; implicit-def: $sgpr68
	s_delay_alu instid0(SALU_CYCLE_1) | instskip(NEXT) | instid1(SALU_CYCLE_1)
	s_and_saveexec_b32 s8, s70
	s_xor_b32 s8, exec_lo, s8
	s_cbranch_execz .LBB131_28
	s_branch .LBB131_258
.LBB131_131:                            ;   in Loop: Header=BB131_30 Depth=1
	s_mov_b32 s7, 1
	s_and_b32 vcc_lo, exec_lo, s12
	s_mov_b32 s11, -1
	s_cbranch_vccz .LBB131_130
.LBB131_132:                            ;   in Loop: Header=BB131_30 Depth=1
	s_cmp_eq_u32 s19, 1
	s_mov_b32 s69, -1
	s_cselect_b32 s7, -1, 0
	s_cmp_eq_u32 s20, 1
	s_cselect_b32 s12, -1, 0
	s_delay_alu instid0(SALU_CYCLE_1) | instskip(NEXT) | instid1(SALU_CYCLE_1)
	s_and_b32 s68, s7, s12
	s_and_b32 vcc_lo, exec_lo, s68
	s_cbranch_vccz .LBB131_144
; %bb.133:                              ;   in Loop: Header=BB131_30 Depth=1
	ds_load_b32 v1, v7 offset:4104
	s_waitcnt lgkmcnt(0)
	s_barrier
	buffer_gl0_inv
	v_readfirstlane_b32 s12, v1
	s_and_saveexec_b32 s7, s2
	s_cbranch_execz .LBB131_135
; %bb.134:                              ;   in Loop: Header=BB131_30 Depth=1
	ds_store_b16 v16, v7
.LBB131_135:                            ;   in Loop: Header=BB131_30 Depth=1
	s_or_b32 exec_lo, exec_lo, s7
	s_lshl_b32 s7, 1, s16
	s_and_b32 s13, s66, s17
	s_or_b32 s67, s67, s9
	s_or_b32 s66, s13, s7
	s_cmp_eq_u32 s12, 0
	s_waitcnt lgkmcnt(0)
	s_barrier
	buffer_gl0_inv
	s_cbranch_scc1 .LBB131_148
; %bb.136:                              ;   in Loop: Header=BB131_30 Depth=1
	s_add_i32 s7, s12, s43
	s_mov_b32 s69, 0
	s_mul_hi_u32 s13, s7, s52
                                        ; implicit-def: $vgpr27
	s_delay_alu instid0(SALU_CYCLE_1) | instskip(NEXT) | instid1(SALU_CYCLE_1)
	s_mul_i32 s13, s13, s27
	s_sub_i32 s13, s7, s13
	s_delay_alu instid0(SALU_CYCLE_1) | instskip(SKIP_2) | instid1(SALU_CYCLE_1)
	s_sub_i32 s15, s13, s27
	s_cmp_ge_u32 s13, s27
	s_cselect_b32 s13, s15, s13
	s_sub_i32 s15, s13, s27
	s_cmp_ge_u32 s13, s27
	s_cselect_b32 s13, s15, s13
	s_delay_alu instid0(SALU_CYCLE_1)
	s_sub_i32 s15, s7, s13
	s_mov_b32 s13, exec_lo
	v_cmpx_gt_u32_e64 s15, v0
	s_cbranch_execz .LBB131_150
; %bb.137:                              ;   in Loop: Header=BB131_30 Depth=1
	v_dual_mov_b32 v1, v15 :: v_dual_mov_b32 v2, v0
	s_mov_b32 s18, 0
                                        ; implicit-def: $sgpr69
	s_set_inst_prefetch_distance 0x1
	s_branch .LBB131_139
	.p2align	6
.LBB131_138:                            ;   in Loop: Header=BB131_139 Depth=2
	s_or_b32 exec_lo, exec_lo, s7
	s_waitcnt lgkmcnt(0)
	s_barrier
	buffer_gl0_inv
	ds_load_b32 v3, v7 offset:3072
	v_add_nc_u32_e32 v2, s27, v2
	v_add_nc_u32_e32 v1, s56, v1
	s_waitcnt lgkmcnt(0)
	s_barrier
	buffer_gl0_inv
	v_cmp_le_u32_e32 vcc_lo, s15, v2
	v_cmp_neq_f16_e64 s7, 0, v3
	s_delay_alu instid0(VALU_DEP_1) | instskip(NEXT) | instid1(SALU_CYCLE_1)
	s_or_b32 s70, vcc_lo, s7
	s_and_b32 s70, exec_lo, s70
	s_delay_alu instid0(SALU_CYCLE_1) | instskip(SKIP_2) | instid1(SALU_CYCLE_1)
	s_or_b32 s18, s70, s18
	s_and_not1_b32 s69, s69, exec_lo
	s_and_b32 s7, s7, exec_lo
	s_or_b32 s69, s69, s7
	s_and_not1_b32 exec_lo, exec_lo, s18
	s_cbranch_execz .LBB131_149
.LBB131_139:                            ;   Parent Loop BB131_30 Depth=1
                                        ; =>  This Inner Loop Header: Depth=2
	s_delay_alu instid0(VALU_DEP_1)
	v_cmp_gt_u32_e32 vcc_lo, s12, v2
	v_mov_b32_e32 v3, 0
	s_and_saveexec_b32 s7, vcc_lo
	s_cbranch_execz .LBB131_141
; %bb.140:                              ;   in Loop: Header=BB131_139 Depth=2
	ds_load_u16 v3, v1
.LBB131_141:                            ;   in Loop: Header=BB131_139 Depth=2
	s_or_b32 exec_lo, exec_lo, s7
	s_and_saveexec_b32 s7, vcc_lo
	s_cbranch_execz .LBB131_138
; %bb.142:                              ;   in Loop: Header=BB131_139 Depth=2
	s_waitcnt lgkmcnt(0)
	v_cmp_lt_i16_e32 vcc_lo, -1, v3
	v_and_b32_e32 v4, 0xffff, v3
	v_cndmask_b32_e32 v6, 0xffff, v26, vcc_lo
	v_cmp_o_f16_e32 vcc_lo, v3, v3
	s_delay_alu instid0(VALU_DEP_2) | instskip(NEXT) | instid1(VALU_DEP_1)
	v_xor_b32_e32 v4, v6, v4
	v_cndmask_b32_e32 v4, 0xffff, v4, vcc_lo
	s_delay_alu instid0(VALU_DEP_1) | instskip(NEXT) | instid1(VALU_DEP_1)
	v_and_b32_e32 v4, s67, v4
	v_cmp_eq_u32_e32 vcc_lo, s66, v4
	s_and_b32 exec_lo, exec_lo, vcc_lo
	s_cbranch_execz .LBB131_138
; %bb.143:                              ;   in Loop: Header=BB131_139 Depth=2
	v_perm_b32 v3, v3, s57, 0x5040100
	ds_store_b32 v7, v3 offset:3072
	s_branch .LBB131_138
.LBB131_144:                            ;   in Loop: Header=BB131_30 Depth=1
                                        ; implicit-def: $sgpr13
                                        ; implicit-def: $sgpr15
                                        ; implicit-def: $sgpr12
	s_branch .LBB131_161
.LBB131_145:                            ;   in Loop: Header=BB131_30 Depth=1
	s_or_b32 exec_lo, exec_lo, s9
	s_waitcnt lgkmcnt(0)
	s_barrier
	buffer_gl0_inv
	s_and_saveexec_b32 s7, s1
	s_cbranch_execz .LBB131_147
; %bb.146:                              ;   in Loop: Header=BB131_30 Depth=1
	ds_load_b32 v1, v7 offset:4112
	s_waitcnt lgkmcnt(0)
	ds_store_b32 v7, v1 offset:4104
.LBB131_147:                            ;   in Loop: Header=BB131_30 Depth=1
	s_or_b32 exec_lo, exec_lo, s7
	s_waitcnt lgkmcnt(0)
	s_mov_b32 s7, -1
	s_barrier
	s_and_b32 vcc_lo, exec_lo, s69
	s_cbranch_vccnz .LBB131_45
	s_branch .LBB131_55
.LBB131_148:                            ;   in Loop: Header=BB131_30 Depth=1
	s_mov_b32 s13, -1
	s_mov_b32 s69, 0
                                        ; implicit-def: $sgpr12
                                        ; implicit-def: $vgpr27
	s_mov_b32 s15, s13
	s_cbranch_execnz .LBB131_151
	s_branch .LBB131_161
.LBB131_149:                            ;   in Loop: Header=BB131_30 Depth=1
	s_set_inst_prefetch_distance 0x2
	s_or_b32 exec_lo, exec_lo, s18
	v_lshrrev_b32_e32 v27, 16, v3
	s_and_b32 s69, s69, exec_lo
.LBB131_150:                            ;   in Loop: Header=BB131_30 Depth=1
	s_or_b32 exec_lo, exec_lo, s13
	s_mov_b32 s12, -1
	s_mov_b32 s13, 0
	s_delay_alu instid0(SALU_CYCLE_1)
	s_mov_b32 s15, s13
	s_branch .LBB131_161
.LBB131_151:                            ;   in Loop: Header=BB131_30 Depth=1
	s_mov_b32 s69, 0
                                        ; implicit-def: $vgpr27
	s_and_saveexec_b32 s12, s6
	s_cbranch_execz .LBB131_160
; %bb.152:                              ;   in Loop: Header=BB131_30 Depth=1
	v_dual_mov_b32 v6, v5 :: v_dual_mov_b32 v1, v0
	s_mov_b32 s13, 0
                                        ; implicit-def: $sgpr15
	s_branch .LBB131_154
.LBB131_153:                            ;   in Loop: Header=BB131_154 Depth=2
	s_or_b32 exec_lo, exec_lo, s7
	s_waitcnt vmcnt(0) lgkmcnt(0)
	s_barrier
	buffer_gl0_inv
	ds_load_b32 v2, v7 offset:3072
	v_add_nc_u32_e32 v1, s27, v1
	v_add_nc_u32_e32 v6, s40, v6
	s_waitcnt lgkmcnt(0)
	s_barrier
	buffer_gl0_inv
	v_cmp_le_u32_e32 vcc_lo, s54, v1
	v_cmp_neq_f16_e64 s7, 0, v2
	s_delay_alu instid0(VALU_DEP_1) | instskip(NEXT) | instid1(SALU_CYCLE_1)
	s_or_b32 s18, vcc_lo, s7
	s_and_b32 s18, exec_lo, s18
	s_delay_alu instid0(SALU_CYCLE_1) | instskip(SKIP_2) | instid1(SALU_CYCLE_1)
	s_or_b32 s13, s18, s13
	s_and_not1_b32 s15, s15, exec_lo
	s_and_b32 s7, s7, exec_lo
	s_or_b32 s15, s15, s7
	s_and_not1_b32 exec_lo, exec_lo, s13
	s_cbranch_execz .LBB131_159
.LBB131_154:                            ;   Parent Loop BB131_30 Depth=1
                                        ; =>  This Inner Loop Header: Depth=2
	s_delay_alu instid0(VALU_DEP_1)
	v_cmp_gt_u32_e32 vcc_lo, s24, v1
	v_mov_b32_e32 v2, 0
	s_and_saveexec_b32 s18, vcc_lo
	s_cbranch_execz .LBB131_156
; %bb.155:                              ;   in Loop: Header=BB131_154 Depth=2
	v_lshlrev_b64 v[2:3], 1, v[6:7]
	s_delay_alu instid0(VALU_DEP_1) | instskip(NEXT) | instid1(VALU_DEP_1)
	v_add_co_u32 v2, s7, s37, v2
	v_add_co_ci_u32_e64 v3, s7, s38, v3, s7
	global_load_u16 v2, v[2:3], off
.LBB131_156:                            ;   in Loop: Header=BB131_154 Depth=2
	s_or_b32 exec_lo, exec_lo, s18
	s_and_saveexec_b32 s7, vcc_lo
	s_cbranch_execz .LBB131_153
; %bb.157:                              ;   in Loop: Header=BB131_154 Depth=2
	s_waitcnt vmcnt(0)
	v_cmp_lt_i16_e32 vcc_lo, -1, v2
	v_and_b32_e32 v3, 0xffff, v2
	v_cndmask_b32_e32 v4, 0xffff, v26, vcc_lo
	v_cmp_o_f16_e32 vcc_lo, v2, v2
	s_delay_alu instid0(VALU_DEP_2) | instskip(NEXT) | instid1(VALU_DEP_1)
	v_xor_b32_e32 v3, v4, v3
	v_cndmask_b32_e32 v3, 0xffff, v3, vcc_lo
	s_delay_alu instid0(VALU_DEP_1) | instskip(NEXT) | instid1(VALU_DEP_1)
	v_and_b32_e32 v3, s67, v3
	v_cmp_eq_u32_e32 vcc_lo, s66, v3
	s_and_b32 exec_lo, exec_lo, vcc_lo
	s_cbranch_execz .LBB131_153
; %bb.158:                              ;   in Loop: Header=BB131_154 Depth=2
	v_perm_b32 v2, v2, s57, 0x5040100
	ds_store_b32 v7, v2 offset:3072
	s_branch .LBB131_153
.LBB131_159:                            ;   in Loop: Header=BB131_30 Depth=1
	s_or_b32 exec_lo, exec_lo, s13
	v_lshrrev_b32_e32 v27, 16, v2
	s_and_b32 s69, s15, exec_lo
.LBB131_160:                            ;   in Loop: Header=BB131_30 Depth=1
	s_or_b32 exec_lo, exec_lo, s12
	s_mov_b32 s15, -1
	s_mov_b32 s13, 0
	s_mov_b32 s12, 0
.LBB131_161:                            ;   in Loop: Header=BB131_30 Depth=1
	s_mov_b32 s70, 0
                                        ; implicit-def: $sgpr7
	s_and_saveexec_b32 s18, s69
	s_cbranch_execz .LBB131_257
; %bb.162:                              ;   in Loop: Header=BB131_30 Depth=1
	s_xor_b32 s7, s68, -1
	s_mov_b32 s68, 0
	s_and_not1_b32 vcc_lo, exec_lo, s7
	s_mov_b32 s71, 1
	s_cbranch_vccnz .LBB131_173
; %bb.163:                              ;   in Loop: Header=BB131_30 Depth=1
	s_cmp_gt_u32 s20, s19
	s_mov_b32 s68, -1
                                        ; implicit-def: $sgpr7
                                        ; implicit-def: $sgpr69
                                        ; implicit-def: $sgpr70
	s_cbranch_scc1 .LBB131_169
; %bb.164:                              ;   in Loop: Header=BB131_30 Depth=1
	ds_load_b32 v1, v7 offset:4104
	s_waitcnt lgkmcnt(0)
	v_cmp_ne_u32_e32 vcc_lo, 0, v1
	s_cbranch_vccnz .LBB131_168
; %bb.165:                              ;   in Loop: Header=BB131_30 Depth=1
	s_and_saveexec_b32 s7, s1
	s_cbranch_execz .LBB131_167
; %bb.166:                              ;   in Loop: Header=BB131_30 Depth=1
	v_mov_b32_e32 v1, s19
	ds_store_b32 v7, v1 offset:4108
.LBB131_167:                            ;   in Loop: Header=BB131_30 Depth=1
	s_or_b32 exec_lo, exec_lo, s7
	s_waitcnt lgkmcnt(0)
	s_barrier
	buffer_gl0_inv
.LBB131_168:                            ;   in Loop: Header=BB131_30 Depth=1
	s_lshl_b32 s7, 1, s16
	s_and_b32 s68, s66, s17
	s_or_b32 s70, s67, s9
	s_or_b32 s69, s68, s7
	s_mov_b32 s68, 0
	s_mov_b32 s7, 8
.LBB131_169:                            ;   in Loop: Header=BB131_30 Depth=1
	s_and_not1_b32 vcc_lo, exec_lo, s68
	s_cbranch_vccnz .LBB131_171
; %bb.170:                              ;   in Loop: Header=BB131_30 Depth=1
	s_sub_i32 s20, s20, s19
	s_mov_b32 s68, -1
	s_mov_b32 s7, 0
	s_mov_b32 s69, s66
	;; [unrolled: 1-line block ×3, first 2 shown]
.LBB131_171:                            ;   in Loop: Header=BB131_30 Depth=1
	s_delay_alu instid0(SALU_CYCLE_1)
	s_mov_b32 s67, s70
	s_mov_b32 s66, s69
	;; [unrolled: 1-line block ×3, first 2 shown]
	s_and_not1_b32 vcc_lo, exec_lo, s68
	s_mov_b32 s73, -1
	s_cbranch_vccz .LBB131_174
.LBB131_172:                            ;   in Loop: Header=BB131_30 Depth=1
                                        ; implicit-def: $sgpr20
                                        ; implicit-def: $sgpr68
                                        ; implicit-def: $sgpr19
	s_branch .LBB131_256
.LBB131_173:                            ;   in Loop: Header=BB131_30 Depth=1
	s_mov_b32 s7, 1
	s_and_not1_b32 vcc_lo, exec_lo, s68
	s_mov_b32 s73, -1
	s_cbranch_vccnz .LBB131_172
.LBB131_174:                            ;   in Loop: Header=BB131_30 Depth=1
	s_cmp_eq_u32 s14, 1
	s_mov_b32 s72, -1
	s_cselect_b32 s7, -1, 0
	s_cmp_eq_u32 s71, 1
	s_cselect_b32 s19, -1, 0
	s_delay_alu instid0(SALU_CYCLE_1) | instskip(NEXT) | instid1(SALU_CYCLE_1)
	s_and_b32 s70, s7, s19
	s_and_b32 vcc_lo, exec_lo, s70
	s_cbranch_vccz .LBB131_186
; %bb.175:                              ;   in Loop: Header=BB131_30 Depth=1
	ds_load_b32 v1, v7 offset:4104
	s_waitcnt lgkmcnt(0)
	s_barrier
	buffer_gl0_inv
	v_readfirstlane_b32 s19, v1
	s_and_saveexec_b32 s7, s2
	s_cbranch_execz .LBB131_177
; %bb.176:                              ;   in Loop: Header=BB131_30 Depth=1
	ds_store_b16 v16, v7
.LBB131_177:                            ;   in Loop: Header=BB131_30 Depth=1
	s_or_b32 exec_lo, exec_lo, s7
	s_lshl_b32 s7, 2, s16
	s_and_b32 s20, s66, s17
	s_or_b32 s67, s67, s9
	s_or_b32 s66, s20, s7
	s_cmp_eq_u32 s19, 0
	s_waitcnt lgkmcnt(0)
	s_barrier
	buffer_gl0_inv
	s_cbranch_scc1 .LBB131_187
; %bb.178:                              ;   in Loop: Header=BB131_30 Depth=1
	s_add_i32 s7, s19, s43
	s_mov_b32 s72, 0
	s_mul_hi_u32 s20, s7, s52
                                        ; implicit-def: $vgpr27
	s_delay_alu instid0(SALU_CYCLE_1) | instskip(NEXT) | instid1(SALU_CYCLE_1)
	s_mul_i32 s20, s20, s27
	s_sub_i32 s20, s7, s20
	s_delay_alu instid0(SALU_CYCLE_1) | instskip(SKIP_2) | instid1(SALU_CYCLE_1)
	s_sub_i32 s68, s20, s27
	s_cmp_ge_u32 s20, s27
	s_cselect_b32 s20, s68, s20
	s_sub_i32 s68, s20, s27
	s_cmp_ge_u32 s20, s27
	s_cselect_b32 s20, s68, s20
	s_delay_alu instid0(SALU_CYCLE_1)
	s_sub_i32 s68, s7, s20
	s_mov_b32 s20, exec_lo
	v_cmpx_gt_u32_e64 s68, v0
	s_cbranch_execz .LBB131_189
; %bb.179:                              ;   in Loop: Header=BB131_30 Depth=1
	v_dual_mov_b32 v1, v15 :: v_dual_mov_b32 v2, v0
	s_mov_b32 s69, 0
                                        ; implicit-def: $sgpr72
	s_set_inst_prefetch_distance 0x1
	s_branch .LBB131_181
	.p2align	6
.LBB131_180:                            ;   in Loop: Header=BB131_181 Depth=2
	s_or_b32 exec_lo, exec_lo, s7
	s_waitcnt lgkmcnt(0)
	s_barrier
	buffer_gl0_inv
	ds_load_b32 v3, v7 offset:3072
	v_add_nc_u32_e32 v2, s27, v2
	v_add_nc_u32_e32 v1, s56, v1
	s_waitcnt lgkmcnt(0)
	s_barrier
	buffer_gl0_inv
	v_cmp_le_u32_e32 vcc_lo, s68, v2
	v_cmp_neq_f16_e64 s7, 0, v3
	s_delay_alu instid0(VALU_DEP_1) | instskip(NEXT) | instid1(SALU_CYCLE_1)
	s_or_b32 s73, vcc_lo, s7
	s_and_b32 s73, exec_lo, s73
	s_delay_alu instid0(SALU_CYCLE_1) | instskip(SKIP_2) | instid1(SALU_CYCLE_1)
	s_or_b32 s69, s73, s69
	s_and_not1_b32 s72, s72, exec_lo
	s_and_b32 s7, s7, exec_lo
	s_or_b32 s72, s72, s7
	s_and_not1_b32 exec_lo, exec_lo, s69
	s_cbranch_execz .LBB131_188
.LBB131_181:                            ;   Parent Loop BB131_30 Depth=1
                                        ; =>  This Inner Loop Header: Depth=2
	s_delay_alu instid0(VALU_DEP_1)
	v_cmp_gt_u32_e32 vcc_lo, s19, v2
	v_mov_b32_e32 v3, 0
	s_and_saveexec_b32 s7, vcc_lo
	s_cbranch_execz .LBB131_183
; %bb.182:                              ;   in Loop: Header=BB131_181 Depth=2
	ds_load_u16 v3, v1
.LBB131_183:                            ;   in Loop: Header=BB131_181 Depth=2
	s_or_b32 exec_lo, exec_lo, s7
	s_and_saveexec_b32 s7, vcc_lo
	s_cbranch_execz .LBB131_180
; %bb.184:                              ;   in Loop: Header=BB131_181 Depth=2
	s_waitcnt lgkmcnt(0)
	v_cmp_lt_i16_e32 vcc_lo, -1, v3
	v_and_b32_e32 v4, 0xffff, v3
	v_cndmask_b32_e32 v6, 0xffff, v26, vcc_lo
	v_cmp_o_f16_e32 vcc_lo, v3, v3
	s_delay_alu instid0(VALU_DEP_2) | instskip(NEXT) | instid1(VALU_DEP_1)
	v_xor_b32_e32 v4, v6, v4
	v_cndmask_b32_e32 v4, 0xffff, v4, vcc_lo
	s_delay_alu instid0(VALU_DEP_1) | instskip(NEXT) | instid1(VALU_DEP_1)
	v_and_b32_e32 v4, s67, v4
	v_cmp_eq_u32_e32 vcc_lo, s66, v4
	s_and_b32 exec_lo, exec_lo, vcc_lo
	s_cbranch_execz .LBB131_180
; %bb.185:                              ;   in Loop: Header=BB131_181 Depth=2
	v_perm_b32 v3, v3, s57, 0x5040100
	ds_store_b32 v7, v3 offset:3072
	s_branch .LBB131_180
.LBB131_186:                            ;   in Loop: Header=BB131_30 Depth=1
                                        ; implicit-def: $sgpr19
                                        ; implicit-def: $sgpr68
                                        ; implicit-def: $sgpr20
	s_branch .LBB131_200
.LBB131_187:                            ;   in Loop: Header=BB131_30 Depth=1
	s_mov_b32 s19, -1
	s_mov_b32 s72, 0
                                        ; implicit-def: $sgpr20
                                        ; implicit-def: $vgpr27
	s_mov_b32 s68, s19
	s_cbranch_execnz .LBB131_190
	s_branch .LBB131_200
.LBB131_188:                            ;   in Loop: Header=BB131_30 Depth=1
	s_set_inst_prefetch_distance 0x2
	s_or_b32 exec_lo, exec_lo, s69
	v_lshrrev_b32_e32 v27, 16, v3
	s_and_b32 s72, s72, exec_lo
.LBB131_189:                            ;   in Loop: Header=BB131_30 Depth=1
	s_or_b32 exec_lo, exec_lo, s20
	s_mov_b32 s20, -1
	s_mov_b32 s19, 0
	s_delay_alu instid0(SALU_CYCLE_1)
	s_mov_b32 s68, s19
	s_branch .LBB131_200
.LBB131_190:                            ;   in Loop: Header=BB131_30 Depth=1
	s_mov_b32 s72, 0
                                        ; implicit-def: $vgpr27
	s_and_saveexec_b32 s19, s6
	s_cbranch_execz .LBB131_199
; %bb.191:                              ;   in Loop: Header=BB131_30 Depth=1
	v_dual_mov_b32 v6, v5 :: v_dual_mov_b32 v1, v0
	s_mov_b32 s20, 0
                                        ; implicit-def: $sgpr68
	s_branch .LBB131_193
.LBB131_192:                            ;   in Loop: Header=BB131_193 Depth=2
	s_or_b32 exec_lo, exec_lo, s7
	s_waitcnt vmcnt(0) lgkmcnt(0)
	s_barrier
	buffer_gl0_inv
	ds_load_b32 v2, v7 offset:3072
	v_add_nc_u32_e32 v1, s27, v1
	v_add_nc_u32_e32 v6, s40, v6
	s_waitcnt lgkmcnt(0)
	s_barrier
	buffer_gl0_inv
	v_cmp_le_u32_e32 vcc_lo, s54, v1
	v_cmp_neq_f16_e64 s7, 0, v2
	s_delay_alu instid0(VALU_DEP_1) | instskip(NEXT) | instid1(SALU_CYCLE_1)
	s_or_b32 s69, vcc_lo, s7
	s_and_b32 s69, exec_lo, s69
	s_delay_alu instid0(SALU_CYCLE_1) | instskip(SKIP_2) | instid1(SALU_CYCLE_1)
	s_or_b32 s20, s69, s20
	s_and_not1_b32 s68, s68, exec_lo
	s_and_b32 s7, s7, exec_lo
	s_or_b32 s68, s68, s7
	s_and_not1_b32 exec_lo, exec_lo, s20
	s_cbranch_execz .LBB131_198
.LBB131_193:                            ;   Parent Loop BB131_30 Depth=1
                                        ; =>  This Inner Loop Header: Depth=2
	s_delay_alu instid0(VALU_DEP_1)
	v_cmp_gt_u32_e32 vcc_lo, s24, v1
	v_mov_b32_e32 v2, 0
	s_and_saveexec_b32 s69, vcc_lo
	s_cbranch_execz .LBB131_195
; %bb.194:                              ;   in Loop: Header=BB131_193 Depth=2
	v_lshlrev_b64 v[2:3], 1, v[6:7]
	s_delay_alu instid0(VALU_DEP_1) | instskip(NEXT) | instid1(VALU_DEP_1)
	v_add_co_u32 v2, s7, s37, v2
	v_add_co_ci_u32_e64 v3, s7, s38, v3, s7
	global_load_u16 v2, v[2:3], off
.LBB131_195:                            ;   in Loop: Header=BB131_193 Depth=2
	s_or_b32 exec_lo, exec_lo, s69
	s_and_saveexec_b32 s7, vcc_lo
	s_cbranch_execz .LBB131_192
; %bb.196:                              ;   in Loop: Header=BB131_193 Depth=2
	s_waitcnt vmcnt(0)
	v_cmp_lt_i16_e32 vcc_lo, -1, v2
	v_and_b32_e32 v3, 0xffff, v2
	v_cndmask_b32_e32 v4, 0xffff, v26, vcc_lo
	v_cmp_o_f16_e32 vcc_lo, v2, v2
	s_delay_alu instid0(VALU_DEP_2) | instskip(NEXT) | instid1(VALU_DEP_1)
	v_xor_b32_e32 v3, v4, v3
	v_cndmask_b32_e32 v3, 0xffff, v3, vcc_lo
	s_delay_alu instid0(VALU_DEP_1) | instskip(NEXT) | instid1(VALU_DEP_1)
	v_and_b32_e32 v3, s67, v3
	v_cmp_eq_u32_e32 vcc_lo, s66, v3
	s_and_b32 exec_lo, exec_lo, vcc_lo
	s_cbranch_execz .LBB131_192
; %bb.197:                              ;   in Loop: Header=BB131_193 Depth=2
	v_perm_b32 v2, v2, s57, 0x5040100
	ds_store_b32 v7, v2 offset:3072
	s_branch .LBB131_192
.LBB131_198:                            ;   in Loop: Header=BB131_30 Depth=1
	s_or_b32 exec_lo, exec_lo, s20
	v_lshrrev_b32_e32 v27, 16, v2
	s_and_b32 s72, s68, exec_lo
.LBB131_199:                            ;   in Loop: Header=BB131_30 Depth=1
	s_or_b32 exec_lo, exec_lo, s19
	s_mov_b32 s68, -1
	s_mov_b32 s19, 0
	s_mov_b32 s20, 0
.LBB131_200:                            ;   in Loop: Header=BB131_30 Depth=1
	s_mov_b32 s73, 0
                                        ; implicit-def: $sgpr7
	s_and_saveexec_b32 s69, s72
	s_cbranch_execz .LBB131_255
; %bb.201:                              ;   in Loop: Header=BB131_30 Depth=1
	s_xor_b32 s7, s70, -1
	s_mov_b32 s72, 0
	s_and_not1_b32 vcc_lo, exec_lo, s7
	s_mov_b32 s70, 1
	s_cbranch_vccnz .LBB131_212
; %bb.202:                              ;   in Loop: Header=BB131_30 Depth=1
	s_cmp_gt_u32 s71, s14
	s_mov_b32 s72, -1
                                        ; implicit-def: $sgpr7
                                        ; implicit-def: $sgpr70
                                        ; implicit-def: $sgpr73
	s_cbranch_scc1 .LBB131_208
; %bb.203:                              ;   in Loop: Header=BB131_30 Depth=1
	ds_load_b32 v1, v7 offset:4104
	s_waitcnt lgkmcnt(0)
	v_cmp_ne_u32_e32 vcc_lo, 0, v1
	s_cbranch_vccnz .LBB131_207
; %bb.204:                              ;   in Loop: Header=BB131_30 Depth=1
	s_and_saveexec_b32 s7, s1
	s_cbranch_execz .LBB131_206
; %bb.205:                              ;   in Loop: Header=BB131_30 Depth=1
	v_mov_b32_e32 v1, s14
	ds_store_b32 v7, v1 offset:4108
.LBB131_206:                            ;   in Loop: Header=BB131_30 Depth=1
	s_or_b32 exec_lo, exec_lo, s7
	s_waitcnt lgkmcnt(0)
	s_barrier
	buffer_gl0_inv
.LBB131_207:                            ;   in Loop: Header=BB131_30 Depth=1
	s_lshl_b32 s7, 2, s16
	s_and_b32 s16, s66, s17
	s_or_b32 s73, s67, s9
	s_or_b32 s70, s16, s7
	s_mov_b32 s72, 0
	s_mov_b32 s7, 8
.LBB131_208:                            ;   in Loop: Header=BB131_30 Depth=1
	s_and_not1_b32 vcc_lo, exec_lo, s72
	s_cbranch_vccnz .LBB131_210
; %bb.209:                              ;   in Loop: Header=BB131_30 Depth=1
	s_sub_i32 s71, s71, s14
	s_mov_b32 s72, -1
	s_mov_b32 s7, 0
	s_mov_b32 s70, s66
	;; [unrolled: 1-line block ×3, first 2 shown]
.LBB131_210:                            ;   in Loop: Header=BB131_30 Depth=1
	s_delay_alu instid0(SALU_CYCLE_1)
	s_mov_b32 s67, s73
	s_mov_b32 s66, s70
	;; [unrolled: 1-line block ×3, first 2 shown]
	s_and_not1_b32 vcc_lo, exec_lo, s72
	s_mov_b32 s74, -1
	s_cbranch_vccz .LBB131_213
.LBB131_211:                            ;   in Loop: Header=BB131_30 Depth=1
                                        ; implicit-def: $sgpr16
                                        ; implicit-def: $sgpr71
                                        ; implicit-def: $sgpr17
	s_branch .LBB131_254
.LBB131_212:                            ;   in Loop: Header=BB131_30 Depth=1
	s_mov_b32 s7, 1
	s_and_not1_b32 vcc_lo, exec_lo, s72
	s_mov_b32 s74, -1
	s_cbranch_vccnz .LBB131_211
.LBB131_213:                            ;   in Loop: Header=BB131_30 Depth=1
	s_cmp_eq_u32 s8, 1
	s_mov_b32 s72, -1
	s_cselect_b32 s7, -1, 0
	s_cmp_eq_u32 s70, 1
	s_cselect_b32 s14, -1, 0
	s_delay_alu instid0(SALU_CYCLE_1) | instskip(NEXT) | instid1(SALU_CYCLE_1)
	s_and_b32 s14, s7, s14
	s_and_b32 vcc_lo, exec_lo, s14
	s_cbranch_vccz .LBB131_225
; %bb.214:                              ;   in Loop: Header=BB131_30 Depth=1
	ds_load_b32 v1, v7 offset:4104
	s_waitcnt lgkmcnt(0)
	s_barrier
	buffer_gl0_inv
	v_readfirstlane_b32 s16, v1
	s_and_saveexec_b32 s7, s2
	s_cbranch_execz .LBB131_216
; %bb.215:                              ;   in Loop: Header=BB131_30 Depth=1
	ds_store_b16 v16, v7
.LBB131_216:                            ;   in Loop: Header=BB131_30 Depth=1
	s_or_b32 exec_lo, exec_lo, s7
	s_or_b32 s66, s66, s9
	s_or_b32 s67, s67, s9
	s_cmp_eq_u32 s16, 0
	s_waitcnt lgkmcnt(0)
	s_barrier
	buffer_gl0_inv
	s_cbranch_scc1 .LBB131_226
; %bb.217:                              ;   in Loop: Header=BB131_30 Depth=1
	s_add_i32 s7, s16, s43
	s_mov_b32 s72, 0
	s_mul_hi_u32 s17, s7, s52
                                        ; implicit-def: $vgpr27
	s_delay_alu instid0(SALU_CYCLE_1) | instskip(NEXT) | instid1(SALU_CYCLE_1)
	s_mul_i32 s17, s17, s27
	s_sub_i32 s17, s7, s17
	s_delay_alu instid0(SALU_CYCLE_1) | instskip(SKIP_2) | instid1(SALU_CYCLE_1)
	s_sub_i32 s71, s17, s27
	s_cmp_ge_u32 s17, s27
	s_cselect_b32 s17, s71, s17
	s_sub_i32 s71, s17, s27
	s_cmp_ge_u32 s17, s27
	s_cselect_b32 s17, s71, s17
	s_delay_alu instid0(SALU_CYCLE_1)
	s_sub_i32 s71, s7, s17
	s_mov_b32 s17, exec_lo
	v_cmpx_gt_u32_e64 s71, v0
	s_cbranch_execz .LBB131_228
; %bb.218:                              ;   in Loop: Header=BB131_30 Depth=1
	v_dual_mov_b32 v1, v15 :: v_dual_mov_b32 v2, v0
                                        ; implicit-def: $sgpr73
	s_set_inst_prefetch_distance 0x1
	s_branch .LBB131_220
	.p2align	6
.LBB131_219:                            ;   in Loop: Header=BB131_220 Depth=2
	s_or_b32 exec_lo, exec_lo, s7
	s_waitcnt lgkmcnt(0)
	s_barrier
	buffer_gl0_inv
	ds_load_b32 v3, v7 offset:3072
	v_add_nc_u32_e32 v2, s27, v2
	v_add_nc_u32_e32 v1, s56, v1
	s_waitcnt lgkmcnt(0)
	s_barrier
	buffer_gl0_inv
	v_cmp_le_u32_e32 vcc_lo, s71, v2
	v_cmp_neq_f16_e64 s7, 0, v3
	s_delay_alu instid0(VALU_DEP_1) | instskip(NEXT) | instid1(SALU_CYCLE_1)
	s_or_b32 s74, vcc_lo, s7
	s_and_b32 s74, exec_lo, s74
	s_delay_alu instid0(SALU_CYCLE_1) | instskip(SKIP_2) | instid1(SALU_CYCLE_1)
	s_or_b32 s72, s74, s72
	s_and_not1_b32 s73, s73, exec_lo
	s_and_b32 s7, s7, exec_lo
	s_or_b32 s73, s73, s7
	s_and_not1_b32 exec_lo, exec_lo, s72
	s_cbranch_execz .LBB131_227
.LBB131_220:                            ;   Parent Loop BB131_30 Depth=1
                                        ; =>  This Inner Loop Header: Depth=2
	s_delay_alu instid0(VALU_DEP_1)
	v_cmp_gt_u32_e32 vcc_lo, s16, v2
	v_mov_b32_e32 v3, 0
	s_and_saveexec_b32 s7, vcc_lo
	s_cbranch_execz .LBB131_222
; %bb.221:                              ;   in Loop: Header=BB131_220 Depth=2
	ds_load_u16 v3, v1
.LBB131_222:                            ;   in Loop: Header=BB131_220 Depth=2
	s_or_b32 exec_lo, exec_lo, s7
	s_and_saveexec_b32 s7, vcc_lo
	s_cbranch_execz .LBB131_219
; %bb.223:                              ;   in Loop: Header=BB131_220 Depth=2
	s_waitcnt lgkmcnt(0)
	v_cmp_lt_i16_e32 vcc_lo, -1, v3
	v_and_b32_e32 v4, 0xffff, v3
	v_cndmask_b32_e32 v6, 0xffff, v26, vcc_lo
	v_cmp_o_f16_e32 vcc_lo, v3, v3
	s_delay_alu instid0(VALU_DEP_2) | instskip(NEXT) | instid1(VALU_DEP_1)
	v_xor_b32_e32 v4, v6, v4
	v_cndmask_b32_e32 v4, 0xffff, v4, vcc_lo
	s_delay_alu instid0(VALU_DEP_1) | instskip(NEXT) | instid1(VALU_DEP_1)
	v_and_b32_e32 v4, s67, v4
	v_cmp_eq_u32_e32 vcc_lo, s66, v4
	s_and_b32 exec_lo, exec_lo, vcc_lo
	s_cbranch_execz .LBB131_219
; %bb.224:                              ;   in Loop: Header=BB131_220 Depth=2
	v_perm_b32 v3, v3, s57, 0x5040100
	ds_store_b32 v7, v3 offset:3072
	s_branch .LBB131_219
.LBB131_225:                            ;   in Loop: Header=BB131_30 Depth=1
                                        ; implicit-def: $sgpr16
                                        ; implicit-def: $sgpr71
                                        ; implicit-def: $sgpr17
	s_branch .LBB131_239
.LBB131_226:                            ;   in Loop: Header=BB131_30 Depth=1
	s_mov_b32 s16, -1
	s_mov_b32 s72, 0
                                        ; implicit-def: $sgpr17
                                        ; implicit-def: $vgpr27
	s_mov_b32 s71, s16
	s_cbranch_execnz .LBB131_229
	s_branch .LBB131_239
.LBB131_227:                            ;   in Loop: Header=BB131_30 Depth=1
	s_set_inst_prefetch_distance 0x2
	s_or_b32 exec_lo, exec_lo, s72
	v_lshrrev_b32_e32 v27, 16, v3
	s_and_b32 s72, s73, exec_lo
.LBB131_228:                            ;   in Loop: Header=BB131_30 Depth=1
	s_or_b32 exec_lo, exec_lo, s17
	s_mov_b32 s17, -1
	s_mov_b32 s16, 0
	s_delay_alu instid0(SALU_CYCLE_1)
	s_mov_b32 s71, s16
	s_branch .LBB131_239
.LBB131_229:                            ;   in Loop: Header=BB131_30 Depth=1
	s_mov_b32 s72, 0
                                        ; implicit-def: $vgpr27
	s_and_saveexec_b32 s16, s6
	s_cbranch_execz .LBB131_238
; %bb.230:                              ;   in Loop: Header=BB131_30 Depth=1
	v_dual_mov_b32 v6, v5 :: v_dual_mov_b32 v1, v0
	s_mov_b32 s17, 0
                                        ; implicit-def: $sgpr71
	s_branch .LBB131_232
.LBB131_231:                            ;   in Loop: Header=BB131_232 Depth=2
	s_or_b32 exec_lo, exec_lo, s7
	s_waitcnt vmcnt(0) lgkmcnt(0)
	s_barrier
	buffer_gl0_inv
	ds_load_b32 v2, v7 offset:3072
	v_add_nc_u32_e32 v1, s27, v1
	v_add_nc_u32_e32 v6, s40, v6
	s_waitcnt lgkmcnt(0)
	s_barrier
	buffer_gl0_inv
	v_cmp_le_u32_e32 vcc_lo, s54, v1
	v_cmp_neq_f16_e64 s7, 0, v2
	s_delay_alu instid0(VALU_DEP_1) | instskip(NEXT) | instid1(SALU_CYCLE_1)
	s_or_b32 s72, vcc_lo, s7
	s_and_b32 s72, exec_lo, s72
	s_delay_alu instid0(SALU_CYCLE_1) | instskip(SKIP_2) | instid1(SALU_CYCLE_1)
	s_or_b32 s17, s72, s17
	s_and_not1_b32 s71, s71, exec_lo
	s_and_b32 s7, s7, exec_lo
	s_or_b32 s71, s71, s7
	s_and_not1_b32 exec_lo, exec_lo, s17
	s_cbranch_execz .LBB131_237
.LBB131_232:                            ;   Parent Loop BB131_30 Depth=1
                                        ; =>  This Inner Loop Header: Depth=2
	s_delay_alu instid0(VALU_DEP_1)
	v_cmp_gt_u32_e32 vcc_lo, s24, v1
	v_mov_b32_e32 v2, 0
	s_and_saveexec_b32 s72, vcc_lo
	s_cbranch_execz .LBB131_234
; %bb.233:                              ;   in Loop: Header=BB131_232 Depth=2
	v_lshlrev_b64 v[2:3], 1, v[6:7]
	s_delay_alu instid0(VALU_DEP_1) | instskip(NEXT) | instid1(VALU_DEP_1)
	v_add_co_u32 v2, s7, s37, v2
	v_add_co_ci_u32_e64 v3, s7, s38, v3, s7
	global_load_u16 v2, v[2:3], off
.LBB131_234:                            ;   in Loop: Header=BB131_232 Depth=2
	s_or_b32 exec_lo, exec_lo, s72
	s_and_saveexec_b32 s7, vcc_lo
	s_cbranch_execz .LBB131_231
; %bb.235:                              ;   in Loop: Header=BB131_232 Depth=2
	s_waitcnt vmcnt(0)
	v_cmp_lt_i16_e32 vcc_lo, -1, v2
	v_and_b32_e32 v3, 0xffff, v2
	v_cndmask_b32_e32 v4, 0xffff, v26, vcc_lo
	v_cmp_o_f16_e32 vcc_lo, v2, v2
	s_delay_alu instid0(VALU_DEP_2) | instskip(NEXT) | instid1(VALU_DEP_1)
	v_xor_b32_e32 v3, v4, v3
	v_cndmask_b32_e32 v3, 0xffff, v3, vcc_lo
	s_delay_alu instid0(VALU_DEP_1) | instskip(NEXT) | instid1(VALU_DEP_1)
	v_and_b32_e32 v3, s67, v3
	v_cmp_eq_u32_e32 vcc_lo, s66, v3
	s_and_b32 exec_lo, exec_lo, vcc_lo
	s_cbranch_execz .LBB131_231
; %bb.236:                              ;   in Loop: Header=BB131_232 Depth=2
	v_perm_b32 v2, v2, s57, 0x5040100
	ds_store_b32 v7, v2 offset:3072
	s_branch .LBB131_231
.LBB131_237:                            ;   in Loop: Header=BB131_30 Depth=1
	s_or_b32 exec_lo, exec_lo, s17
	v_lshrrev_b32_e32 v27, 16, v2
	s_and_b32 s72, s71, exec_lo
.LBB131_238:                            ;   in Loop: Header=BB131_30 Depth=1
	s_or_b32 exec_lo, exec_lo, s16
	s_mov_b32 s71, -1
	s_mov_b32 s16, 0
	s_mov_b32 s17, 0
.LBB131_239:                            ;   in Loop: Header=BB131_30 Depth=1
	s_mov_b32 s74, 0
                                        ; implicit-def: $sgpr7
	s_and_saveexec_b32 s73, s72
	s_cbranch_execz .LBB131_253
; %bb.240:                              ;   in Loop: Header=BB131_30 Depth=1
	s_xor_b32 s7, s14, -1
	s_delay_alu instid0(SALU_CYCLE_1)
	s_and_not1_b32 vcc_lo, exec_lo, s7
	s_mov_b32 s7, 1
	s_cbranch_vccnz .LBB131_247
; %bb.241:                              ;   in Loop: Header=BB131_30 Depth=1
	s_cmp_gt_u32 s70, s8
	s_cbranch_scc1 .LBB131_248
; %bb.242:                              ;   in Loop: Header=BB131_30 Depth=1
	ds_load_b32 v1, v7 offset:4104
	s_waitcnt lgkmcnt(0)
	v_cmp_ne_u32_e32 vcc_lo, 0, v1
	s_cbranch_vccnz .LBB131_246
; %bb.243:                              ;   in Loop: Header=BB131_30 Depth=1
	s_and_saveexec_b32 s7, s1
	s_cbranch_execz .LBB131_245
; %bb.244:                              ;   in Loop: Header=BB131_30 Depth=1
	v_mov_b32_e32 v1, s8
	ds_store_b32 v7, v1 offset:4108
.LBB131_245:                            ;   in Loop: Header=BB131_30 Depth=1
	s_or_b32 exec_lo, exec_lo, s7
	s_waitcnt lgkmcnt(0)
	s_barrier
	buffer_gl0_inv
.LBB131_246:                            ;   in Loop: Header=BB131_30 Depth=1
	s_or_b32 s14, s66, s9
	s_or_b32 s9, s67, s9
	s_mov_b32 s72, 0
	s_mov_b32 s7, 8
	s_branch .LBB131_249
.LBB131_247:                            ;   in Loop: Header=BB131_30 Depth=1
	s_mov_b32 s70, 1
	s_branch .LBB131_252
.LBB131_248:                            ;   in Loop: Header=BB131_30 Depth=1
	s_mov_b32 s72, -1
                                        ; implicit-def: $sgpr7
                                        ; implicit-def: $sgpr14
                                        ; implicit-def: $sgpr9
.LBB131_249:                            ;   in Loop: Header=BB131_30 Depth=1
	s_delay_alu instid0(SALU_CYCLE_1)
	s_and_not1_b32 vcc_lo, exec_lo, s72
	s_cbranch_vccnz .LBB131_251
; %bb.250:                              ;   in Loop: Header=BB131_30 Depth=1
	s_sub_i32 s70, s70, s8
	s_mov_b32 s7, 8
	s_mov_b32 s14, s66
	s_mov_b32 s9, s67
.LBB131_251:                            ;   in Loop: Header=BB131_30 Depth=1
	s_mov_b32 s66, s14
	s_mov_b32 s67, s9
.LBB131_252:                            ;   in Loop: Header=BB131_30 Depth=1
	s_mov_b32 s74, exec_lo
.LBB131_253:                            ;   in Loop: Header=BB131_30 Depth=1
	s_or_b32 exec_lo, exec_lo, s73
.LBB131_254:                            ;   in Loop: Header=BB131_30 Depth=1
	s_delay_alu instid0(SALU_CYCLE_1)
	s_and_not1_b32 s8, s19, exec_lo
	s_and_b32 s9, s16, exec_lo
	s_and_not1_b32 s14, s20, exec_lo
	s_or_b32 s19, s8, s9
	s_and_not1_b32 s8, s68, exec_lo
	s_and_b32 s9, s71, exec_lo
	s_and_b32 s16, s17, exec_lo
	s_or_b32 s68, s8, s9
	s_or_b32 s20, s14, s16
	s_and_b32 s73, s74, exec_lo
	s_mov_b32 s71, s70
.LBB131_255:                            ;   in Loop: Header=BB131_30 Depth=1
	s_or_b32 exec_lo, exec_lo, s69
.LBB131_256:                            ;   in Loop: Header=BB131_30 Depth=1
	s_delay_alu instid0(SALU_CYCLE_1)
	s_and_not1_b32 s8, s13, exec_lo
	s_and_b32 s9, s19, exec_lo
	s_and_not1_b32 s12, s12, exec_lo
	s_or_b32 s13, s8, s9
	s_and_not1_b32 s8, s15, exec_lo
	s_and_b32 s9, s68, exec_lo
	s_and_b32 s14, s20, exec_lo
	s_or_b32 s15, s8, s9
	s_or_b32 s12, s12, s14
	s_and_b32 s70, s73, exec_lo
	s_mov_b32 s20, s71
.LBB131_257:                            ;   in Loop: Header=BB131_30 Depth=1
	s_or_b32 exec_lo, exec_lo, s18
                                        ; implicit-def: $sgpr68
	s_and_saveexec_b32 s8, s70
	s_delay_alu instid0(SALU_CYCLE_1)
	s_xor_b32 s8, exec_lo, s8
	s_cbranch_execz .LBB131_28
.LBB131_258:                            ;   in Loop: Header=BB131_30 Depth=1
	s_and_b32 s7, s7, -9
	s_delay_alu instid0(SALU_CYCLE_1)
	s_cmp_eq_u32 s7, 0
	s_cbranch_scc1 .LBB131_26
; %bb.259:                              ;   in Loop: Header=BB131_30 Depth=1
	s_mov_b32 s7, -1
	s_mov_b32 s9, -1
                                        ; implicit-def: $sgpr67
                                        ; implicit-def: $sgpr20
                                        ; implicit-def: $sgpr61
                                        ; implicit-def: $sgpr64
	s_branch .LBB131_27
.LBB131_260:
	s_or_b32 exec_lo, exec_lo, s39
	s_xor_b32 s4, s60, -1
	s_xor_b32 s1, s58, -1
	;; [unrolled: 1-line block ×3, first 2 shown]
	s_mov_b32 s2, 0
	s_and_saveexec_b32 s5, s1
	s_delay_alu instid0(SALU_CYCLE_1)
	s_xor_b32 s1, exec_lo, s5
	s_cbranch_execz .LBB131_274
; %bb.261:
	s_and_saveexec_b32 s2, s4
	s_delay_alu instid0(SALU_CYCLE_1)
	s_xor_b32 s4, exec_lo, s2
	s_cbranch_execz .LBB131_272
; %bb.262:
	s_and_saveexec_b32 s2, s3
	s_delay_alu instid0(SALU_CYCLE_1)
	s_xor_b32 s2, exec_lo, s2
; %bb.263:
	v_and_b32_e32 v2, 0x8000, v1
	v_mov_b32_e32 v3, 0xffff
	s_delay_alu instid0(VALU_DEP_2) | instskip(NEXT) | instid1(VALU_DEP_2)
	v_cmp_eq_u32_e32 vcc_lo, 0, v2
	v_cndmask_b32_e32 v2, 0x8000, v3, vcc_lo
	s_delay_alu instid0(VALU_DEP_1)
	v_xor_b32_e32 v27, v2, v1
; %bb.264:
	s_or_b32 exec_lo, exec_lo, s2
	s_mul_i32 s2, s33, s25
	s_mov_b32 s3, 0
	s_add_i32 s2, s2, s21
	v_mov_b32_e32 v6, 0
	s_lshl_b64 s[6:7], s[2:3], 1
	s_delay_alu instid0(SALU_CYCLE_1)
	s_add_u32 s6, s30, s6
	s_addc_u32 s7, s31, s7
	global_store_b16 v6, v27, s[6:7]
	s_and_saveexec_b32 s2, s0
	s_cbranch_execz .LBB131_271
; %bb.265:
	v_cmp_u_f16_e32 vcc_lo, v27, v27
                                        ; implicit-def: $sgpr5
                                        ; implicit-def: $sgpr8
                                        ; implicit-def: $sgpr7
	s_xor_b32 s6, vcc_lo, -1
	s_set_inst_prefetch_distance 0x1
	s_branch .LBB131_267
	.p2align	6
.LBB131_266:                            ;   in Loop: Header=BB131_267 Depth=1
	s_or_b32 exec_lo, exec_lo, s0
	s_delay_alu instid0(SALU_CYCLE_1) | instskip(NEXT) | instid1(SALU_CYCLE_1)
	s_and_b32 s0, exec_lo, s8
	s_or_b32 s3, s0, s3
	s_and_not1_b32 s0, s5, exec_lo
	s_and_b32 s5, s7, exec_lo
	s_delay_alu instid0(SALU_CYCLE_1)
	s_or_b32 s5, s0, s5
	s_and_not1_b32 exec_lo, exec_lo, s3
	s_cbranch_execz .LBB131_269
.LBB131_267:                            ; =>This Inner Loop Header: Depth=1
	v_lshlrev_b64 v[1:2], 1, v[5:6]
	s_or_b32 s7, s7, exec_lo
	s_or_b32 s8, s8, exec_lo
	s_delay_alu instid0(VALU_DEP_1) | instskip(NEXT) | instid1(VALU_DEP_2)
	v_add_co_u32 v1, vcc_lo, s37, v1
	v_add_co_ci_u32_e32 v2, vcc_lo, s38, v2, vcc_lo
	global_load_u16 v1, v[1:2], off
	s_waitcnt vmcnt(0)
	v_cmp_o_f16_e32 vcc_lo, v1, v1
	v_cmp_neq_f16_e64 s0, v1, v27
	v_mov_b32_e32 v1, v0
                                        ; implicit-def: $vgpr0
	s_or_b32 s9, s6, vcc_lo
	s_delay_alu instid0(VALU_DEP_2) | instid1(SALU_CYCLE_1)
	s_and_b32 s9, s0, s9
	s_delay_alu instid0(SALU_CYCLE_1)
	s_and_saveexec_b32 s0, s9
	s_cbranch_execz .LBB131_266
; %bb.268:                              ;   in Loop: Header=BB131_267 Depth=1
	v_add_nc_u32_e32 v0, s27, v1
	s_and_not1_b32 s8, s8, exec_lo
	v_add_nc_u32_e32 v5, s40, v5
	s_and_not1_b32 s7, s7, exec_lo
	s_delay_alu instid0(VALU_DEP_2) | instskip(SKIP_1) | instid1(SALU_CYCLE_1)
	v_cmp_le_u32_e32 vcc_lo, s24, v0
	s_and_b32 s9, vcc_lo, exec_lo
	s_or_b32 s8, s8, s9
	s_branch .LBB131_266
.LBB131_269:
	s_set_inst_prefetch_distance 0x2
	s_or_b32 exec_lo, exec_lo, s3
	s_and_saveexec_b32 s0, s5
	s_delay_alu instid0(SALU_CYCLE_1)
	s_xor_b32 s0, exec_lo, s0
	s_cbranch_execz .LBB131_271
; %bb.270:
	s_mul_i32 s0, s36, s22
	s_mov_b32 s7, 0
	s_add_i32 s6, s0, s23
	v_mov_b32_e32 v2, 0
	s_lshl_b64 s[6:7], s[6:7], 3
	s_delay_alu instid0(SALU_CYCLE_1)
	s_add_u32 s6, s28, s6
	s_addc_u32 s7, s29, s7
	global_store_b64 v2, v[1:2], s[6:7]
.LBB131_271:
	s_or_b32 exec_lo, exec_lo, s2
.LBB131_272:
	s_or_saveexec_b32 s0, s4
	s_mov_b32 s2, 0
	s_xor_b32 exec_lo, exec_lo, s0
	s_cbranch_execnz .LBB131_280
.LBB131_273:
	s_or_b32 exec_lo, exec_lo, s0
	s_delay_alu instid0(SALU_CYCLE_1)
	s_and_b32 s2, s2, exec_lo
.LBB131_274:
	s_and_not1_saveexec_b32 s0, s1
	s_cbranch_execnz .LBB131_278
; %bb.275:
	s_or_b32 exec_lo, exec_lo, s0
	s_and_saveexec_b32 s0, s2
.LBB131_276:
	; divergent unreachable
.LBB131_277:
	s_nop 0
	s_sendmsg sendmsg(MSG_DEALLOC_VGPRS)
	s_endpgm
.LBB131_278:
	s_cbranch_execnz .LBB131_282
; %bb.279:
	s_or_b32 s2, s2, exec_lo
	s_or_b32 exec_lo, exec_lo, s0
	s_and_saveexec_b32 s0, s2
	s_cbranch_execnz .LBB131_276
	s_branch .LBB131_277
.LBB131_280:
	s_cbranch_execnz .LBB131_284
; %bb.281:
	s_mov_b32 s2, exec_lo
	s_branch .LBB131_273
.LBB131_282:
	s_trap 2
	s_sendmsg_rtn_b32 s0, sendmsg(MSG_RTN_GET_DOORBELL)
	s_mov_b32 ttmp2, m0
	s_waitcnt lgkmcnt(0)
	s_and_b32 s0, s0, 0x3ff
	s_delay_alu instid0(SALU_CYCLE_1) | instskip(NEXT) | instid1(SALU_CYCLE_1)
	s_bitset1_b32 s0, 10
	s_mov_b32 m0, s0
	s_sendmsg sendmsg(MSG_INTERRUPT)
	s_mov_b32 m0, ttmp2
.LBB131_283:                            ; =>This Inner Loop Header: Depth=1
	s_sethalt 5
	s_branch .LBB131_283
.LBB131_284:
	s_trap 2
	s_sendmsg_rtn_b32 s0, sendmsg(MSG_RTN_GET_DOORBELL)
	s_mov_b32 ttmp2, m0
	s_waitcnt lgkmcnt(0)
	s_and_b32 s0, s0, 0x3ff
	s_delay_alu instid0(SALU_CYCLE_1) | instskip(NEXT) | instid1(SALU_CYCLE_1)
	s_bitset1_b32 s0, 10
	s_mov_b32 m0, s0
	s_sendmsg sendmsg(MSG_INTERRUPT)
	s_mov_b32 m0, ttmp2
.LBB131_285:                            ; =>This Inner Loop Header: Depth=1
	s_sethalt 5
	s_branch .LBB131_285
	.section	.rodata,"a",@progbits
	.p2align	6, 0x0
	.amdhsa_kernel _ZN2at6native12_GLOBAL__N_112gatherMedianIN3c104HalfEjLin1EEEvNS_4cuda6detail10TensorInfoIT_T0_EENS7_IlS9_EENS7_IKS8_S9_EES9_S9_S9_b
		.amdhsa_group_segment_fixed_size 4120
		.amdhsa_private_segment_fixed_size 0
		.amdhsa_kernarg_size 920
		.amdhsa_user_sgpr_count 13
		.amdhsa_user_sgpr_dispatch_ptr 0
		.amdhsa_user_sgpr_queue_ptr 0
		.amdhsa_user_sgpr_kernarg_segment_ptr 1
		.amdhsa_user_sgpr_dispatch_id 0
		.amdhsa_user_sgpr_private_segment_size 0
		.amdhsa_wavefront_size32 1
		.amdhsa_uses_dynamic_stack 0
		.amdhsa_enable_private_segment 0
		.amdhsa_system_sgpr_workgroup_id_x 1
		.amdhsa_system_sgpr_workgroup_id_y 1
		.amdhsa_system_sgpr_workgroup_id_z 1
		.amdhsa_system_sgpr_workgroup_info 0
		.amdhsa_system_vgpr_workitem_id 0
		.amdhsa_next_free_vgpr 34
		.amdhsa_next_free_sgpr 80
		.amdhsa_reserve_vcc 1
		.amdhsa_float_round_mode_32 0
		.amdhsa_float_round_mode_16_64 0
		.amdhsa_float_denorm_mode_32 3
		.amdhsa_float_denorm_mode_16_64 3
		.amdhsa_dx10_clamp 1
		.amdhsa_ieee_mode 1
		.amdhsa_fp16_overflow 0
		.amdhsa_workgroup_processor_mode 1
		.amdhsa_memory_ordered 1
		.amdhsa_forward_progress 0
		.amdhsa_shared_vgpr_count 0
		.amdhsa_exception_fp_ieee_invalid_op 0
		.amdhsa_exception_fp_denorm_src 0
		.amdhsa_exception_fp_ieee_div_zero 0
		.amdhsa_exception_fp_ieee_overflow 0
		.amdhsa_exception_fp_ieee_underflow 0
		.amdhsa_exception_fp_ieee_inexact 0
		.amdhsa_exception_int_div_zero 0
	.end_amdhsa_kernel
	.section	.text._ZN2at6native12_GLOBAL__N_112gatherMedianIN3c104HalfEjLin1EEEvNS_4cuda6detail10TensorInfoIT_T0_EENS7_IlS9_EENS7_IKS8_S9_EES9_S9_S9_b,"axG",@progbits,_ZN2at6native12_GLOBAL__N_112gatherMedianIN3c104HalfEjLin1EEEvNS_4cuda6detail10TensorInfoIT_T0_EENS7_IlS9_EENS7_IKS8_S9_EES9_S9_S9_b,comdat
.Lfunc_end131:
	.size	_ZN2at6native12_GLOBAL__N_112gatherMedianIN3c104HalfEjLin1EEEvNS_4cuda6detail10TensorInfoIT_T0_EENS7_IlS9_EENS7_IKS8_S9_EES9_S9_S9_b, .Lfunc_end131-_ZN2at6native12_GLOBAL__N_112gatherMedianIN3c104HalfEjLin1EEEvNS_4cuda6detail10TensorInfoIT_T0_EENS7_IlS9_EENS7_IKS8_S9_EES9_S9_S9_b
                                        ; -- End function
	.section	.AMDGPU.csdata,"",@progbits
; Kernel info:
; codeLenInByte = 11364
; NumSgprs: 82
; NumVgprs: 34
; ScratchSize: 0
; MemoryBound: 0
; FloatMode: 240
; IeeeMode: 1
; LDSByteSize: 4120 bytes/workgroup (compile time only)
; SGPRBlocks: 10
; VGPRBlocks: 4
; NumSGPRsForWavesPerEU: 82
; NumVGPRsForWavesPerEU: 34
; Occupancy: 16
; WaveLimiterHint : 1
; COMPUTE_PGM_RSRC2:SCRATCH_EN: 0
; COMPUTE_PGM_RSRC2:USER_SGPR: 13
; COMPUTE_PGM_RSRC2:TRAP_HANDLER: 0
; COMPUTE_PGM_RSRC2:TGID_X_EN: 1
; COMPUTE_PGM_RSRC2:TGID_Y_EN: 1
; COMPUTE_PGM_RSRC2:TGID_Z_EN: 1
; COMPUTE_PGM_RSRC2:TIDIG_COMP_CNT: 0
	.section	.text._ZN2at6native12_GLOBAL__N_112gatherMedianIN3c104HalfEmLi1EEEvNS_4cuda6detail10TensorInfoIT_T0_EENS7_IlS9_EENS7_IKS8_S9_EES9_S9_S9_b,"axG",@progbits,_ZN2at6native12_GLOBAL__N_112gatherMedianIN3c104HalfEmLi1EEEvNS_4cuda6detail10TensorInfoIT_T0_EENS7_IlS9_EENS7_IKS8_S9_EES9_S9_S9_b,comdat
	.globl	_ZN2at6native12_GLOBAL__N_112gatherMedianIN3c104HalfEmLi1EEEvNS_4cuda6detail10TensorInfoIT_T0_EENS7_IlS9_EENS7_IKS8_S9_EES9_S9_S9_b ; -- Begin function _ZN2at6native12_GLOBAL__N_112gatherMedianIN3c104HalfEmLi1EEEvNS_4cuda6detail10TensorInfoIT_T0_EENS7_IlS9_EENS7_IKS8_S9_EES9_S9_S9_b
	.p2align	8
	.type	_ZN2at6native12_GLOBAL__N_112gatherMedianIN3c104HalfEmLi1EEEvNS_4cuda6detail10TensorInfoIT_T0_EENS7_IlS9_EENS7_IKS8_S9_EES9_S9_S9_b,@function
_ZN2at6native12_GLOBAL__N_112gatherMedianIN3c104HalfEmLi1EEEvNS_4cuda6detail10TensorInfoIT_T0_EENS7_IlS9_EENS7_IKS8_S9_EES9_S9_S9_b: ; @_ZN2at6native12_GLOBAL__N_112gatherMedianIN3c104HalfEmLi1EEEvNS_4cuda6detail10TensorInfoIT_T0_EENS7_IlS9_EENS7_IKS8_S9_EES9_S9_S9_b
; %bb.0:
	s_clause 0x1
	s_load_b64 s[8:9], s[0:1], 0x500
	s_load_b128 s[24:27], s[0:1], 0x4e0
	s_add_u32 s6, s0, 0x500
	s_addc_u32 s7, s1, 0
	s_mov_b32 s29, 0
	s_waitcnt lgkmcnt(0)
	s_mul_i32 s2, s9, s15
	s_delay_alu instid0(SALU_CYCLE_1) | instskip(NEXT) | instid1(SALU_CYCLE_1)
	s_add_i32 s2, s2, s14
	s_mul_i32 s2, s2, s8
	s_delay_alu instid0(SALU_CYCLE_1) | instskip(NEXT) | instid1(SALU_CYCLE_1)
	s_add_i32 s28, s2, s13
	v_cmp_ge_u64_e64 s2, s[28:29], s[26:27]
	s_delay_alu instid0(VALU_DEP_1)
	s_and_b32 vcc_lo, exec_lo, s2
	s_cbranch_vccnz .LBB132_303
; %bb.1:
	s_clause 0x6
	s_load_b64 s[10:11], s[0:1], 0x410
	s_load_b64 s[38:39], s[0:1], 0x4f0
	;; [unrolled: 1-line block ×7, first 2 shown]
	v_dual_mov_b32 v1, 0 :: v_dual_mov_b32 v2, 0
	v_mov_b32_e32 v3, 0
	s_delay_alu instid0(VALU_DEP_2)
	v_cmp_gt_u64_e64 s2, s[24:25], v[0:1]
	s_waitcnt lgkmcnt(0)
	s_mul_i32 s3, s11, s28
	s_mul_hi_u32 s9, s10, s28
	s_mul_i32 s10, s10, s28
	s_add_i32 s11, s9, s3
	s_and_saveexec_b32 s9, s2
	s_cbranch_execz .LBB132_5
; %bb.2:
	v_mad_u64_u32 v[4:5], null, s38, v0, 0
	s_load_b32 s3, s[6:7], 0xc
	s_lshl_b64 s[14:15], s[10:11], 1
	s_delay_alu instid0(VALU_DEP_1) | instskip(NEXT) | instid1(VALU_DEP_1)
	v_mov_b32_e32 v2, v5
	v_mad_u64_u32 v[5:6], null, s39, v0, v[2:3]
	v_dual_mov_b32 v2, 0 :: v_dual_mov_b32 v7, v1
	v_dual_mov_b32 v3, 0 :: v_dual_mov_b32 v6, v0
	s_delay_alu instid0(VALU_DEP_3)
	v_lshlrev_b64 v[4:5], 1, v[4:5]
	s_waitcnt lgkmcnt(0)
	s_and_b32 s12, s3, 0xffff
	s_add_u32 s3, s4, s14
	s_addc_u32 s17, s5, s15
	s_mul_i32 s14, s39, s12
	s_mul_hi_u32 s16, s38, s12
	v_add_co_u32 v4, vcc_lo, s3, v4
	v_add_co_ci_u32_e32 v5, vcc_lo, s17, v5, vcc_lo
	s_add_i32 s15, s16, s14
	s_mul_i32 s14, s38, s12
	s_mov_b32 s16, 0
	s_lshl_b64 s[14:15], s[14:15], 1
	.p2align	6
.LBB132_3:                              ; =>This Inner Loop Header: Depth=1
	global_load_u16 v8, v[4:5], off
	v_add_co_u32 v6, vcc_lo, v6, s12
	v_add_co_ci_u32_e32 v7, vcc_lo, 0, v7, vcc_lo
	v_add_co_u32 v4, vcc_lo, v4, s14
	v_add_co_ci_u32_e32 v5, vcc_lo, s15, v5, vcc_lo
	s_waitcnt vmcnt(0)
	v_cmp_u_f16_e32 vcc_lo, v8, v8
	v_cndmask_b32_e64 v8, 0, 1, vcc_lo
	v_cmp_le_u64_e32 vcc_lo, s[24:25], v[6:7]
	s_delay_alu instid0(VALU_DEP_2) | instskip(NEXT) | instid1(VALU_DEP_1)
	v_add_co_u32 v2, s3, v2, v8
	v_add_co_ci_u32_e64 v3, s3, 0, v3, s3
	s_or_b32 s16, vcc_lo, s16
	s_delay_alu instid0(SALU_CYCLE_1)
	s_and_not1_b32 exec_lo, exec_lo, s16
	s_cbranch_execnz .LBB132_3
; %bb.4:
	s_or_b32 exec_lo, exec_lo, s16
.LBB132_5:
	s_delay_alu instid0(SALU_CYCLE_1) | instskip(SKIP_1) | instid1(VALU_DEP_1)
	s_or_b32 exec_lo, exec_lo, s9
	v_cmp_eq_u32_e64 s3, 0, v0
	s_and_saveexec_b32 s9, s3
	s_cbranch_execz .LBB132_7
; %bb.6:
	v_mov_b32_e32 v4, 0
	s_delay_alu instid0(VALU_DEP_1)
	v_mov_b32_e32 v5, v4
	ds_store_b64 v4, v[4:5] offset:5136
.LBB132_7:
	s_or_b32 exec_lo, exec_lo, s9
	s_mov_b64 s[14:15], 0
	s_mov_b32 s9, exec_lo
	s_waitcnt lgkmcnt(0)
	s_barrier
	buffer_gl0_inv
	v_cmpx_ne_u64_e32 0, v[2:3]
	s_cbranch_execz .LBB132_12
; %bb.8:
	s_mov_b32 s12, exec_lo
.LBB132_9:                              ; =>This Inner Loop Header: Depth=1
	s_delay_alu instid0(SALU_CYCLE_1) | instskip(NEXT) | instid1(SALU_CYCLE_1)
	s_ctz_i32_b32 s16, s12
	v_readlane_b32 s17, v2, s16
	v_readlane_b32 s18, v3, s16
	s_delay_alu instid0(VALU_DEP_2) | instskip(NEXT) | instid1(VALU_DEP_1)
	s_add_u32 s14, s14, s17
	s_addc_u32 s15, s15, s18
	s_lshl_b32 s16, 1, s16
	s_delay_alu instid0(SALU_CYCLE_1) | instskip(NEXT) | instid1(SALU_CYCLE_1)
	s_and_not1_b32 s12, s12, s16
	s_cmp_lg_u32 s12, 0
	s_cbranch_scc1 .LBB132_9
; %bb.10:
	v_mbcnt_lo_u32_b32 v2, exec_lo, 0
	s_mov_b32 s12, exec_lo
	s_delay_alu instid0(VALU_DEP_1)
	v_cmpx_eq_u32_e32 0, v2
	s_xor_b32 s12, exec_lo, s12
	s_cbranch_execz .LBB132_12
; %bb.11:
	v_mov_b32_e32 v2, s14
	v_dual_mov_b32 v4, 0 :: v_dual_mov_b32 v3, s15
	ds_add_u64 v4, v[2:3] offset:5136
.LBB132_12:
	s_or_b32 exec_lo, exec_lo, s9
	v_mov_b32_e32 v2, 0
	s_waitcnt lgkmcnt(0)
	s_barrier
	buffer_gl0_inv
	s_load_b32 s9, s[0:1], 0x4f8
	ds_load_b64 v[2:3], v2 offset:5136
	s_mov_b64 s[44:45], s[24:25]
	s_waitcnt lgkmcnt(0)
	s_bitcmp1_b32 s9, 0
	v_readfirstlane_b32 s0, v2
	v_readfirstlane_b32 s1, v3
	s_cselect_b32 s9, -1, 0
	s_delay_alu instid0(VALU_DEP_1) | instskip(NEXT) | instid1(VALU_DEP_1)
	v_cmp_lt_i64_e64 s12, s[0:1], 1
	s_or_b32 s9, s9, s12
	s_delay_alu instid0(SALU_CYCLE_1)
	s_and_not1_b32 vcc_lo, exec_lo, s9
	s_cbranch_vccnz .LBB132_14
; %bb.13:
	s_not_b64 s[0:1], s[0:1]
	s_delay_alu instid0(SALU_CYCLE_1) | instskip(SKIP_1) | instid1(SALU_CYCLE_1)
	s_add_u32 s0, s0, s24
	s_addc_u32 s1, s1, s25
	s_lshr_b64 s[0:1], s[0:1], 1
	s_delay_alu instid0(SALU_CYCLE_1)
	s_add_u32 s44, s0, 1
	s_addc_u32 s45, s1, 0
.LBB132_14:
	s_and_saveexec_b32 s0, s3
	s_cbranch_execz .LBB132_16
; %bb.15:
	v_dual_mov_b32 v2, 0 :: v_dual_mov_b32 v5, s25
	s_delay_alu instid0(VALU_DEP_1)
	v_dual_mov_b32 v4, s24 :: v_dual_mov_b32 v3, v2
	ds_store_b32 v2, v2 offset:5144
	ds_store_b128 v2, v[2:5] offset:5120
.LBB132_16:
	s_or_b32 exec_lo, exec_lo, s0
	v_mad_u64_u32 v[2:3], null, v0, s38, 0
	v_lshlrev_b32_e32 v31, 3, v0
	v_mbcnt_lo_u32_b32 v27, -1, 0
	v_dual_mov_b32 v15, 0 :: v_dual_lshlrev_b32 v28, 1, v0
	v_lshrrev_b32_e32 v6, 3, v0
	s_delay_alu instid0(VALU_DEP_4) | instskip(SKIP_3) | instid1(VALU_DEP_3)
	v_or_b32_e32 v22, 2, v31
	v_mad_u64_u32 v[4:5], null, v0, s39, v[3:4]
	v_lshlrev_b32_e32 v12, 2, v0
	s_waitcnt lgkmcnt(0)
	v_mad_u64_u32 v[20:21], null, s38, v22, 0
	s_barrier
	buffer_gl0_inv
	v_mov_b32_e32 v3, v4
	s_load_b32 s9, s[6:7], 0xc
	s_lshl_b64 s[10:11], s[10:11], 1
	v_cmp_gt_u32_e32 vcc_lo, 32, v0
	s_add_u32 s46, s4, s10
	v_lshlrev_b64 v[4:5], 1, v[2:3]
	v_cmp_gt_i32_e64 s4, 4, v27
	v_dual_mov_b32 v13, v15 :: v_dual_and_b32 v30, 0x7c, v6
	v_mov_b32_e32 v6, v21
	v_or_b32_e32 v9, 6, v31
	v_or_b32_e32 v14, 4, v31
	s_addc_u32 s47, s5, s11
	s_and_b32 s68, vcc_lo, s4
	v_add_co_u32 v10, vcc_lo, s46, v4
	v_mad_u64_u32 v[16:17], null, s38, v9, 0
	v_mad_u64_u32 v[18:19], null, s38, v14, 0
	v_add_co_ci_u32_e32 v11, vcc_lo, s47, v5, vcc_lo
	v_lshlrev_b64 v[4:5], v27, -1
	v_add_nc_u32_e32 v29, 0xc00, v28
	s_waitcnt lgkmcnt(0)
	s_and_b32 s29, s9, 0xffff
	s_bfe_u32 s4, s9, 0xb0005
	s_delay_alu instid0(VALU_DEP_4)
	v_dual_mov_b32 v5, v19 :: v_dual_mov_b32 v36, 0
	v_not_b32_e32 v32, v4
	v_mov_b32_e32 v4, v17
	s_add_u32 s69, s29, -1
	s_addc_u32 s70, 0, -1
	s_add_u32 s71, s69, s24
	s_addc_u32 s49, s70, s25
	v_mad_u64_u32 v[7:8], null, s39, v9, v[4:5]
	s_cmp_lt_u32 s13, s8
	v_mad_u64_u32 v[8:9], null, s39, v14, v[5:6]
	s_cselect_b32 s5, 12, 18
	v_cmp_lt_u64_e64 s33, 0x600, s[24:25]
	s_add_u32 s50, s6, s5
	s_delay_alu instid0(VALU_DEP_3)
	v_mad_u64_u32 v[4:5], null, s39, v22, v[6:7]
	s_addc_u32 s51, s7, 0
	s_add_i32 s5, s4, -1
	s_bfe_u32 s72, s29, 0x30005
	s_cmp_gt_u32 s5, 6
	v_lshlrev_b64 v[21:22], 3, v[2:3]
	s_cselect_b32 s73, -1, 0
	s_and_b32 s74, s4, 0x7f8
	s_cmp_lg_u32 s72, 0
	s_mul_i32 s4, s39, s29
	s_mul_hi_u32 s5, s38, s29
	v_cmp_gt_u32_e64 s0, 2, v0
	v_cmp_eq_u32_e64 s1, 0, v27
	v_cmp_gt_u16_e64 s75, s9, 31
	v_mov_b32_e32 v17, v7
	v_mov_b32_e32 v19, v8
	;; [unrolled: 1-line block ×3, first 2 shown]
	v_lshl_or_b32 v34, v27, 3, 0xc00
	v_mov_b32_e32 v35, 0x8000
	s_cselect_b32 s76, -1, 0
	s_add_i32 s5, s5, s4
	s_mul_i32 s4, s38, s29
	s_mov_b32 s43, 0
	s_lshl_b64 s[52:53], s[38:39], 1
	s_lshl_b64 s[54:55], s[38:39], 3
	s_lshl_b32 s77, s29, 1
	s_lshl_b64 s[40:41], s[4:5], 1
	s_mov_b32 s83, 14
	s_movk_i32 s78, 0x3c00
	s_mov_b32 s79, 0
	s_mov_b32 s86, 0
	;; [unrolled: 1-line block ×4, first 2 shown]
                                        ; implicit-def: $sgpr80
                                        ; implicit-def: $sgpr82
                                        ; implicit-def: $sgpr81
                                        ; implicit-def: $sgpr85
                                        ; implicit-def: $sgpr87
                                        ; implicit-def: $sgpr84
	s_branch .LBB132_21
.LBB132_17:                             ;   in Loop: Header=BB132_21 Depth=1
	s_xor_b32 s86, s86, 1
	s_add_i32 s7, s83, -2
	s_cmp_eq_u32 s83, 0
	s_mov_b32 s5, 0
	s_cselect_b32 s6, -1, 0
	s_mov_b32 s83, s7
.LBB132_18:                             ;   in Loop: Header=BB132_21 Depth=1
	s_and_not1_b32 s7, s13, exec_lo
	s_and_b32 s5, s5, exec_lo
	s_and_not1_b32 s19, s19, exec_lo
	s_or_b32 s13, s7, s5
	s_and_not1_b32 s12, s12, exec_lo
	s_or_not1_b32 s15, s6, exec_lo
.LBB132_19:                             ;   in Loop: Header=BB132_21 Depth=1
	s_or_b32 exec_lo, exec_lo, s4
	s_delay_alu instid0(SALU_CYCLE_1)
	s_and_not1_b32 s4, s84, exec_lo
	s_and_b32 s5, s13, exec_lo
	s_and_not1_b32 s6, s85, exec_lo
	s_or_b32 s84, s4, s5
	s_and_not1_b32 s4, s87, exec_lo
	s_and_b32 s5, s19, exec_lo
	s_and_b32 s7, s12, exec_lo
	s_or_b32 s87, s4, s5
	s_or_b32 s85, s6, s7
	s_or_not1_b32 s19, s15, exec_lo
.LBB132_20:                             ;   in Loop: Header=BB132_21 Depth=1
	s_or_b32 exec_lo, exec_lo, s14
	s_delay_alu instid0(SALU_CYCLE_1)
	s_and_b32 s4, exec_lo, s19
	v_mov_b32_e32 v2, s88
	s_or_b32 s79, s4, s79
	s_and_not1_b32 s4, s81, exec_lo
	s_and_b32 s5, s84, exec_lo
	s_and_not1_b32 s6, s80, exec_lo
	s_or_b32 s81, s4, s5
	s_and_not1_b32 s4, s82, exec_lo
	s_and_b32 s5, s87, exec_lo
	s_and_b32 s7, s85, exec_lo
	s_or_b32 s82, s4, s5
	s_or_b32 s80, s6, s7
	s_and_not1_b32 exec_lo, exec_lo, s79
	s_cbranch_execz .LBB132_286
.LBB132_21:                             ; =>This Loop Header: Depth=1
                                        ;     Child Loop BB132_26 Depth 2
                                        ;     Child Loop BB132_44 Depth 2
	;; [unrolled: 1-line block ×16, first 2 shown]
	ds_load_b128 v[2:5], v15 offset:5120
	s_waitcnt lgkmcnt(0)
	v_readfirstlane_b32 s57, v3
	v_readfirstlane_b32 s56, v2
	s_delay_alu instid0(VALU_DEP_1)
	s_cmp_lg_u64 s[56:57], 0
	s_cbranch_scc1 .LBB132_51
; %bb.22:                               ;   in Loop: Header=BB132_21 Depth=1
	s_and_b32 vcc_lo, exec_lo, s33
	s_cbranch_vccz .LBB132_34
; %bb.23:                               ;   in Loop: Header=BB132_21 Depth=1
	v_cmp_gt_u64_e32 vcc_lo, 0x601, v[4:5]
	s_mov_b32 s6, 0
	s_mov_b32 s4, 0
	s_cbranch_vccz .LBB132_35
; %bb.24:                               ;   in Loop: Header=BB132_21 Depth=1
	global_load_u16 v6, v15, s[50:51]
	global_load_u16 v7, v[10:11], off
	s_mov_b32 s8, 0
	s_waitcnt vmcnt(1)
	v_readfirstlane_b32 s4, v6
	v_and_b32_e32 v6, 0xffff, v6
	s_delay_alu instid0(VALU_DEP_2) | instskip(NEXT) | instid1(SALU_CYCLE_1)
	s_and_b32 s4, 0xffff, s4
	v_add_nc_u32_e32 v8, s4, v0
	s_mul_i32 s5, s53, s4
	s_mul_hi_u32 s7, s52, s4
	s_mul_i32 s9, s52, s4
	s_add_i32 s7, s7, s5
	v_mad_u64_u32 v[2:3], null, s52, v8, s[46:47]
	s_delay_alu instid0(VALU_DEP_1) | instskip(NEXT) | instid1(VALU_DEP_1)
	v_mad_u64_u32 v[4:5], null, s53, v8, v[3:4]
	v_mov_b32_e32 v3, v4
	v_dual_mov_b32 v5, v1 :: v_dual_mov_b32 v4, v0
	s_branch .LBB132_26
.LBB132_25:                             ;   in Loop: Header=BB132_26 Depth=2
	s_or_b32 exec_lo, exec_lo, s5
	v_add_co_u32 v2, vcc_lo, v2, s9
	v_add_co_ci_u32_e32 v3, vcc_lo, s7, v3, vcc_lo
	v_mov_b32_e32 v7, v8
	s_and_not1_b32 exec_lo, exec_lo, s8
	s_cbranch_execz .LBB132_36
.LBB132_26:                             ;   Parent Loop BB132_21 Depth=1
                                        ; =>  This Inner Loop Header: Depth=2
	s_delay_alu instid0(VALU_DEP_1) | instskip(NEXT) | instid1(VALU_DEP_2)
	v_add_co_u32 v4, vcc_lo, v4, v6
	v_add_co_ci_u32_e32 v5, vcc_lo, 0, v5, vcc_lo
	s_waitcnt lgkmcnt(0)
	v_dual_mov_b32 v9, 0 :: v_dual_mov_b32 v8, 0
	s_mov_b32 s5, exec_lo
	s_delay_alu instid0(VALU_DEP_2)
	v_cmp_le_u64_e32 vcc_lo, s[24:25], v[4:5]
	v_cmpx_gt_u64_e64 s[24:25], v[4:5]
	s_cbranch_execz .LBB132_28
; %bb.27:                               ;   in Loop: Header=BB132_26 Depth=2
	global_load_u16 v8, v[2:3], off
.LBB132_28:                             ;   in Loop: Header=BB132_26 Depth=2
	s_or_b32 exec_lo, exec_lo, s5
	s_waitcnt vmcnt(0)
	v_cmp_lt_i16_e64 s4, -1, v7
	v_and_b32_e32 v14, 0xffff, v7
	s_delay_alu instid0(VALU_DEP_2) | instskip(SKIP_1) | instid1(VALU_DEP_2)
	v_cndmask_b32_e64 v23, 0xffff, v35, s4
	v_cmp_o_f16_e64 s4, v7, v7
	v_xor_b32_e32 v14, v23, v14
	s_delay_alu instid0(VALU_DEP_1) | instskip(NEXT) | instid1(VALU_DEP_1)
	v_cndmask_b32_e64 v14, 0xffff, v14, s4
	v_and_b32_e32 v14, s89, v14
	s_delay_alu instid0(VALU_DEP_1) | instskip(NEXT) | instid1(VALU_DEP_1)
	v_cmp_eq_u32_e64 s4, s88, v14
	s_cmp_lg_u32 s4, 0
	s_cselect_b32 s5, -1, 0
	s_delay_alu instid0(SALU_CYCLE_1) | instskip(NEXT) | instid1(SALU_CYCLE_1)
	s_and_b32 s5, s1, s5
	s_and_saveexec_b32 s10, s5
	s_cbranch_execz .LBB132_32
; %bb.29:                               ;   in Loop: Header=BB132_26 Depth=2
	s_mov_b32 s13, exec_lo
	s_bcnt1_i32_b32 s11, s4
	v_mbcnt_lo_u32_b32 v9, s13, 0
	s_mov_b32 s12, exec_lo
                                        ; implicit-def: $vgpr14
	s_delay_alu instid0(VALU_DEP_1)
	v_cmpx_eq_u32_e32 0, v9
	s_cbranch_execz .LBB132_31
; %bb.30:                               ;   in Loop: Header=BB132_26 Depth=2
	s_bcnt1_i32_b32 s5, s13
	s_delay_alu instid0(SALU_CYCLE_1) | instskip(NEXT) | instid1(SALU_CYCLE_1)
	s_mul_i32 s5, s11, s5
	v_mov_b32_e32 v14, s5
	ds_add_rtn_u32 v14, v15, v14 offset:5144
.LBB132_31:                             ;   in Loop: Header=BB132_26 Depth=2
	s_or_b32 exec_lo, exec_lo, s12
	s_waitcnt lgkmcnt(0)
	v_readfirstlane_b32 s5, v14
	s_delay_alu instid0(VALU_DEP_1)
	v_mad_u32_u24 v9, s11, v9, s5
.LBB132_32:                             ;   in Loop: Header=BB132_26 Depth=2
	s_or_b32 exec_lo, exec_lo, s10
	ds_bpermute_b32 v9, v15, v9
	s_and_b32 s5, exec_lo, vcc_lo
	s_delay_alu instid0(SALU_CYCLE_1)
	s_or_b32 s8, s5, s8
	s_and_saveexec_b32 s5, s4
	s_cbranch_execz .LBB132_25
; %bb.33:                               ;   in Loop: Header=BB132_26 Depth=2
	v_and_b32_e32 v14, s4, v32
	s_delay_alu instid0(VALU_DEP_1) | instskip(NEXT) | instid1(VALU_DEP_1)
	v_bcnt_u32_b32 v14, v14, 0
	v_lshlrev_b32_e32 v14, 1, v14
	s_waitcnt lgkmcnt(0)
	s_delay_alu instid0(VALU_DEP_1)
	v_lshl_add_u32 v9, v9, 1, v14
	ds_store_b16 v9, v7
	s_branch .LBB132_25
.LBB132_34:                             ;   in Loop: Header=BB132_21 Depth=1
	s_mov_b32 s4, 0
                                        ; implicit-def: $sgpr56_sgpr57
	s_cbranch_execnz .LBB132_39
	s_branch .LBB132_49
.LBB132_35:                             ;   in Loop: Header=BB132_21 Depth=1
	s_mov_b64 s[56:57], 0
	s_and_b32 vcc_lo, exec_lo, s6
	s_cbranch_vccnz .LBB132_39
	s_branch .LBB132_49
.LBB132_36:                             ;   in Loop: Header=BB132_21 Depth=1
	s_or_b32 exec_lo, exec_lo, s8
	s_waitcnt lgkmcnt(0)
	s_barrier
	buffer_gl0_inv
	s_and_saveexec_b32 s4, s3
	s_cbranch_execz .LBB132_38
; %bb.37:                               ;   in Loop: Header=BB132_21 Depth=1
	ds_load_b32 v2, v15 offset:5144
	s_waitcnt lgkmcnt(0)
	v_ashrrev_i32_e32 v3, 31, v2
	ds_store_b64 v15, v[2:3] offset:5120
.LBB132_38:                             ;   in Loop: Header=BB132_21 Depth=1
	s_or_b32 exec_lo, exec_lo, s4
	s_waitcnt lgkmcnt(0)
	s_mov_b32 s4, -1
	s_barrier
	s_mov_b64 s[56:57], 0
	s_and_b32 vcc_lo, exec_lo, s6
	s_cbranch_vccz .LBB132_49
.LBB132_39:                             ;   in Loop: Header=BB132_21 Depth=1
	v_mov_b32_e32 v6, 0
	s_and_saveexec_b32 s4, s2
	s_cbranch_execz .LBB132_41
; %bb.40:                               ;   in Loop: Header=BB132_21 Depth=1
	global_load_u16 v6, v[10:11], off
.LBB132_41:                             ;   in Loop: Header=BB132_21 Depth=1
	s_or_b32 exec_lo, exec_lo, s4
	s_and_saveexec_b32 s5, s2
	s_cbranch_execz .LBB132_46
; %bb.42:                               ;   in Loop: Header=BB132_21 Depth=1
	global_load_u16 v8, v15, s[50:51]
	s_mov_b32 s9, 0
	s_waitcnt vmcnt(0)
	v_readfirstlane_b32 s4, v8
	v_and_b32_e32 v8, 0xffff, v8
	s_delay_alu instid0(VALU_DEP_2) | instskip(NEXT) | instid1(SALU_CYCLE_1)
	s_and_b32 s4, 0xffff, s4
	v_add_nc_u32_e32 v7, s4, v0
	s_mul_i32 s7, s53, s4
	s_mul_hi_u32 s8, s52, s4
	s_lshl_b32 s6, s4, 1
	s_add_i32 s7, s8, s7
	v_mad_u64_u32 v[2:3], null, s52, v7, s[46:47]
	s_mul_i32 s8, s52, s4
	s_delay_alu instid0(VALU_DEP_1) | instskip(SKIP_1) | instid1(VALU_DEP_2)
	v_mad_u64_u32 v[4:5], null, s53, v7, v[3:4]
	v_mov_b32_e32 v7, v28
	v_mov_b32_e32 v3, v4
	v_dual_mov_b32 v5, v1 :: v_dual_mov_b32 v4, v0
	s_branch .LBB132_44
	.p2align	6
.LBB132_43:                             ;   in Loop: Header=BB132_44 Depth=2
	s_or_b32 exec_lo, exec_lo, s10
	s_delay_alu instid0(SALU_CYCLE_1)
	s_and_b32 s4, exec_lo, vcc_lo
	v_add_co_u32 v2, vcc_lo, v2, s8
	ds_store_b16 v7, v6
	s_waitcnt vmcnt(0)
	v_dual_mov_b32 v6, v9 :: v_dual_add_nc_u32 v7, s6, v7
	v_add_co_ci_u32_e32 v3, vcc_lo, s7, v3, vcc_lo
	s_or_b32 s9, s4, s9
	s_delay_alu instid0(SALU_CYCLE_1)
	s_and_not1_b32 exec_lo, exec_lo, s9
	s_cbranch_execz .LBB132_46
.LBB132_44:                             ;   Parent Loop BB132_21 Depth=1
                                        ; =>  This Inner Loop Header: Depth=2
	s_delay_alu instid0(VALU_DEP_1) | instskip(NEXT) | instid1(VALU_DEP_2)
	v_add_co_u32 v4, vcc_lo, v4, v8
	v_add_co_ci_u32_e32 v5, vcc_lo, 0, v5, vcc_lo
	v_mov_b32_e32 v9, 0
	s_mov_b32 s10, exec_lo
	s_delay_alu instid0(VALU_DEP_2)
	v_cmp_le_u64_e32 vcc_lo, s[24:25], v[4:5]
	v_cmpx_gt_u64_e64 s[24:25], v[4:5]
	s_cbranch_execz .LBB132_43
; %bb.45:                               ;   in Loop: Header=BB132_44 Depth=2
	global_load_u16 v9, v[2:3], off
	s_branch .LBB132_43
.LBB132_46:                             ;   in Loop: Header=BB132_21 Depth=1
	s_or_b32 exec_lo, exec_lo, s5
	s_waitcnt vmcnt(0) lgkmcnt(0)
	s_barrier
	buffer_gl0_inv
	s_and_saveexec_b32 s4, s3
	s_cbranch_execz .LBB132_48
; %bb.47:                               ;   in Loop: Header=BB132_21 Depth=1
	v_dual_mov_b32 v2, s24 :: v_dual_mov_b32 v3, s25
	ds_store_b64 v15, v[2:3] offset:5120
.LBB132_48:                             ;   in Loop: Header=BB132_21 Depth=1
	s_or_b32 exec_lo, exec_lo, s4
	s_mov_b32 s4, -1
	s_waitcnt lgkmcnt(0)
	s_barrier
                                        ; implicit-def: $sgpr56_sgpr57
.LBB132_49:                             ;   in Loop: Header=BB132_21 Depth=1
	s_and_b32 vcc_lo, exec_lo, s4
	s_cbranch_vccz .LBB132_51
; %bb.50:                               ;   in Loop: Header=BB132_21 Depth=1
	buffer_gl0_inv
	ds_load_b64 v[2:3], v15 offset:5120
	s_waitcnt lgkmcnt(0)
	v_readfirstlane_b32 s56, v2
.LBB132_51:                             ;   in Loop: Header=BB132_21 Depth=1
	s_delay_alu instid0(VALU_DEP_1)
	s_cmp_lt_i32 s56, 1
	s_cbranch_scc0 .LBB132_66
; %bb.52:                               ;   in Loop: Header=BB132_21 Depth=1
	global_load_u16 v2, v15, s[50:51]
	s_mov_b32 s5, s25
	s_waitcnt vmcnt(0)
	v_readfirstlane_b32 s4, v2
	s_delay_alu instid0(VALU_DEP_1)
	s_and_b32 s42, s4, 0xffff
	s_mov_b32 s4, s43
	s_lshl_b32 s48, s42, 2
	s_cmp_lg_u64 s[4:5], 0
	s_cbranch_scc0 .LBB132_86
; %bb.53:                               ;   in Loop: Header=BB132_21 Depth=1
	v_cvt_f32_u32_e32 v2, s48
	s_sub_u32 s6, 0, s48
	s_subb_u32 s7, 0, 0
	s_delay_alu instid0(VALU_DEP_1) | instskip(NEXT) | instid1(VALU_DEP_1)
	v_fmac_f32_e64 v2, 0, 0x4f800000
	v_rcp_f32_e32 v2, v2
	s_waitcnt_depctr 0xfff
	v_mul_f32_e32 v2, 0x5f7ffffc, v2
	s_delay_alu instid0(VALU_DEP_1) | instskip(NEXT) | instid1(VALU_DEP_1)
	v_mul_f32_e32 v3, 0x2f800000, v2
	v_trunc_f32_e32 v3, v3
	s_delay_alu instid0(VALU_DEP_1) | instskip(SKIP_1) | instid1(VALU_DEP_2)
	v_fmac_f32_e32 v2, 0xcf800000, v3
	v_cvt_u32_f32_e32 v3, v3
	v_cvt_u32_f32_e32 v2, v2
	s_delay_alu instid0(VALU_DEP_2) | instskip(NEXT) | instid1(VALU_DEP_2)
	v_readfirstlane_b32 s4, v3
	v_readfirstlane_b32 s5, v2
	s_delay_alu instid0(VALU_DEP_2) | instskip(NEXT) | instid1(VALU_DEP_1)
	s_mul_i32 s8, s6, s4
	s_mul_hi_u32 s10, s6, s5
	s_mul_i32 s9, s7, s5
	s_add_i32 s8, s10, s8
	s_mul_i32 s11, s6, s5
	s_add_i32 s8, s8, s9
	s_mul_hi_u32 s10, s5, s11
	s_mul_hi_u32 s12, s4, s11
	s_mul_i32 s9, s4, s11
	s_mul_hi_u32 s11, s5, s8
	s_mul_i32 s5, s5, s8
	s_mul_hi_u32 s13, s4, s8
	s_add_u32 s5, s10, s5
	s_addc_u32 s10, 0, s11
	s_add_u32 s5, s5, s9
	s_mul_i32 s8, s4, s8
	s_addc_u32 s5, s10, s12
	s_addc_u32 s9, s13, 0
	s_add_u32 s5, s5, s8
	s_addc_u32 s8, 0, s9
	v_add_co_u32 v2, s5, v2, s5
	s_delay_alu instid0(VALU_DEP_1) | instskip(SKIP_1) | instid1(VALU_DEP_1)
	s_cmp_lg_u32 s5, 0
	s_addc_u32 s4, s4, s8
	v_readfirstlane_b32 s5, v2
	s_mul_i32 s8, s6, s4
	s_delay_alu instid0(VALU_DEP_1)
	s_mul_hi_u32 s9, s6, s5
	s_mul_i32 s7, s7, s5
	s_add_i32 s8, s9, s8
	s_mul_i32 s6, s6, s5
	s_add_i32 s8, s8, s7
	s_mul_hi_u32 s9, s4, s6
	s_mul_i32 s10, s4, s6
	s_mul_hi_u32 s6, s5, s6
	s_mul_hi_u32 s11, s5, s8
	s_mul_i32 s5, s5, s8
	s_mul_hi_u32 s7, s4, s8
	s_add_u32 s5, s6, s5
	s_addc_u32 s6, 0, s11
	s_add_u32 s5, s5, s10
	s_mul_i32 s8, s4, s8
	s_addc_u32 s5, s6, s9
	s_addc_u32 s6, s7, 0
	s_add_u32 s5, s5, s8
	s_addc_u32 s6, 0, s6
	v_add_co_u32 v2, s5, v2, s5
	s_delay_alu instid0(VALU_DEP_1) | instskip(SKIP_1) | instid1(VALU_DEP_1)
	s_cmp_lg_u32 s5, 0
	s_addc_u32 s4, s4, s6
	v_readfirstlane_b32 s5, v2
	s_mul_i32 s7, s24, s4
	s_mul_hi_u32 s6, s24, s4
	s_mul_hi_u32 s8, s25, s4
	s_mul_i32 s4, s25, s4
	s_mul_hi_u32 s9, s24, s5
	s_mul_hi_u32 s10, s25, s5
	s_mul_i32 s5, s25, s5
	s_add_u32 s7, s9, s7
	s_addc_u32 s6, 0, s6
	s_add_u32 s5, s7, s5
	s_addc_u32 s5, s6, s10
	s_addc_u32 s6, s8, 0
	s_add_u32 s4, s5, s4
	s_addc_u32 s5, 0, s6
	s_mul_hi_u32 s6, s48, s4
	s_mul_i32 s4, s48, s4
	s_mul_i32 s5, s48, s5
	v_sub_co_u32 v2, s4, s24, s4
	s_add_i32 s6, s6, s5
	s_cmp_lg_u32 s4, 0
	s_delay_alu instid0(VALU_DEP_1) | instskip(SKIP_2) | instid1(VALU_DEP_1)
	v_sub_co_u32 v3, s4, v2, s48
	s_subb_u32 s5, s25, s6
	s_cmp_lg_u32 s4, 0
	v_cmp_le_u32_e32 vcc_lo, s48, v3
	v_sub_co_u32 v4, s4, v3, s48
	s_subb_u32 s6, s5, 0
	s_cmp_lg_u32 s4, 0
	v_cndmask_b32_e64 v5, 0, -1, vcc_lo
	s_subb_u32 s4, s6, 0
	s_cmp_eq_u32 s6, 0
	v_mov_b32_e32 v7, s4
	s_cselect_b32 vcc_lo, -1, 0
	s_cmp_eq_u32 s5, 0
	v_cndmask_b32_e32 v5, -1, v5, vcc_lo
	v_cmp_le_u32_e32 vcc_lo, s48, v2
	s_cselect_b32 s4, -1, 0
	v_cndmask_b32_e64 v6, 0, -1, vcc_lo
	s_delay_alu instid0(VALU_DEP_3) | instskip(NEXT) | instid1(VALU_DEP_2)
	v_cmp_ne_u32_e32 vcc_lo, 0, v5
	v_cndmask_b32_e64 v5, -1, v6, s4
	v_cndmask_b32_e32 v6, s6, v7, vcc_lo
	v_cndmask_b32_e32 v4, v3, v4, vcc_lo
	s_delay_alu instid0(VALU_DEP_3) | instskip(NEXT) | instid1(VALU_DEP_3)
	v_cmp_ne_u32_e32 vcc_lo, 0, v5
	v_cndmask_b32_e32 v3, s5, v6, vcc_lo
	s_delay_alu instid0(VALU_DEP_3)
	v_cndmask_b32_e32 v2, v2, v4, vcc_lo
	s_cbranch_execnz .LBB132_55
.LBB132_54:                             ;   in Loop: Header=BB132_21 Depth=1
	v_cvt_f32_u32_e32 v2, s48
	s_sub_i32 s4, 0, s48
	s_delay_alu instid0(VALU_DEP_1) | instskip(SKIP_2) | instid1(VALU_DEP_1)
	v_rcp_iflag_f32_e32 v2, v2
	s_waitcnt_depctr 0xfff
	v_mul_f32_e32 v2, 0x4f7ffffe, v2
	v_cvt_u32_f32_e32 v2, v2
	s_delay_alu instid0(VALU_DEP_1) | instskip(NEXT) | instid1(VALU_DEP_1)
	v_mul_lo_u32 v3, s4, v2
	v_mul_hi_u32 v3, v2, v3
	s_delay_alu instid0(VALU_DEP_1) | instskip(NEXT) | instid1(VALU_DEP_1)
	v_add_nc_u32_e32 v2, v2, v3
	v_mul_hi_u32 v2, s24, v2
	s_delay_alu instid0(VALU_DEP_1) | instskip(NEXT) | instid1(VALU_DEP_1)
	v_mul_lo_u32 v2, v2, s48
	v_sub_nc_u32_e32 v2, s24, v2
	s_delay_alu instid0(VALU_DEP_1) | instskip(SKIP_1) | instid1(VALU_DEP_2)
	v_subrev_nc_u32_e32 v3, s48, v2
	v_cmp_le_u32_e32 vcc_lo, s48, v2
	v_cndmask_b32_e32 v2, v2, v3, vcc_lo
	s_delay_alu instid0(VALU_DEP_1) | instskip(SKIP_1) | instid1(VALU_DEP_2)
	v_subrev_nc_u32_e32 v3, s48, v2
	v_cmp_le_u32_e32 vcc_lo, s48, v2
	v_cndmask_b32_e32 v14, v2, v3, vcc_lo
	s_delay_alu instid0(VALU_DEP_1)
	v_dual_mov_b32 v2, v14 :: v_dual_mov_b32 v3, v15
.LBB132_55:                             ;   in Loop: Header=BB132_21 Depth=1
	s_delay_alu instid0(VALU_DEP_1) | instskip(NEXT) | instid1(VALU_DEP_2)
	v_sub_co_u32 v23, vcc_lo, s24, v2
	v_sub_co_ci_u32_e32 v24, vcc_lo, s25, v3, vcc_lo
	v_mov_b32_e32 v2, 0
	v_mov_b32_e32 v3, 0
	s_mov_b64 s[58:59], 0
	s_mov_b32 s57, exec_lo
	s_delay_alu instid0(VALU_DEP_1)
	v_dual_mov_b32 v5, v3 :: v_dual_mov_b32 v4, v2
	v_dual_mov_b32 v7, v3 :: v_dual_mov_b32 v6, v2
	;; [unrolled: 1-line block ×3, first 2 shown]
	v_cmpx_gt_u64_e64 v[23:24], v[12:13]
	s_cbranch_execz .LBB132_59
; %bb.56:                               ;   in Loop: Header=BB132_21 Depth=1
	v_dual_mov_b32 v26, v13 :: v_dual_mov_b32 v25, v12
	s_mul_i32 s4, s55, s42
	s_mul_hi_u32 s5, s54, s42
	s_and_b32 s90, s83, 0xfe
	s_add_i32 s91, s5, s4
	s_mul_i32 s92, s54, s42
	s_mov_b32 s93, 0
	s_mov_b64 s[60:61], s[46:47]
	s_mov_b64 s[62:63], 0
	;; [unrolled: 1-line block ×4, first 2 shown]
.LBB132_57:                             ;   Parent Loop BB132_21 Depth=1
                                        ; =>  This Inner Loop Header: Depth=2
	v_add_co_u32 v2, vcc_lo, s60, v21
	v_add_co_ci_u32_e32 v3, vcc_lo, s61, v22, vcc_lo
	v_add_co_u32 v4, vcc_lo, s60, v20
	v_add_co_ci_u32_e32 v5, vcc_lo, s61, v33, vcc_lo
	;; [unrolled: 2-line block ×4, first 2 shown]
	s_clause 0x3
	global_load_u16 v2, v[2:3], off
	global_load_u16 v3, v[4:5], off
	;; [unrolled: 1-line block ×4, first 2 shown]
	v_add_co_u32 v25, vcc_lo, v25, s48
	v_add_co_ci_u32_e32 v26, vcc_lo, 0, v26, vcc_lo
	s_delay_alu instid0(VALU_DEP_1)
	v_cmp_ge_u64_e32 vcc_lo, v[25:26], v[23:24]
	s_waitcnt vmcnt(3)
	v_cmp_lt_i16_e64 s4, -1, v2
	v_and_b32_e32 v6, 0xffff, v2
	s_waitcnt vmcnt(2)
	v_and_b32_e32 v8, 0xffff, v3
	s_waitcnt vmcnt(1)
	v_and_b32_e32 v14, 0xffff, v4
	v_cmp_o_f16_e64 s7, v2, v2
	v_cndmask_b32_e64 v7, 0xffff, v35, s4
	v_cmp_lt_i16_e64 s4, -1, v3
	s_waitcnt vmcnt(0)
	v_and_b32_e32 v38, 0xffff, v5
	v_cmp_o_f16_e64 s5, v4, v4
	v_cmp_o_f16_e64 s6, v5, v5
	v_xor_b32_e32 v6, v7, v6
	v_cndmask_b32_e64 v9, 0xffff, v35, s4
	v_cmp_lt_i16_e64 s4, -1, v4
	s_delay_alu instid0(VALU_DEP_3) | instskip(NEXT) | instid1(VALU_DEP_3)
	v_cndmask_b32_e64 v2, 0xffff, v6, s7
	v_xor_b32_e32 v7, v9, v8
	s_delay_alu instid0(VALU_DEP_3) | instskip(SKIP_1) | instid1(VALU_DEP_4)
	v_cndmask_b32_e64 v37, 0xffff, v35, s4
	v_cmp_lt_i16_e64 s4, -1, v5
	v_and_b32_e32 v6, s89, v2
	v_bfe_u32 v2, v2, s90, 2
	s_delay_alu instid0(VALU_DEP_3) | instskip(SKIP_2) | instid1(VALU_DEP_4)
	v_cndmask_b32_e64 v39, 0xffff, v35, s4
	v_cmp_o_f16_e64 s4, v3, v3
	v_xor_b32_e32 v3, v37, v14
	v_cmp_eq_u32_e64 s8, 0, v2
	v_cmp_eq_u32_e64 s12, 1, v2
	v_xor_b32_e32 v4, v39, v38
	v_cndmask_b32_e64 v5, 0xffff, v7, s4
	v_cndmask_b32_e64 v3, 0xffff, v3, s5
	v_cmp_eq_u32_e64 s4, s88, v6
	v_cmp_eq_u32_e64 s16, 2, v2
	v_cndmask_b32_e64 v4, 0xffff, v4, s6
	v_and_b32_e32 v7, s89, v5
	v_bfe_u32 v5, v5, s90, 2
	v_and_b32_e32 v8, s89, v3
	v_bfe_u32 v3, v3, s90, 2
	;; [unrolled: 2-line block ×3, first 2 shown]
	v_cmp_eq_u32_e64 s5, s88, v7
	v_cmp_eq_u32_e64 s9, 0, v5
	;; [unrolled: 1-line block ×4, first 2 shown]
	s_and_b32 s8, s4, s8
	v_cmp_eq_u32_e64 s7, s88, v9
	v_cmp_eq_u32_e64 s11, 0, v4
	v_cmp_eq_u32_e64 s20, 3, v2
	v_cndmask_b32_e64 v2, 0, 1, s8
	s_and_b32 s8, s5, s9
	v_cmp_eq_u32_e64 s14, 1, v3
	v_cmp_eq_u32_e64 s18, 2, v3
	v_cmp_eq_u32_e64 s22, 3, v3
	v_cndmask_b32_e64 v3, 0, 1, s8
	;; [unrolled: 5-line block ×4, first 2 shown]
	v_cmp_ne_u32_e64 s8, 0, v2
	v_cmp_ne_u32_e64 s9, 0, v3
	;; [unrolled: 1-line block ×3, first 2 shown]
	s_delay_alu instid0(VALU_DEP_4) | instskip(NEXT) | instid1(VALU_DEP_4)
	v_cmp_ne_u32_e64 s11, 0, v5
	s_bcnt1_i32_b32 s8, s8
	s_delay_alu instid0(VALU_DEP_3) | instskip(NEXT) | instid1(VALU_DEP_2)
	s_bcnt1_i32_b32 s9, s9
	s_bcnt1_i32_b32 s10, s10
	s_add_i32 s8, s9, s8
	s_bcnt1_i32_b32 s11, s11
	s_add_i32 s8, s8, s10
	s_delay_alu instid0(SALU_CYCLE_1) | instskip(NEXT) | instid1(SALU_CYCLE_1)
	s_add_i32 s8, s8, s11
	s_add_u32 s66, s66, s8
	s_addc_u32 s67, s67, 0
	s_and_b32 s8, s4, s12
	v_mov_b32_e32 v2, s66
	v_cndmask_b32_e64 v4, 0, 1, s8
	s_and_b32 s8, s5, s13
	v_mov_b32_e32 v3, s67
	v_cndmask_b32_e64 v5, 0, 1, s8
	s_and_b32 s8, s6, s14
	s_delay_alu instid0(SALU_CYCLE_1) | instskip(SKIP_1) | instid1(VALU_DEP_2)
	v_cndmask_b32_e64 v6, 0, 1, s8
	s_and_b32 s8, s7, s15
	v_cmp_ne_u32_e64 s9, 0, v5
	v_cndmask_b32_e64 v7, 0, 1, s8
	v_cmp_ne_u32_e64 s8, 0, v4
	v_cmp_ne_u32_e64 s10, 0, v6
	s_delay_alu instid0(VALU_DEP_4) | instskip(NEXT) | instid1(VALU_DEP_3)
	s_bcnt1_i32_b32 s9, s9
	v_cmp_ne_u32_e64 s11, 0, v7
	s_delay_alu instid0(VALU_DEP_3) | instskip(NEXT) | instid1(VALU_DEP_2)
	s_bcnt1_i32_b32 s8, s8
	s_bcnt1_i32_b32 s10, s10
	s_add_i32 s8, s9, s8
	s_delay_alu instid0(VALU_DEP_1) | instskip(SKIP_1) | instid1(SALU_CYCLE_1)
	s_bcnt1_i32_b32 s11, s11
	s_add_i32 s8, s8, s10
	s_add_i32 s8, s8, s11
	s_delay_alu instid0(SALU_CYCLE_1) | instskip(SKIP_2) | instid1(SALU_CYCLE_1)
	s_add_u32 s64, s64, s8
	s_addc_u32 s65, s65, 0
	s_and_b32 s8, s4, s16
	v_cndmask_b32_e64 v4, 0, 1, s8
	s_and_b32 s8, s5, s17
	s_delay_alu instid0(SALU_CYCLE_1) | instskip(SKIP_1) | instid1(SALU_CYCLE_1)
	v_cndmask_b32_e64 v5, 0, 1, s8
	s_and_b32 s8, s6, s18
	v_cndmask_b32_e64 v6, 0, 1, s8
	s_and_b32 s8, s7, s19
	s_delay_alu instid0(VALU_DEP_2) | instskip(SKIP_3) | instid1(VALU_DEP_4)
	v_cmp_ne_u32_e64 s9, 0, v5
	v_cndmask_b32_e64 v7, 0, 1, s8
	v_cmp_ne_u32_e64 s8, 0, v4
	v_cmp_ne_u32_e64 s10, 0, v6
	s_bcnt1_i32_b32 s9, s9
	s_delay_alu instid0(VALU_DEP_3) | instskip(NEXT) | instid1(VALU_DEP_3)
	v_cmp_ne_u32_e64 s11, 0, v7
	s_bcnt1_i32_b32 s8, s8
	s_delay_alu instid0(VALU_DEP_2) | instskip(SKIP_1) | instid1(VALU_DEP_1)
	s_bcnt1_i32_b32 s10, s10
	s_add_i32 s8, s9, s8
	s_bcnt1_i32_b32 s11, s11
	s_add_i32 s8, s8, s10
	s_delay_alu instid0(SALU_CYCLE_1) | instskip(NEXT) | instid1(SALU_CYCLE_1)
	s_add_i32 s8, s8, s11
	s_add_u32 s62, s62, s8
	s_addc_u32 s63, s63, 0
	s_and_b32 s4, s4, s20
	s_delay_alu instid0(SALU_CYCLE_1) | instskip(SKIP_1) | instid1(SALU_CYCLE_1)
	v_cndmask_b32_e64 v4, 0, 1, s4
	s_and_b32 s4, s5, s21
	v_cndmask_b32_e64 v5, 0, 1, s4
	s_and_b32 s4, s6, s22
	s_delay_alu instid0(SALU_CYCLE_1) | instskip(SKIP_1) | instid1(VALU_DEP_2)
	v_cndmask_b32_e64 v6, 0, 1, s4
	s_and_b32 s4, s7, s23
	v_cmp_ne_u32_e64 s5, 0, v5
	v_cndmask_b32_e64 v7, 0, 1, s4
	v_cmp_ne_u32_e64 s4, 0, v4
	v_mov_b32_e32 v4, s64
	v_cmp_ne_u32_e64 s6, 0, v6
	s_bcnt1_i32_b32 s5, s5
	v_cmp_ne_u32_e64 s7, 0, v7
	s_bcnt1_i32_b32 s4, s4
	v_mov_b32_e32 v6, s62
	s_bcnt1_i32_b32 s6, s6
	s_add_i32 s4, s5, s4
	s_bcnt1_i32_b32 s5, s7
	s_add_i32 s4, s4, s6
	v_mov_b32_e32 v5, s65
	s_add_i32 s4, s4, s5
	v_mov_b32_e32 v7, s63
	s_add_u32 s58, s58, s4
	s_addc_u32 s59, s59, 0
	s_delay_alu instid0(SALU_CYCLE_1) | instskip(SKIP_3) | instid1(SALU_CYCLE_1)
	v_dual_mov_b32 v8, s58 :: v_dual_mov_b32 v9, s59
	s_add_u32 s60, s60, s92
	s_addc_u32 s61, s61, s91
	s_or_b32 s93, vcc_lo, s93
	s_and_not1_b32 exec_lo, exec_lo, s93
	s_cbranch_execnz .LBB132_57
; %bb.58:                               ;   in Loop: Header=BB132_21 Depth=1
	s_or_b32 exec_lo, exec_lo, s93
.LBB132_59:                             ;   in Loop: Header=BB132_21 Depth=1
	s_delay_alu instid0(SALU_CYCLE_1) | instskip(SKIP_3) | instid1(VALU_DEP_2)
	s_or_b32 exec_lo, exec_lo, s57
	v_add_co_u32 v23, vcc_lo, v23, v0
	v_add_co_ci_u32_e32 v24, vcc_lo, 0, v24, vcc_lo
	v_mov_b32_e32 v25, 0
	v_cmp_gt_u64_e32 vcc_lo, s[24:25], v[23:24]
	s_and_saveexec_b32 s5, vcc_lo
	s_cbranch_execz .LBB132_61
; %bb.60:                               ;   in Loop: Header=BB132_21 Depth=1
	v_mul_lo_u32 v14, v24, s38
	v_mul_lo_u32 v37, v23, s39
	v_mad_u64_u32 v[25:26], null, v23, s38, 0
	s_delay_alu instid0(VALU_DEP_1) | instskip(NEXT) | instid1(VALU_DEP_1)
	v_add3_u32 v26, v26, v37, v14
	v_lshlrev_b64 v[25:26], 1, v[25:26]
	s_delay_alu instid0(VALU_DEP_1) | instskip(NEXT) | instid1(VALU_DEP_1)
	v_add_co_u32 v25, s4, s46, v25
	v_add_co_ci_u32_e64 v26, s4, s47, v26, s4
	global_load_u16 v25, v[25:26], off
.LBB132_61:                             ;   in Loop: Header=BB132_21 Depth=1
	s_or_b32 exec_lo, exec_lo, s5
	s_and_saveexec_b32 s8, vcc_lo
	s_cbranch_execz .LBB132_68
; %bb.62:                               ;   in Loop: Header=BB132_21 Depth=1
	s_and_b32 s10, s83, 0xfe
	s_mov_b32 s9, 0
	s_branch .LBB132_64
.LBB132_63:                             ;   in Loop: Header=BB132_64 Depth=2
	s_or_b32 exec_lo, exec_lo, s5
	s_waitcnt vmcnt(0)
	v_cmp_lt_i16_e64 s4, -1, v25
	v_and_b32_e32 v26, 0xffff, v25
	s_and_b32 s5, exec_lo, vcc_lo
	s_delay_alu instid0(SALU_CYCLE_1) | instskip(NEXT) | instid1(VALU_DEP_2)
	s_or_b32 s9, s5, s9
	v_cndmask_b32_e64 v37, 0xffff, v35, s4
	v_cmp_o_f16_e64 s4, v25, v25
	s_delay_alu instid0(VALU_DEP_2) | instskip(NEXT) | instid1(VALU_DEP_1)
	v_xor_b32_e32 v26, v37, v26
	v_cndmask_b32_e64 v25, 0xffff, v26, s4
	s_delay_alu instid0(VALU_DEP_1) | instskip(SKIP_1) | instid1(VALU_DEP_2)
	v_and_b32_e32 v26, s89, v25
	v_bfe_u32 v25, v25, s10, 2
	v_cmp_eq_u32_e32 vcc_lo, s88, v26
	s_delay_alu instid0(VALU_DEP_2) | instskip(SKIP_3) | instid1(VALU_DEP_4)
	v_cmp_eq_u32_e64 s4, 0, v25
	v_cmp_eq_u32_e64 s5, 1, v25
	;; [unrolled: 1-line block ×4, first 2 shown]
	s_and_b32 s4, vcc_lo, s4
	s_delay_alu instid0(SALU_CYCLE_1) | instskip(SKIP_1) | instid1(SALU_CYCLE_1)
	v_cndmask_b32_e64 v25, 0, 1, s4
	s_and_b32 s4, vcc_lo, s5
	v_cndmask_b32_e64 v26, 0, 1, s4
	s_and_b32 s4, vcc_lo, s6
	s_delay_alu instid0(SALU_CYCLE_1)
	v_cndmask_b32_e64 v37, 0, 1, s4
	s_and_b32 s4, vcc_lo, s7
	v_cmp_ne_u32_e32 vcc_lo, 0, v25
	v_mov_b32_e32 v25, v14
	v_cndmask_b32_e64 v38, 0, 1, s4
	v_cmp_ne_u32_e64 s4, 0, v26
	v_cmp_ne_u32_e64 s5, 0, v37
	s_bcnt1_i32_b32 s7, vcc_lo
	s_delay_alu instid0(SALU_CYCLE_1) | instskip(NEXT) | instid1(VALU_DEP_3)
	v_add_co_u32 v2, vcc_lo, v2, s7
	s_bcnt1_i32_b32 s4, s4
	v_cmp_ne_u32_e64 s6, 0, v38
	v_add_co_ci_u32_e32 v3, vcc_lo, 0, v3, vcc_lo
	v_add_co_u32 v4, vcc_lo, v4, s4
	s_bcnt1_i32_b32 s5, s5
	v_add_co_ci_u32_e32 v5, vcc_lo, 0, v5, vcc_lo
	v_add_co_u32 v6, vcc_lo, v6, s5
	s_bcnt1_i32_b32 s4, s6
	v_add_co_ci_u32_e32 v7, vcc_lo, 0, v7, vcc_lo
	v_add_co_u32 v8, vcc_lo, v8, s4
	v_add_co_ci_u32_e32 v9, vcc_lo, 0, v9, vcc_lo
	s_and_not1_b32 exec_lo, exec_lo, s9
	s_cbranch_execz .LBB132_67
.LBB132_64:                             ;   Parent Loop BB132_21 Depth=1
                                        ; =>  This Inner Loop Header: Depth=2
	v_add_co_u32 v23, vcc_lo, v23, s42
	v_add_co_ci_u32_e32 v24, vcc_lo, 0, v24, vcc_lo
	v_mov_b32_e32 v14, 0
	s_mov_b32 s5, exec_lo
	s_delay_alu instid0(VALU_DEP_2)
	v_cmp_le_u64_e32 vcc_lo, s[24:25], v[23:24]
	v_cmpx_gt_u64_e64 s[24:25], v[23:24]
	s_cbranch_execz .LBB132_63
; %bb.65:                               ;   in Loop: Header=BB132_64 Depth=2
	v_mul_lo_u32 v14, v24, s38
	v_mul_lo_u32 v26, v23, s39
	v_mad_u64_u32 v[37:38], null, v23, s38, 0
	s_delay_alu instid0(VALU_DEP_1) | instskip(NEXT) | instid1(VALU_DEP_1)
	v_add3_u32 v38, v38, v26, v14
	v_lshlrev_b64 v[37:38], 1, v[37:38]
	s_delay_alu instid0(VALU_DEP_1) | instskip(NEXT) | instid1(VALU_DEP_1)
	v_add_co_u32 v37, s4, s46, v37
	v_add_co_ci_u32_e64 v38, s4, s47, v38, s4
	global_load_u16 v14, v[37:38], off
	s_branch .LBB132_63
.LBB132_66:                             ;   in Loop: Header=BB132_21 Depth=1
                                        ; implicit-def: $vgpr8_vgpr9
                                        ; implicit-def: $vgpr4_vgpr5
	s_cbranch_execnz .LBB132_69
	s_branch .LBB132_78
.LBB132_67:                             ;   in Loop: Header=BB132_21 Depth=1
	s_or_b32 exec_lo, exec_lo, s9
.LBB132_68:                             ;   in Loop: Header=BB132_21 Depth=1
	s_delay_alu instid0(SALU_CYCLE_1)
	s_or_b32 exec_lo, exec_lo, s8
	s_branch .LBB132_78
.LBB132_69:                             ;   in Loop: Header=BB132_21 Depth=1
	global_load_u16 v8, v15, s[50:51]
	s_mov_b64 s[58:59], 0
	s_mov_b32 s57, exec_lo
	s_waitcnt vmcnt(0)
	v_readfirstlane_b32 s4, v8
	v_and_b32_e32 v25, 0xffff, v8
	s_delay_alu instid0(VALU_DEP_2) | instskip(NEXT) | instid1(SALU_CYCLE_1)
	s_and_b32 s4, 0xffff, s4
	s_lshl_b32 s48, s4, 2
	s_delay_alu instid0(SALU_CYCLE_1) | instskip(SKIP_1) | instid1(VALU_DEP_1)
	v_cvt_f32_u32_e32 v2, s48
	s_sub_i32 s5, 0, s48
	v_rcp_iflag_f32_e32 v2, v2
	s_waitcnt_depctr 0xfff
	v_mul_f32_e32 v2, 0x4f7ffffe, v2
	s_delay_alu instid0(VALU_DEP_1) | instskip(NEXT) | instid1(VALU_DEP_1)
	v_cvt_u32_f32_e32 v2, v2
	v_readfirstlane_b32 s4, v2
	v_mov_b32_e32 v2, 0
	v_mov_b32_e32 v3, 0
	s_delay_alu instid0(VALU_DEP_3) | instskip(NEXT) | instid1(VALU_DEP_1)
	s_mul_i32 s5, s5, s4
	v_dual_mov_b32 v5, v3 :: v_dual_mov_b32 v4, v2
	s_mul_hi_u32 s5, s4, s5
	v_dual_mov_b32 v7, v3 :: v_dual_mov_b32 v6, v2
	s_add_i32 s4, s4, s5
	v_dual_mov_b32 v9, v3 :: v_dual_mov_b32 v8, v2
	s_mul_hi_u32 s4, s56, s4
	s_delay_alu instid0(SALU_CYCLE_1) | instskip(NEXT) | instid1(SALU_CYCLE_1)
	s_mul_i32 s4, s4, s48
	s_sub_i32 s4, s56, s4
	s_delay_alu instid0(SALU_CYCLE_1) | instskip(SKIP_2) | instid1(SALU_CYCLE_1)
	s_sub_i32 s5, s4, s48
	s_cmp_ge_u32 s4, s48
	s_cselect_b32 s4, s5, s4
	s_sub_i32 s5, s4, s48
	s_cmp_ge_u32 s4, s48
	s_cselect_b32 s4, s5, s4
	s_delay_alu instid0(SALU_CYCLE_1) | instskip(NEXT) | instid1(SALU_CYCLE_1)
	s_sub_i32 s42, s56, s4
	v_cmpx_gt_u32_e64 s42, v12
	s_cbranch_execz .LBB132_73
; %bb.70:                               ;   in Loop: Header=BB132_21 Depth=1
	v_mov_b32_e32 v24, v13
	v_dual_mov_b32 v23, v12 :: v_dual_lshlrev_b32 v14, 3, v25
	v_mov_b32_e32 v26, v31
	s_and_b32 s66, s83, 0xfe
	s_mov_b32 s67, 0
	s_mov_b64 s[60:61], 0
	s_mov_b64 s[62:63], 0
	;; [unrolled: 1-line block ×3, first 2 shown]
.LBB132_71:                             ;   Parent Loop BB132_21 Depth=1
                                        ; =>  This Inner Loop Header: Depth=2
	ds_load_b64 v[2:3], v26
	v_add_co_u32 v23, vcc_lo, v23, s48
	v_add_co_ci_u32_e32 v24, vcc_lo, 0, v24, vcc_lo
	s_delay_alu instid0(VALU_DEP_1)
	v_cmp_le_u64_e32 vcc_lo, s[42:43], v[23:24]
	s_waitcnt lgkmcnt(0)
	v_cmp_lt_i16_e64 s4, -1, v2
	v_lshrrev_b32_e32 v4, 16, v2
	v_lshrrev_b32_e32 v9, 16, v3
	v_and_b32_e32 v5, 0xffff, v2
	v_and_b32_e32 v7, 0xffff, v3
	v_cndmask_b32_e64 v6, 0xffff, v35, s4
	v_cmp_lt_i16_e64 s4, -1, v3
	v_cmp_lt_i16_e64 s5, -1, v9
	s_delay_alu instid0(VALU_DEP_3) | instskip(NEXT) | instid1(VALU_DEP_3)
	v_xor_b32_e32 v5, v6, v5
	v_cndmask_b32_e64 v8, 0xffff, v35, s4
	v_cmp_lt_i16_e64 s4, -1, v4
	s_delay_alu instid0(VALU_DEP_2) | instskip(NEXT) | instid1(VALU_DEP_2)
	v_xor_b32_e32 v7, v8, v7
	v_cndmask_b32_e64 v6, 0xffff, v35, s4
	v_cmp_o_f16_e64 s4, v3, v3
	v_cndmask_b32_e64 v3, 0xffff, v35, s5
	v_cmp_o_f16_e64 s5, v2, v2
	s_delay_alu instid0(VALU_DEP_2) | instskip(NEXT) | instid1(VALU_DEP_2)
	v_xor_b32_e32 v3, v3, v9
	v_cndmask_b32_e64 v2, 0xffff, v5, s5
	v_xor_b32_e32 v5, v6, v4
	v_cmp_o_f16_e64 s5, v4, v4
	v_cndmask_b32_e64 v6, 0xffff, v7, s4
	v_cmp_o_f16_e64 s4, v9, v9
	s_delay_alu instid0(VALU_DEP_3) | instskip(SKIP_1) | instid1(VALU_DEP_3)
	v_cndmask_b32_e64 v4, 0xffff, v5, s5
	v_and_b32_e32 v5, s89, v2
	v_cndmask_b32_e64 v3, 0xffff, v3, s4
	v_and_b32_e32 v7, s89, v6
	v_bfe_u32 v2, v2, s66, 2
	v_bfe_u32 v6, v6, s66, 2
	v_cmp_eq_u32_e64 s4, s88, v5
	v_and_b32_e32 v5, s89, v4
	v_bfe_u32 v4, v4, s66, 2
	v_cmp_eq_u32_e64 s5, s88, v7
	v_and_b32_e32 v7, s89, v3
	v_bfe_u32 v3, v3, s66, 2
	v_cmp_eq_u32_e64 s6, 0, v2
	v_cmp_eq_u32_e64 s14, s88, v5
	;; [unrolled: 1-line block ×6, first 2 shown]
	s_and_b32 s6, s4, s6
	s_and_b32 s16, s14, s16
	v_cmp_eq_u32_e64 s8, 1, v2
	v_cmp_eq_u32_e64 s10, 2, v2
	;; [unrolled: 1-line block ×3, first 2 shown]
	v_cndmask_b32_e64 v2, 0, 1, s6
	s_and_b32 s6, s5, s7
	v_cmp_eq_u32_e64 s7, 1, v3
	v_cmp_eq_u32_e64 s19, 2, v3
	;; [unrolled: 1-line block ×3, first 2 shown]
	v_cndmask_b32_e64 v3, 0, 1, s16
	v_cndmask_b32_e64 v5, 0, 1, s6
	s_and_b32 s16, s15, s17
	v_cmp_eq_u32_e64 s6, 1, v4
	v_cmp_eq_u32_e64 s18, 2, v4
	;; [unrolled: 1-line block ×3, first 2 shown]
	v_cndmask_b32_e64 v4, 0, 1, s16
	v_cmp_ne_u32_e64 s16, 0, v2
	v_cmp_ne_u32_e64 s22, 0, v3
	;; [unrolled: 1-line block ×3, first 2 shown]
	v_cmp_eq_u32_e64 s9, 1, v6
	v_cmp_ne_u32_e64 s23, 0, v4
	s_bcnt1_i32_b32 s16, s16
	s_bcnt1_i32_b32 s22, s22
	;; [unrolled: 1-line block ×3, first 2 shown]
	s_add_i32 s16, s22, s16
	s_bcnt1_i32_b32 s23, s23
	s_add_i32 s16, s16, s17
	v_cmp_eq_u32_e64 s11, 2, v6
	s_add_i32 s16, s16, s23
	v_cmp_eq_u32_e64 s13, 3, v6
	s_add_u32 s64, s64, s16
	s_addc_u32 s65, s65, 0
	s_and_b32 s8, s4, s8
	s_and_b32 s6, s14, s6
	v_cndmask_b32_e64 v2, 0, 1, s8
	v_cndmask_b32_e64 v3, 0, 1, s6
	s_and_b32 s6, s5, s9
	v_add_nc_u32_e32 v26, v26, v14
	v_cndmask_b32_e64 v4, 0, 1, s6
	s_and_b32 s6, s15, s7
	v_cmp_ne_u32_e64 s7, 0, v3
	v_cndmask_b32_e64 v5, 0, 1, s6
	v_cmp_ne_u32_e64 s6, 0, v2
	v_cmp_ne_u32_e64 s8, 0, v4
	s_delay_alu instid0(VALU_DEP_4) | instskip(NEXT) | instid1(VALU_DEP_3)
	s_bcnt1_i32_b32 s7, s7
	v_cmp_ne_u32_e64 s9, 0, v5
	s_delay_alu instid0(VALU_DEP_3) | instskip(NEXT) | instid1(VALU_DEP_2)
	s_bcnt1_i32_b32 s6, s6
	s_bcnt1_i32_b32 s8, s8
	s_add_i32 s6, s7, s6
	s_delay_alu instid0(VALU_DEP_1) | instskip(SKIP_1) | instid1(SALU_CYCLE_1)
	s_bcnt1_i32_b32 s9, s9
	s_add_i32 s6, s6, s8
	s_add_i32 s6, s6, s9
	s_delay_alu instid0(SALU_CYCLE_1) | instskip(SKIP_2) | instid1(SALU_CYCLE_1)
	s_add_u32 s62, s62, s6
	s_addc_u32 s63, s63, 0
	s_and_b32 s6, s4, s10
	v_cndmask_b32_e64 v2, 0, 1, s6
	s_and_b32 s6, s14, s18
	s_delay_alu instid0(SALU_CYCLE_1) | instskip(SKIP_1) | instid1(SALU_CYCLE_1)
	v_cndmask_b32_e64 v3, 0, 1, s6
	s_and_b32 s6, s5, s11
	v_cndmask_b32_e64 v4, 0, 1, s6
	s_and_b32 s6, s15, s19
	s_delay_alu instid0(VALU_DEP_2) | instskip(SKIP_3) | instid1(VALU_DEP_4)
	v_cmp_ne_u32_e64 s7, 0, v3
	v_cndmask_b32_e64 v5, 0, 1, s6
	v_cmp_ne_u32_e64 s6, 0, v2
	v_cmp_ne_u32_e64 s8, 0, v4
	s_bcnt1_i32_b32 s7, s7
	s_delay_alu instid0(VALU_DEP_3) | instskip(NEXT) | instid1(VALU_DEP_3)
	v_cmp_ne_u32_e64 s9, 0, v5
	s_bcnt1_i32_b32 s6, s6
	s_delay_alu instid0(VALU_DEP_2) | instskip(SKIP_1) | instid1(VALU_DEP_1)
	s_bcnt1_i32_b32 s8, s8
	s_add_i32 s6, s7, s6
	s_bcnt1_i32_b32 s9, s9
	s_add_i32 s6, s6, s8
	s_delay_alu instid0(SALU_CYCLE_1) | instskip(NEXT) | instid1(SALU_CYCLE_1)
	s_add_i32 s6, s6, s9
	s_add_u32 s60, s60, s6
	s_addc_u32 s61, s61, 0
	s_and_b32 s4, s4, s12
	v_mov_b32_e32 v6, s60
	v_cndmask_b32_e64 v2, 0, 1, s4
	s_and_b32 s4, s14, s20
	v_mov_b32_e32 v7, s61
	v_cndmask_b32_e64 v3, 0, 1, s4
	s_and_b32 s4, s5, s13
	s_delay_alu instid0(SALU_CYCLE_1) | instskip(SKIP_1) | instid1(VALU_DEP_2)
	v_cndmask_b32_e64 v4, 0, 1, s4
	s_and_b32 s4, s15, s21
	v_cmp_ne_u32_e64 s5, 0, v3
	v_cndmask_b32_e64 v5, 0, 1, s4
	v_cmp_ne_u32_e64 s4, 0, v2
	v_cmp_ne_u32_e64 s6, 0, v4
	v_dual_mov_b32 v2, s64 :: v_dual_mov_b32 v3, s65
	s_delay_alu instid0(VALU_DEP_4) | instskip(NEXT) | instid1(VALU_DEP_4)
	v_cmp_ne_u32_e64 s7, 0, v5
	s_bcnt1_i32_b32 s4, s4
	s_bcnt1_i32_b32 s5, s5
	;; [unrolled: 1-line block ×3, first 2 shown]
	s_add_i32 s4, s5, s4
	s_bcnt1_i32_b32 s5, s7
	s_add_i32 s4, s4, s6
	v_mov_b32_e32 v4, s62
	s_add_i32 s4, s4, s5
	v_mov_b32_e32 v5, s63
	s_add_u32 s58, s58, s4
	s_addc_u32 s59, s59, 0
	s_delay_alu instid0(SALU_CYCLE_1) | instskip(SKIP_1) | instid1(SALU_CYCLE_1)
	v_dual_mov_b32 v8, s58 :: v_dual_mov_b32 v9, s59
	s_or_b32 s67, vcc_lo, s67
	s_and_not1_b32 exec_lo, exec_lo, s67
	s_cbranch_execnz .LBB132_71
; %bb.72:                               ;   in Loop: Header=BB132_21 Depth=1
	s_or_b32 exec_lo, exec_lo, s67
.LBB132_73:                             ;   in Loop: Header=BB132_21 Depth=1
	s_delay_alu instid0(SALU_CYCLE_1) | instskip(SKIP_2) | instid1(VALU_DEP_1)
	s_or_b32 exec_lo, exec_lo, s57
	v_add_nc_u32_e32 v14, s42, v0
	s_mov_b32 s9, exec_lo
	v_cmpx_gt_u32_e64 s56, v14
	s_cbranch_execz .LBB132_77
; %bb.74:                               ;   in Loop: Header=BB132_21 Depth=1
	v_dual_mov_b32 v24, v15 :: v_dual_lshlrev_b32 v37, 1, v25
	v_dual_mov_b32 v23, v14 :: v_dual_lshlrev_b32 v26, 1, v14
	s_mov_b32 s11, 0
	s_and_b32 s10, s56, 0x7fffffff
	s_and_b32 s13, s83, 0xfe
	s_mov_b32 s12, s11
.LBB132_75:                             ;   Parent Loop BB132_21 Depth=1
                                        ; =>  This Inner Loop Header: Depth=2
	ds_load_u16 v14, v26
	v_add_co_u32 v23, vcc_lo, v23, v25
	v_add_co_ci_u32_e32 v24, vcc_lo, 0, v24, vcc_lo
	v_add_nc_u32_e32 v26, v26, v37
	s_delay_alu instid0(VALU_DEP_2) | instskip(SKIP_3) | instid1(VALU_DEP_2)
	v_cmp_le_u64_e32 vcc_lo, s[10:11], v[23:24]
	s_waitcnt lgkmcnt(0)
	v_cmp_lt_i16_e64 s4, -1, v14
	v_and_b32_e32 v38, 0xffff, v14
	v_cndmask_b32_e64 v39, 0xffff, v35, s4
	v_cmp_o_f16_e64 s4, v14, v14
	s_delay_alu instid0(VALU_DEP_2) | instskip(NEXT) | instid1(VALU_DEP_1)
	v_xor_b32_e32 v38, v39, v38
	v_cndmask_b32_e64 v14, 0xffff, v38, s4
	s_delay_alu instid0(VALU_DEP_1) | instskip(SKIP_1) | instid1(VALU_DEP_2)
	v_and_b32_e32 v38, s89, v14
	v_bfe_u32 v14, v14, s13, 2
	v_cmp_eq_u32_e64 s4, s88, v38
	s_delay_alu instid0(VALU_DEP_2) | instskip(SKIP_3) | instid1(VALU_DEP_4)
	v_cmp_eq_u32_e64 s5, 0, v14
	v_cmp_eq_u32_e64 s6, 1, v14
	;; [unrolled: 1-line block ×4, first 2 shown]
	s_and_b32 s5, s4, s5
	s_delay_alu instid0(SALU_CYCLE_1) | instskip(SKIP_1) | instid1(SALU_CYCLE_1)
	v_cndmask_b32_e64 v14, 0, 1, s5
	s_and_b32 s5, s4, s6
	v_cndmask_b32_e64 v38, 0, 1, s5
	s_and_b32 s5, s4, s7
	s_and_b32 s4, s4, s8
	v_cndmask_b32_e64 v39, 0, 1, s5
	v_cndmask_b32_e64 v40, 0, 1, s4
	v_cmp_ne_u32_e64 s4, 0, v14
	v_cmp_ne_u32_e64 s5, 0, v38
	s_delay_alu instid0(VALU_DEP_4) | instskip(NEXT) | instid1(VALU_DEP_4)
	v_cmp_ne_u32_e64 s6, 0, v39
	v_cmp_ne_u32_e64 s7, 0, v40
	s_delay_alu instid0(VALU_DEP_4) | instskip(NEXT) | instid1(VALU_DEP_3)
	s_bcnt1_i32_b32 s4, s4
	s_bcnt1_i32_b32 s5, s5
	v_add_co_u32 v2, s4, v2, s4
	s_delay_alu instid0(VALU_DEP_1)
	v_add_co_ci_u32_e64 v3, s4, 0, v3, s4
	v_add_co_u32 v4, s4, v4, s5
	s_bcnt1_i32_b32 s6, s6
	v_add_co_ci_u32_e64 v5, s4, 0, v5, s4
	v_add_co_u32 v6, s4, v6, s6
	s_bcnt1_i32_b32 s7, s7
	v_add_co_ci_u32_e64 v7, s4, 0, v7, s4
	v_add_co_u32 v8, s4, v8, s7
	s_delay_alu instid0(VALU_DEP_1) | instskip(SKIP_1) | instid1(SALU_CYCLE_1)
	v_add_co_ci_u32_e64 v9, s4, 0, v9, s4
	s_or_b32 s12, vcc_lo, s12
	s_and_not1_b32 exec_lo, exec_lo, s12
	s_cbranch_execnz .LBB132_75
; %bb.76:                               ;   in Loop: Header=BB132_21 Depth=1
	s_or_b32 exec_lo, exec_lo, s12
.LBB132_77:                             ;   in Loop: Header=BB132_21 Depth=1
	s_delay_alu instid0(SALU_CYCLE_1)
	s_or_b32 exec_lo, exec_lo, s9
.LBB132_78:                             ;   in Loop: Header=BB132_21 Depth=1
	s_lshl_b32 s4, s86, 7
	s_and_saveexec_b32 s5, s1
	s_cbranch_execz .LBB132_80
; %bb.79:                               ;   in Loop: Header=BB132_21 Depth=1
	v_or_b32_e32 v14, s4, v30
	s_delay_alu instid0(VALU_DEP_1)
	v_lshlrev_b32_e32 v14, 3, v14
	ds_store_b128 v14, v[2:5] offset:3072
	ds_store_b128 v14, v[6:9] offset:3088
.LBB132_80:                             ;   in Loop: Header=BB132_21 Depth=1
	s_or_b32 exec_lo, exec_lo, s5
	s_waitcnt vmcnt(0) lgkmcnt(0)
	s_barrier
	buffer_gl0_inv
	s_and_saveexec_b32 s5, s68
	s_cbranch_execz .LBB132_91
; %bb.81:                               ;   in Loop: Header=BB132_21 Depth=1
	v_mov_b32_e32 v2, 0
	v_mov_b32_e32 v3, 0
	s_and_not1_b32 vcc_lo, exec_lo, s75
	s_cbranch_vccnz .LBB132_90
; %bb.82:                               ;   in Loop: Header=BB132_21 Depth=1
	v_mov_b32_e32 v2, 0
	v_mov_b32_e32 v3, 0
	s_and_not1_b32 vcc_lo, exec_lo, s73
	s_cbranch_vccnz .LBB132_87
; %bb.83:                               ;   in Loop: Header=BB132_21 Depth=1
	v_lshl_add_u32 v4, s86, 10, v34
	s_mov_b32 s6, 0
	s_set_inst_prefetch_distance 0x1
	.p2align	6
.LBB132_84:                             ;   Parent Loop BB132_21 Depth=1
                                        ; =>  This Inner Loop Header: Depth=2
	ds_load_2addr_b64 v[5:8], v4 offset1:4
	ds_load_2addr_b64 v[23:26], v4 offset0:8 offset1:12
	ds_load_2addr_b64 v[37:40], v4 offset0:16 offset1:20
	s_add_i32 s6, s6, 8
	s_delay_alu instid0(SALU_CYCLE_1) | instskip(SKIP_3) | instid1(VALU_DEP_2)
	s_cmp_eq_u32 s74, s6
	s_waitcnt lgkmcnt(2)
	v_add_co_u32 v2, vcc_lo, v5, v2
	v_add_co_ci_u32_e32 v3, vcc_lo, v6, v3, vcc_lo
	v_add_co_u32 v2, vcc_lo, v7, v2
	s_delay_alu instid0(VALU_DEP_2)
	v_add_co_ci_u32_e32 v3, vcc_lo, v8, v3, vcc_lo
	ds_load_2addr_b64 v[5:8], v4 offset0:24 offset1:28
	s_waitcnt lgkmcnt(2)
	v_add_co_u32 v2, vcc_lo, v23, v2
	v_add_co_ci_u32_e32 v3, vcc_lo, v24, v3, vcc_lo
	v_add_nc_u32_e32 v4, 0x100, v4
	s_delay_alu instid0(VALU_DEP_3) | instskip(NEXT) | instid1(VALU_DEP_3)
	v_add_co_u32 v2, vcc_lo, v25, v2
	v_add_co_ci_u32_e32 v3, vcc_lo, v26, v3, vcc_lo
	s_waitcnt lgkmcnt(1)
	s_delay_alu instid0(VALU_DEP_2) | instskip(NEXT) | instid1(VALU_DEP_2)
	v_add_co_u32 v2, vcc_lo, v37, v2
	v_add_co_ci_u32_e32 v3, vcc_lo, v38, v3, vcc_lo
	s_delay_alu instid0(VALU_DEP_2) | instskip(NEXT) | instid1(VALU_DEP_2)
	v_add_co_u32 v2, vcc_lo, v39, v2
	v_add_co_ci_u32_e32 v3, vcc_lo, v40, v3, vcc_lo
	s_waitcnt lgkmcnt(0)
	s_delay_alu instid0(VALU_DEP_2) | instskip(NEXT) | instid1(VALU_DEP_2)
	v_add_co_u32 v2, vcc_lo, v5, v2
	v_add_co_ci_u32_e32 v3, vcc_lo, v6, v3, vcc_lo
	s_delay_alu instid0(VALU_DEP_2) | instskip(NEXT) | instid1(VALU_DEP_2)
	v_add_co_u32 v2, vcc_lo, v7, v2
	v_add_co_ci_u32_e32 v3, vcc_lo, v8, v3, vcc_lo
	s_cbranch_scc0 .LBB132_84
; %bb.85:                               ;   in Loop: Header=BB132_21 Depth=1
	s_set_inst_prefetch_distance 0x2
	s_mov_b32 s6, s74
	s_and_not1_b32 vcc_lo, exec_lo, s76
	s_cbranch_vccz .LBB132_88
	s_branch .LBB132_90
.LBB132_86:                             ;   in Loop: Header=BB132_21 Depth=1
                                        ; implicit-def: $vgpr2_vgpr3
	s_branch .LBB132_54
.LBB132_87:                             ;   in Loop: Header=BB132_21 Depth=1
	s_mov_b32 s6, 0
	s_and_not1_b32 vcc_lo, exec_lo, s76
	s_cbranch_vccnz .LBB132_90
.LBB132_88:                             ;   in Loop: Header=BB132_21 Depth=1
	s_lshl_b32 s7, s86, 10
	s_lshl_b32 s6, s6, 5
	s_delay_alu instid0(SALU_CYCLE_1)
	v_add3_u32 v4, s7, s6, v34
	s_mov_b32 s6, s72
.LBB132_89:                             ;   Parent Loop BB132_21 Depth=1
                                        ; =>  This Inner Loop Header: Depth=2
	ds_load_b64 v[5:6], v4
	v_add_nc_u32_e32 v4, 32, v4
	s_add_i32 s6, s6, -1
	s_delay_alu instid0(SALU_CYCLE_1)
	s_cmp_lg_u32 s6, 0
	s_waitcnt lgkmcnt(0)
	v_add_co_u32 v2, vcc_lo, v5, v2
	v_add_co_ci_u32_e32 v3, vcc_lo, v6, v3, vcc_lo
	s_cbranch_scc1 .LBB132_89
.LBB132_90:                             ;   in Loop: Header=BB132_21 Depth=1
	v_add_lshl_u32 v4, s4, v27, 3
	ds_store_b64 v4, v[2:3] offset:3072
.LBB132_91:                             ;   in Loop: Header=BB132_21 Depth=1
	s_or_b32 exec_lo, exec_lo, s5
	s_lshl_b32 s4, s4, 3
	s_waitcnt lgkmcnt(0)
	v_mov_b32_e32 v6, s4
	s_barrier
	buffer_gl0_inv
	s_and_b32 s17, s83, 0xfe
	s_mov_b32 s19, -1
	ds_load_b128 v[2:5], v6 offset:3072
	ds_load_b128 v[6:9], v6 offset:3088
	s_lshl_b32 s16, 3, s17
	s_delay_alu instid0(SALU_CYCLE_1)
	s_not_b32 s18, s16
	s_waitcnt lgkmcnt(1)
	v_readfirstlane_b32 s13, v3
	v_readfirstlane_b32 s12, v2
	;; [unrolled: 1-line block ×4, first 2 shown]
	s_waitcnt lgkmcnt(0)
	v_readfirstlane_b32 s8, v6
	v_readfirstlane_b32 s9, v7
	s_cmp_eq_u64 s[12:13], 1
	v_readfirstlane_b32 s6, v8
	s_cselect_b32 s4, -1, 0
	s_cmp_eq_u64 s[44:45], 1
	v_readfirstlane_b32 s7, v9
	s_cselect_b32 s5, -1, 0
	s_delay_alu instid0(SALU_CYCLE_1) | instskip(NEXT) | instid1(SALU_CYCLE_1)
	s_and_b32 s20, s4, s5
	s_and_b32 vcc_lo, exec_lo, s20
	s_cbranch_vccz .LBB132_106
; %bb.92:                               ;   in Loop: Header=BB132_21 Depth=1
	ds_load_b64 v[2:3], v15 offset:5120
	s_waitcnt lgkmcnt(0)
	s_barrier
	buffer_gl0_inv
	v_readfirstlane_b32 s14, v2
	v_readfirstlane_b32 s15, v3
	s_and_saveexec_b32 s4, s0
	s_cbranch_execz .LBB132_94
; %bb.93:                               ;   in Loop: Header=BB132_21 Depth=1
	ds_store_b16 v29, v15
.LBB132_94:                             ;   in Loop: Header=BB132_21 Depth=1
	s_or_b32 exec_lo, exec_lo, s4
	s_and_b32 s88, s88, s18
	s_or_b32 s89, s89, s16
	s_cmp_eq_u64 s[14:15], 0
	s_waitcnt lgkmcnt(0)
	s_barrier
	buffer_gl0_inv
	s_cbranch_scc1 .LBB132_107
; %bb.95:                               ;   in Loop: Header=BB132_21 Depth=1
	s_add_u32 s21, s69, s14
	s_addc_u32 s5, s70, s15
	s_mov_b32 s4, s43
	s_delay_alu instid0(SALU_CYCLE_1)
	s_cmp_lg_u64 s[4:5], 0
	s_cbranch_scc0 .LBB132_152
; %bb.96:                               ;   in Loop: Header=BB132_21 Depth=1
	v_cvt_f32_u32_e32 v2, s29
	s_sub_u32 s23, 0, s29
	s_subb_u32 s42, 0, 0
	s_delay_alu instid0(VALU_DEP_1) | instskip(NEXT) | instid1(VALU_DEP_1)
	v_fmac_f32_e64 v2, 0, 0x4f800000
	v_rcp_f32_e32 v2, v2
	s_waitcnt_depctr 0xfff
	v_mul_f32_e32 v2, 0x5f7ffffc, v2
	s_delay_alu instid0(VALU_DEP_1) | instskip(NEXT) | instid1(VALU_DEP_1)
	v_mul_f32_e32 v3, 0x2f800000, v2
	v_trunc_f32_e32 v3, v3
	s_delay_alu instid0(VALU_DEP_1) | instskip(SKIP_1) | instid1(VALU_DEP_2)
	v_fmac_f32_e32 v2, 0xcf800000, v3
	v_cvt_u32_f32_e32 v3, v3
	v_cvt_u32_f32_e32 v2, v2
	s_delay_alu instid0(VALU_DEP_2) | instskip(NEXT) | instid1(VALU_DEP_2)
	v_readfirstlane_b32 s4, v3
	v_readfirstlane_b32 s22, v2
	s_delay_alu instid0(VALU_DEP_2) | instskip(NEXT) | instid1(VALU_DEP_1)
	s_mul_i32 s48, s23, s4
	s_mul_hi_u32 s57, s23, s22
	s_mul_i32 s56, s42, s22
	s_add_i32 s48, s57, s48
	s_mul_i32 s58, s23, s22
	s_add_i32 s48, s48, s56
	s_mul_hi_u32 s57, s22, s58
	s_mul_hi_u32 s59, s4, s58
	s_mul_i32 s56, s4, s58
	s_mul_hi_u32 s58, s22, s48
	s_mul_i32 s22, s22, s48
	s_mul_hi_u32 s60, s4, s48
	s_add_u32 s22, s57, s22
	s_addc_u32 s57, 0, s58
	s_add_u32 s22, s22, s56
	s_mul_i32 s48, s4, s48
	s_addc_u32 s22, s57, s59
	s_addc_u32 s56, s60, 0
	s_add_u32 s22, s22, s48
	s_addc_u32 s48, 0, s56
	v_add_co_u32 v2, s22, v2, s22
	s_delay_alu instid0(VALU_DEP_1) | instskip(SKIP_1) | instid1(VALU_DEP_1)
	s_cmp_lg_u32 s22, 0
	s_addc_u32 s4, s4, s48
	v_readfirstlane_b32 s22, v2
	s_mul_i32 s48, s23, s4
	s_delay_alu instid0(VALU_DEP_1)
	s_mul_hi_u32 s56, s23, s22
	s_mul_i32 s42, s42, s22
	s_add_i32 s48, s56, s48
	s_mul_i32 s23, s23, s22
	s_add_i32 s48, s48, s42
	s_mul_hi_u32 s56, s4, s23
	s_mul_i32 s57, s4, s23
	s_mul_hi_u32 s23, s22, s23
	s_mul_hi_u32 s58, s22, s48
	s_mul_i32 s22, s22, s48
	s_mul_hi_u32 s42, s4, s48
	s_add_u32 s22, s23, s22
	s_addc_u32 s23, 0, s58
	s_add_u32 s22, s22, s57
	s_mul_i32 s48, s4, s48
	s_addc_u32 s22, s23, s56
	s_addc_u32 s23, s42, 0
	s_add_u32 s22, s22, s48
	s_addc_u32 s23, 0, s23
	v_add_co_u32 v2, s22, v2, s22
	s_delay_alu instid0(VALU_DEP_1) | instskip(SKIP_1) | instid1(VALU_DEP_1)
	s_cmp_lg_u32 s22, 0
	s_addc_u32 s4, s4, s23
	v_readfirstlane_b32 s22, v2
	s_mul_i32 s42, s21, s4
	s_mul_hi_u32 s23, s21, s4
	s_mul_hi_u32 s48, s5, s4
	s_mul_i32 s4, s5, s4
	s_mul_hi_u32 s56, s21, s22
	s_mul_hi_u32 s57, s5, s22
	s_mul_i32 s22, s5, s22
	s_add_u32 s42, s56, s42
	s_addc_u32 s23, 0, s23
	s_add_u32 s22, s42, s22
	s_addc_u32 s22, s23, s57
	s_addc_u32 s23, s48, 0
	s_add_u32 s4, s22, s4
	s_addc_u32 s22, 0, s23
	s_mul_hi_u32 s23, s29, s4
	s_mul_i32 s4, s29, s4
	s_mul_i32 s22, s29, s22
	v_sub_co_u32 v2, s4, s21, s4
	s_add_i32 s23, s23, s22
	s_cmp_lg_u32 s4, 0
	s_delay_alu instid0(VALU_DEP_1) | instskip(SKIP_2) | instid1(VALU_DEP_1)
	v_sub_co_u32 v3, s4, v2, s29
	s_subb_u32 s22, s5, s23
	s_cmp_lg_u32 s4, 0
	v_cmp_le_u32_e32 vcc_lo, s29, v3
	v_sub_co_u32 v4, s4, v3, s29
	s_subb_u32 s23, s22, 0
	s_cmp_lg_u32 s4, 0
	v_cndmask_b32_e64 v5, 0, -1, vcc_lo
	s_subb_u32 s4, s23, 0
	s_cmp_eq_u32 s23, 0
	v_mov_b32_e32 v7, s4
	s_cselect_b32 vcc_lo, -1, 0
	s_cmp_eq_u32 s22, 0
	v_cndmask_b32_e32 v5, -1, v5, vcc_lo
	v_cmp_le_u32_e32 vcc_lo, s29, v2
	s_cselect_b32 s4, -1, 0
	v_cndmask_b32_e64 v6, 0, -1, vcc_lo
	s_delay_alu instid0(VALU_DEP_3) | instskip(NEXT) | instid1(VALU_DEP_2)
	v_cmp_ne_u32_e32 vcc_lo, 0, v5
	v_cndmask_b32_e64 v5, -1, v6, s4
	v_cndmask_b32_e32 v6, s23, v7, vcc_lo
	v_cndmask_b32_e32 v4, v3, v4, vcc_lo
	s_delay_alu instid0(VALU_DEP_3) | instskip(NEXT) | instid1(VALU_DEP_3)
	v_cmp_ne_u32_e32 vcc_lo, 0, v5
	v_cndmask_b32_e32 v3, s22, v6, vcc_lo
	s_delay_alu instid0(VALU_DEP_3)
	v_cndmask_b32_e32 v2, v2, v4, vcc_lo
	s_cbranch_execnz .LBB132_98
.LBB132_97:                             ;   in Loop: Header=BB132_21 Depth=1
	v_cvt_f32_u32_e32 v2, s29
	s_sub_i32 s4, 0, s29
	s_delay_alu instid0(VALU_DEP_1) | instskip(SKIP_2) | instid1(VALU_DEP_1)
	v_rcp_iflag_f32_e32 v2, v2
	s_waitcnt_depctr 0xfff
	v_mul_f32_e32 v2, 0x4f7ffffe, v2
	v_cvt_u32_f32_e32 v2, v2
	s_delay_alu instid0(VALU_DEP_1) | instskip(NEXT) | instid1(VALU_DEP_1)
	v_mul_lo_u32 v3, s4, v2
	v_mul_hi_u32 v3, v2, v3
	s_delay_alu instid0(VALU_DEP_1) | instskip(NEXT) | instid1(VALU_DEP_1)
	v_add_nc_u32_e32 v2, v2, v3
	v_mul_hi_u32 v2, s21, v2
	s_delay_alu instid0(VALU_DEP_1) | instskip(NEXT) | instid1(VALU_DEP_1)
	v_mul_lo_u32 v2, v2, s29
	v_sub_nc_u32_e32 v2, s21, v2
	s_delay_alu instid0(VALU_DEP_1) | instskip(SKIP_1) | instid1(VALU_DEP_2)
	v_subrev_nc_u32_e32 v3, s29, v2
	v_cmp_le_u32_e32 vcc_lo, s29, v2
	v_cndmask_b32_e32 v2, v2, v3, vcc_lo
	s_delay_alu instid0(VALU_DEP_1) | instskip(SKIP_1) | instid1(VALU_DEP_2)
	v_subrev_nc_u32_e32 v3, s29, v2
	v_cmp_le_u32_e32 vcc_lo, s29, v2
	v_cndmask_b32_e32 v14, v2, v3, vcc_lo
	s_delay_alu instid0(VALU_DEP_1)
	v_dual_mov_b32 v2, v14 :: v_dual_mov_b32 v3, v15
.LBB132_98:                             ;   in Loop: Header=BB132_21 Depth=1
	s_delay_alu instid0(VALU_DEP_1) | instskip(NEXT) | instid1(VALU_DEP_2)
	v_sub_co_u32 v2, vcc_lo, s21, v2
	v_sub_co_ci_u32_e32 v3, vcc_lo, s5, v3, vcc_lo
	s_mov_b32 s4, 0
	s_mov_b32 s5, exec_lo
                                        ; implicit-def: $vgpr36
	s_delay_alu instid0(VALU_DEP_1)
	v_cmpx_gt_u64_e64 v[2:3], v[0:1]
	s_cbranch_execz .LBB132_109
; %bb.99:                               ;   in Loop: Header=BB132_21 Depth=1
	v_dual_mov_b32 v6, v28 :: v_dual_mov_b32 v5, v1
	v_mov_b32_e32 v4, v0
	s_mov_b32 s21, 0
                                        ; implicit-def: $sgpr22
	s_set_inst_prefetch_distance 0x1
	s_branch .LBB132_101
	.p2align	6
.LBB132_100:                            ;   in Loop: Header=BB132_101 Depth=2
	s_or_b32 exec_lo, exec_lo, s4
	s_waitcnt lgkmcnt(0)
	s_barrier
	buffer_gl0_inv
	ds_load_b32 v7, v15 offset:3072
	v_add_co_u32 v4, vcc_lo, v4, s29
	v_add_co_ci_u32_e32 v5, vcc_lo, 0, v5, vcc_lo
	v_add_nc_u32_e32 v6, s77, v6
	s_waitcnt lgkmcnt(0)
	s_barrier
	s_delay_alu instid0(VALU_DEP_2) | instskip(SKIP_2) | instid1(VALU_DEP_1)
	v_cmp_ge_u64_e32 vcc_lo, v[4:5], v[2:3]
	buffer_gl0_inv
	v_cmp_neq_f16_e64 s4, 0, v7
	s_or_b32 s23, vcc_lo, s4
	s_delay_alu instid0(SALU_CYCLE_1) | instskip(NEXT) | instid1(SALU_CYCLE_1)
	s_and_b32 s23, exec_lo, s23
	s_or_b32 s21, s23, s21
	s_and_not1_b32 s22, s22, exec_lo
	s_and_b32 s4, s4, exec_lo
	s_delay_alu instid0(SALU_CYCLE_1)
	s_or_b32 s22, s22, s4
	s_and_not1_b32 exec_lo, exec_lo, s21
	s_cbranch_execz .LBB132_108
.LBB132_101:                            ;   Parent Loop BB132_21 Depth=1
                                        ; =>  This Inner Loop Header: Depth=2
	s_delay_alu instid0(VALU_DEP_1)
	v_cmp_gt_u64_e32 vcc_lo, s[14:15], v[4:5]
	v_mov_b32_e32 v7, 0
	s_and_saveexec_b32 s4, vcc_lo
	s_cbranch_execz .LBB132_103
; %bb.102:                              ;   in Loop: Header=BB132_101 Depth=2
	ds_load_u16 v7, v6
.LBB132_103:                            ;   in Loop: Header=BB132_101 Depth=2
	s_or_b32 exec_lo, exec_lo, s4
	s_and_saveexec_b32 s4, vcc_lo
	s_cbranch_execz .LBB132_100
; %bb.104:                              ;   in Loop: Header=BB132_101 Depth=2
	s_waitcnt lgkmcnt(0)
	v_cmp_lt_i16_e32 vcc_lo, -1, v7
	v_and_b32_e32 v8, 0xffff, v7
	v_cndmask_b32_e32 v9, 0xffff, v35, vcc_lo
	v_cmp_o_f16_e32 vcc_lo, v7, v7
	s_delay_alu instid0(VALU_DEP_2) | instskip(NEXT) | instid1(VALU_DEP_1)
	v_xor_b32_e32 v8, v9, v8
	v_cndmask_b32_e32 v8, 0xffff, v8, vcc_lo
	s_delay_alu instid0(VALU_DEP_1) | instskip(NEXT) | instid1(VALU_DEP_1)
	v_and_b32_e32 v8, s89, v8
	v_cmp_eq_u32_e32 vcc_lo, s88, v8
	s_and_b32 exec_lo, exec_lo, vcc_lo
	s_cbranch_execz .LBB132_100
; %bb.105:                              ;   in Loop: Header=BB132_101 Depth=2
	v_perm_b32 v7, v7, s78, 0x5040100
	ds_store_b32 v15, v7 offset:3072
	s_branch .LBB132_100
.LBB132_106:                            ;   in Loop: Header=BB132_21 Depth=1
	s_mov_b32 s4, -1
                                        ; implicit-def: $sgpr5
                                        ; implicit-def: $sgpr15
                                        ; implicit-def: $sgpr14
	s_branch .LBB132_123
.LBB132_107:                            ;   in Loop: Header=BB132_21 Depth=1
	s_mov_b32 s5, -1
	s_mov_b32 s4, 0
                                        ; implicit-def: $sgpr14
                                        ; implicit-def: $vgpr36
	s_mov_b32 s15, s5
	s_cbranch_execnz .LBB132_110
	s_branch .LBB132_123
.LBB132_108:                            ;   in Loop: Header=BB132_21 Depth=1
	s_set_inst_prefetch_distance 0x2
	s_or_b32 exec_lo, exec_lo, s21
	v_lshrrev_b32_e32 v36, 16, v7
	s_and_b32 s4, s22, exec_lo
.LBB132_109:                            ;   in Loop: Header=BB132_21 Depth=1
	s_or_b32 exec_lo, exec_lo, s5
	s_mov_b32 s14, -1
	s_mov_b32 s5, 0
	s_delay_alu instid0(SALU_CYCLE_1)
	s_mov_b32 s15, s5
	s_branch .LBB132_123
.LBB132_110:                            ;   in Loop: Header=BB132_21 Depth=1
	s_mov_b32 s48, s43
	s_delay_alu instid0(SALU_CYCLE_1)
	s_cmp_lg_u64 s[48:49], 0
	s_cbranch_scc0 .LBB132_153
; %bb.111:                              ;   in Loop: Header=BB132_21 Depth=1
	v_cvt_f32_u32_e32 v2, s29
	s_sub_u32 s14, 0, s29
	s_subb_u32 s15, 0, 0
	s_delay_alu instid0(VALU_DEP_1) | instskip(NEXT) | instid1(VALU_DEP_1)
	v_fmac_f32_e64 v2, 0, 0x4f800000
	v_rcp_f32_e32 v2, v2
	s_waitcnt_depctr 0xfff
	v_mul_f32_e32 v2, 0x5f7ffffc, v2
	s_delay_alu instid0(VALU_DEP_1) | instskip(NEXT) | instid1(VALU_DEP_1)
	v_mul_f32_e32 v3, 0x2f800000, v2
	v_trunc_f32_e32 v3, v3
	s_delay_alu instid0(VALU_DEP_1) | instskip(SKIP_1) | instid1(VALU_DEP_2)
	v_fmac_f32_e32 v2, 0xcf800000, v3
	v_cvt_u32_f32_e32 v3, v3
	v_cvt_u32_f32_e32 v2, v2
	s_delay_alu instid0(VALU_DEP_2) | instskip(NEXT) | instid1(VALU_DEP_2)
	v_readfirstlane_b32 s4, v3
	v_readfirstlane_b32 s5, v2
	s_delay_alu instid0(VALU_DEP_2) | instskip(NEXT) | instid1(VALU_DEP_1)
	s_mul_i32 s21, s14, s4
	s_mul_hi_u32 s23, s14, s5
	s_mul_i32 s22, s15, s5
	s_add_i32 s21, s23, s21
	s_mul_i32 s42, s14, s5
	s_add_i32 s21, s21, s22
	s_mul_hi_u32 s23, s5, s42
	s_mul_hi_u32 s48, s4, s42
	s_mul_i32 s22, s4, s42
	s_mul_hi_u32 s42, s5, s21
	s_mul_i32 s5, s5, s21
	s_mul_hi_u32 s56, s4, s21
	s_add_u32 s5, s23, s5
	s_addc_u32 s23, 0, s42
	s_add_u32 s5, s5, s22
	s_mul_i32 s21, s4, s21
	s_addc_u32 s5, s23, s48
	s_addc_u32 s22, s56, 0
	s_add_u32 s5, s5, s21
	s_addc_u32 s21, 0, s22
	v_add_co_u32 v2, s5, v2, s5
	s_delay_alu instid0(VALU_DEP_1) | instskip(SKIP_1) | instid1(VALU_DEP_1)
	s_cmp_lg_u32 s5, 0
	s_addc_u32 s4, s4, s21
	v_readfirstlane_b32 s5, v2
	s_mul_i32 s21, s14, s4
	s_delay_alu instid0(VALU_DEP_1)
	s_mul_hi_u32 s22, s14, s5
	s_mul_i32 s15, s15, s5
	s_add_i32 s21, s22, s21
	s_mul_i32 s14, s14, s5
	s_add_i32 s21, s21, s15
	s_mul_hi_u32 s22, s4, s14
	s_mul_i32 s23, s4, s14
	s_mul_hi_u32 s14, s5, s14
	s_mul_hi_u32 s42, s5, s21
	s_mul_i32 s5, s5, s21
	s_mul_hi_u32 s15, s4, s21
	s_add_u32 s5, s14, s5
	s_addc_u32 s14, 0, s42
	s_add_u32 s5, s5, s23
	s_mul_i32 s21, s4, s21
	s_addc_u32 s5, s14, s22
	s_addc_u32 s14, s15, 0
	s_add_u32 s5, s5, s21
	s_addc_u32 s14, 0, s14
	v_add_co_u32 v2, s5, v2, s5
	s_delay_alu instid0(VALU_DEP_1) | instskip(SKIP_1) | instid1(VALU_DEP_1)
	s_cmp_lg_u32 s5, 0
	s_addc_u32 s4, s4, s14
	v_readfirstlane_b32 s5, v2
	s_mul_i32 s15, s71, s4
	s_mul_hi_u32 s14, s71, s4
	s_mul_hi_u32 s21, s49, s4
	s_mul_i32 s4, s49, s4
	s_mul_hi_u32 s22, s71, s5
	s_mul_hi_u32 s23, s49, s5
	s_mul_i32 s5, s49, s5
	s_add_u32 s15, s22, s15
	s_addc_u32 s14, 0, s14
	s_add_u32 s5, s15, s5
	s_addc_u32 s5, s14, s23
	s_addc_u32 s14, s21, 0
	s_add_u32 s4, s5, s4
	s_addc_u32 s5, 0, s14
	s_mul_hi_u32 s14, s29, s4
	s_mul_i32 s4, s29, s4
	s_mul_i32 s5, s29, s5
	v_sub_co_u32 v2, s4, s71, s4
	s_add_i32 s14, s14, s5
	s_cmp_lg_u32 s4, 0
	s_delay_alu instid0(VALU_DEP_1) | instskip(SKIP_2) | instid1(VALU_DEP_1)
	v_sub_co_u32 v3, s4, v2, s29
	s_subb_u32 s5, s49, s14
	s_cmp_lg_u32 s4, 0
	v_cmp_le_u32_e32 vcc_lo, s29, v3
	v_sub_co_u32 v4, s4, v3, s29
	s_subb_u32 s14, s5, 0
	s_cmp_lg_u32 s4, 0
	v_cndmask_b32_e64 v5, 0, -1, vcc_lo
	s_subb_u32 s4, s14, 0
	s_cmp_eq_u32 s14, 0
	v_mov_b32_e32 v7, s4
	s_cselect_b32 vcc_lo, -1, 0
	s_cmp_eq_u32 s5, 0
	v_cndmask_b32_e32 v5, -1, v5, vcc_lo
	v_cmp_le_u32_e32 vcc_lo, s29, v2
	s_cselect_b32 s4, -1, 0
	v_cndmask_b32_e64 v6, 0, -1, vcc_lo
	s_delay_alu instid0(VALU_DEP_3) | instskip(NEXT) | instid1(VALU_DEP_2)
	v_cmp_ne_u32_e32 vcc_lo, 0, v5
	v_cndmask_b32_e64 v5, -1, v6, s4
	v_cndmask_b32_e32 v6, s14, v7, vcc_lo
	v_cndmask_b32_e32 v4, v3, v4, vcc_lo
	s_delay_alu instid0(VALU_DEP_3) | instskip(NEXT) | instid1(VALU_DEP_3)
	v_cmp_ne_u32_e32 vcc_lo, 0, v5
	v_cndmask_b32_e32 v3, s5, v6, vcc_lo
	s_delay_alu instid0(VALU_DEP_3)
	v_cndmask_b32_e32 v2, v2, v4, vcc_lo
	s_cbranch_execnz .LBB132_113
.LBB132_112:                            ;   in Loop: Header=BB132_21 Depth=1
	v_cvt_f32_u32_e32 v2, s29
	s_sub_i32 s4, 0, s29
	s_delay_alu instid0(VALU_DEP_1) | instskip(SKIP_2) | instid1(VALU_DEP_1)
	v_rcp_iflag_f32_e32 v2, v2
	s_waitcnt_depctr 0xfff
	v_mul_f32_e32 v2, 0x4f7ffffe, v2
	v_cvt_u32_f32_e32 v2, v2
	s_delay_alu instid0(VALU_DEP_1) | instskip(NEXT) | instid1(VALU_DEP_1)
	v_mul_lo_u32 v3, s4, v2
	v_mul_hi_u32 v3, v2, v3
	s_delay_alu instid0(VALU_DEP_1) | instskip(NEXT) | instid1(VALU_DEP_1)
	v_add_nc_u32_e32 v2, v2, v3
	v_mul_hi_u32 v2, s71, v2
	s_delay_alu instid0(VALU_DEP_1) | instskip(NEXT) | instid1(VALU_DEP_1)
	v_mul_lo_u32 v2, v2, s29
	v_sub_nc_u32_e32 v2, s71, v2
	s_delay_alu instid0(VALU_DEP_1) | instskip(SKIP_1) | instid1(VALU_DEP_2)
	v_subrev_nc_u32_e32 v3, s29, v2
	v_cmp_le_u32_e32 vcc_lo, s29, v2
	v_cndmask_b32_e32 v2, v2, v3, vcc_lo
	s_delay_alu instid0(VALU_DEP_1) | instskip(SKIP_1) | instid1(VALU_DEP_2)
	v_subrev_nc_u32_e32 v3, s29, v2
	v_cmp_le_u32_e32 vcc_lo, s29, v2
	v_cndmask_b32_e32 v14, v2, v3, vcc_lo
	s_delay_alu instid0(VALU_DEP_1)
	v_dual_mov_b32 v2, v14 :: v_dual_mov_b32 v3, v15
.LBB132_113:                            ;   in Loop: Header=BB132_21 Depth=1
	s_delay_alu instid0(VALU_DEP_1) | instskip(NEXT) | instid1(VALU_DEP_2)
	v_sub_co_u32 v2, vcc_lo, s71, v2
	v_sub_co_ci_u32_e32 v3, vcc_lo, s49, v3, vcc_lo
	s_mov_b32 s4, 0
	s_mov_b32 s5, exec_lo
                                        ; implicit-def: $vgpr36
	s_delay_alu instid0(VALU_DEP_1)
	v_cmpx_gt_u64_e64 v[2:3], v[0:1]
	s_cbranch_execz .LBB132_122
; %bb.114:                              ;   in Loop: Header=BB132_21 Depth=1
	v_dual_mov_b32 v4, v10 :: v_dual_mov_b32 v5, v11
	v_dual_mov_b32 v7, v1 :: v_dual_mov_b32 v6, v0
	s_mov_b32 s14, 0
                                        ; implicit-def: $sgpr15
	s_branch .LBB132_116
.LBB132_115:                            ;   in Loop: Header=BB132_116 Depth=2
	s_or_b32 exec_lo, exec_lo, s4
	s_waitcnt vmcnt(0) lgkmcnt(0)
	s_barrier
	buffer_gl0_inv
	ds_load_b32 v8, v15 offset:3072
	v_add_co_u32 v6, vcc_lo, v6, s29
	v_add_co_ci_u32_e32 v7, vcc_lo, 0, v7, vcc_lo
	s_waitcnt lgkmcnt(0)
	s_barrier
	buffer_gl0_inv
	v_cmp_ge_u64_e32 vcc_lo, v[6:7], v[2:3]
	v_cmp_neq_f16_e64 s4, 0, v8
	s_delay_alu instid0(VALU_DEP_1)
	s_or_b32 s21, vcc_lo, s4
	v_add_co_u32 v4, vcc_lo, v4, s40
	s_and_b32 s21, exec_lo, s21
	v_add_co_ci_u32_e32 v5, vcc_lo, s41, v5, vcc_lo
	s_or_b32 s14, s21, s14
	s_and_not1_b32 s15, s15, exec_lo
	s_and_b32 s4, s4, exec_lo
	s_delay_alu instid0(SALU_CYCLE_1)
	s_or_b32 s15, s15, s4
	s_and_not1_b32 exec_lo, exec_lo, s14
	s_cbranch_execz .LBB132_121
.LBB132_116:                            ;   Parent Loop BB132_21 Depth=1
                                        ; =>  This Inner Loop Header: Depth=2
	s_delay_alu instid0(VALU_DEP_1)
	v_cmp_gt_u64_e32 vcc_lo, s[24:25], v[6:7]
	v_mov_b32_e32 v8, 0
	s_and_saveexec_b32 s4, vcc_lo
	s_cbranch_execz .LBB132_118
; %bb.117:                              ;   in Loop: Header=BB132_116 Depth=2
	global_load_u16 v8, v[4:5], off
.LBB132_118:                            ;   in Loop: Header=BB132_116 Depth=2
	s_or_b32 exec_lo, exec_lo, s4
	s_and_saveexec_b32 s4, vcc_lo
	s_cbranch_execz .LBB132_115
; %bb.119:                              ;   in Loop: Header=BB132_116 Depth=2
	s_waitcnt vmcnt(0)
	v_cmp_lt_i16_e32 vcc_lo, -1, v8
	v_dual_cndmask_b32 v14, 0xffff, v35 :: v_dual_and_b32 v9, 0xffff, v8
	v_cmp_o_f16_e32 vcc_lo, v8, v8
	s_delay_alu instid0(VALU_DEP_2) | instskip(NEXT) | instid1(VALU_DEP_1)
	v_xor_b32_e32 v9, v14, v9
	v_cndmask_b32_e32 v9, 0xffff, v9, vcc_lo
	s_delay_alu instid0(VALU_DEP_1) | instskip(NEXT) | instid1(VALU_DEP_1)
	v_and_b32_e32 v9, s89, v9
	v_cmp_eq_u32_e32 vcc_lo, s88, v9
	s_and_b32 exec_lo, exec_lo, vcc_lo
	s_cbranch_execz .LBB132_115
; %bb.120:                              ;   in Loop: Header=BB132_116 Depth=2
	v_perm_b32 v8, v8, s78, 0x5040100
	ds_store_b32 v15, v8 offset:3072
	s_branch .LBB132_115
.LBB132_121:                            ;   in Loop: Header=BB132_21 Depth=1
	s_or_b32 exec_lo, exec_lo, s14
	v_lshrrev_b32_e32 v36, 16, v8
	s_and_b32 s4, s15, exec_lo
.LBB132_122:                            ;   in Loop: Header=BB132_21 Depth=1
	s_or_b32 exec_lo, exec_lo, s5
	s_mov_b32 s15, -1
	s_mov_b32 s5, 0
	s_mov_b32 s14, 0
.LBB132_123:                            ;   in Loop: Header=BB132_21 Depth=1
	s_and_not1_b32 s21, s84, exec_lo
	s_and_b32 s5, s5, exec_lo
	s_and_b32 s15, s15, exec_lo
	s_or_b32 s84, s21, s5
	s_and_not1_b32 s5, s87, exec_lo
	s_and_not1_b32 s21, s85, exec_lo
	s_and_b32 s14, s14, exec_lo
	s_or_b32 s87, s5, s15
	s_or_b32 s85, s21, s14
	s_and_saveexec_b32 s14, s4
	s_cbranch_execz .LBB132_20
; %bb.124:                              ;   in Loop: Header=BB132_21 Depth=1
	s_xor_b32 s4, s20, -1
	s_mov_b32 s42, 1
	s_and_not1_b32 vcc_lo, exec_lo, s4
	s_cbranch_vccnz .LBB132_135
; %bb.125:                              ;   in Loop: Header=BB132_21 Depth=1
	v_cmp_gt_u64_e64 s4, s[44:45], s[12:13]
                                        ; implicit-def: $sgpr42
                                        ; implicit-def: $sgpr5
                                        ; implicit-def: $sgpr15
	s_delay_alu instid0(VALU_DEP_1)
	s_and_b32 vcc_lo, exec_lo, s4
	s_mov_b32 s4, -1
	s_cbranch_vccnz .LBB132_131
; %bb.126:                              ;   in Loop: Header=BB132_21 Depth=1
	ds_load_b64 v[2:3], v15 offset:5120
	s_waitcnt lgkmcnt(0)
	v_cmp_ne_u64_e32 vcc_lo, 0, v[2:3]
	s_cbranch_vccnz .LBB132_130
; %bb.127:                              ;   in Loop: Header=BB132_21 Depth=1
	s_and_saveexec_b32 s4, s3
	s_cbranch_execz .LBB132_129
; %bb.128:                              ;   in Loop: Header=BB132_21 Depth=1
	v_dual_mov_b32 v2, s12 :: v_dual_mov_b32 v3, s13
	ds_store_b64 v15, v[2:3] offset:5128
.LBB132_129:                            ;   in Loop: Header=BB132_21 Depth=1
	s_or_b32 exec_lo, exec_lo, s4
	s_waitcnt lgkmcnt(0)
	s_barrier
	buffer_gl0_inv
.LBB132_130:                            ;   in Loop: Header=BB132_21 Depth=1
	s_and_b32 s5, s88, s18
	s_or_b32 s15, s89, s16
	s_mov_b32 s4, 0
	s_mov_b32 s42, 8
.LBB132_131:                            ;   in Loop: Header=BB132_21 Depth=1
	s_and_not1_b32 vcc_lo, exec_lo, s4
	s_cbranch_vccnz .LBB132_133
; %bb.132:                              ;   in Loop: Header=BB132_21 Depth=1
	s_sub_u32 s44, s44, s12
	s_subb_u32 s45, s45, s13
	s_mov_b32 s4, -1
	s_mov_b32 s42, 0
	s_mov_b32 s5, s88
	;; [unrolled: 1-line block ×3, first 2 shown]
.LBB132_133:                            ;   in Loop: Header=BB132_21 Depth=1
	s_delay_alu instid0(SALU_CYCLE_1)
	s_mov_b32 s89, s15
	s_mov_b32 s88, s5
	s_and_b32 vcc_lo, exec_lo, s4
	s_mov_b32 s15, -1
	s_cbranch_vccnz .LBB132_136
.LBB132_134:                            ;   in Loop: Header=BB132_21 Depth=1
	s_mov_b32 s5, -1
                                        ; implicit-def: $sgpr12
                                        ; implicit-def: $sgpr19
                                        ; implicit-def: $sgpr13
	s_delay_alu instid0(SALU_CYCLE_1) | instskip(NEXT) | instid1(SALU_CYCLE_1)
	s_and_saveexec_b32 s4, s5
	s_xor_b32 s4, exec_lo, s4
	s_cbranch_execz .LBB132_19
	s_branch .LBB132_282
.LBB132_135:                            ;   in Loop: Header=BB132_21 Depth=1
	s_mov_b64 s[44:45], 1
	s_mov_b32 s15, -1
	s_branch .LBB132_134
.LBB132_136:                            ;   in Loop: Header=BB132_21 Depth=1
	s_cmp_eq_u64 s[10:11], 1
	s_cselect_b32 s4, -1, 0
	s_cmp_eq_u64 s[44:45], 1
	s_cselect_b32 s5, -1, 0
	s_delay_alu instid0(SALU_CYCLE_1)
	s_and_b32 s21, s4, s5
	s_mov_b32 s4, -1
	s_and_b32 vcc_lo, exec_lo, s21
	s_cbranch_vccz .LBB132_151
; %bb.137:                              ;   in Loop: Header=BB132_21 Depth=1
	ds_load_b64 v[2:3], v15 offset:5120
	s_waitcnt lgkmcnt(0)
	s_barrier
	buffer_gl0_inv
	v_readfirstlane_b32 s12, v2
	v_readfirstlane_b32 s13, v3
	s_and_saveexec_b32 s4, s0
	s_cbranch_execz .LBB132_139
; %bb.138:                              ;   in Loop: Header=BB132_21 Depth=1
	ds_store_b16 v29, v15
.LBB132_139:                            ;   in Loop: Header=BB132_21 Depth=1
	s_or_b32 exec_lo, exec_lo, s4
	s_lshl_b32 s4, 1, s17
	s_and_b32 s5, s88, s18
	s_or_b32 s89, s89, s16
	s_or_b32 s88, s5, s4
	s_cmp_eq_u64 s[12:13], 0
	s_waitcnt lgkmcnt(0)
	s_barrier
	buffer_gl0_inv
	s_cbranch_scc1 .LBB132_154
; %bb.140:                              ;   in Loop: Header=BB132_21 Depth=1
	s_add_u32 s19, s69, s12
	s_addc_u32 s5, s70, s13
	s_mov_b32 s4, s43
	s_delay_alu instid0(SALU_CYCLE_1)
	s_cmp_lg_u64 s[4:5], 0
	s_cbranch_scc0 .LBB132_199
; %bb.141:                              ;   in Loop: Header=BB132_21 Depth=1
	v_cvt_f32_u32_e32 v2, s29
	s_sub_u32 s22, 0, s29
	s_subb_u32 s23, 0, 0
	s_delay_alu instid0(VALU_DEP_1) | instskip(NEXT) | instid1(VALU_DEP_1)
	v_fmac_f32_e64 v2, 0, 0x4f800000
	v_rcp_f32_e32 v2, v2
	s_waitcnt_depctr 0xfff
	v_mul_f32_e32 v2, 0x5f7ffffc, v2
	s_delay_alu instid0(VALU_DEP_1) | instskip(NEXT) | instid1(VALU_DEP_1)
	v_mul_f32_e32 v3, 0x2f800000, v2
	v_trunc_f32_e32 v3, v3
	s_delay_alu instid0(VALU_DEP_1) | instskip(SKIP_1) | instid1(VALU_DEP_2)
	v_fmac_f32_e32 v2, 0xcf800000, v3
	v_cvt_u32_f32_e32 v3, v3
	v_cvt_u32_f32_e32 v2, v2
	s_delay_alu instid0(VALU_DEP_2) | instskip(NEXT) | instid1(VALU_DEP_2)
	v_readfirstlane_b32 s4, v3
	v_readfirstlane_b32 s20, v2
	s_delay_alu instid0(VALU_DEP_2) | instskip(NEXT) | instid1(VALU_DEP_1)
	s_mul_i32 s42, s22, s4
	s_mul_hi_u32 s56, s22, s20
	s_mul_i32 s48, s23, s20
	s_add_i32 s42, s56, s42
	s_mul_i32 s57, s22, s20
	s_add_i32 s42, s42, s48
	s_mul_hi_u32 s56, s20, s57
	s_mul_hi_u32 s58, s4, s57
	s_mul_i32 s48, s4, s57
	s_mul_hi_u32 s57, s20, s42
	s_mul_i32 s20, s20, s42
	s_mul_hi_u32 s59, s4, s42
	s_add_u32 s20, s56, s20
	s_addc_u32 s56, 0, s57
	s_add_u32 s20, s20, s48
	s_mul_i32 s42, s4, s42
	s_addc_u32 s20, s56, s58
	s_addc_u32 s48, s59, 0
	s_add_u32 s20, s20, s42
	s_addc_u32 s42, 0, s48
	v_add_co_u32 v2, s20, v2, s20
	s_delay_alu instid0(VALU_DEP_1) | instskip(SKIP_1) | instid1(VALU_DEP_1)
	s_cmp_lg_u32 s20, 0
	s_addc_u32 s4, s4, s42
	v_readfirstlane_b32 s20, v2
	s_mul_i32 s42, s22, s4
	s_delay_alu instid0(VALU_DEP_1)
	s_mul_hi_u32 s48, s22, s20
	s_mul_i32 s23, s23, s20
	s_add_i32 s42, s48, s42
	s_mul_i32 s22, s22, s20
	s_add_i32 s42, s42, s23
	s_mul_hi_u32 s48, s4, s22
	s_mul_i32 s56, s4, s22
	s_mul_hi_u32 s22, s20, s22
	s_mul_hi_u32 s57, s20, s42
	s_mul_i32 s20, s20, s42
	s_mul_hi_u32 s23, s4, s42
	s_add_u32 s20, s22, s20
	s_addc_u32 s22, 0, s57
	s_add_u32 s20, s20, s56
	s_mul_i32 s42, s4, s42
	s_addc_u32 s20, s22, s48
	s_addc_u32 s22, s23, 0
	s_add_u32 s20, s20, s42
	s_addc_u32 s22, 0, s22
	v_add_co_u32 v2, s20, v2, s20
	s_delay_alu instid0(VALU_DEP_1) | instskip(SKIP_1) | instid1(VALU_DEP_1)
	s_cmp_lg_u32 s20, 0
	s_addc_u32 s4, s4, s22
	v_readfirstlane_b32 s20, v2
	s_mul_i32 s23, s19, s4
	s_mul_hi_u32 s22, s19, s4
	s_mul_hi_u32 s42, s5, s4
	s_mul_i32 s4, s5, s4
	s_mul_hi_u32 s48, s19, s20
	s_mul_hi_u32 s56, s5, s20
	s_mul_i32 s20, s5, s20
	s_add_u32 s23, s48, s23
	s_addc_u32 s22, 0, s22
	s_add_u32 s20, s23, s20
	s_addc_u32 s20, s22, s56
	s_addc_u32 s22, s42, 0
	s_add_u32 s4, s20, s4
	s_addc_u32 s20, 0, s22
	s_mul_hi_u32 s22, s29, s4
	s_mul_i32 s4, s29, s4
	s_mul_i32 s20, s29, s20
	v_sub_co_u32 v2, s4, s19, s4
	s_add_i32 s22, s22, s20
	s_cmp_lg_u32 s4, 0
	s_delay_alu instid0(VALU_DEP_1) | instskip(SKIP_2) | instid1(VALU_DEP_1)
	v_sub_co_u32 v3, s4, v2, s29
	s_subb_u32 s20, s5, s22
	s_cmp_lg_u32 s4, 0
	v_cmp_le_u32_e32 vcc_lo, s29, v3
	v_sub_co_u32 v4, s4, v3, s29
	s_subb_u32 s22, s20, 0
	s_cmp_lg_u32 s4, 0
	v_cndmask_b32_e64 v5, 0, -1, vcc_lo
	s_subb_u32 s4, s22, 0
	s_cmp_eq_u32 s22, 0
	v_mov_b32_e32 v7, s4
	s_cselect_b32 vcc_lo, -1, 0
	s_cmp_eq_u32 s20, 0
	v_cndmask_b32_e32 v5, -1, v5, vcc_lo
	v_cmp_le_u32_e32 vcc_lo, s29, v2
	s_cselect_b32 s4, -1, 0
	v_cndmask_b32_e64 v6, 0, -1, vcc_lo
	s_delay_alu instid0(VALU_DEP_3) | instskip(NEXT) | instid1(VALU_DEP_2)
	v_cmp_ne_u32_e32 vcc_lo, 0, v5
	v_cndmask_b32_e64 v5, -1, v6, s4
	v_cndmask_b32_e32 v6, s22, v7, vcc_lo
	v_cndmask_b32_e32 v4, v3, v4, vcc_lo
	s_delay_alu instid0(VALU_DEP_3) | instskip(NEXT) | instid1(VALU_DEP_3)
	v_cmp_ne_u32_e32 vcc_lo, 0, v5
	v_cndmask_b32_e32 v3, s20, v6, vcc_lo
	s_delay_alu instid0(VALU_DEP_3)
	v_cndmask_b32_e32 v2, v2, v4, vcc_lo
	s_cbranch_execnz .LBB132_143
.LBB132_142:                            ;   in Loop: Header=BB132_21 Depth=1
	v_cvt_f32_u32_e32 v2, s29
	s_sub_i32 s4, 0, s29
	s_delay_alu instid0(VALU_DEP_1) | instskip(SKIP_2) | instid1(VALU_DEP_1)
	v_rcp_iflag_f32_e32 v2, v2
	s_waitcnt_depctr 0xfff
	v_mul_f32_e32 v2, 0x4f7ffffe, v2
	v_cvt_u32_f32_e32 v2, v2
	s_delay_alu instid0(VALU_DEP_1) | instskip(NEXT) | instid1(VALU_DEP_1)
	v_mul_lo_u32 v3, s4, v2
	v_mul_hi_u32 v3, v2, v3
	s_delay_alu instid0(VALU_DEP_1) | instskip(NEXT) | instid1(VALU_DEP_1)
	v_add_nc_u32_e32 v2, v2, v3
	v_mul_hi_u32 v2, s19, v2
	s_delay_alu instid0(VALU_DEP_1) | instskip(NEXT) | instid1(VALU_DEP_1)
	v_mul_lo_u32 v2, v2, s29
	v_sub_nc_u32_e32 v2, s19, v2
	s_delay_alu instid0(VALU_DEP_1) | instskip(SKIP_1) | instid1(VALU_DEP_2)
	v_subrev_nc_u32_e32 v3, s29, v2
	v_cmp_le_u32_e32 vcc_lo, s29, v2
	v_cndmask_b32_e32 v2, v2, v3, vcc_lo
	s_delay_alu instid0(VALU_DEP_1) | instskip(SKIP_1) | instid1(VALU_DEP_2)
	v_subrev_nc_u32_e32 v3, s29, v2
	v_cmp_le_u32_e32 vcc_lo, s29, v2
	v_cndmask_b32_e32 v14, v2, v3, vcc_lo
	s_delay_alu instid0(VALU_DEP_1)
	v_dual_mov_b32 v2, v14 :: v_dual_mov_b32 v3, v15
.LBB132_143:                            ;   in Loop: Header=BB132_21 Depth=1
	s_delay_alu instid0(VALU_DEP_1) | instskip(NEXT) | instid1(VALU_DEP_2)
	v_sub_co_u32 v2, vcc_lo, s19, v2
	v_sub_co_ci_u32_e32 v3, vcc_lo, s5, v3, vcc_lo
	s_mov_b32 s4, 0
	s_mov_b32 s5, exec_lo
                                        ; implicit-def: $vgpr36
	s_delay_alu instid0(VALU_DEP_1)
	v_cmpx_gt_u64_e64 v[2:3], v[0:1]
	s_cbranch_execz .LBB132_156
; %bb.144:                              ;   in Loop: Header=BB132_21 Depth=1
	v_dual_mov_b32 v6, v28 :: v_dual_mov_b32 v5, v1
	v_mov_b32_e32 v4, v0
	s_mov_b32 s19, 0
                                        ; implicit-def: $sgpr20
	s_set_inst_prefetch_distance 0x1
	s_branch .LBB132_146
	.p2align	6
.LBB132_145:                            ;   in Loop: Header=BB132_146 Depth=2
	s_or_b32 exec_lo, exec_lo, s4
	s_waitcnt lgkmcnt(0)
	s_barrier
	buffer_gl0_inv
	ds_load_b32 v7, v15 offset:3072
	v_add_co_u32 v4, vcc_lo, v4, s29
	v_add_co_ci_u32_e32 v5, vcc_lo, 0, v5, vcc_lo
	v_add_nc_u32_e32 v6, s77, v6
	s_waitcnt lgkmcnt(0)
	s_barrier
	s_delay_alu instid0(VALU_DEP_2) | instskip(SKIP_2) | instid1(VALU_DEP_1)
	v_cmp_ge_u64_e32 vcc_lo, v[4:5], v[2:3]
	buffer_gl0_inv
	v_cmp_neq_f16_e64 s4, 0, v7
	s_or_b32 s22, vcc_lo, s4
	s_delay_alu instid0(SALU_CYCLE_1) | instskip(NEXT) | instid1(SALU_CYCLE_1)
	s_and_b32 s22, exec_lo, s22
	s_or_b32 s19, s22, s19
	s_and_not1_b32 s20, s20, exec_lo
	s_and_b32 s4, s4, exec_lo
	s_delay_alu instid0(SALU_CYCLE_1)
	s_or_b32 s20, s20, s4
	s_and_not1_b32 exec_lo, exec_lo, s19
	s_cbranch_execz .LBB132_155
.LBB132_146:                            ;   Parent Loop BB132_21 Depth=1
                                        ; =>  This Inner Loop Header: Depth=2
	s_delay_alu instid0(VALU_DEP_1)
	v_cmp_gt_u64_e32 vcc_lo, s[12:13], v[4:5]
	v_mov_b32_e32 v7, 0
	s_and_saveexec_b32 s4, vcc_lo
	s_cbranch_execz .LBB132_148
; %bb.147:                              ;   in Loop: Header=BB132_146 Depth=2
	ds_load_u16 v7, v6
.LBB132_148:                            ;   in Loop: Header=BB132_146 Depth=2
	s_or_b32 exec_lo, exec_lo, s4
	s_and_saveexec_b32 s4, vcc_lo
	s_cbranch_execz .LBB132_145
; %bb.149:                              ;   in Loop: Header=BB132_146 Depth=2
	s_waitcnt lgkmcnt(0)
	v_cmp_lt_i16_e32 vcc_lo, -1, v7
	v_and_b32_e32 v8, 0xffff, v7
	v_cndmask_b32_e32 v9, 0xffff, v35, vcc_lo
	v_cmp_o_f16_e32 vcc_lo, v7, v7
	s_delay_alu instid0(VALU_DEP_2) | instskip(NEXT) | instid1(VALU_DEP_1)
	v_xor_b32_e32 v8, v9, v8
	v_cndmask_b32_e32 v8, 0xffff, v8, vcc_lo
	s_delay_alu instid0(VALU_DEP_1) | instskip(NEXT) | instid1(VALU_DEP_1)
	v_and_b32_e32 v8, s89, v8
	v_cmp_eq_u32_e32 vcc_lo, s88, v8
	s_and_b32 exec_lo, exec_lo, vcc_lo
	s_cbranch_execz .LBB132_145
; %bb.150:                              ;   in Loop: Header=BB132_146 Depth=2
	v_perm_b32 v7, v7, s78, 0x5040100
	ds_store_b32 v15, v7 offset:3072
	s_branch .LBB132_145
.LBB132_151:                            ;   in Loop: Header=BB132_21 Depth=1
                                        ; implicit-def: $sgpr13
                                        ; implicit-def: $sgpr19
                                        ; implicit-def: $sgpr12
	s_branch .LBB132_170
.LBB132_152:                            ;   in Loop: Header=BB132_21 Depth=1
                                        ; implicit-def: $vgpr2_vgpr3
	s_branch .LBB132_97
.LBB132_153:                            ;   in Loop: Header=BB132_21 Depth=1
                                        ; implicit-def: $vgpr2_vgpr3
	s_branch .LBB132_112
.LBB132_154:                            ;   in Loop: Header=BB132_21 Depth=1
	s_mov_b32 s13, -1
	s_mov_b32 s4, 0
                                        ; implicit-def: $sgpr12
                                        ; implicit-def: $vgpr36
	s_mov_b32 s19, s13
	s_cbranch_execnz .LBB132_157
	s_branch .LBB132_170
.LBB132_155:                            ;   in Loop: Header=BB132_21 Depth=1
	s_set_inst_prefetch_distance 0x2
	s_or_b32 exec_lo, exec_lo, s19
	v_lshrrev_b32_e32 v36, 16, v7
	s_and_b32 s4, s20, exec_lo
.LBB132_156:                            ;   in Loop: Header=BB132_21 Depth=1
	s_or_b32 exec_lo, exec_lo, s5
	s_mov_b32 s12, -1
	s_mov_b32 s13, 0
	s_delay_alu instid0(SALU_CYCLE_1)
	s_mov_b32 s19, s13
	s_branch .LBB132_170
.LBB132_157:                            ;   in Loop: Header=BB132_21 Depth=1
	s_mov_b32 s48, s43
	s_delay_alu instid0(SALU_CYCLE_1)
	s_cmp_lg_u64 s[48:49], 0
	s_cbranch_scc0 .LBB132_200
; %bb.158:                              ;   in Loop: Header=BB132_21 Depth=1
	v_cvt_f32_u32_e32 v2, s29
	s_sub_u32 s12, 0, s29
	s_subb_u32 s13, 0, 0
	s_delay_alu instid0(VALU_DEP_1) | instskip(NEXT) | instid1(VALU_DEP_1)
	v_fmac_f32_e64 v2, 0, 0x4f800000
	v_rcp_f32_e32 v2, v2
	s_waitcnt_depctr 0xfff
	v_mul_f32_e32 v2, 0x5f7ffffc, v2
	s_delay_alu instid0(VALU_DEP_1) | instskip(NEXT) | instid1(VALU_DEP_1)
	v_mul_f32_e32 v3, 0x2f800000, v2
	v_trunc_f32_e32 v3, v3
	s_delay_alu instid0(VALU_DEP_1) | instskip(SKIP_1) | instid1(VALU_DEP_2)
	v_fmac_f32_e32 v2, 0xcf800000, v3
	v_cvt_u32_f32_e32 v3, v3
	v_cvt_u32_f32_e32 v2, v2
	s_delay_alu instid0(VALU_DEP_2) | instskip(NEXT) | instid1(VALU_DEP_2)
	v_readfirstlane_b32 s4, v3
	v_readfirstlane_b32 s5, v2
	s_delay_alu instid0(VALU_DEP_2) | instskip(NEXT) | instid1(VALU_DEP_1)
	s_mul_i32 s19, s12, s4
	s_mul_hi_u32 s22, s12, s5
	s_mul_i32 s20, s13, s5
	s_add_i32 s19, s22, s19
	s_mul_i32 s23, s12, s5
	s_add_i32 s19, s19, s20
	s_mul_hi_u32 s22, s5, s23
	s_mul_hi_u32 s42, s4, s23
	s_mul_i32 s20, s4, s23
	s_mul_hi_u32 s23, s5, s19
	s_mul_i32 s5, s5, s19
	s_mul_hi_u32 s48, s4, s19
	s_add_u32 s5, s22, s5
	s_addc_u32 s22, 0, s23
	s_add_u32 s5, s5, s20
	s_mul_i32 s19, s4, s19
	s_addc_u32 s5, s22, s42
	s_addc_u32 s20, s48, 0
	s_add_u32 s5, s5, s19
	s_addc_u32 s19, 0, s20
	v_add_co_u32 v2, s5, v2, s5
	s_delay_alu instid0(VALU_DEP_1) | instskip(SKIP_1) | instid1(VALU_DEP_1)
	s_cmp_lg_u32 s5, 0
	s_addc_u32 s4, s4, s19
	v_readfirstlane_b32 s5, v2
	s_mul_i32 s19, s12, s4
	s_delay_alu instid0(VALU_DEP_1)
	s_mul_hi_u32 s20, s12, s5
	s_mul_i32 s13, s13, s5
	s_add_i32 s19, s20, s19
	s_mul_i32 s12, s12, s5
	s_add_i32 s19, s19, s13
	s_mul_hi_u32 s20, s4, s12
	s_mul_i32 s22, s4, s12
	s_mul_hi_u32 s12, s5, s12
	s_mul_hi_u32 s23, s5, s19
	s_mul_i32 s5, s5, s19
	s_mul_hi_u32 s13, s4, s19
	s_add_u32 s5, s12, s5
	s_addc_u32 s12, 0, s23
	s_add_u32 s5, s5, s22
	s_mul_i32 s19, s4, s19
	s_addc_u32 s5, s12, s20
	s_addc_u32 s12, s13, 0
	s_add_u32 s5, s5, s19
	s_addc_u32 s12, 0, s12
	v_add_co_u32 v2, s5, v2, s5
	s_delay_alu instid0(VALU_DEP_1) | instskip(SKIP_1) | instid1(VALU_DEP_1)
	s_cmp_lg_u32 s5, 0
	s_addc_u32 s4, s4, s12
	v_readfirstlane_b32 s5, v2
	s_mul_i32 s13, s71, s4
	s_mul_hi_u32 s12, s71, s4
	s_mul_hi_u32 s19, s49, s4
	s_mul_i32 s4, s49, s4
	s_mul_hi_u32 s20, s71, s5
	s_mul_hi_u32 s22, s49, s5
	s_mul_i32 s5, s49, s5
	s_add_u32 s13, s20, s13
	s_addc_u32 s12, 0, s12
	s_add_u32 s5, s13, s5
	s_addc_u32 s5, s12, s22
	s_addc_u32 s12, s19, 0
	s_add_u32 s4, s5, s4
	s_addc_u32 s5, 0, s12
	s_mul_hi_u32 s12, s29, s4
	s_mul_i32 s4, s29, s4
	s_mul_i32 s5, s29, s5
	v_sub_co_u32 v2, s4, s71, s4
	s_add_i32 s12, s12, s5
	s_cmp_lg_u32 s4, 0
	s_delay_alu instid0(VALU_DEP_1) | instskip(SKIP_2) | instid1(VALU_DEP_1)
	v_sub_co_u32 v3, s4, v2, s29
	s_subb_u32 s5, s49, s12
	s_cmp_lg_u32 s4, 0
	v_cmp_le_u32_e32 vcc_lo, s29, v3
	v_sub_co_u32 v4, s4, v3, s29
	s_subb_u32 s12, s5, 0
	s_cmp_lg_u32 s4, 0
	v_cndmask_b32_e64 v5, 0, -1, vcc_lo
	s_subb_u32 s4, s12, 0
	s_cmp_eq_u32 s12, 0
	v_mov_b32_e32 v7, s4
	s_cselect_b32 vcc_lo, -1, 0
	s_cmp_eq_u32 s5, 0
	v_cndmask_b32_e32 v5, -1, v5, vcc_lo
	v_cmp_le_u32_e32 vcc_lo, s29, v2
	s_cselect_b32 s4, -1, 0
	v_cndmask_b32_e64 v6, 0, -1, vcc_lo
	s_delay_alu instid0(VALU_DEP_3) | instskip(NEXT) | instid1(VALU_DEP_2)
	v_cmp_ne_u32_e32 vcc_lo, 0, v5
	v_cndmask_b32_e64 v5, -1, v6, s4
	v_cndmask_b32_e32 v6, s12, v7, vcc_lo
	v_cndmask_b32_e32 v4, v3, v4, vcc_lo
	s_delay_alu instid0(VALU_DEP_3) | instskip(NEXT) | instid1(VALU_DEP_3)
	v_cmp_ne_u32_e32 vcc_lo, 0, v5
	v_cndmask_b32_e32 v3, s5, v6, vcc_lo
	s_delay_alu instid0(VALU_DEP_3)
	v_cndmask_b32_e32 v2, v2, v4, vcc_lo
	s_cbranch_execnz .LBB132_160
.LBB132_159:                            ;   in Loop: Header=BB132_21 Depth=1
	v_cvt_f32_u32_e32 v2, s29
	s_sub_i32 s4, 0, s29
	s_delay_alu instid0(VALU_DEP_1) | instskip(SKIP_2) | instid1(VALU_DEP_1)
	v_rcp_iflag_f32_e32 v2, v2
	s_waitcnt_depctr 0xfff
	v_mul_f32_e32 v2, 0x4f7ffffe, v2
	v_cvt_u32_f32_e32 v2, v2
	s_delay_alu instid0(VALU_DEP_1) | instskip(NEXT) | instid1(VALU_DEP_1)
	v_mul_lo_u32 v3, s4, v2
	v_mul_hi_u32 v3, v2, v3
	s_delay_alu instid0(VALU_DEP_1) | instskip(NEXT) | instid1(VALU_DEP_1)
	v_add_nc_u32_e32 v2, v2, v3
	v_mul_hi_u32 v2, s71, v2
	s_delay_alu instid0(VALU_DEP_1) | instskip(NEXT) | instid1(VALU_DEP_1)
	v_mul_lo_u32 v2, v2, s29
	v_sub_nc_u32_e32 v2, s71, v2
	s_delay_alu instid0(VALU_DEP_1) | instskip(SKIP_1) | instid1(VALU_DEP_2)
	v_subrev_nc_u32_e32 v3, s29, v2
	v_cmp_le_u32_e32 vcc_lo, s29, v2
	v_cndmask_b32_e32 v2, v2, v3, vcc_lo
	s_delay_alu instid0(VALU_DEP_1) | instskip(SKIP_1) | instid1(VALU_DEP_2)
	v_subrev_nc_u32_e32 v3, s29, v2
	v_cmp_le_u32_e32 vcc_lo, s29, v2
	v_cndmask_b32_e32 v14, v2, v3, vcc_lo
	s_delay_alu instid0(VALU_DEP_1)
	v_dual_mov_b32 v2, v14 :: v_dual_mov_b32 v3, v15
.LBB132_160:                            ;   in Loop: Header=BB132_21 Depth=1
	s_delay_alu instid0(VALU_DEP_1) | instskip(NEXT) | instid1(VALU_DEP_2)
	v_sub_co_u32 v2, vcc_lo, s71, v2
	v_sub_co_ci_u32_e32 v3, vcc_lo, s49, v3, vcc_lo
	s_mov_b32 s4, 0
	s_mov_b32 s5, exec_lo
                                        ; implicit-def: $vgpr36
	s_delay_alu instid0(VALU_DEP_1)
	v_cmpx_gt_u64_e64 v[2:3], v[0:1]
	s_cbranch_execz .LBB132_169
; %bb.161:                              ;   in Loop: Header=BB132_21 Depth=1
	v_dual_mov_b32 v4, v10 :: v_dual_mov_b32 v5, v11
	v_dual_mov_b32 v7, v1 :: v_dual_mov_b32 v6, v0
	s_mov_b32 s12, 0
                                        ; implicit-def: $sgpr13
	s_branch .LBB132_163
.LBB132_162:                            ;   in Loop: Header=BB132_163 Depth=2
	s_or_b32 exec_lo, exec_lo, s4
	s_waitcnt vmcnt(0) lgkmcnt(0)
	s_barrier
	buffer_gl0_inv
	ds_load_b32 v8, v15 offset:3072
	v_add_co_u32 v6, vcc_lo, v6, s29
	v_add_co_ci_u32_e32 v7, vcc_lo, 0, v7, vcc_lo
	s_waitcnt lgkmcnt(0)
	s_barrier
	buffer_gl0_inv
	v_cmp_ge_u64_e32 vcc_lo, v[6:7], v[2:3]
	v_cmp_neq_f16_e64 s4, 0, v8
	s_delay_alu instid0(VALU_DEP_1)
	s_or_b32 s19, vcc_lo, s4
	v_add_co_u32 v4, vcc_lo, v4, s40
	s_and_b32 s19, exec_lo, s19
	v_add_co_ci_u32_e32 v5, vcc_lo, s41, v5, vcc_lo
	s_or_b32 s12, s19, s12
	s_and_not1_b32 s13, s13, exec_lo
	s_and_b32 s4, s4, exec_lo
	s_delay_alu instid0(SALU_CYCLE_1)
	s_or_b32 s13, s13, s4
	s_and_not1_b32 exec_lo, exec_lo, s12
	s_cbranch_execz .LBB132_168
.LBB132_163:                            ;   Parent Loop BB132_21 Depth=1
                                        ; =>  This Inner Loop Header: Depth=2
	s_delay_alu instid0(VALU_DEP_1)
	v_cmp_gt_u64_e32 vcc_lo, s[24:25], v[6:7]
	v_mov_b32_e32 v8, 0
	s_and_saveexec_b32 s4, vcc_lo
	s_cbranch_execz .LBB132_165
; %bb.164:                              ;   in Loop: Header=BB132_163 Depth=2
	global_load_u16 v8, v[4:5], off
.LBB132_165:                            ;   in Loop: Header=BB132_163 Depth=2
	s_or_b32 exec_lo, exec_lo, s4
	s_and_saveexec_b32 s4, vcc_lo
	s_cbranch_execz .LBB132_162
; %bb.166:                              ;   in Loop: Header=BB132_163 Depth=2
	s_waitcnt vmcnt(0)
	v_cmp_lt_i16_e32 vcc_lo, -1, v8
	v_dual_cndmask_b32 v14, 0xffff, v35 :: v_dual_and_b32 v9, 0xffff, v8
	v_cmp_o_f16_e32 vcc_lo, v8, v8
	s_delay_alu instid0(VALU_DEP_2) | instskip(NEXT) | instid1(VALU_DEP_1)
	v_xor_b32_e32 v9, v14, v9
	v_cndmask_b32_e32 v9, 0xffff, v9, vcc_lo
	s_delay_alu instid0(VALU_DEP_1) | instskip(NEXT) | instid1(VALU_DEP_1)
	v_and_b32_e32 v9, s89, v9
	v_cmp_eq_u32_e32 vcc_lo, s88, v9
	s_and_b32 exec_lo, exec_lo, vcc_lo
	s_cbranch_execz .LBB132_162
; %bb.167:                              ;   in Loop: Header=BB132_163 Depth=2
	v_perm_b32 v8, v8, s78, 0x5040100
	ds_store_b32 v15, v8 offset:3072
	s_branch .LBB132_162
.LBB132_168:                            ;   in Loop: Header=BB132_21 Depth=1
	s_or_b32 exec_lo, exec_lo, s12
	v_lshrrev_b32_e32 v36, 16, v8
	s_and_b32 s4, s13, exec_lo
.LBB132_169:                            ;   in Loop: Header=BB132_21 Depth=1
	s_or_b32 exec_lo, exec_lo, s5
	s_mov_b32 s19, -1
	s_mov_b32 s13, 0
	s_mov_b32 s12, 0
.LBB132_170:                            ;   in Loop: Header=BB132_21 Depth=1
	s_mov_b32 s5, 0
                                        ; implicit-def: $sgpr42
	s_and_saveexec_b32 s20, s4
	s_cbranch_execz .LBB132_281
; %bb.171:                              ;   in Loop: Header=BB132_21 Depth=1
	s_xor_b32 s4, s21, -1
	s_mov_b32 s42, 1
	s_and_not1_b32 vcc_lo, exec_lo, s4
	s_cbranch_vccnz .LBB132_182
; %bb.172:                              ;   in Loop: Header=BB132_21 Depth=1
	v_cmp_gt_u64_e64 s4, s[44:45], s[10:11]
                                        ; implicit-def: $sgpr42
                                        ; implicit-def: $sgpr5
                                        ; implicit-def: $sgpr21
	s_delay_alu instid0(VALU_DEP_1)
	s_and_b32 vcc_lo, exec_lo, s4
	s_mov_b32 s4, -1
	s_cbranch_vccnz .LBB132_178
; %bb.173:                              ;   in Loop: Header=BB132_21 Depth=1
	ds_load_b64 v[2:3], v15 offset:5120
	s_waitcnt lgkmcnt(0)
	v_cmp_ne_u64_e32 vcc_lo, 0, v[2:3]
	s_cbranch_vccnz .LBB132_177
; %bb.174:                              ;   in Loop: Header=BB132_21 Depth=1
	s_and_saveexec_b32 s4, s3
	s_cbranch_execz .LBB132_176
; %bb.175:                              ;   in Loop: Header=BB132_21 Depth=1
	v_dual_mov_b32 v2, s10 :: v_dual_mov_b32 v3, s11
	ds_store_b64 v15, v[2:3] offset:5128
.LBB132_176:                            ;   in Loop: Header=BB132_21 Depth=1
	s_or_b32 exec_lo, exec_lo, s4
	s_waitcnt lgkmcnt(0)
	s_barrier
	buffer_gl0_inv
.LBB132_177:                            ;   in Loop: Header=BB132_21 Depth=1
	s_lshl_b32 s4, 1, s17
	s_and_b32 s5, s88, s18
	s_or_b32 s21, s89, s16
	s_or_b32 s5, s5, s4
	s_mov_b32 s4, 0
	s_mov_b32 s42, 8
.LBB132_178:                            ;   in Loop: Header=BB132_21 Depth=1
	s_and_not1_b32 vcc_lo, exec_lo, s4
	s_cbranch_vccnz .LBB132_180
; %bb.179:                              ;   in Loop: Header=BB132_21 Depth=1
	s_sub_u32 s44, s44, s10
	s_subb_u32 s45, s45, s11
	s_mov_b32 s4, -1
	s_mov_b32 s42, 0
	s_mov_b32 s5, s88
	;; [unrolled: 1-line block ×3, first 2 shown]
.LBB132_180:                            ;   in Loop: Header=BB132_21 Depth=1
	s_delay_alu instid0(SALU_CYCLE_1)
	s_mov_b32 s89, s21
	s_mov_b32 s88, s5
	s_and_not1_b32 vcc_lo, exec_lo, s4
	s_mov_b32 s5, -1
	s_cbranch_vccz .LBB132_183
.LBB132_181:                            ;   in Loop: Header=BB132_21 Depth=1
                                        ; implicit-def: $sgpr11
                                        ; implicit-def: $sgpr21
                                        ; implicit-def: $sgpr10
	s_branch .LBB132_280
.LBB132_182:                            ;   in Loop: Header=BB132_21 Depth=1
	s_mov_b64 s[44:45], 1
	s_mov_b32 s5, -1
	s_cbranch_execnz .LBB132_181
.LBB132_183:                            ;   in Loop: Header=BB132_21 Depth=1
	s_cmp_eq_u64 s[8:9], 1
	s_cselect_b32 s4, -1, 0
	s_cmp_eq_u64 s[44:45], 1
	s_cselect_b32 s5, -1, 0
	s_delay_alu instid0(SALU_CYCLE_1)
	s_and_b32 s23, s4, s5
	s_mov_b32 s4, -1
	s_and_b32 vcc_lo, exec_lo, s23
	s_cbranch_vccz .LBB132_198
; %bb.184:                              ;   in Loop: Header=BB132_21 Depth=1
	ds_load_b64 v[2:3], v15 offset:5120
	s_waitcnt lgkmcnt(0)
	s_barrier
	buffer_gl0_inv
	v_readfirstlane_b32 s10, v2
	v_readfirstlane_b32 s11, v3
	s_and_saveexec_b32 s4, s0
	s_cbranch_execz .LBB132_186
; %bb.185:                              ;   in Loop: Header=BB132_21 Depth=1
	ds_store_b16 v29, v15
.LBB132_186:                            ;   in Loop: Header=BB132_21 Depth=1
	s_or_b32 exec_lo, exec_lo, s4
	s_lshl_b32 s4, 2, s17
	s_and_b32 s5, s88, s18
	s_or_b32 s89, s89, s16
	s_or_b32 s88, s5, s4
	s_cmp_eq_u64 s[10:11], 0
	s_waitcnt lgkmcnt(0)
	s_barrier
	buffer_gl0_inv
	s_cbranch_scc1 .LBB132_201
; %bb.187:                              ;   in Loop: Header=BB132_21 Depth=1
	s_add_u32 s21, s69, s10
	s_addc_u32 s5, s70, s11
	s_mov_b32 s4, s43
	s_delay_alu instid0(SALU_CYCLE_1)
	s_cmp_lg_u64 s[4:5], 0
	s_cbranch_scc0 .LBB132_246
; %bb.188:                              ;   in Loop: Header=BB132_21 Depth=1
	v_cvt_f32_u32_e32 v2, s29
	s_sub_u32 s42, 0, s29
	s_subb_u32 s48, 0, 0
	s_delay_alu instid0(VALU_DEP_1) | instskip(NEXT) | instid1(VALU_DEP_1)
	v_fmac_f32_e64 v2, 0, 0x4f800000
	v_rcp_f32_e32 v2, v2
	s_waitcnt_depctr 0xfff
	v_mul_f32_e32 v2, 0x5f7ffffc, v2
	s_delay_alu instid0(VALU_DEP_1) | instskip(NEXT) | instid1(VALU_DEP_1)
	v_mul_f32_e32 v3, 0x2f800000, v2
	v_trunc_f32_e32 v3, v3
	s_delay_alu instid0(VALU_DEP_1) | instskip(SKIP_1) | instid1(VALU_DEP_2)
	v_fmac_f32_e32 v2, 0xcf800000, v3
	v_cvt_u32_f32_e32 v3, v3
	v_cvt_u32_f32_e32 v2, v2
	s_delay_alu instid0(VALU_DEP_2) | instskip(NEXT) | instid1(VALU_DEP_2)
	v_readfirstlane_b32 s4, v3
	v_readfirstlane_b32 s22, v2
	s_delay_alu instid0(VALU_DEP_2) | instskip(NEXT) | instid1(VALU_DEP_1)
	s_mul_i32 s56, s42, s4
	s_mul_hi_u32 s58, s42, s22
	s_mul_i32 s57, s48, s22
	s_add_i32 s56, s58, s56
	s_mul_i32 s59, s42, s22
	s_add_i32 s56, s56, s57
	s_mul_hi_u32 s58, s22, s59
	s_mul_hi_u32 s60, s4, s59
	s_mul_i32 s57, s4, s59
	s_mul_hi_u32 s59, s22, s56
	s_mul_i32 s22, s22, s56
	s_mul_hi_u32 s61, s4, s56
	s_add_u32 s22, s58, s22
	s_addc_u32 s58, 0, s59
	s_add_u32 s22, s22, s57
	s_mul_i32 s56, s4, s56
	s_addc_u32 s22, s58, s60
	s_addc_u32 s57, s61, 0
	s_add_u32 s22, s22, s56
	s_addc_u32 s56, 0, s57
	v_add_co_u32 v2, s22, v2, s22
	s_delay_alu instid0(VALU_DEP_1) | instskip(SKIP_1) | instid1(VALU_DEP_1)
	s_cmp_lg_u32 s22, 0
	s_addc_u32 s4, s4, s56
	v_readfirstlane_b32 s22, v2
	s_mul_i32 s56, s42, s4
	s_delay_alu instid0(VALU_DEP_1)
	s_mul_hi_u32 s57, s42, s22
	s_mul_i32 s48, s48, s22
	s_add_i32 s56, s57, s56
	s_mul_i32 s42, s42, s22
	s_add_i32 s56, s56, s48
	s_mul_hi_u32 s57, s4, s42
	s_mul_i32 s58, s4, s42
	s_mul_hi_u32 s42, s22, s42
	s_mul_hi_u32 s59, s22, s56
	s_mul_i32 s22, s22, s56
	s_mul_hi_u32 s48, s4, s56
	s_add_u32 s22, s42, s22
	s_addc_u32 s42, 0, s59
	s_add_u32 s22, s22, s58
	s_mul_i32 s56, s4, s56
	s_addc_u32 s22, s42, s57
	s_addc_u32 s42, s48, 0
	s_add_u32 s22, s22, s56
	s_addc_u32 s42, 0, s42
	v_add_co_u32 v2, s22, v2, s22
	s_delay_alu instid0(VALU_DEP_1) | instskip(SKIP_1) | instid1(VALU_DEP_1)
	s_cmp_lg_u32 s22, 0
	s_addc_u32 s4, s4, s42
	v_readfirstlane_b32 s22, v2
	s_mul_i32 s48, s21, s4
	s_mul_hi_u32 s42, s21, s4
	s_mul_hi_u32 s56, s5, s4
	s_mul_i32 s4, s5, s4
	s_mul_hi_u32 s57, s21, s22
	s_mul_hi_u32 s58, s5, s22
	s_mul_i32 s22, s5, s22
	s_add_u32 s48, s57, s48
	s_addc_u32 s42, 0, s42
	s_add_u32 s22, s48, s22
	s_addc_u32 s22, s42, s58
	s_addc_u32 s42, s56, 0
	s_add_u32 s4, s22, s4
	s_addc_u32 s22, 0, s42
	s_mul_hi_u32 s42, s29, s4
	s_mul_i32 s4, s29, s4
	s_mul_i32 s22, s29, s22
	v_sub_co_u32 v2, s4, s21, s4
	s_add_i32 s42, s42, s22
	s_cmp_lg_u32 s4, 0
	s_delay_alu instid0(VALU_DEP_1) | instskip(SKIP_2) | instid1(VALU_DEP_1)
	v_sub_co_u32 v3, s4, v2, s29
	s_subb_u32 s22, s5, s42
	s_cmp_lg_u32 s4, 0
	v_cmp_le_u32_e32 vcc_lo, s29, v3
	v_sub_co_u32 v4, s4, v3, s29
	s_subb_u32 s42, s22, 0
	s_cmp_lg_u32 s4, 0
	v_cndmask_b32_e64 v5, 0, -1, vcc_lo
	s_subb_u32 s4, s42, 0
	s_cmp_eq_u32 s42, 0
	v_mov_b32_e32 v7, s4
	s_cselect_b32 vcc_lo, -1, 0
	s_cmp_eq_u32 s22, 0
	v_cndmask_b32_e32 v5, -1, v5, vcc_lo
	v_cmp_le_u32_e32 vcc_lo, s29, v2
	s_cselect_b32 s4, -1, 0
	v_cndmask_b32_e64 v6, 0, -1, vcc_lo
	s_delay_alu instid0(VALU_DEP_3) | instskip(NEXT) | instid1(VALU_DEP_2)
	v_cmp_ne_u32_e32 vcc_lo, 0, v5
	v_cndmask_b32_e64 v5, -1, v6, s4
	v_cndmask_b32_e32 v6, s42, v7, vcc_lo
	v_cndmask_b32_e32 v4, v3, v4, vcc_lo
	s_delay_alu instid0(VALU_DEP_3) | instskip(NEXT) | instid1(VALU_DEP_3)
	v_cmp_ne_u32_e32 vcc_lo, 0, v5
	v_cndmask_b32_e32 v3, s22, v6, vcc_lo
	s_delay_alu instid0(VALU_DEP_3)
	v_cndmask_b32_e32 v2, v2, v4, vcc_lo
	s_cbranch_execnz .LBB132_190
.LBB132_189:                            ;   in Loop: Header=BB132_21 Depth=1
	v_cvt_f32_u32_e32 v2, s29
	s_sub_i32 s4, 0, s29
	s_delay_alu instid0(VALU_DEP_1) | instskip(SKIP_2) | instid1(VALU_DEP_1)
	v_rcp_iflag_f32_e32 v2, v2
	s_waitcnt_depctr 0xfff
	v_mul_f32_e32 v2, 0x4f7ffffe, v2
	v_cvt_u32_f32_e32 v2, v2
	s_delay_alu instid0(VALU_DEP_1) | instskip(NEXT) | instid1(VALU_DEP_1)
	v_mul_lo_u32 v3, s4, v2
	v_mul_hi_u32 v3, v2, v3
	s_delay_alu instid0(VALU_DEP_1) | instskip(NEXT) | instid1(VALU_DEP_1)
	v_add_nc_u32_e32 v2, v2, v3
	v_mul_hi_u32 v2, s21, v2
	s_delay_alu instid0(VALU_DEP_1) | instskip(NEXT) | instid1(VALU_DEP_1)
	v_mul_lo_u32 v2, v2, s29
	v_sub_nc_u32_e32 v2, s21, v2
	s_delay_alu instid0(VALU_DEP_1) | instskip(SKIP_1) | instid1(VALU_DEP_2)
	v_subrev_nc_u32_e32 v3, s29, v2
	v_cmp_le_u32_e32 vcc_lo, s29, v2
	v_cndmask_b32_e32 v2, v2, v3, vcc_lo
	s_delay_alu instid0(VALU_DEP_1) | instskip(SKIP_1) | instid1(VALU_DEP_2)
	v_subrev_nc_u32_e32 v3, s29, v2
	v_cmp_le_u32_e32 vcc_lo, s29, v2
	v_cndmask_b32_e32 v14, v2, v3, vcc_lo
	s_delay_alu instid0(VALU_DEP_1)
	v_dual_mov_b32 v2, v14 :: v_dual_mov_b32 v3, v15
.LBB132_190:                            ;   in Loop: Header=BB132_21 Depth=1
	s_delay_alu instid0(VALU_DEP_1) | instskip(NEXT) | instid1(VALU_DEP_2)
	v_sub_co_u32 v2, vcc_lo, s21, v2
	v_sub_co_ci_u32_e32 v3, vcc_lo, s5, v3, vcc_lo
	s_mov_b32 s4, 0
	s_mov_b32 s5, exec_lo
                                        ; implicit-def: $vgpr36
	s_delay_alu instid0(VALU_DEP_1)
	v_cmpx_gt_u64_e64 v[2:3], v[0:1]
	s_cbranch_execz .LBB132_203
; %bb.191:                              ;   in Loop: Header=BB132_21 Depth=1
	v_dual_mov_b32 v6, v28 :: v_dual_mov_b32 v5, v1
	v_mov_b32_e32 v4, v0
	s_mov_b32 s21, 0
                                        ; implicit-def: $sgpr22
	s_set_inst_prefetch_distance 0x1
	s_branch .LBB132_193
	.p2align	6
.LBB132_192:                            ;   in Loop: Header=BB132_193 Depth=2
	s_or_b32 exec_lo, exec_lo, s4
	s_waitcnt lgkmcnt(0)
	s_barrier
	buffer_gl0_inv
	ds_load_b32 v7, v15 offset:3072
	v_add_co_u32 v4, vcc_lo, v4, s29
	v_add_co_ci_u32_e32 v5, vcc_lo, 0, v5, vcc_lo
	v_add_nc_u32_e32 v6, s77, v6
	s_waitcnt lgkmcnt(0)
	s_barrier
	s_delay_alu instid0(VALU_DEP_2) | instskip(SKIP_2) | instid1(VALU_DEP_1)
	v_cmp_ge_u64_e32 vcc_lo, v[4:5], v[2:3]
	buffer_gl0_inv
	v_cmp_neq_f16_e64 s4, 0, v7
	s_or_b32 s42, vcc_lo, s4
	s_delay_alu instid0(SALU_CYCLE_1) | instskip(NEXT) | instid1(SALU_CYCLE_1)
	s_and_b32 s42, exec_lo, s42
	s_or_b32 s21, s42, s21
	s_and_not1_b32 s22, s22, exec_lo
	s_and_b32 s4, s4, exec_lo
	s_delay_alu instid0(SALU_CYCLE_1)
	s_or_b32 s22, s22, s4
	s_and_not1_b32 exec_lo, exec_lo, s21
	s_cbranch_execz .LBB132_202
.LBB132_193:                            ;   Parent Loop BB132_21 Depth=1
                                        ; =>  This Inner Loop Header: Depth=2
	s_delay_alu instid0(VALU_DEP_1)
	v_cmp_gt_u64_e32 vcc_lo, s[10:11], v[4:5]
	v_mov_b32_e32 v7, 0
	s_and_saveexec_b32 s4, vcc_lo
	s_cbranch_execz .LBB132_195
; %bb.194:                              ;   in Loop: Header=BB132_193 Depth=2
	ds_load_u16 v7, v6
.LBB132_195:                            ;   in Loop: Header=BB132_193 Depth=2
	s_or_b32 exec_lo, exec_lo, s4
	s_and_saveexec_b32 s4, vcc_lo
	s_cbranch_execz .LBB132_192
; %bb.196:                              ;   in Loop: Header=BB132_193 Depth=2
	s_waitcnt lgkmcnt(0)
	v_cmp_lt_i16_e32 vcc_lo, -1, v7
	v_and_b32_e32 v8, 0xffff, v7
	v_cndmask_b32_e32 v9, 0xffff, v35, vcc_lo
	v_cmp_o_f16_e32 vcc_lo, v7, v7
	s_delay_alu instid0(VALU_DEP_2) | instskip(NEXT) | instid1(VALU_DEP_1)
	v_xor_b32_e32 v8, v9, v8
	v_cndmask_b32_e32 v8, 0xffff, v8, vcc_lo
	s_delay_alu instid0(VALU_DEP_1) | instskip(NEXT) | instid1(VALU_DEP_1)
	v_and_b32_e32 v8, s89, v8
	v_cmp_eq_u32_e32 vcc_lo, s88, v8
	s_and_b32 exec_lo, exec_lo, vcc_lo
	s_cbranch_execz .LBB132_192
; %bb.197:                              ;   in Loop: Header=BB132_193 Depth=2
	v_perm_b32 v7, v7, s78, 0x5040100
	ds_store_b32 v15, v7 offset:3072
	s_branch .LBB132_192
.LBB132_198:                            ;   in Loop: Header=BB132_21 Depth=1
                                        ; implicit-def: $sgpr10
                                        ; implicit-def: $sgpr21
                                        ; implicit-def: $sgpr11
	s_branch .LBB132_217
.LBB132_199:                            ;   in Loop: Header=BB132_21 Depth=1
                                        ; implicit-def: $vgpr2_vgpr3
	s_branch .LBB132_142
.LBB132_200:                            ;   in Loop: Header=BB132_21 Depth=1
                                        ; implicit-def: $vgpr2_vgpr3
	s_branch .LBB132_159
.LBB132_201:                            ;   in Loop: Header=BB132_21 Depth=1
	s_mov_b32 s10, -1
	s_mov_b32 s4, 0
                                        ; implicit-def: $sgpr11
                                        ; implicit-def: $vgpr36
	s_mov_b32 s21, s10
	s_cbranch_execnz .LBB132_204
	s_branch .LBB132_217
.LBB132_202:                            ;   in Loop: Header=BB132_21 Depth=1
	s_set_inst_prefetch_distance 0x2
	s_or_b32 exec_lo, exec_lo, s21
	v_lshrrev_b32_e32 v36, 16, v7
	s_and_b32 s4, s22, exec_lo
.LBB132_203:                            ;   in Loop: Header=BB132_21 Depth=1
	s_or_b32 exec_lo, exec_lo, s5
	s_mov_b32 s11, -1
	s_mov_b32 s10, 0
	s_delay_alu instid0(SALU_CYCLE_1)
	s_mov_b32 s21, s10
	s_branch .LBB132_217
.LBB132_204:                            ;   in Loop: Header=BB132_21 Depth=1
	s_mov_b32 s48, s43
	s_delay_alu instid0(SALU_CYCLE_1)
	s_cmp_lg_u64 s[48:49], 0
	s_cbranch_scc0 .LBB132_247
; %bb.205:                              ;   in Loop: Header=BB132_21 Depth=1
	v_cvt_f32_u32_e32 v2, s29
	s_sub_u32 s10, 0, s29
	s_subb_u32 s11, 0, 0
	s_delay_alu instid0(VALU_DEP_1) | instskip(NEXT) | instid1(VALU_DEP_1)
	v_fmac_f32_e64 v2, 0, 0x4f800000
	v_rcp_f32_e32 v2, v2
	s_waitcnt_depctr 0xfff
	v_mul_f32_e32 v2, 0x5f7ffffc, v2
	s_delay_alu instid0(VALU_DEP_1) | instskip(NEXT) | instid1(VALU_DEP_1)
	v_mul_f32_e32 v3, 0x2f800000, v2
	v_trunc_f32_e32 v3, v3
	s_delay_alu instid0(VALU_DEP_1) | instskip(SKIP_1) | instid1(VALU_DEP_2)
	v_fmac_f32_e32 v2, 0xcf800000, v3
	v_cvt_u32_f32_e32 v3, v3
	v_cvt_u32_f32_e32 v2, v2
	s_delay_alu instid0(VALU_DEP_2) | instskip(NEXT) | instid1(VALU_DEP_2)
	v_readfirstlane_b32 s4, v3
	v_readfirstlane_b32 s5, v2
	s_delay_alu instid0(VALU_DEP_2) | instskip(NEXT) | instid1(VALU_DEP_1)
	s_mul_i32 s21, s10, s4
	s_mul_hi_u32 s42, s10, s5
	s_mul_i32 s22, s11, s5
	s_add_i32 s21, s42, s21
	s_mul_i32 s48, s10, s5
	s_add_i32 s21, s21, s22
	s_mul_hi_u32 s42, s5, s48
	s_mul_hi_u32 s56, s4, s48
	s_mul_i32 s22, s4, s48
	s_mul_hi_u32 s48, s5, s21
	s_mul_i32 s5, s5, s21
	s_mul_hi_u32 s57, s4, s21
	s_add_u32 s5, s42, s5
	s_addc_u32 s42, 0, s48
	s_add_u32 s5, s5, s22
	s_mul_i32 s21, s4, s21
	s_addc_u32 s5, s42, s56
	s_addc_u32 s22, s57, 0
	s_add_u32 s5, s5, s21
	s_addc_u32 s21, 0, s22
	v_add_co_u32 v2, s5, v2, s5
	s_delay_alu instid0(VALU_DEP_1) | instskip(SKIP_1) | instid1(VALU_DEP_1)
	s_cmp_lg_u32 s5, 0
	s_addc_u32 s4, s4, s21
	v_readfirstlane_b32 s5, v2
	s_mul_i32 s21, s10, s4
	s_delay_alu instid0(VALU_DEP_1)
	s_mul_hi_u32 s22, s10, s5
	s_mul_i32 s11, s11, s5
	s_add_i32 s21, s22, s21
	s_mul_i32 s10, s10, s5
	s_add_i32 s21, s21, s11
	s_mul_hi_u32 s22, s4, s10
	s_mul_i32 s42, s4, s10
	s_mul_hi_u32 s10, s5, s10
	s_mul_hi_u32 s48, s5, s21
	s_mul_i32 s5, s5, s21
	s_mul_hi_u32 s11, s4, s21
	s_add_u32 s5, s10, s5
	s_addc_u32 s10, 0, s48
	s_add_u32 s5, s5, s42
	s_mul_i32 s21, s4, s21
	s_addc_u32 s5, s10, s22
	s_addc_u32 s10, s11, 0
	s_add_u32 s5, s5, s21
	s_addc_u32 s10, 0, s10
	v_add_co_u32 v2, s5, v2, s5
	s_delay_alu instid0(VALU_DEP_1) | instskip(SKIP_1) | instid1(VALU_DEP_1)
	s_cmp_lg_u32 s5, 0
	s_addc_u32 s4, s4, s10
	v_readfirstlane_b32 s5, v2
	s_mul_i32 s11, s71, s4
	s_mul_hi_u32 s10, s71, s4
	s_mul_hi_u32 s21, s49, s4
	s_mul_i32 s4, s49, s4
	s_mul_hi_u32 s22, s71, s5
	s_mul_hi_u32 s42, s49, s5
	s_mul_i32 s5, s49, s5
	s_add_u32 s11, s22, s11
	s_addc_u32 s10, 0, s10
	s_add_u32 s5, s11, s5
	s_addc_u32 s5, s10, s42
	s_addc_u32 s10, s21, 0
	s_add_u32 s4, s5, s4
	s_addc_u32 s5, 0, s10
	s_mul_hi_u32 s10, s29, s4
	s_mul_i32 s4, s29, s4
	s_mul_i32 s5, s29, s5
	v_sub_co_u32 v2, s4, s71, s4
	s_add_i32 s10, s10, s5
	s_cmp_lg_u32 s4, 0
	s_delay_alu instid0(VALU_DEP_1) | instskip(SKIP_2) | instid1(VALU_DEP_1)
	v_sub_co_u32 v3, s4, v2, s29
	s_subb_u32 s5, s49, s10
	s_cmp_lg_u32 s4, 0
	v_cmp_le_u32_e32 vcc_lo, s29, v3
	v_sub_co_u32 v4, s4, v3, s29
	s_subb_u32 s10, s5, 0
	s_cmp_lg_u32 s4, 0
	v_cndmask_b32_e64 v5, 0, -1, vcc_lo
	s_subb_u32 s4, s10, 0
	s_cmp_eq_u32 s10, 0
	v_mov_b32_e32 v7, s4
	s_cselect_b32 vcc_lo, -1, 0
	s_cmp_eq_u32 s5, 0
	v_cndmask_b32_e32 v5, -1, v5, vcc_lo
	v_cmp_le_u32_e32 vcc_lo, s29, v2
	s_cselect_b32 s4, -1, 0
	v_cndmask_b32_e64 v6, 0, -1, vcc_lo
	s_delay_alu instid0(VALU_DEP_3) | instskip(NEXT) | instid1(VALU_DEP_2)
	v_cmp_ne_u32_e32 vcc_lo, 0, v5
	v_cndmask_b32_e64 v5, -1, v6, s4
	v_cndmask_b32_e32 v6, s10, v7, vcc_lo
	v_cndmask_b32_e32 v4, v3, v4, vcc_lo
	s_delay_alu instid0(VALU_DEP_3) | instskip(NEXT) | instid1(VALU_DEP_3)
	v_cmp_ne_u32_e32 vcc_lo, 0, v5
	v_cndmask_b32_e32 v3, s5, v6, vcc_lo
	s_delay_alu instid0(VALU_DEP_3)
	v_cndmask_b32_e32 v2, v2, v4, vcc_lo
	s_cbranch_execnz .LBB132_207
.LBB132_206:                            ;   in Loop: Header=BB132_21 Depth=1
	v_cvt_f32_u32_e32 v2, s29
	s_sub_i32 s4, 0, s29
	s_delay_alu instid0(VALU_DEP_1) | instskip(SKIP_2) | instid1(VALU_DEP_1)
	v_rcp_iflag_f32_e32 v2, v2
	s_waitcnt_depctr 0xfff
	v_mul_f32_e32 v2, 0x4f7ffffe, v2
	v_cvt_u32_f32_e32 v2, v2
	s_delay_alu instid0(VALU_DEP_1) | instskip(NEXT) | instid1(VALU_DEP_1)
	v_mul_lo_u32 v3, s4, v2
	v_mul_hi_u32 v3, v2, v3
	s_delay_alu instid0(VALU_DEP_1) | instskip(NEXT) | instid1(VALU_DEP_1)
	v_add_nc_u32_e32 v2, v2, v3
	v_mul_hi_u32 v2, s71, v2
	s_delay_alu instid0(VALU_DEP_1) | instskip(NEXT) | instid1(VALU_DEP_1)
	v_mul_lo_u32 v2, v2, s29
	v_sub_nc_u32_e32 v2, s71, v2
	s_delay_alu instid0(VALU_DEP_1) | instskip(SKIP_1) | instid1(VALU_DEP_2)
	v_subrev_nc_u32_e32 v3, s29, v2
	v_cmp_le_u32_e32 vcc_lo, s29, v2
	v_cndmask_b32_e32 v2, v2, v3, vcc_lo
	s_delay_alu instid0(VALU_DEP_1) | instskip(SKIP_1) | instid1(VALU_DEP_2)
	v_subrev_nc_u32_e32 v3, s29, v2
	v_cmp_le_u32_e32 vcc_lo, s29, v2
	v_cndmask_b32_e32 v14, v2, v3, vcc_lo
	s_delay_alu instid0(VALU_DEP_1)
	v_dual_mov_b32 v2, v14 :: v_dual_mov_b32 v3, v15
.LBB132_207:                            ;   in Loop: Header=BB132_21 Depth=1
	s_delay_alu instid0(VALU_DEP_1) | instskip(NEXT) | instid1(VALU_DEP_2)
	v_sub_co_u32 v2, vcc_lo, s71, v2
	v_sub_co_ci_u32_e32 v3, vcc_lo, s49, v3, vcc_lo
	s_mov_b32 s4, 0
	s_mov_b32 s5, exec_lo
                                        ; implicit-def: $vgpr36
	s_delay_alu instid0(VALU_DEP_1)
	v_cmpx_gt_u64_e64 v[2:3], v[0:1]
	s_cbranch_execz .LBB132_216
; %bb.208:                              ;   in Loop: Header=BB132_21 Depth=1
	v_dual_mov_b32 v4, v10 :: v_dual_mov_b32 v5, v11
	v_dual_mov_b32 v7, v1 :: v_dual_mov_b32 v6, v0
	s_mov_b32 s10, 0
                                        ; implicit-def: $sgpr11
	s_branch .LBB132_210
.LBB132_209:                            ;   in Loop: Header=BB132_210 Depth=2
	s_or_b32 exec_lo, exec_lo, s4
	s_waitcnt vmcnt(0) lgkmcnt(0)
	s_barrier
	buffer_gl0_inv
	ds_load_b32 v8, v15 offset:3072
	v_add_co_u32 v6, vcc_lo, v6, s29
	v_add_co_ci_u32_e32 v7, vcc_lo, 0, v7, vcc_lo
	s_waitcnt lgkmcnt(0)
	s_barrier
	buffer_gl0_inv
	v_cmp_ge_u64_e32 vcc_lo, v[6:7], v[2:3]
	v_cmp_neq_f16_e64 s4, 0, v8
	s_delay_alu instid0(VALU_DEP_1)
	s_or_b32 s21, vcc_lo, s4
	v_add_co_u32 v4, vcc_lo, v4, s40
	s_and_b32 s21, exec_lo, s21
	v_add_co_ci_u32_e32 v5, vcc_lo, s41, v5, vcc_lo
	s_or_b32 s10, s21, s10
	s_and_not1_b32 s11, s11, exec_lo
	s_and_b32 s4, s4, exec_lo
	s_delay_alu instid0(SALU_CYCLE_1)
	s_or_b32 s11, s11, s4
	s_and_not1_b32 exec_lo, exec_lo, s10
	s_cbranch_execz .LBB132_215
.LBB132_210:                            ;   Parent Loop BB132_21 Depth=1
                                        ; =>  This Inner Loop Header: Depth=2
	s_delay_alu instid0(VALU_DEP_1)
	v_cmp_gt_u64_e32 vcc_lo, s[24:25], v[6:7]
	v_mov_b32_e32 v8, 0
	s_and_saveexec_b32 s4, vcc_lo
	s_cbranch_execz .LBB132_212
; %bb.211:                              ;   in Loop: Header=BB132_210 Depth=2
	global_load_u16 v8, v[4:5], off
.LBB132_212:                            ;   in Loop: Header=BB132_210 Depth=2
	s_or_b32 exec_lo, exec_lo, s4
	s_and_saveexec_b32 s4, vcc_lo
	s_cbranch_execz .LBB132_209
; %bb.213:                              ;   in Loop: Header=BB132_210 Depth=2
	s_waitcnt vmcnt(0)
	v_cmp_lt_i16_e32 vcc_lo, -1, v8
	v_dual_cndmask_b32 v14, 0xffff, v35 :: v_dual_and_b32 v9, 0xffff, v8
	v_cmp_o_f16_e32 vcc_lo, v8, v8
	s_delay_alu instid0(VALU_DEP_2) | instskip(NEXT) | instid1(VALU_DEP_1)
	v_xor_b32_e32 v9, v14, v9
	v_cndmask_b32_e32 v9, 0xffff, v9, vcc_lo
	s_delay_alu instid0(VALU_DEP_1) | instskip(NEXT) | instid1(VALU_DEP_1)
	v_and_b32_e32 v9, s89, v9
	v_cmp_eq_u32_e32 vcc_lo, s88, v9
	s_and_b32 exec_lo, exec_lo, vcc_lo
	s_cbranch_execz .LBB132_209
; %bb.214:                              ;   in Loop: Header=BB132_210 Depth=2
	v_perm_b32 v8, v8, s78, 0x5040100
	ds_store_b32 v15, v8 offset:3072
	s_branch .LBB132_209
.LBB132_215:                            ;   in Loop: Header=BB132_21 Depth=1
	s_or_b32 exec_lo, exec_lo, s10
	v_lshrrev_b32_e32 v36, 16, v8
	s_and_b32 s4, s11, exec_lo
.LBB132_216:                            ;   in Loop: Header=BB132_21 Depth=1
	s_or_b32 exec_lo, exec_lo, s5
	s_mov_b32 s21, -1
	s_mov_b32 s10, 0
	s_mov_b32 s11, 0
.LBB132_217:                            ;   in Loop: Header=BB132_21 Depth=1
	s_mov_b32 s5, 0
                                        ; implicit-def: $sgpr42
	s_and_saveexec_b32 s22, s4
	s_cbranch_execz .LBB132_279
; %bb.218:                              ;   in Loop: Header=BB132_21 Depth=1
	s_xor_b32 s4, s23, -1
	s_mov_b32 s42, 1
	s_and_not1_b32 vcc_lo, exec_lo, s4
	s_cbranch_vccnz .LBB132_229
; %bb.219:                              ;   in Loop: Header=BB132_21 Depth=1
	v_cmp_gt_u64_e64 s4, s[44:45], s[8:9]
                                        ; implicit-def: $sgpr42
                                        ; implicit-def: $sgpr5
                                        ; implicit-def: $sgpr23
	s_delay_alu instid0(VALU_DEP_1)
	s_and_b32 vcc_lo, exec_lo, s4
	s_mov_b32 s4, -1
	s_cbranch_vccnz .LBB132_225
; %bb.220:                              ;   in Loop: Header=BB132_21 Depth=1
	ds_load_b64 v[2:3], v15 offset:5120
	s_waitcnt lgkmcnt(0)
	v_cmp_ne_u64_e32 vcc_lo, 0, v[2:3]
	s_cbranch_vccnz .LBB132_224
; %bb.221:                              ;   in Loop: Header=BB132_21 Depth=1
	s_and_saveexec_b32 s4, s3
	s_cbranch_execz .LBB132_223
; %bb.222:                              ;   in Loop: Header=BB132_21 Depth=1
	v_dual_mov_b32 v2, s8 :: v_dual_mov_b32 v3, s9
	ds_store_b64 v15, v[2:3] offset:5128
.LBB132_223:                            ;   in Loop: Header=BB132_21 Depth=1
	s_or_b32 exec_lo, exec_lo, s4
	s_waitcnt lgkmcnt(0)
	s_barrier
	buffer_gl0_inv
.LBB132_224:                            ;   in Loop: Header=BB132_21 Depth=1
	s_lshl_b32 s4, 2, s17
	s_and_b32 s5, s88, s18
	s_or_b32 s23, s89, s16
	s_or_b32 s5, s5, s4
	s_mov_b32 s4, 0
	s_mov_b32 s42, 8
.LBB132_225:                            ;   in Loop: Header=BB132_21 Depth=1
	s_and_not1_b32 vcc_lo, exec_lo, s4
	s_cbranch_vccnz .LBB132_227
; %bb.226:                              ;   in Loop: Header=BB132_21 Depth=1
	s_sub_u32 s44, s44, s8
	s_subb_u32 s45, s45, s9
	s_mov_b32 s4, -1
	s_mov_b32 s42, 0
	s_mov_b32 s5, s88
	;; [unrolled: 1-line block ×3, first 2 shown]
.LBB132_227:                            ;   in Loop: Header=BB132_21 Depth=1
	s_delay_alu instid0(SALU_CYCLE_1)
	s_mov_b32 s89, s23
	s_mov_b32 s88, s5
	s_and_not1_b32 vcc_lo, exec_lo, s4
	s_mov_b32 s56, -1
	s_cbranch_vccz .LBB132_230
.LBB132_228:                            ;   in Loop: Header=BB132_21 Depth=1
                                        ; implicit-def: $sgpr8
                                        ; implicit-def: $sgpr18
                                        ; implicit-def: $sgpr9
	s_branch .LBB132_278
.LBB132_229:                            ;   in Loop: Header=BB132_21 Depth=1
	s_mov_b64 s[44:45], 1
	s_mov_b32 s56, -1
	s_cbranch_execnz .LBB132_228
.LBB132_230:                            ;   in Loop: Header=BB132_21 Depth=1
	s_cmp_eq_u64 s[6:7], 1
	s_mov_b32 s23, -1
	s_cselect_b32 s4, -1, 0
	s_cmp_eq_u64 s[44:45], 1
	s_cselect_b32 s5, -1, 0
	s_delay_alu instid0(SALU_CYCLE_1) | instskip(NEXT) | instid1(SALU_CYCLE_1)
	s_and_b32 s17, s4, s5
	s_and_b32 vcc_lo, exec_lo, s17
	s_cbranch_vccz .LBB132_245
; %bb.231:                              ;   in Loop: Header=BB132_21 Depth=1
	ds_load_b64 v[2:3], v15 offset:5120
	s_waitcnt lgkmcnt(0)
	s_barrier
	buffer_gl0_inv
	v_readfirstlane_b32 s8, v2
	v_readfirstlane_b32 s9, v3
	s_and_saveexec_b32 s4, s0
	s_cbranch_execz .LBB132_233
; %bb.232:                              ;   in Loop: Header=BB132_21 Depth=1
	ds_store_b16 v29, v15
.LBB132_233:                            ;   in Loop: Header=BB132_21 Depth=1
	s_or_b32 exec_lo, exec_lo, s4
	s_or_b32 s88, s88, s16
	s_or_b32 s89, s89, s16
	s_cmp_eq_u64 s[8:9], 0
	s_waitcnt lgkmcnt(0)
	s_barrier
	buffer_gl0_inv
	s_cbranch_scc1 .LBB132_248
; %bb.234:                              ;   in Loop: Header=BB132_21 Depth=1
	s_add_u32 s18, s69, s8
	s_addc_u32 s5, s70, s9
	s_mov_b32 s4, s43
	s_delay_alu instid0(SALU_CYCLE_1)
	s_cmp_lg_u64 s[4:5], 0
	s_cbranch_scc0 .LBB132_284
; %bb.235:                              ;   in Loop: Header=BB132_21 Depth=1
	v_cvt_f32_u32_e32 v2, s29
	s_sub_u32 s42, 0, s29
	s_subb_u32 s48, 0, 0
	s_delay_alu instid0(VALU_DEP_1) | instskip(NEXT) | instid1(VALU_DEP_1)
	v_fmac_f32_e64 v2, 0, 0x4f800000
	v_rcp_f32_e32 v2, v2
	s_waitcnt_depctr 0xfff
	v_mul_f32_e32 v2, 0x5f7ffffc, v2
	s_delay_alu instid0(VALU_DEP_1) | instskip(NEXT) | instid1(VALU_DEP_1)
	v_mul_f32_e32 v3, 0x2f800000, v2
	v_trunc_f32_e32 v3, v3
	s_delay_alu instid0(VALU_DEP_1) | instskip(SKIP_1) | instid1(VALU_DEP_2)
	v_fmac_f32_e32 v2, 0xcf800000, v3
	v_cvt_u32_f32_e32 v3, v3
	v_cvt_u32_f32_e32 v2, v2
	s_delay_alu instid0(VALU_DEP_2) | instskip(NEXT) | instid1(VALU_DEP_2)
	v_readfirstlane_b32 s4, v3
	v_readfirstlane_b32 s23, v2
	s_delay_alu instid0(VALU_DEP_2) | instskip(NEXT) | instid1(VALU_DEP_1)
	s_mul_i32 s56, s42, s4
	s_mul_hi_u32 s58, s42, s23
	s_mul_i32 s57, s48, s23
	s_add_i32 s56, s58, s56
	s_mul_i32 s59, s42, s23
	s_add_i32 s56, s56, s57
	s_mul_hi_u32 s58, s23, s59
	s_mul_hi_u32 s60, s4, s59
	s_mul_i32 s57, s4, s59
	s_mul_hi_u32 s59, s23, s56
	s_mul_i32 s23, s23, s56
	s_mul_hi_u32 s61, s4, s56
	s_add_u32 s23, s58, s23
	s_addc_u32 s58, 0, s59
	s_add_u32 s23, s23, s57
	s_mul_i32 s56, s4, s56
	s_addc_u32 s23, s58, s60
	s_addc_u32 s57, s61, 0
	s_add_u32 s23, s23, s56
	s_addc_u32 s56, 0, s57
	v_add_co_u32 v2, s23, v2, s23
	s_delay_alu instid0(VALU_DEP_1) | instskip(SKIP_1) | instid1(VALU_DEP_1)
	s_cmp_lg_u32 s23, 0
	s_addc_u32 s4, s4, s56
	v_readfirstlane_b32 s23, v2
	s_mul_i32 s56, s42, s4
	s_delay_alu instid0(VALU_DEP_1)
	s_mul_hi_u32 s57, s42, s23
	s_mul_i32 s48, s48, s23
	s_add_i32 s56, s57, s56
	s_mul_i32 s42, s42, s23
	s_add_i32 s56, s56, s48
	s_mul_hi_u32 s57, s4, s42
	s_mul_i32 s58, s4, s42
	s_mul_hi_u32 s42, s23, s42
	s_mul_hi_u32 s59, s23, s56
	s_mul_i32 s23, s23, s56
	s_mul_hi_u32 s48, s4, s56
	s_add_u32 s23, s42, s23
	s_addc_u32 s42, 0, s59
	s_add_u32 s23, s23, s58
	s_mul_i32 s56, s4, s56
	s_addc_u32 s23, s42, s57
	s_addc_u32 s42, s48, 0
	s_add_u32 s23, s23, s56
	s_addc_u32 s42, 0, s42
	v_add_co_u32 v2, s23, v2, s23
	s_delay_alu instid0(VALU_DEP_1) | instskip(SKIP_1) | instid1(VALU_DEP_1)
	s_cmp_lg_u32 s23, 0
	s_addc_u32 s4, s4, s42
	v_readfirstlane_b32 s23, v2
	s_mul_i32 s48, s18, s4
	s_mul_hi_u32 s42, s18, s4
	s_mul_hi_u32 s56, s5, s4
	s_mul_i32 s4, s5, s4
	s_mul_hi_u32 s57, s18, s23
	s_mul_hi_u32 s58, s5, s23
	s_mul_i32 s23, s5, s23
	s_add_u32 s48, s57, s48
	s_addc_u32 s42, 0, s42
	s_add_u32 s23, s48, s23
	s_addc_u32 s23, s42, s58
	s_addc_u32 s42, s56, 0
	s_add_u32 s4, s23, s4
	s_addc_u32 s23, 0, s42
	s_mul_hi_u32 s42, s29, s4
	s_mul_i32 s4, s29, s4
	s_mul_i32 s23, s29, s23
	v_sub_co_u32 v2, s4, s18, s4
	s_add_i32 s42, s42, s23
	s_cmp_lg_u32 s4, 0
	s_delay_alu instid0(VALU_DEP_1) | instskip(SKIP_2) | instid1(VALU_DEP_1)
	v_sub_co_u32 v3, s4, v2, s29
	s_subb_u32 s23, s5, s42
	s_cmp_lg_u32 s4, 0
	v_cmp_le_u32_e32 vcc_lo, s29, v3
	v_sub_co_u32 v4, s4, v3, s29
	s_subb_u32 s42, s23, 0
	s_cmp_lg_u32 s4, 0
	v_cndmask_b32_e64 v5, 0, -1, vcc_lo
	s_subb_u32 s4, s42, 0
	s_cmp_eq_u32 s42, 0
	v_mov_b32_e32 v7, s4
	s_cselect_b32 vcc_lo, -1, 0
	s_cmp_eq_u32 s23, 0
	v_cndmask_b32_e32 v5, -1, v5, vcc_lo
	v_cmp_le_u32_e32 vcc_lo, s29, v2
	s_cselect_b32 s4, -1, 0
	v_cndmask_b32_e64 v6, 0, -1, vcc_lo
	s_delay_alu instid0(VALU_DEP_3) | instskip(NEXT) | instid1(VALU_DEP_2)
	v_cmp_ne_u32_e32 vcc_lo, 0, v5
	v_cndmask_b32_e64 v5, -1, v6, s4
	v_cndmask_b32_e32 v6, s42, v7, vcc_lo
	v_cndmask_b32_e32 v4, v3, v4, vcc_lo
	s_delay_alu instid0(VALU_DEP_3) | instskip(NEXT) | instid1(VALU_DEP_3)
	v_cmp_ne_u32_e32 vcc_lo, 0, v5
	v_cndmask_b32_e32 v3, s23, v6, vcc_lo
	s_delay_alu instid0(VALU_DEP_3)
	v_cndmask_b32_e32 v2, v2, v4, vcc_lo
	s_cbranch_execnz .LBB132_237
.LBB132_236:                            ;   in Loop: Header=BB132_21 Depth=1
	v_cvt_f32_u32_e32 v2, s29
	s_sub_i32 s4, 0, s29
	s_delay_alu instid0(VALU_DEP_1) | instskip(SKIP_2) | instid1(VALU_DEP_1)
	v_rcp_iflag_f32_e32 v2, v2
	s_waitcnt_depctr 0xfff
	v_mul_f32_e32 v2, 0x4f7ffffe, v2
	v_cvt_u32_f32_e32 v2, v2
	s_delay_alu instid0(VALU_DEP_1) | instskip(NEXT) | instid1(VALU_DEP_1)
	v_mul_lo_u32 v3, s4, v2
	v_mul_hi_u32 v3, v2, v3
	s_delay_alu instid0(VALU_DEP_1) | instskip(NEXT) | instid1(VALU_DEP_1)
	v_add_nc_u32_e32 v2, v2, v3
	v_mul_hi_u32 v2, s18, v2
	s_delay_alu instid0(VALU_DEP_1) | instskip(NEXT) | instid1(VALU_DEP_1)
	v_mul_lo_u32 v2, v2, s29
	v_sub_nc_u32_e32 v2, s18, v2
	s_delay_alu instid0(VALU_DEP_1) | instskip(SKIP_1) | instid1(VALU_DEP_2)
	v_subrev_nc_u32_e32 v3, s29, v2
	v_cmp_le_u32_e32 vcc_lo, s29, v2
	v_cndmask_b32_e32 v2, v2, v3, vcc_lo
	s_delay_alu instid0(VALU_DEP_1) | instskip(SKIP_1) | instid1(VALU_DEP_2)
	v_subrev_nc_u32_e32 v3, s29, v2
	v_cmp_le_u32_e32 vcc_lo, s29, v2
	v_cndmask_b32_e32 v14, v2, v3, vcc_lo
	s_delay_alu instid0(VALU_DEP_1)
	v_dual_mov_b32 v2, v14 :: v_dual_mov_b32 v3, v15
.LBB132_237:                            ;   in Loop: Header=BB132_21 Depth=1
	s_delay_alu instid0(VALU_DEP_1) | instskip(NEXT) | instid1(VALU_DEP_2)
	v_sub_co_u32 v2, vcc_lo, s18, v2
	v_sub_co_ci_u32_e32 v3, vcc_lo, s5, v3, vcc_lo
	s_mov_b32 s23, 0
	s_mov_b32 s5, exec_lo
                                        ; implicit-def: $vgpr36
	s_delay_alu instid0(VALU_DEP_1)
	v_cmpx_gt_u64_e64 v[2:3], v[0:1]
	s_cbranch_execz .LBB132_250
; %bb.238:                              ;   in Loop: Header=BB132_21 Depth=1
	v_dual_mov_b32 v6, v28 :: v_dual_mov_b32 v5, v1
	v_mov_b32_e32 v4, v0
	s_mov_b32 s18, 0
                                        ; implicit-def: $sgpr23
	s_set_inst_prefetch_distance 0x1
	s_branch .LBB132_240
	.p2align	6
.LBB132_239:                            ;   in Loop: Header=BB132_240 Depth=2
	s_or_b32 exec_lo, exec_lo, s4
	s_waitcnt lgkmcnt(0)
	s_barrier
	buffer_gl0_inv
	ds_load_b32 v7, v15 offset:3072
	v_add_co_u32 v4, vcc_lo, v4, s29
	v_add_co_ci_u32_e32 v5, vcc_lo, 0, v5, vcc_lo
	v_add_nc_u32_e32 v6, s77, v6
	s_waitcnt lgkmcnt(0)
	s_barrier
	s_delay_alu instid0(VALU_DEP_2) | instskip(SKIP_2) | instid1(VALU_DEP_1)
	v_cmp_ge_u64_e32 vcc_lo, v[4:5], v[2:3]
	buffer_gl0_inv
	v_cmp_neq_f16_e64 s4, 0, v7
	s_or_b32 s42, vcc_lo, s4
	s_delay_alu instid0(SALU_CYCLE_1) | instskip(NEXT) | instid1(SALU_CYCLE_1)
	s_and_b32 s42, exec_lo, s42
	s_or_b32 s18, s42, s18
	s_and_not1_b32 s23, s23, exec_lo
	s_and_b32 s4, s4, exec_lo
	s_delay_alu instid0(SALU_CYCLE_1)
	s_or_b32 s23, s23, s4
	s_and_not1_b32 exec_lo, exec_lo, s18
	s_cbranch_execz .LBB132_249
.LBB132_240:                            ;   Parent Loop BB132_21 Depth=1
                                        ; =>  This Inner Loop Header: Depth=2
	s_delay_alu instid0(VALU_DEP_1)
	v_cmp_gt_u64_e32 vcc_lo, s[8:9], v[4:5]
	v_mov_b32_e32 v7, 0
	s_and_saveexec_b32 s4, vcc_lo
	s_cbranch_execz .LBB132_242
; %bb.241:                              ;   in Loop: Header=BB132_240 Depth=2
	ds_load_u16 v7, v6
.LBB132_242:                            ;   in Loop: Header=BB132_240 Depth=2
	s_or_b32 exec_lo, exec_lo, s4
	s_and_saveexec_b32 s4, vcc_lo
	s_cbranch_execz .LBB132_239
; %bb.243:                              ;   in Loop: Header=BB132_240 Depth=2
	s_waitcnt lgkmcnt(0)
	v_cmp_lt_i16_e32 vcc_lo, -1, v7
	v_and_b32_e32 v8, 0xffff, v7
	v_cndmask_b32_e32 v9, 0xffff, v35, vcc_lo
	v_cmp_o_f16_e32 vcc_lo, v7, v7
	s_delay_alu instid0(VALU_DEP_2) | instskip(NEXT) | instid1(VALU_DEP_1)
	v_xor_b32_e32 v8, v9, v8
	v_cndmask_b32_e32 v8, 0xffff, v8, vcc_lo
	s_delay_alu instid0(VALU_DEP_1) | instskip(NEXT) | instid1(VALU_DEP_1)
	v_and_b32_e32 v8, s89, v8
	v_cmp_eq_u32_e32 vcc_lo, s88, v8
	s_and_b32 exec_lo, exec_lo, vcc_lo
	s_cbranch_execz .LBB132_239
; %bb.244:                              ;   in Loop: Header=BB132_240 Depth=2
	v_perm_b32 v7, v7, s78, 0x5040100
	ds_store_b32 v15, v7 offset:3072
	s_branch .LBB132_239
.LBB132_245:                            ;   in Loop: Header=BB132_21 Depth=1
                                        ; implicit-def: $sgpr8
                                        ; implicit-def: $sgpr18
                                        ; implicit-def: $sgpr9
	s_branch .LBB132_264
.LBB132_246:                            ;   in Loop: Header=BB132_21 Depth=1
                                        ; implicit-def: $vgpr2_vgpr3
	s_branch .LBB132_189
.LBB132_247:                            ;   in Loop: Header=BB132_21 Depth=1
                                        ; implicit-def: $vgpr2_vgpr3
	s_branch .LBB132_206
.LBB132_248:                            ;   in Loop: Header=BB132_21 Depth=1
	s_mov_b32 s8, -1
	s_mov_b32 s23, 0
                                        ; implicit-def: $sgpr9
                                        ; implicit-def: $vgpr36
	s_mov_b32 s18, s8
	s_cbranch_execnz .LBB132_251
	s_branch .LBB132_264
.LBB132_249:                            ;   in Loop: Header=BB132_21 Depth=1
	s_set_inst_prefetch_distance 0x2
	s_or_b32 exec_lo, exec_lo, s18
	v_lshrrev_b32_e32 v36, 16, v7
	s_and_b32 s23, s23, exec_lo
.LBB132_250:                            ;   in Loop: Header=BB132_21 Depth=1
	s_or_b32 exec_lo, exec_lo, s5
	s_mov_b32 s9, -1
	s_mov_b32 s8, 0
	s_delay_alu instid0(SALU_CYCLE_1)
	s_mov_b32 s18, s8
	s_branch .LBB132_264
.LBB132_251:                            ;   in Loop: Header=BB132_21 Depth=1
	s_mov_b32 s48, s43
	s_delay_alu instid0(SALU_CYCLE_1)
	s_cmp_lg_u64 s[48:49], 0
	s_cbranch_scc0 .LBB132_285
; %bb.252:                              ;   in Loop: Header=BB132_21 Depth=1
	v_cvt_f32_u32_e32 v2, s29
	s_sub_u32 s8, 0, s29
	s_subb_u32 s9, 0, 0
	s_delay_alu instid0(VALU_DEP_1) | instskip(NEXT) | instid1(VALU_DEP_1)
	v_fmac_f32_e64 v2, 0, 0x4f800000
	v_rcp_f32_e32 v2, v2
	s_waitcnt_depctr 0xfff
	v_mul_f32_e32 v2, 0x5f7ffffc, v2
	s_delay_alu instid0(VALU_DEP_1) | instskip(NEXT) | instid1(VALU_DEP_1)
	v_mul_f32_e32 v3, 0x2f800000, v2
	v_trunc_f32_e32 v3, v3
	s_delay_alu instid0(VALU_DEP_1) | instskip(SKIP_1) | instid1(VALU_DEP_2)
	v_fmac_f32_e32 v2, 0xcf800000, v3
	v_cvt_u32_f32_e32 v3, v3
	v_cvt_u32_f32_e32 v2, v2
	s_delay_alu instid0(VALU_DEP_2) | instskip(NEXT) | instid1(VALU_DEP_2)
	v_readfirstlane_b32 s4, v3
	v_readfirstlane_b32 s5, v2
	s_delay_alu instid0(VALU_DEP_2) | instskip(NEXT) | instid1(VALU_DEP_1)
	s_mul_i32 s18, s8, s4
	s_mul_hi_u32 s42, s8, s5
	s_mul_i32 s23, s9, s5
	s_add_i32 s18, s42, s18
	s_mul_i32 s48, s8, s5
	s_add_i32 s18, s18, s23
	s_mul_hi_u32 s42, s5, s48
	s_mul_hi_u32 s56, s4, s48
	s_mul_i32 s23, s4, s48
	s_mul_hi_u32 s48, s5, s18
	s_mul_i32 s5, s5, s18
	s_mul_hi_u32 s57, s4, s18
	s_add_u32 s5, s42, s5
	s_addc_u32 s42, 0, s48
	s_add_u32 s5, s5, s23
	s_mul_i32 s18, s4, s18
	s_addc_u32 s5, s42, s56
	s_addc_u32 s23, s57, 0
	s_add_u32 s5, s5, s18
	s_addc_u32 s18, 0, s23
	v_add_co_u32 v2, s5, v2, s5
	s_delay_alu instid0(VALU_DEP_1) | instskip(SKIP_1) | instid1(VALU_DEP_1)
	s_cmp_lg_u32 s5, 0
	s_addc_u32 s4, s4, s18
	v_readfirstlane_b32 s5, v2
	s_mul_i32 s18, s8, s4
	s_delay_alu instid0(VALU_DEP_1)
	s_mul_hi_u32 s23, s8, s5
	s_mul_i32 s9, s9, s5
	s_add_i32 s18, s23, s18
	s_mul_i32 s8, s8, s5
	s_add_i32 s18, s18, s9
	s_mul_hi_u32 s23, s4, s8
	s_mul_i32 s42, s4, s8
	s_mul_hi_u32 s8, s5, s8
	s_mul_hi_u32 s48, s5, s18
	s_mul_i32 s5, s5, s18
	s_mul_hi_u32 s9, s4, s18
	s_add_u32 s5, s8, s5
	s_addc_u32 s8, 0, s48
	s_add_u32 s5, s5, s42
	s_mul_i32 s18, s4, s18
	s_addc_u32 s5, s8, s23
	s_addc_u32 s8, s9, 0
	s_add_u32 s5, s5, s18
	s_addc_u32 s8, 0, s8
	v_add_co_u32 v2, s5, v2, s5
	s_delay_alu instid0(VALU_DEP_1) | instskip(SKIP_1) | instid1(VALU_DEP_1)
	s_cmp_lg_u32 s5, 0
	s_addc_u32 s4, s4, s8
	v_readfirstlane_b32 s5, v2
	s_mul_i32 s9, s71, s4
	s_mul_hi_u32 s8, s71, s4
	s_mul_hi_u32 s18, s49, s4
	s_mul_i32 s4, s49, s4
	s_mul_hi_u32 s23, s71, s5
	s_mul_hi_u32 s42, s49, s5
	s_mul_i32 s5, s49, s5
	s_add_u32 s9, s23, s9
	s_addc_u32 s8, 0, s8
	s_add_u32 s5, s9, s5
	s_addc_u32 s5, s8, s42
	s_addc_u32 s8, s18, 0
	s_add_u32 s4, s5, s4
	s_addc_u32 s5, 0, s8
	s_mul_hi_u32 s8, s29, s4
	s_mul_i32 s4, s29, s4
	s_mul_i32 s5, s29, s5
	v_sub_co_u32 v2, s4, s71, s4
	s_add_i32 s8, s8, s5
	s_cmp_lg_u32 s4, 0
	s_delay_alu instid0(VALU_DEP_1) | instskip(SKIP_2) | instid1(VALU_DEP_1)
	v_sub_co_u32 v3, s4, v2, s29
	s_subb_u32 s5, s49, s8
	s_cmp_lg_u32 s4, 0
	v_cmp_le_u32_e32 vcc_lo, s29, v3
	v_sub_co_u32 v4, s4, v3, s29
	s_subb_u32 s8, s5, 0
	s_cmp_lg_u32 s4, 0
	v_cndmask_b32_e64 v5, 0, -1, vcc_lo
	s_subb_u32 s4, s8, 0
	s_cmp_eq_u32 s8, 0
	v_mov_b32_e32 v7, s4
	s_cselect_b32 vcc_lo, -1, 0
	s_cmp_eq_u32 s5, 0
	v_cndmask_b32_e32 v5, -1, v5, vcc_lo
	v_cmp_le_u32_e32 vcc_lo, s29, v2
	s_cselect_b32 s4, -1, 0
	v_cndmask_b32_e64 v6, 0, -1, vcc_lo
	s_delay_alu instid0(VALU_DEP_3) | instskip(NEXT) | instid1(VALU_DEP_2)
	v_cmp_ne_u32_e32 vcc_lo, 0, v5
	v_cndmask_b32_e64 v5, -1, v6, s4
	v_cndmask_b32_e32 v6, s8, v7, vcc_lo
	v_cndmask_b32_e32 v4, v3, v4, vcc_lo
	s_delay_alu instid0(VALU_DEP_3) | instskip(NEXT) | instid1(VALU_DEP_3)
	v_cmp_ne_u32_e32 vcc_lo, 0, v5
	v_cndmask_b32_e32 v3, s5, v6, vcc_lo
	s_delay_alu instid0(VALU_DEP_3)
	v_cndmask_b32_e32 v2, v2, v4, vcc_lo
	s_cbranch_execnz .LBB132_254
.LBB132_253:                            ;   in Loop: Header=BB132_21 Depth=1
	v_cvt_f32_u32_e32 v2, s29
	s_sub_i32 s4, 0, s29
	s_delay_alu instid0(VALU_DEP_1) | instskip(SKIP_2) | instid1(VALU_DEP_1)
	v_rcp_iflag_f32_e32 v2, v2
	s_waitcnt_depctr 0xfff
	v_mul_f32_e32 v2, 0x4f7ffffe, v2
	v_cvt_u32_f32_e32 v2, v2
	s_delay_alu instid0(VALU_DEP_1) | instskip(NEXT) | instid1(VALU_DEP_1)
	v_mul_lo_u32 v3, s4, v2
	v_mul_hi_u32 v3, v2, v3
	s_delay_alu instid0(VALU_DEP_1) | instskip(NEXT) | instid1(VALU_DEP_1)
	v_add_nc_u32_e32 v2, v2, v3
	v_mul_hi_u32 v2, s71, v2
	s_delay_alu instid0(VALU_DEP_1) | instskip(NEXT) | instid1(VALU_DEP_1)
	v_mul_lo_u32 v2, v2, s29
	v_sub_nc_u32_e32 v2, s71, v2
	s_delay_alu instid0(VALU_DEP_1) | instskip(SKIP_1) | instid1(VALU_DEP_2)
	v_subrev_nc_u32_e32 v3, s29, v2
	v_cmp_le_u32_e32 vcc_lo, s29, v2
	v_cndmask_b32_e32 v2, v2, v3, vcc_lo
	s_delay_alu instid0(VALU_DEP_1) | instskip(SKIP_1) | instid1(VALU_DEP_2)
	v_subrev_nc_u32_e32 v3, s29, v2
	v_cmp_le_u32_e32 vcc_lo, s29, v2
	v_cndmask_b32_e32 v14, v2, v3, vcc_lo
	s_delay_alu instid0(VALU_DEP_1)
	v_dual_mov_b32 v2, v14 :: v_dual_mov_b32 v3, v15
.LBB132_254:                            ;   in Loop: Header=BB132_21 Depth=1
	s_delay_alu instid0(VALU_DEP_1) | instskip(NEXT) | instid1(VALU_DEP_2)
	v_sub_co_u32 v2, vcc_lo, s71, v2
	v_sub_co_ci_u32_e32 v3, vcc_lo, s49, v3, vcc_lo
	s_mov_b32 s23, 0
	s_mov_b32 s5, exec_lo
                                        ; implicit-def: $vgpr36
	s_delay_alu instid0(VALU_DEP_1)
	v_cmpx_gt_u64_e64 v[2:3], v[0:1]
	s_cbranch_execz .LBB132_263
; %bb.255:                              ;   in Loop: Header=BB132_21 Depth=1
	v_dual_mov_b32 v4, v10 :: v_dual_mov_b32 v5, v11
	v_dual_mov_b32 v7, v1 :: v_dual_mov_b32 v6, v0
	s_mov_b32 s8, 0
                                        ; implicit-def: $sgpr9
	s_branch .LBB132_257
.LBB132_256:                            ;   in Loop: Header=BB132_257 Depth=2
	s_or_b32 exec_lo, exec_lo, s4
	s_waitcnt vmcnt(0) lgkmcnt(0)
	s_barrier
	buffer_gl0_inv
	ds_load_b32 v8, v15 offset:3072
	v_add_co_u32 v6, vcc_lo, v6, s29
	v_add_co_ci_u32_e32 v7, vcc_lo, 0, v7, vcc_lo
	s_waitcnt lgkmcnt(0)
	s_barrier
	buffer_gl0_inv
	v_cmp_ge_u64_e32 vcc_lo, v[6:7], v[2:3]
	v_cmp_neq_f16_e64 s4, 0, v8
	s_delay_alu instid0(VALU_DEP_1)
	s_or_b32 s18, vcc_lo, s4
	v_add_co_u32 v4, vcc_lo, v4, s40
	s_and_b32 s18, exec_lo, s18
	v_add_co_ci_u32_e32 v5, vcc_lo, s41, v5, vcc_lo
	s_or_b32 s8, s18, s8
	s_and_not1_b32 s9, s9, exec_lo
	s_and_b32 s4, s4, exec_lo
	s_delay_alu instid0(SALU_CYCLE_1)
	s_or_b32 s9, s9, s4
	s_and_not1_b32 exec_lo, exec_lo, s8
	s_cbranch_execz .LBB132_262
.LBB132_257:                            ;   Parent Loop BB132_21 Depth=1
                                        ; =>  This Inner Loop Header: Depth=2
	s_delay_alu instid0(VALU_DEP_1)
	v_cmp_gt_u64_e32 vcc_lo, s[24:25], v[6:7]
	v_mov_b32_e32 v8, 0
	s_and_saveexec_b32 s4, vcc_lo
	s_cbranch_execz .LBB132_259
; %bb.258:                              ;   in Loop: Header=BB132_257 Depth=2
	global_load_u16 v8, v[4:5], off
.LBB132_259:                            ;   in Loop: Header=BB132_257 Depth=2
	s_or_b32 exec_lo, exec_lo, s4
	s_and_saveexec_b32 s4, vcc_lo
	s_cbranch_execz .LBB132_256
; %bb.260:                              ;   in Loop: Header=BB132_257 Depth=2
	s_waitcnt vmcnt(0)
	v_cmp_lt_i16_e32 vcc_lo, -1, v8
	v_dual_cndmask_b32 v14, 0xffff, v35 :: v_dual_and_b32 v9, 0xffff, v8
	v_cmp_o_f16_e32 vcc_lo, v8, v8
	s_delay_alu instid0(VALU_DEP_2) | instskip(NEXT) | instid1(VALU_DEP_1)
	v_xor_b32_e32 v9, v14, v9
	v_cndmask_b32_e32 v9, 0xffff, v9, vcc_lo
	s_delay_alu instid0(VALU_DEP_1) | instskip(NEXT) | instid1(VALU_DEP_1)
	v_and_b32_e32 v9, s89, v9
	v_cmp_eq_u32_e32 vcc_lo, s88, v9
	s_and_b32 exec_lo, exec_lo, vcc_lo
	s_cbranch_execz .LBB132_256
; %bb.261:                              ;   in Loop: Header=BB132_257 Depth=2
	v_perm_b32 v8, v8, s78, 0x5040100
	ds_store_b32 v15, v8 offset:3072
	s_branch .LBB132_256
.LBB132_262:                            ;   in Loop: Header=BB132_21 Depth=1
	s_or_b32 exec_lo, exec_lo, s8
	v_lshrrev_b32_e32 v36, 16, v8
	s_and_b32 s23, s9, exec_lo
.LBB132_263:                            ;   in Loop: Header=BB132_21 Depth=1
	s_or_b32 exec_lo, exec_lo, s5
	s_mov_b32 s18, -1
	s_mov_b32 s8, 0
	s_mov_b32 s9, 0
.LBB132_264:                            ;   in Loop: Header=BB132_21 Depth=1
	s_mov_b32 s56, 0
                                        ; implicit-def: $sgpr42
                                        ; implicit-def: $sgpr4_sgpr5
	s_and_saveexec_b32 s48, s23
	s_cbranch_execz .LBB132_277
; %bb.265:                              ;   in Loop: Header=BB132_21 Depth=1
	s_xor_b32 s17, s17, -1
	s_mov_b64 s[4:5], 1
	s_and_not1_b32 vcc_lo, exec_lo, s17
	s_mov_b32 s42, 1
	s_cbranch_vccnz .LBB132_276
; %bb.266:                              ;   in Loop: Header=BB132_21 Depth=1
	v_cmp_gt_u64_e64 s4, s[44:45], s[6:7]
	s_delay_alu instid0(VALU_DEP_1)
	s_and_b32 vcc_lo, exec_lo, s4
	s_cbranch_vccnz .LBB132_272
; %bb.267:                              ;   in Loop: Header=BB132_21 Depth=1
	ds_load_b64 v[2:3], v15 offset:5120
	s_waitcnt lgkmcnt(0)
	v_cmp_ne_u64_e32 vcc_lo, 0, v[2:3]
	s_cbranch_vccnz .LBB132_271
; %bb.268:                              ;   in Loop: Header=BB132_21 Depth=1
	s_and_saveexec_b32 s4, s3
	s_cbranch_execz .LBB132_270
; %bb.269:                              ;   in Loop: Header=BB132_21 Depth=1
	v_dual_mov_b32 v2, s6 :: v_dual_mov_b32 v3, s7
	ds_store_b64 v15, v[2:3] offset:5128
.LBB132_270:                            ;   in Loop: Header=BB132_21 Depth=1
	s_or_b32 exec_lo, exec_lo, s4
	s_waitcnt lgkmcnt(0)
	s_barrier
	buffer_gl0_inv
.LBB132_271:                            ;   in Loop: Header=BB132_21 Depth=1
	s_or_b32 s17, s88, s16
	s_or_b32 s16, s89, s16
	s_mov_b32 s4, 0
	s_mov_b32 s42, 8
	s_branch .LBB132_273
.LBB132_272:                            ;   in Loop: Header=BB132_21 Depth=1
	s_mov_b32 s4, -1
                                        ; implicit-def: $sgpr42
                                        ; implicit-def: $sgpr17
                                        ; implicit-def: $sgpr16
.LBB132_273:                            ;   in Loop: Header=BB132_21 Depth=1
	s_delay_alu instid0(SALU_CYCLE_1)
	s_and_not1_b32 vcc_lo, exec_lo, s4
	s_cbranch_vccnz .LBB132_275
; %bb.274:                              ;   in Loop: Header=BB132_21 Depth=1
	s_sub_u32 s44, s44, s6
	s_subb_u32 s45, s45, s7
	s_mov_b32 s42, 8
	s_mov_b32 s17, s88
	;; [unrolled: 1-line block ×3, first 2 shown]
.LBB132_275:                            ;   in Loop: Header=BB132_21 Depth=1
	s_mov_b64 s[4:5], s[44:45]
	s_mov_b32 s88, s17
	s_mov_b32 s89, s16
.LBB132_276:                            ;   in Loop: Header=BB132_21 Depth=1
	s_mov_b32 s56, exec_lo
.LBB132_277:                            ;   in Loop: Header=BB132_21 Depth=1
	s_or_b32 exec_lo, exec_lo, s48
	s_mov_b64 s[44:45], s[4:5]
.LBB132_278:                            ;   in Loop: Header=BB132_21 Depth=1
	s_and_not1_b32 s4, s10, exec_lo
	s_and_b32 s5, s8, exec_lo
	s_and_not1_b32 s6, s11, exec_lo
	s_or_b32 s10, s4, s5
	s_and_not1_b32 s4, s21, exec_lo
	s_and_b32 s5, s18, exec_lo
	s_and_b32 s7, s9, exec_lo
	s_or_b32 s21, s4, s5
	s_or_b32 s11, s6, s7
	s_and_b32 s5, s56, exec_lo
.LBB132_279:                            ;   in Loop: Header=BB132_21 Depth=1
	s_or_b32 exec_lo, exec_lo, s22
.LBB132_280:                            ;   in Loop: Header=BB132_21 Depth=1
	s_delay_alu instid0(SALU_CYCLE_1)
	s_and_not1_b32 s4, s13, exec_lo
	s_and_b32 s6, s10, exec_lo
	s_and_not1_b32 s7, s12, exec_lo
	s_or_b32 s13, s4, s6
	s_and_not1_b32 s4, s19, exec_lo
	s_and_b32 s6, s21, exec_lo
	s_and_b32 s8, s11, exec_lo
	s_or_b32 s19, s4, s6
	s_or_b32 s12, s7, s8
	s_and_b32 s5, s5, exec_lo
.LBB132_281:                            ;   in Loop: Header=BB132_21 Depth=1
	s_or_b32 exec_lo, exec_lo, s20
	s_and_saveexec_b32 s4, s5
	s_delay_alu instid0(SALU_CYCLE_1)
	s_xor_b32 s4, exec_lo, s4
	s_cbranch_execz .LBB132_19
.LBB132_282:                            ;   in Loop: Header=BB132_21 Depth=1
	s_and_b32 s5, s42, -9
	s_delay_alu instid0(SALU_CYCLE_1)
	s_cmp_eq_u32 s5, 0
	s_cbranch_scc1 .LBB132_17
; %bb.283:                              ;   in Loop: Header=BB132_21 Depth=1
	s_mov_b32 s5, -1
	s_mov_b32 s6, -1
                                        ; implicit-def: $sgpr89
                                        ; implicit-def: $sgpr44_sgpr45
                                        ; implicit-def: $sgpr83
                                        ; implicit-def: $sgpr86
	s_branch .LBB132_18
.LBB132_284:                            ;   in Loop: Header=BB132_21 Depth=1
                                        ; implicit-def: $vgpr2_vgpr3
	s_branch .LBB132_236
.LBB132_285:                            ;   in Loop: Header=BB132_21 Depth=1
                                        ; implicit-def: $vgpr2_vgpr3
	s_branch .LBB132_253
.LBB132_286:
	s_or_b32 exec_lo, exec_lo, s79
	s_xor_b32 s3, s82, -1
	s_xor_b32 s1, s80, -1
	;; [unrolled: 1-line block ×3, first 2 shown]
	s_mov_b32 s0, 0
	s_and_saveexec_b32 s5, s1
	s_delay_alu instid0(SALU_CYCLE_1)
	s_xor_b32 s1, exec_lo, s5
	s_cbranch_execz .LBB132_300
; %bb.287:
	s_and_saveexec_b32 s0, s3
	s_delay_alu instid0(SALU_CYCLE_1)
	s_xor_b32 s3, exec_lo, s0
	s_cbranch_execz .LBB132_298
; %bb.288:
	s_and_saveexec_b32 s0, s4
	s_delay_alu instid0(SALU_CYCLE_1)
	s_xor_b32 s0, exec_lo, s0
; %bb.289:
	v_and_b32_e32 v3, 0x8000, v2
	v_mov_b32_e32 v4, 0xffff
	s_delay_alu instid0(VALU_DEP_2) | instskip(NEXT) | instid1(VALU_DEP_2)
	v_cmp_eq_u32_e32 vcc_lo, 0, v3
	v_cndmask_b32_e32 v3, 0x8000, v4, vcc_lo
	s_delay_alu instid0(VALU_DEP_1)
	v_xor_b32_e32 v36, v3, v2
; %bb.290:
	s_or_b32 exec_lo, exec_lo, s0
	s_mul_i32 s0, s37, s28
	s_mul_hi_u32 s5, s36, s28
	s_mul_i32 s4, s36, s28
	s_add_i32 s5, s5, s0
	v_mov_b32_e32 v2, 0
	s_lshl_b64 s[4:5], s[4:5], 1
	s_delay_alu instid0(SALU_CYCLE_1)
	s_add_u32 s4, s34, s4
	s_addc_u32 s5, s35, s5
	global_store_b16 v2, v36, s[4:5]
	s_and_saveexec_b32 s4, s2
	s_cbranch_execz .LBB132_297
; %bb.291:
	v_cmp_u_f16_e32 vcc_lo, v36, v36
	s_mov_b32 s2, 0
                                        ; implicit-def: $sgpr5
                                        ; implicit-def: $sgpr8
                                        ; implicit-def: $sgpr7
	s_xor_b32 s6, vcc_lo, -1
	s_set_inst_prefetch_distance 0x1
	s_branch .LBB132_293
	.p2align	6
.LBB132_292:                            ;   in Loop: Header=BB132_293 Depth=1
	s_or_b32 exec_lo, exec_lo, s9
	s_delay_alu instid0(SALU_CYCLE_1) | instskip(NEXT) | instid1(SALU_CYCLE_1)
	s_and_b32 s0, exec_lo, s8
	s_or_b32 s2, s0, s2
	s_and_not1_b32 s0, s5, exec_lo
	s_and_b32 s5, s7, exec_lo
	s_delay_alu instid0(SALU_CYCLE_1)
	s_or_b32 s5, s0, s5
	s_and_not1_b32 exec_lo, exec_lo, s2
	s_cbranch_execz .LBB132_295
.LBB132_293:                            ; =>This Inner Loop Header: Depth=1
	global_load_u16 v2, v[10:11], off
	s_or_b32 s7, s7, exec_lo
	s_or_b32 s8, s8, exec_lo
	s_waitcnt vmcnt(0)
	v_cmp_o_f16_e32 vcc_lo, v2, v2
	v_cmp_neq_f16_e64 s0, v2, v36
	v_dual_mov_b32 v3, v1 :: v_dual_mov_b32 v2, v0
                                        ; implicit-def: $vgpr0_vgpr1
	s_or_b32 s9, s6, vcc_lo
	s_delay_alu instid0(VALU_DEP_2) | instid1(SALU_CYCLE_1)
	s_and_b32 s0, s0, s9
	s_delay_alu instid0(SALU_CYCLE_1)
	s_and_saveexec_b32 s9, s0
	s_cbranch_execz .LBB132_292
; %bb.294:                              ;   in Loop: Header=BB132_293 Depth=1
	v_add_co_u32 v0, vcc_lo, v2, s29
	v_add_co_ci_u32_e32 v1, vcc_lo, 0, v3, vcc_lo
	v_add_co_u32 v10, s0, v10, s40
	s_delay_alu instid0(VALU_DEP_1) | instskip(NEXT) | instid1(VALU_DEP_3)
	v_add_co_ci_u32_e64 v11, s0, s41, v11, s0
	v_cmp_le_u64_e32 vcc_lo, s[24:25], v[0:1]
	s_and_not1_b32 s0, s8, exec_lo
	s_and_not1_b32 s7, s7, exec_lo
	s_and_b32 s8, vcc_lo, exec_lo
	s_delay_alu instid0(SALU_CYCLE_1)
	s_or_b32 s8, s0, s8
	s_branch .LBB132_292
.LBB132_295:
	s_set_inst_prefetch_distance 0x2
	s_or_b32 exec_lo, exec_lo, s2
	s_and_saveexec_b32 s0, s5
	s_delay_alu instid0(SALU_CYCLE_1)
	s_xor_b32 s0, exec_lo, s0
	s_cbranch_execz .LBB132_297
; %bb.296:
	s_mul_i32 s0, s31, s28
	s_mul_hi_u32 s2, s30, s28
	s_mul_i32 s6, s30, s28
	s_add_i32 s7, s2, s0
	v_mov_b32_e32 v0, 0
	s_lshl_b64 s[6:7], s[6:7], 3
	s_delay_alu instid0(SALU_CYCLE_1)
	s_add_u32 s6, s26, s6
	s_addc_u32 s7, s27, s7
	global_store_b64 v0, v[2:3], s[6:7]
.LBB132_297:
	s_or_b32 exec_lo, exec_lo, s4
.LBB132_298:
	s_or_saveexec_b32 s0, s3
	s_mov_b32 s2, 0
	s_xor_b32 exec_lo, exec_lo, s0
	s_cbranch_execnz .LBB132_306
.LBB132_299:
	s_or_b32 exec_lo, exec_lo, s0
	s_delay_alu instid0(SALU_CYCLE_1)
	s_and_b32 s0, s2, exec_lo
.LBB132_300:
	s_and_not1_saveexec_b32 s1, s1
	s_cbranch_execnz .LBB132_304
; %bb.301:
	s_or_b32 exec_lo, exec_lo, s1
	s_and_saveexec_b32 s1, s0
.LBB132_302:
	; divergent unreachable
.LBB132_303:
	s_nop 0
	s_sendmsg sendmsg(MSG_DEALLOC_VGPRS)
	s_endpgm
.LBB132_304:
	s_cbranch_execnz .LBB132_308
; %bb.305:
	s_or_b32 s0, s0, exec_lo
	s_or_b32 exec_lo, exec_lo, s1
	s_and_saveexec_b32 s1, s0
	s_cbranch_execnz .LBB132_302
	s_branch .LBB132_303
.LBB132_306:
	s_cbranch_execnz .LBB132_310
; %bb.307:
	s_mov_b32 s2, exec_lo
	s_branch .LBB132_299
.LBB132_308:
	s_trap 2
	s_sendmsg_rtn_b32 s0, sendmsg(MSG_RTN_GET_DOORBELL)
	s_mov_b32 ttmp2, m0
	s_waitcnt lgkmcnt(0)
	s_and_b32 s0, s0, 0x3ff
	s_delay_alu instid0(SALU_CYCLE_1) | instskip(NEXT) | instid1(SALU_CYCLE_1)
	s_bitset1_b32 s0, 10
	s_mov_b32 m0, s0
	s_sendmsg sendmsg(MSG_INTERRUPT)
	s_mov_b32 m0, ttmp2
.LBB132_309:                            ; =>This Inner Loop Header: Depth=1
	s_sethalt 5
	s_branch .LBB132_309
.LBB132_310:
	s_trap 2
	s_sendmsg_rtn_b32 s0, sendmsg(MSG_RTN_GET_DOORBELL)
	s_mov_b32 ttmp2, m0
	s_waitcnt lgkmcnt(0)
	s_and_b32 s0, s0, 0x3ff
	s_delay_alu instid0(SALU_CYCLE_1) | instskip(NEXT) | instid1(SALU_CYCLE_1)
	s_bitset1_b32 s0, 10
	s_mov_b32 m0, s0
	s_sendmsg sendmsg(MSG_INTERRUPT)
	s_mov_b32 m0, ttmp2
.LBB132_311:                            ; =>This Inner Loop Header: Depth=1
	s_sethalt 5
	s_branch .LBB132_311
	.section	.rodata,"a",@progbits
	.p2align	6, 0x0
	.amdhsa_kernel _ZN2at6native12_GLOBAL__N_112gatherMedianIN3c104HalfEmLi1EEEvNS_4cuda6detail10TensorInfoIT_T0_EENS7_IlS9_EENS7_IKS8_S9_EES9_S9_S9_b
		.amdhsa_group_segment_fixed_size 5152
		.amdhsa_private_segment_fixed_size 0
		.amdhsa_kernarg_size 1536
		.amdhsa_user_sgpr_count 13
		.amdhsa_user_sgpr_dispatch_ptr 0
		.amdhsa_user_sgpr_queue_ptr 0
		.amdhsa_user_sgpr_kernarg_segment_ptr 1
		.amdhsa_user_sgpr_dispatch_id 0
		.amdhsa_user_sgpr_private_segment_size 0
		.amdhsa_wavefront_size32 1
		.amdhsa_uses_dynamic_stack 0
		.amdhsa_enable_private_segment 0
		.amdhsa_system_sgpr_workgroup_id_x 1
		.amdhsa_system_sgpr_workgroup_id_y 1
		.amdhsa_system_sgpr_workgroup_id_z 1
		.amdhsa_system_sgpr_workgroup_info 0
		.amdhsa_system_vgpr_workitem_id 0
		.amdhsa_next_free_vgpr 41
		.amdhsa_next_free_sgpr 94
		.amdhsa_reserve_vcc 1
		.amdhsa_float_round_mode_32 0
		.amdhsa_float_round_mode_16_64 0
		.amdhsa_float_denorm_mode_32 3
		.amdhsa_float_denorm_mode_16_64 3
		.amdhsa_dx10_clamp 1
		.amdhsa_ieee_mode 1
		.amdhsa_fp16_overflow 0
		.amdhsa_workgroup_processor_mode 1
		.amdhsa_memory_ordered 1
		.amdhsa_forward_progress 0
		.amdhsa_shared_vgpr_count 0
		.amdhsa_exception_fp_ieee_invalid_op 0
		.amdhsa_exception_fp_denorm_src 0
		.amdhsa_exception_fp_ieee_div_zero 0
		.amdhsa_exception_fp_ieee_overflow 0
		.amdhsa_exception_fp_ieee_underflow 0
		.amdhsa_exception_fp_ieee_inexact 0
		.amdhsa_exception_int_div_zero 0
	.end_amdhsa_kernel
	.section	.text._ZN2at6native12_GLOBAL__N_112gatherMedianIN3c104HalfEmLi1EEEvNS_4cuda6detail10TensorInfoIT_T0_EENS7_IlS9_EENS7_IKS8_S9_EES9_S9_S9_b,"axG",@progbits,_ZN2at6native12_GLOBAL__N_112gatherMedianIN3c104HalfEmLi1EEEvNS_4cuda6detail10TensorInfoIT_T0_EENS7_IlS9_EENS7_IKS8_S9_EES9_S9_S9_b,comdat
.Lfunc_end132:
	.size	_ZN2at6native12_GLOBAL__N_112gatherMedianIN3c104HalfEmLi1EEEvNS_4cuda6detail10TensorInfoIT_T0_EENS7_IlS9_EENS7_IKS8_S9_EES9_S9_S9_b, .Lfunc_end132-_ZN2at6native12_GLOBAL__N_112gatherMedianIN3c104HalfEmLi1EEEvNS_4cuda6detail10TensorInfoIT_T0_EENS7_IlS9_EENS7_IKS8_S9_EES9_S9_S9_b
                                        ; -- End function
	.section	.AMDGPU.csdata,"",@progbits
; Kernel info:
; codeLenInByte = 17524
; NumSgprs: 96
; NumVgprs: 41
; ScratchSize: 0
; MemoryBound: 0
; FloatMode: 240
; IeeeMode: 1
; LDSByteSize: 5152 bytes/workgroup (compile time only)
; SGPRBlocks: 11
; VGPRBlocks: 5
; NumSGPRsForWavesPerEU: 96
; NumVGPRsForWavesPerEU: 41
; Occupancy: 16
; WaveLimiterHint : 1
; COMPUTE_PGM_RSRC2:SCRATCH_EN: 0
; COMPUTE_PGM_RSRC2:USER_SGPR: 13
; COMPUTE_PGM_RSRC2:TRAP_HANDLER: 0
; COMPUTE_PGM_RSRC2:TGID_X_EN: 1
; COMPUTE_PGM_RSRC2:TGID_Y_EN: 1
; COMPUTE_PGM_RSRC2:TGID_Z_EN: 1
; COMPUTE_PGM_RSRC2:TIDIG_COMP_CNT: 0
	.section	.text._ZN2at6native12_GLOBAL__N_112gatherMedianIN3c104HalfEmLi2EEEvNS_4cuda6detail10TensorInfoIT_T0_EENS7_IlS9_EENS7_IKS8_S9_EES9_S9_S9_b,"axG",@progbits,_ZN2at6native12_GLOBAL__N_112gatherMedianIN3c104HalfEmLi2EEEvNS_4cuda6detail10TensorInfoIT_T0_EENS7_IlS9_EENS7_IKS8_S9_EES9_S9_S9_b,comdat
	.globl	_ZN2at6native12_GLOBAL__N_112gatherMedianIN3c104HalfEmLi2EEEvNS_4cuda6detail10TensorInfoIT_T0_EENS7_IlS9_EENS7_IKS8_S9_EES9_S9_S9_b ; -- Begin function _ZN2at6native12_GLOBAL__N_112gatherMedianIN3c104HalfEmLi2EEEvNS_4cuda6detail10TensorInfoIT_T0_EENS7_IlS9_EENS7_IKS8_S9_EES9_S9_S9_b
	.p2align	8
	.type	_ZN2at6native12_GLOBAL__N_112gatherMedianIN3c104HalfEmLi2EEEvNS_4cuda6detail10TensorInfoIT_T0_EENS7_IlS9_EENS7_IKS8_S9_EES9_S9_S9_b,@function
_ZN2at6native12_GLOBAL__N_112gatherMedianIN3c104HalfEmLi2EEEvNS_4cuda6detail10TensorInfoIT_T0_EENS7_IlS9_EENS7_IKS8_S9_EES9_S9_S9_b: ; @_ZN2at6native12_GLOBAL__N_112gatherMedianIN3c104HalfEmLi2EEEvNS_4cuda6detail10TensorInfoIT_T0_EENS7_IlS9_EENS7_IKS8_S9_EES9_S9_S9_b
; %bb.0:
	s_clause 0x1
	s_load_b64 s[8:9], s[0:1], 0x500
	s_load_b128 s[24:27], s[0:1], 0x4e0
	s_add_u32 s10, s0, 0x500
	s_addc_u32 s11, s1, 0
	s_mov_b32 s35, 0
	s_waitcnt lgkmcnt(0)
	s_mul_i32 s2, s9, s15
	s_delay_alu instid0(SALU_CYCLE_1) | instskip(NEXT) | instid1(SALU_CYCLE_1)
	s_add_i32 s2, s2, s14
	s_mul_i32 s2, s2, s8
	s_delay_alu instid0(SALU_CYCLE_1) | instskip(NEXT) | instid1(SALU_CYCLE_1)
	s_add_i32 s34, s2, s13
	v_cmp_ge_u64_e64 s2, s[34:35], s[26:27]
	s_delay_alu instid0(VALU_DEP_1)
	s_and_b32 vcc_lo, exec_lo, s2
	s_cbranch_vccnz .LBB133_309
; %bb.1:
	s_clause 0x3
	s_load_b64 s[46:47], s[0:1], 0x10
	s_load_b64 s[42:43], s[0:1], 0x4f0
	;; [unrolled: 1-line block ×4, first 2 shown]
	s_mov_b64 s[40:41], 0
	s_mov_b64 s[48:49], 0
	s_waitcnt lgkmcnt(0)
	v_cmp_lt_u64_e64 s4, s[34:35], s[46:47]
	s_delay_alu instid0(VALU_DEP_1)
	s_and_b32 vcc_lo, exec_lo, s4
	s_cbranch_vccnz .LBB133_3
; %bb.2:
	v_cvt_f32_u32_e32 v1, s46
	s_sub_i32 s5, 0, s46
	s_delay_alu instid0(VALU_DEP_1) | instskip(SKIP_2) | instid1(VALU_DEP_1)
	v_rcp_iflag_f32_e32 v1, v1
	s_waitcnt_depctr 0xfff
	v_mul_f32_e32 v1, 0x4f7ffffe, v1
	v_cvt_u32_f32_e32 v1, v1
	s_delay_alu instid0(VALU_DEP_1) | instskip(NEXT) | instid1(VALU_DEP_1)
	v_readfirstlane_b32 s4, v1
	s_mul_i32 s5, s5, s4
	s_delay_alu instid0(SALU_CYCLE_1) | instskip(NEXT) | instid1(SALU_CYCLE_1)
	s_mul_hi_u32 s5, s4, s5
	s_add_i32 s4, s4, s5
	s_delay_alu instid0(SALU_CYCLE_1) | instskip(NEXT) | instid1(SALU_CYCLE_1)
	s_mul_hi_u32 s4, s34, s4
	s_mul_i32 s5, s4, s46
	s_add_i32 s6, s4, 1
	s_sub_i32 s5, s34, s5
	s_delay_alu instid0(SALU_CYCLE_1)
	s_sub_i32 s7, s5, s46
	s_cmp_ge_u32 s5, s46
	s_cselect_b32 s4, s6, s4
	s_cselect_b32 s5, s7, s5
	s_add_i32 s6, s4, 1
	s_cmp_ge_u32 s5, s46
	s_cselect_b32 s48, s6, s4
.LBB133_3:
	s_load_b64 s[14:15], s[0:1], 0x340
	v_cmp_lt_u64_e64 s4, s[34:35], s[26:27]
	s_delay_alu instid0(VALU_DEP_1)
	s_and_b32 vcc_lo, exec_lo, s4
	s_cbranch_vccnz .LBB133_5
; %bb.4:
	v_cvt_f32_u32_e32 v1, s26
	s_sub_i32 s5, 0, s26
	s_delay_alu instid0(VALU_DEP_1) | instskip(SKIP_2) | instid1(VALU_DEP_1)
	v_rcp_iflag_f32_e32 v1, v1
	s_waitcnt_depctr 0xfff
	v_mul_f32_e32 v1, 0x4f7ffffe, v1
	v_cvt_u32_f32_e32 v1, v1
	s_delay_alu instid0(VALU_DEP_1) | instskip(NEXT) | instid1(VALU_DEP_1)
	v_readfirstlane_b32 s4, v1
	s_mul_i32 s5, s5, s4
	s_delay_alu instid0(SALU_CYCLE_1) | instskip(NEXT) | instid1(SALU_CYCLE_1)
	s_mul_hi_u32 s5, s4, s5
	s_add_i32 s4, s4, s5
	s_delay_alu instid0(SALU_CYCLE_1) | instskip(NEXT) | instid1(SALU_CYCLE_1)
	s_mul_hi_u32 s4, s34, s4
	s_mul_i32 s5, s4, s26
	s_add_i32 s6, s4, 1
	s_sub_i32 s5, s34, s5
	s_delay_alu instid0(SALU_CYCLE_1)
	s_sub_i32 s7, s5, s26
	s_cmp_ge_u32 s5, s26
	s_cselect_b32 s4, s6, s4
	s_cselect_b32 s5, s7, s5
	s_add_i32 s6, s4, 1
	s_cmp_ge_u32 s5, s26
	s_cselect_b32 s40, s6, s4
.LBB133_5:
	s_load_b128 s[4:7], s[0:1], 0x410
	v_cmp_lt_u64_e64 s9, s[34:35], s[2:3]
	s_mov_b64 s[16:17], 0
	s_delay_alu instid0(VALU_DEP_1)
	s_and_b32 vcc_lo, exec_lo, s9
	s_cbranch_vccnz .LBB133_7
; %bb.6:
	v_cvt_f32_u32_e32 v1, s2
	s_sub_i32 s12, 0, s2
	s_delay_alu instid0(VALU_DEP_1) | instskip(SKIP_2) | instid1(VALU_DEP_1)
	v_rcp_iflag_f32_e32 v1, v1
	s_waitcnt_depctr 0xfff
	v_mul_f32_e32 v1, 0x4f7ffffe, v1
	v_cvt_u32_f32_e32 v1, v1
	s_delay_alu instid0(VALU_DEP_1) | instskip(NEXT) | instid1(VALU_DEP_1)
	v_readfirstlane_b32 s9, v1
	s_mul_i32 s12, s12, s9
	s_delay_alu instid0(SALU_CYCLE_1) | instskip(NEXT) | instid1(SALU_CYCLE_1)
	s_mul_hi_u32 s12, s9, s12
	s_add_i32 s9, s9, s12
	s_delay_alu instid0(SALU_CYCLE_1) | instskip(NEXT) | instid1(SALU_CYCLE_1)
	s_mul_hi_u32 s9, s34, s9
	s_mul_i32 s12, s9, s2
	s_add_i32 s16, s9, 1
	s_sub_i32 s12, s34, s12
	s_delay_alu instid0(SALU_CYCLE_1)
	s_sub_i32 s17, s12, s2
	s_cmp_ge_u32 s12, s2
	s_cselect_b32 s9, s16, s9
	s_cselect_b32 s12, s17, s12
	s_add_i32 s16, s9, 1
	s_cmp_ge_u32 s12, s2
	s_cselect_b32 s16, s16, s9
.LBB133_7:
	s_clause 0x1
	s_load_b64 s[44:45], s[0:1], 0x1a0
	s_load_b64 s[50:51], s[0:1], 0x0
	s_mul_i32 s3, s16, s3
	s_mul_hi_u32 s9, s16, s2
	s_mul_i32 s2, s16, s2
	s_add_i32 s9, s9, s3
	s_sub_u32 s12, s34, s2
	v_dual_mov_b32 v1, 0 :: v_dual_mov_b32 v2, 0
	s_waitcnt lgkmcnt(0)
	s_mul_i32 s2, s12, s7
	s_mul_hi_u32 s3, s12, s6
	s_subb_u32 s7, 0, s9
	s_add_i32 s2, s3, s2
	s_mul_i32 s7, s7, s6
	s_mul_i32 s3, s16, s5
	s_mul_hi_u32 s9, s16, s4
	s_add_i32 s5, s2, s7
	s_add_i32 s3, s9, s3
	s_mul_i32 s2, s16, s4
	s_mul_i32 s4, s12, s6
	s_lshl_b64 s[2:3], s[2:3], 1
	v_mov_b32_e32 v3, 0
	s_add_u32 s6, s14, s2
	v_cmp_gt_u64_e64 s2, s[24:25], v[0:1]
	s_addc_u32 s3, s15, s3
	s_lshl_b64 s[4:5], s[4:5], 1
	s_delay_alu instid0(SALU_CYCLE_1) | instskip(SKIP_1) | instid1(VALU_DEP_1)
	s_add_u32 s33, s6, s4
	s_addc_u32 s35, s3, s5
	s_and_saveexec_b32 s4, s2
	s_cbranch_execz .LBB133_11
; %bb.8:
	s_load_b32 s3, s[10:11], 0xc
	v_dual_mov_b32 v2, 0 :: v_dual_mov_b32 v5, v1
	v_dual_mov_b32 v3, 0 :: v_dual_mov_b32 v4, v0
	s_mov_b32 s5, 0
	s_waitcnt lgkmcnt(0)
	s_and_b32 s6, s3, 0xffff
	.p2align	6
.LBB133_9:                              ; =>This Inner Loop Header: Depth=1
	v_mul_lo_u32 v8, v5, s42
	v_mul_lo_u32 v9, v4, s43
	v_mad_u64_u32 v[6:7], null, v4, s42, 0
	s_delay_alu instid0(VALU_DEP_1) | instskip(NEXT) | instid1(VALU_DEP_1)
	v_add3_u32 v7, v7, v9, v8
	v_lshlrev_b64 v[6:7], 1, v[6:7]
	s_delay_alu instid0(VALU_DEP_1) | instskip(NEXT) | instid1(VALU_DEP_2)
	v_add_co_u32 v6, vcc_lo, s33, v6
	v_add_co_ci_u32_e32 v7, vcc_lo, s35, v7, vcc_lo
	v_add_co_u32 v4, vcc_lo, v4, s6
	v_add_co_ci_u32_e32 v5, vcc_lo, 0, v5, vcc_lo
	global_load_u16 v6, v[6:7], off
	s_waitcnt vmcnt(0)
	v_cmp_u_f16_e32 vcc_lo, v6, v6
	v_cndmask_b32_e64 v6, 0, 1, vcc_lo
	v_cmp_le_u64_e32 vcc_lo, s[24:25], v[4:5]
	s_delay_alu instid0(VALU_DEP_2) | instskip(NEXT) | instid1(VALU_DEP_1)
	v_add_co_u32 v2, s3, v2, v6
	v_add_co_ci_u32_e64 v3, s3, 0, v3, s3
	s_or_b32 s5, vcc_lo, s5
	s_delay_alu instid0(SALU_CYCLE_1)
	s_and_not1_b32 exec_lo, exec_lo, s5
	s_cbranch_execnz .LBB133_9
; %bb.10:
	s_or_b32 exec_lo, exec_lo, s5
.LBB133_11:
	s_delay_alu instid0(SALU_CYCLE_1) | instskip(SKIP_4) | instid1(VALU_DEP_1)
	s_or_b32 exec_lo, exec_lo, s4
	s_clause 0x1
	s_load_b128 s[28:31], s[0:1], 0x270
	s_load_b128 s[36:39], s[0:1], 0xd0
	v_cmp_eq_u32_e64 s3, 0, v0
	s_and_saveexec_b32 s4, s3
	s_cbranch_execz .LBB133_13
; %bb.12:
	v_mov_b32_e32 v4, 0
	s_delay_alu instid0(VALU_DEP_1)
	v_mov_b32_e32 v5, v4
	ds_store_b64 v4, v[4:5] offset:5136
.LBB133_13:
	s_or_b32 exec_lo, exec_lo, s4
	s_mov_b64 s[4:5], 0
	s_mov_b32 s6, exec_lo
	s_waitcnt lgkmcnt(0)
	s_barrier
	buffer_gl0_inv
	v_cmpx_ne_u64_e32 0, v[2:3]
	s_cbranch_execz .LBB133_18
; %bb.14:
	s_mov_b32 s7, exec_lo
.LBB133_15:                             ; =>This Inner Loop Header: Depth=1
	s_delay_alu instid0(SALU_CYCLE_1) | instskip(NEXT) | instid1(SALU_CYCLE_1)
	s_ctz_i32_b32 s9, s7
	v_readlane_b32 s12, v2, s9
	v_readlane_b32 s14, v3, s9
	s_delay_alu instid0(VALU_DEP_2) | instskip(NEXT) | instid1(VALU_DEP_1)
	s_add_u32 s4, s4, s12
	s_addc_u32 s5, s5, s14
	s_lshl_b32 s9, 1, s9
	s_delay_alu instid0(SALU_CYCLE_1) | instskip(NEXT) | instid1(SALU_CYCLE_1)
	s_and_not1_b32 s7, s7, s9
	s_cmp_lg_u32 s7, 0
	s_cbranch_scc1 .LBB133_15
; %bb.16:
	v_mbcnt_lo_u32_b32 v2, exec_lo, 0
	s_mov_b32 s7, exec_lo
	s_delay_alu instid0(VALU_DEP_1)
	v_cmpx_eq_u32_e32 0, v2
	s_xor_b32 s7, exec_lo, s7
	s_cbranch_execz .LBB133_18
; %bb.17:
	v_mov_b32_e32 v2, s4
	v_dual_mov_b32 v4, 0 :: v_dual_mov_b32 v3, s5
	ds_add_u64 v4, v[2:3] offset:5136
.LBB133_18:
	s_or_b32 exec_lo, exec_lo, s6
	v_mov_b32_e32 v2, 0
	s_waitcnt lgkmcnt(0)
	s_barrier
	buffer_gl0_inv
	s_load_b32 s4, s[0:1], 0x4f8
	ds_load_b64 v[2:3], v2 offset:5136
	s_mov_b64 s[52:53], s[24:25]
	s_waitcnt lgkmcnt(0)
	s_bitcmp1_b32 s4, 0
	v_readfirstlane_b32 s0, v2
	v_readfirstlane_b32 s1, v3
	s_cselect_b32 s4, -1, 0
	s_delay_alu instid0(VALU_DEP_1) | instskip(NEXT) | instid1(VALU_DEP_1)
	v_cmp_lt_i64_e64 s5, s[0:1], 1
	s_or_b32 s4, s4, s5
	s_delay_alu instid0(SALU_CYCLE_1)
	s_and_not1_b32 vcc_lo, exec_lo, s4
	s_cbranch_vccnz .LBB133_20
; %bb.19:
	s_not_b64 s[0:1], s[0:1]
	s_delay_alu instid0(SALU_CYCLE_1) | instskip(SKIP_1) | instid1(SALU_CYCLE_1)
	s_add_u32 s0, s0, s24
	s_addc_u32 s1, s1, s25
	s_lshr_b64 s[0:1], s[0:1], 1
	s_delay_alu instid0(SALU_CYCLE_1)
	s_add_u32 s52, s0, 1
	s_addc_u32 s53, s1, 0
.LBB133_20:
	s_and_saveexec_b32 s0, s3
	s_cbranch_execz .LBB133_22
; %bb.21:
	v_dual_mov_b32 v2, 0 :: v_dual_mov_b32 v5, s25
	s_delay_alu instid0(VALU_DEP_1)
	v_dual_mov_b32 v4, s24 :: v_dual_mov_b32 v3, v2
	ds_store_b32 v2, v2 offset:5144
	ds_store_b128 v2, v[2:5] offset:5120
.LBB133_22:
	s_or_b32 exec_lo, exec_lo, s0
	v_mad_u64_u32 v[2:3], null, v0, s42, 0
	s_waitcnt lgkmcnt(0)
	s_barrier
	buffer_gl0_inv
	s_load_b32 s5, s[10:11], 0xc
	v_mbcnt_lo_u32_b32 v20, -1, 0
	v_cmp_gt_u32_e32 vcc_lo, 32, v0
	v_mad_u64_u32 v[4:5], null, v0, s43, v[3:4]
	v_dual_mov_b32 v28, 0 :: v_dual_lshlrev_b32 v21, 1, v0
	s_delay_alu instid0(VALU_DEP_4) | instskip(SKIP_2) | instid1(VALU_DEP_4)
	v_cmp_gt_i32_e64 s4, 4, v20
	v_dual_mov_b32 v13, 0 :: v_dual_lshlrev_b32 v10, 2, v0
	v_lshrrev_b32_e32 v5, 3, v0
	v_dual_mov_b32 v3, v4 :: v_dual_add_nc_u32 v22, 0xc00, v21
	s_delay_alu instid0(VALU_DEP_4) | instskip(SKIP_2) | instid1(VALU_DEP_3)
	s_and_b32 s70, vcc_lo, s4
	v_cmp_lt_u64_e64 s49, 0x600, s[24:25]
	v_cmp_gt_u32_e64 s0, 2, v0
	v_lshlrev_b64 v[2:3], 1, v[2:3]
	v_cmp_eq_u32_e64 s1, 0, v20
	v_mov_b32_e32 v11, v13
	v_and_b32_e32 v23, 0x7c, v5
	s_waitcnt lgkmcnt(0)
	s_and_b32 s41, s5, 0xffff
	s_bfe_u32 s4, s5, 0xb0005
	s_add_u32 s71, s41, -1
	s_addc_u32 s72, 0, -1
	s_add_u32 s73, s71, s24
	s_addc_u32 s57, s72, s25
	s_cmp_lt_u32 s13, s8
	v_add_co_u32 v14, vcc_lo, s33, v2
	s_cselect_b32 s6, 12, 18
	v_add_co_ci_u32_e32 v15, vcc_lo, s35, v3, vcc_lo
	v_lshlrev_b64 v[2:3], v20, -1
	s_add_u32 s58, s10, s6
	s_addc_u32 s59, s11, 0
	s_add_i32 s6, s4, -1
	s_bfe_u32 s74, s41, 0x30005
	s_cmp_gt_u32 s6, 6
	v_not_b32_e32 v24, v2
	s_cselect_b32 s75, -1, 0
	s_and_b32 s76, s4, 0x7f8
	v_cmp_gt_u16_e64 s77, s5, 31
	v_lshlrev_b32_e32 v25, 3, v0
	v_lshl_or_b32 v26, v20, 3, 0xc00
	v_mov_b32_e32 v27, 0x8000
	s_cmp_lg_u32 s74, 0
	s_mov_b32 s55, 0
	s_cselect_b32 s78, -1, 0
	s_lshl_b32 s79, s41, 1
	s_mov_b32 s85, 14
	s_movk_i32 s80, 0x3c00
	s_mov_b32 s81, 0
	s_mov_b32 s88, 0
	;; [unrolled: 1-line block ×4, first 2 shown]
                                        ; implicit-def: $sgpr82
                                        ; implicit-def: $sgpr84
                                        ; implicit-def: $sgpr83
                                        ; implicit-def: $sgpr87
                                        ; implicit-def: $sgpr89
                                        ; implicit-def: $sgpr86
	s_branch .LBB133_27
.LBB133_23:                             ;   in Loop: Header=BB133_27 Depth=1
	s_xor_b32 s88, s88, 1
	s_add_i32 s7, s85, -2
	s_cmp_eq_u32 s85, 0
	s_mov_b32 s5, 0
	s_cselect_b32 s6, -1, 0
	s_mov_b32 s85, s7
.LBB133_24:                             ;   in Loop: Header=BB133_27 Depth=1
	s_and_not1_b32 s7, s13, exec_lo
	s_and_b32 s5, s5, exec_lo
	s_and_not1_b32 s19, s19, exec_lo
	s_or_b32 s13, s7, s5
	s_and_not1_b32 s12, s12, exec_lo
	s_or_not1_b32 s15, s6, exec_lo
.LBB133_25:                             ;   in Loop: Header=BB133_27 Depth=1
	s_or_b32 exec_lo, exec_lo, s4
	s_delay_alu instid0(SALU_CYCLE_1)
	s_and_not1_b32 s4, s86, exec_lo
	s_and_b32 s5, s13, exec_lo
	s_and_not1_b32 s6, s87, exec_lo
	s_or_b32 s86, s4, s5
	s_and_not1_b32 s4, s89, exec_lo
	s_and_b32 s5, s19, exec_lo
	s_and_b32 s7, s12, exec_lo
	s_or_b32 s89, s4, s5
	s_or_b32 s87, s6, s7
	s_or_not1_b32 s19, s15, exec_lo
.LBB133_26:                             ;   in Loop: Header=BB133_27 Depth=1
	s_or_b32 exec_lo, exec_lo, s14
	s_delay_alu instid0(SALU_CYCLE_1)
	s_and_b32 s4, exec_lo, s19
	v_mov_b32_e32 v2, s90
	s_or_b32 s81, s4, s81
	s_and_not1_b32 s4, s83, exec_lo
	s_and_b32 s5, s86, exec_lo
	s_and_not1_b32 s6, s82, exec_lo
	s_or_b32 s83, s4, s5
	s_and_not1_b32 s4, s84, exec_lo
	s_and_b32 s5, s89, exec_lo
	s_and_b32 s7, s87, exec_lo
	s_or_b32 s84, s4, s5
	s_or_b32 s82, s6, s7
	s_and_not1_b32 exec_lo, exec_lo, s81
	s_cbranch_execz .LBB133_292
.LBB133_27:                             ; =>This Loop Header: Depth=1
                                        ;     Child Loop BB133_32 Depth 2
                                        ;     Child Loop BB133_50 Depth 2
	;; [unrolled: 1-line block ×16, first 2 shown]
	ds_load_b128 v[2:5], v13 offset:5120
	s_waitcnt lgkmcnt(0)
	v_readfirstlane_b32 s61, v3
	v_readfirstlane_b32 s60, v2
	s_delay_alu instid0(VALU_DEP_1)
	s_cmp_lg_u64 s[60:61], 0
	s_cbranch_scc1 .LBB133_57
; %bb.28:                               ;   in Loop: Header=BB133_27 Depth=1
	s_and_b32 vcc_lo, exec_lo, s49
	s_cbranch_vccz .LBB133_40
; %bb.29:                               ;   in Loop: Header=BB133_27 Depth=1
	v_cmp_gt_u64_e32 vcc_lo, 0x601, v[4:5]
	s_mov_b32 s6, 0
	s_mov_b32 s4, 0
	s_cbranch_vccz .LBB133_41
; %bb.30:                               ;   in Loop: Header=BB133_27 Depth=1
	global_load_u16 v2, v13, s[58:59]
	global_load_u16 v5, v[14:15], off
	s_mov_b32 s7, 0
	s_waitcnt vmcnt(1)
	v_dual_mov_b32 v3, v1 :: v_dual_and_b32 v4, 0xffff, v2
	v_mov_b32_e32 v2, v0
	s_branch .LBB133_32
.LBB133_31:                             ;   in Loop: Header=BB133_32 Depth=2
	s_or_b32 exec_lo, exec_lo, s5
	v_mov_b32_e32 v5, v6
	s_and_not1_b32 exec_lo, exec_lo, s7
	s_cbranch_execz .LBB133_42
.LBB133_32:                             ;   Parent Loop BB133_27 Depth=1
                                        ; =>  This Inner Loop Header: Depth=2
	s_delay_alu instid0(VALU_DEP_1) | instskip(NEXT) | instid1(VALU_DEP_3)
	v_add_co_u32 v2, vcc_lo, v2, v4
	v_add_co_ci_u32_e32 v3, vcc_lo, 0, v3, vcc_lo
	s_waitcnt lgkmcnt(0)
	v_dual_mov_b32 v7, 0 :: v_dual_mov_b32 v6, 0
	s_mov_b32 s5, exec_lo
	s_delay_alu instid0(VALU_DEP_2)
	v_cmp_le_u64_e32 vcc_lo, s[24:25], v[2:3]
	v_cmpx_gt_u64_e64 s[24:25], v[2:3]
	s_cbranch_execz .LBB133_34
; %bb.33:                               ;   in Loop: Header=BB133_32 Depth=2
	v_mul_lo_u32 v6, v3, s42
	v_mul_lo_u32 v12, v2, s43
	v_mad_u64_u32 v[8:9], null, v2, s42, 0
	s_delay_alu instid0(VALU_DEP_1) | instskip(NEXT) | instid1(VALU_DEP_1)
	v_add3_u32 v9, v9, v12, v6
	v_lshlrev_b64 v[8:9], 1, v[8:9]
	s_delay_alu instid0(VALU_DEP_1) | instskip(NEXT) | instid1(VALU_DEP_1)
	v_add_co_u32 v8, s4, s33, v8
	v_add_co_ci_u32_e64 v9, s4, s35, v9, s4
	global_load_u16 v6, v[8:9], off
.LBB133_34:                             ;   in Loop: Header=BB133_32 Depth=2
	s_or_b32 exec_lo, exec_lo, s5
	s_waitcnt vmcnt(0)
	v_cmp_lt_i16_e64 s4, -1, v5
	v_and_b32_e32 v8, 0xffff, v5
	s_delay_alu instid0(VALU_DEP_2) | instskip(SKIP_1) | instid1(VALU_DEP_2)
	v_cndmask_b32_e64 v9, 0xffff, v27, s4
	v_cmp_o_f16_e64 s4, v5, v5
	v_xor_b32_e32 v8, v9, v8
	s_delay_alu instid0(VALU_DEP_1) | instskip(NEXT) | instid1(VALU_DEP_1)
	v_cndmask_b32_e64 v8, 0xffff, v8, s4
	v_and_b32_e32 v8, s91, v8
	s_delay_alu instid0(VALU_DEP_1) | instskip(NEXT) | instid1(VALU_DEP_1)
	v_cmp_eq_u32_e64 s4, s90, v8
	s_cmp_lg_u32 s4, 0
	s_cselect_b32 s5, -1, 0
	s_delay_alu instid0(SALU_CYCLE_1) | instskip(NEXT) | instid1(SALU_CYCLE_1)
	s_and_b32 s5, s1, s5
	s_and_saveexec_b32 s8, s5
	s_cbranch_execz .LBB133_38
; %bb.35:                               ;   in Loop: Header=BB133_32 Depth=2
	s_mov_b32 s11, exec_lo
	s_bcnt1_i32_b32 s9, s4
	v_mbcnt_lo_u32_b32 v7, s11, 0
	s_mov_b32 s10, exec_lo
                                        ; implicit-def: $vgpr8
	s_delay_alu instid0(VALU_DEP_1)
	v_cmpx_eq_u32_e32 0, v7
	s_cbranch_execz .LBB133_37
; %bb.36:                               ;   in Loop: Header=BB133_32 Depth=2
	s_bcnt1_i32_b32 s5, s11
	s_delay_alu instid0(SALU_CYCLE_1) | instskip(NEXT) | instid1(SALU_CYCLE_1)
	s_mul_i32 s5, s9, s5
	v_mov_b32_e32 v8, s5
	ds_add_rtn_u32 v8, v13, v8 offset:5144
.LBB133_37:                             ;   in Loop: Header=BB133_32 Depth=2
	s_or_b32 exec_lo, exec_lo, s10
	s_waitcnt lgkmcnt(0)
	v_readfirstlane_b32 s5, v8
	s_delay_alu instid0(VALU_DEP_1)
	v_mad_u32_u24 v7, s9, v7, s5
.LBB133_38:                             ;   in Loop: Header=BB133_32 Depth=2
	s_or_b32 exec_lo, exec_lo, s8
	ds_bpermute_b32 v7, v13, v7
	s_and_b32 s5, exec_lo, vcc_lo
	s_delay_alu instid0(SALU_CYCLE_1)
	s_or_b32 s7, s5, s7
	s_and_saveexec_b32 s5, s4
	s_cbranch_execz .LBB133_31
; %bb.39:                               ;   in Loop: Header=BB133_32 Depth=2
	v_and_b32_e32 v8, s4, v24
	s_delay_alu instid0(VALU_DEP_1) | instskip(NEXT) | instid1(VALU_DEP_1)
	v_bcnt_u32_b32 v8, v8, 0
	v_lshlrev_b32_e32 v8, 1, v8
	s_waitcnt lgkmcnt(0)
	s_delay_alu instid0(VALU_DEP_1)
	v_lshl_add_u32 v7, v7, 1, v8
	ds_store_b16 v7, v5
	s_branch .LBB133_31
.LBB133_40:                             ;   in Loop: Header=BB133_27 Depth=1
	s_mov_b32 s4, 0
                                        ; implicit-def: $sgpr60_sgpr61
	s_cbranch_execnz .LBB133_45
	s_branch .LBB133_55
.LBB133_41:                             ;   in Loop: Header=BB133_27 Depth=1
	s_mov_b64 s[60:61], 0
	s_and_b32 vcc_lo, exec_lo, s6
	s_cbranch_vccnz .LBB133_45
	s_branch .LBB133_55
.LBB133_42:                             ;   in Loop: Header=BB133_27 Depth=1
	s_or_b32 exec_lo, exec_lo, s7
	s_waitcnt lgkmcnt(0)
	s_barrier
	buffer_gl0_inv
	s_and_saveexec_b32 s4, s3
	s_cbranch_execz .LBB133_44
; %bb.43:                               ;   in Loop: Header=BB133_27 Depth=1
	ds_load_b32 v2, v13 offset:5144
	s_waitcnt lgkmcnt(0)
	v_ashrrev_i32_e32 v3, 31, v2
	ds_store_b64 v13, v[2:3] offset:5120
.LBB133_44:                             ;   in Loop: Header=BB133_27 Depth=1
	s_or_b32 exec_lo, exec_lo, s4
	s_waitcnt lgkmcnt(0)
	s_mov_b32 s4, -1
	s_barrier
	s_mov_b64 s[60:61], 0
	s_and_b32 vcc_lo, exec_lo, s6
	s_cbranch_vccz .LBB133_55
.LBB133_45:                             ;   in Loop: Header=BB133_27 Depth=1
	v_mov_b32_e32 v4, 0
	s_and_saveexec_b32 s4, s2
	s_cbranch_execz .LBB133_47
; %bb.46:                               ;   in Loop: Header=BB133_27 Depth=1
	global_load_u16 v4, v[14:15], off
.LBB133_47:                             ;   in Loop: Header=BB133_27 Depth=1
	s_or_b32 exec_lo, exec_lo, s4
	s_and_saveexec_b32 s5, s2
	s_cbranch_execz .LBB133_52
; %bb.48:                               ;   in Loop: Header=BB133_27 Depth=1
	global_load_u16 v2, v13, s[58:59]
	s_mov_b32 s6, 0
	s_waitcnt vmcnt(0)
	v_dual_mov_b32 v6, v21 :: v_dual_and_b32 v5, 0xffff, v2
	v_dual_mov_b32 v3, v1 :: v_dual_mov_b32 v2, v0
	s_delay_alu instid0(VALU_DEP_2)
	v_lshlrev_b32_e32 v7, 1, v5
	s_set_inst_prefetch_distance 0x1
	s_branch .LBB133_50
	.p2align	6
.LBB133_49:                             ;   in Loop: Header=BB133_50 Depth=2
	s_or_b32 exec_lo, exec_lo, s7
	ds_store_b16 v6, v4
	v_add_nc_u32_e32 v6, v6, v7
	s_waitcnt vmcnt(0)
	v_mov_b32_e32 v4, v8
	s_and_b32 s4, exec_lo, vcc_lo
	s_delay_alu instid0(SALU_CYCLE_1) | instskip(NEXT) | instid1(SALU_CYCLE_1)
	s_or_b32 s6, s4, s6
	s_and_not1_b32 exec_lo, exec_lo, s6
	s_cbranch_execz .LBB133_52
.LBB133_50:                             ;   Parent Loop BB133_27 Depth=1
                                        ; =>  This Inner Loop Header: Depth=2
	s_delay_alu instid0(VALU_DEP_2) | instskip(SKIP_3) | instid1(VALU_DEP_2)
	v_add_co_u32 v2, vcc_lo, v2, v5
	v_add_co_ci_u32_e32 v3, vcc_lo, 0, v3, vcc_lo
	v_mov_b32_e32 v8, 0
	s_mov_b32 s7, exec_lo
	v_cmp_le_u64_e32 vcc_lo, s[24:25], v[2:3]
	v_cmpx_gt_u64_e64 s[24:25], v[2:3]
	s_cbranch_execz .LBB133_49
; %bb.51:                               ;   in Loop: Header=BB133_50 Depth=2
	v_mul_lo_u32 v12, v3, s42
	v_mul_lo_u32 v16, v2, s43
	v_mad_u64_u32 v[8:9], null, v2, s42, 0
	s_delay_alu instid0(VALU_DEP_1) | instskip(NEXT) | instid1(VALU_DEP_1)
	v_add3_u32 v9, v9, v16, v12
	v_lshlrev_b64 v[8:9], 1, v[8:9]
	s_delay_alu instid0(VALU_DEP_1) | instskip(NEXT) | instid1(VALU_DEP_1)
	v_add_co_u32 v8, s4, s33, v8
	v_add_co_ci_u32_e64 v9, s4, s35, v9, s4
	global_load_u16 v8, v[8:9], off
	s_branch .LBB133_49
.LBB133_52:                             ;   in Loop: Header=BB133_27 Depth=1
	s_set_inst_prefetch_distance 0x2
	s_or_b32 exec_lo, exec_lo, s5
	s_waitcnt vmcnt(0) lgkmcnt(0)
	s_barrier
	buffer_gl0_inv
	s_and_saveexec_b32 s4, s3
	s_cbranch_execz .LBB133_54
; %bb.53:                               ;   in Loop: Header=BB133_27 Depth=1
	v_dual_mov_b32 v2, s24 :: v_dual_mov_b32 v3, s25
	ds_store_b64 v13, v[2:3] offset:5120
.LBB133_54:                             ;   in Loop: Header=BB133_27 Depth=1
	s_or_b32 exec_lo, exec_lo, s4
	s_mov_b32 s4, -1
	s_waitcnt lgkmcnt(0)
	s_barrier
                                        ; implicit-def: $sgpr60_sgpr61
.LBB133_55:                             ;   in Loop: Header=BB133_27 Depth=1
	s_and_b32 vcc_lo, exec_lo, s4
	s_cbranch_vccz .LBB133_57
; %bb.56:                               ;   in Loop: Header=BB133_27 Depth=1
	buffer_gl0_inv
	ds_load_b64 v[2:3], v13 offset:5120
	s_waitcnt lgkmcnt(0)
	v_readfirstlane_b32 s60, v2
.LBB133_57:                             ;   in Loop: Header=BB133_27 Depth=1
	s_delay_alu instid0(VALU_DEP_1)
	s_cmp_lt_i32 s60, 1
	s_cbranch_scc0 .LBB133_72
; %bb.58:                               ;   in Loop: Header=BB133_27 Depth=1
	global_load_u16 v29, v13, s[58:59]
	s_mov_b32 s5, s25
	s_waitcnt vmcnt(0)
	v_readfirstlane_b32 s4, v29
	s_delay_alu instid0(VALU_DEP_1)
	s_and_b32 s6, 0xffff, s4
	s_mov_b32 s4, s55
	s_lshl_b32 s54, s6, 2
	s_cmp_lg_u64 s[4:5], 0
	s_cbranch_scc0 .LBB133_92
; %bb.59:                               ;   in Loop: Header=BB133_27 Depth=1
	v_cvt_f32_u32_e32 v2, s54
	s_sub_u32 s6, 0, s54
	s_subb_u32 s7, 0, 0
	s_delay_alu instid0(VALU_DEP_1) | instskip(NEXT) | instid1(VALU_DEP_1)
	v_fmac_f32_e64 v2, 0, 0x4f800000
	v_rcp_f32_e32 v2, v2
	s_waitcnt_depctr 0xfff
	v_mul_f32_e32 v2, 0x5f7ffffc, v2
	s_delay_alu instid0(VALU_DEP_1) | instskip(NEXT) | instid1(VALU_DEP_1)
	v_mul_f32_e32 v3, 0x2f800000, v2
	v_trunc_f32_e32 v3, v3
	s_delay_alu instid0(VALU_DEP_1) | instskip(SKIP_1) | instid1(VALU_DEP_2)
	v_fmac_f32_e32 v2, 0xcf800000, v3
	v_cvt_u32_f32_e32 v3, v3
	v_cvt_u32_f32_e32 v2, v2
	s_delay_alu instid0(VALU_DEP_2) | instskip(NEXT) | instid1(VALU_DEP_2)
	v_readfirstlane_b32 s4, v3
	v_readfirstlane_b32 s5, v2
	s_delay_alu instid0(VALU_DEP_2) | instskip(NEXT) | instid1(VALU_DEP_1)
	s_mul_i32 s8, s6, s4
	s_mul_hi_u32 s10, s6, s5
	s_mul_i32 s9, s7, s5
	s_add_i32 s8, s10, s8
	s_mul_i32 s11, s6, s5
	s_add_i32 s8, s8, s9
	s_mul_hi_u32 s10, s5, s11
	s_mul_hi_u32 s12, s4, s11
	s_mul_i32 s9, s4, s11
	s_mul_hi_u32 s11, s5, s8
	s_mul_i32 s5, s5, s8
	s_mul_hi_u32 s13, s4, s8
	s_add_u32 s5, s10, s5
	s_addc_u32 s10, 0, s11
	s_add_u32 s5, s5, s9
	s_mul_i32 s8, s4, s8
	s_addc_u32 s5, s10, s12
	s_addc_u32 s9, s13, 0
	s_add_u32 s5, s5, s8
	s_addc_u32 s8, 0, s9
	v_add_co_u32 v2, s5, v2, s5
	s_delay_alu instid0(VALU_DEP_1) | instskip(SKIP_1) | instid1(VALU_DEP_1)
	s_cmp_lg_u32 s5, 0
	s_addc_u32 s4, s4, s8
	v_readfirstlane_b32 s5, v2
	s_mul_i32 s8, s6, s4
	s_delay_alu instid0(VALU_DEP_1)
	s_mul_hi_u32 s9, s6, s5
	s_mul_i32 s7, s7, s5
	s_add_i32 s8, s9, s8
	s_mul_i32 s6, s6, s5
	s_add_i32 s8, s8, s7
	s_mul_hi_u32 s9, s4, s6
	s_mul_i32 s10, s4, s6
	s_mul_hi_u32 s6, s5, s6
	s_mul_hi_u32 s11, s5, s8
	s_mul_i32 s5, s5, s8
	s_mul_hi_u32 s7, s4, s8
	s_add_u32 s5, s6, s5
	s_addc_u32 s6, 0, s11
	s_add_u32 s5, s5, s10
	s_mul_i32 s8, s4, s8
	s_addc_u32 s5, s6, s9
	s_addc_u32 s6, s7, 0
	s_add_u32 s5, s5, s8
	s_addc_u32 s6, 0, s6
	v_add_co_u32 v2, s5, v2, s5
	s_delay_alu instid0(VALU_DEP_1) | instskip(SKIP_1) | instid1(VALU_DEP_1)
	s_cmp_lg_u32 s5, 0
	s_addc_u32 s4, s4, s6
	v_readfirstlane_b32 s5, v2
	s_mul_i32 s7, s24, s4
	s_mul_hi_u32 s6, s24, s4
	s_mul_hi_u32 s8, s25, s4
	s_mul_i32 s4, s25, s4
	s_mul_hi_u32 s9, s24, s5
	s_mul_hi_u32 s10, s25, s5
	s_mul_i32 s5, s25, s5
	s_add_u32 s7, s9, s7
	s_addc_u32 s6, 0, s6
	s_add_u32 s5, s7, s5
	s_addc_u32 s5, s6, s10
	s_addc_u32 s6, s8, 0
	s_add_u32 s4, s5, s4
	s_addc_u32 s5, 0, s6
	s_mul_hi_u32 s6, s54, s4
	s_mul_i32 s4, s54, s4
	s_mul_i32 s5, s54, s5
	v_sub_co_u32 v2, s4, s24, s4
	s_add_i32 s6, s6, s5
	s_cmp_lg_u32 s4, 0
	s_delay_alu instid0(VALU_DEP_1) | instskip(SKIP_2) | instid1(VALU_DEP_1)
	v_sub_co_u32 v3, s4, v2, s54
	s_subb_u32 s5, s25, s6
	s_cmp_lg_u32 s4, 0
	v_cmp_le_u32_e32 vcc_lo, s54, v3
	v_sub_co_u32 v4, s4, v3, s54
	s_subb_u32 s6, s5, 0
	s_cmp_lg_u32 s4, 0
	v_cndmask_b32_e64 v5, 0, -1, vcc_lo
	s_subb_u32 s4, s6, 0
	s_cmp_eq_u32 s6, 0
	v_mov_b32_e32 v7, s4
	s_cselect_b32 vcc_lo, -1, 0
	s_cmp_eq_u32 s5, 0
	v_cndmask_b32_e32 v5, -1, v5, vcc_lo
	v_cmp_le_u32_e32 vcc_lo, s54, v2
	s_cselect_b32 s4, -1, 0
	v_cndmask_b32_e64 v6, 0, -1, vcc_lo
	s_delay_alu instid0(VALU_DEP_3) | instskip(NEXT) | instid1(VALU_DEP_2)
	v_cmp_ne_u32_e32 vcc_lo, 0, v5
	v_cndmask_b32_e64 v5, -1, v6, s4
	v_cndmask_b32_e32 v6, s6, v7, vcc_lo
	v_cndmask_b32_e32 v4, v3, v4, vcc_lo
	s_delay_alu instid0(VALU_DEP_3) | instskip(NEXT) | instid1(VALU_DEP_3)
	v_cmp_ne_u32_e32 vcc_lo, 0, v5
	v_cndmask_b32_e32 v3, s5, v6, vcc_lo
	s_delay_alu instid0(VALU_DEP_3)
	v_cndmask_b32_e32 v2, v2, v4, vcc_lo
	s_cbranch_execnz .LBB133_61
.LBB133_60:                             ;   in Loop: Header=BB133_27 Depth=1
	v_cvt_f32_u32_e32 v2, s54
	s_sub_i32 s4, 0, s54
	s_delay_alu instid0(VALU_DEP_1) | instskip(SKIP_2) | instid1(VALU_DEP_1)
	v_rcp_iflag_f32_e32 v2, v2
	s_waitcnt_depctr 0xfff
	v_mul_f32_e32 v2, 0x4f7ffffe, v2
	v_cvt_u32_f32_e32 v2, v2
	s_delay_alu instid0(VALU_DEP_1) | instskip(NEXT) | instid1(VALU_DEP_1)
	v_mul_lo_u32 v3, s4, v2
	v_mul_hi_u32 v3, v2, v3
	s_delay_alu instid0(VALU_DEP_1) | instskip(NEXT) | instid1(VALU_DEP_1)
	v_add_nc_u32_e32 v2, v2, v3
	v_mul_hi_u32 v2, s24, v2
	s_delay_alu instid0(VALU_DEP_1) | instskip(NEXT) | instid1(VALU_DEP_1)
	v_mul_lo_u32 v2, v2, s54
	v_sub_nc_u32_e32 v2, s24, v2
	s_delay_alu instid0(VALU_DEP_1) | instskip(SKIP_1) | instid1(VALU_DEP_2)
	v_subrev_nc_u32_e32 v3, s54, v2
	v_cmp_le_u32_e32 vcc_lo, s54, v2
	v_cndmask_b32_e32 v2, v2, v3, vcc_lo
	s_delay_alu instid0(VALU_DEP_1) | instskip(SKIP_1) | instid1(VALU_DEP_2)
	v_subrev_nc_u32_e32 v3, s54, v2
	v_cmp_le_u32_e32 vcc_lo, s54, v2
	v_cndmask_b32_e32 v12, v2, v3, vcc_lo
	s_delay_alu instid0(VALU_DEP_1)
	v_dual_mov_b32 v2, v12 :: v_dual_mov_b32 v3, v13
.LBB133_61:                             ;   in Loop: Header=BB133_27 Depth=1
	s_delay_alu instid0(VALU_DEP_1) | instskip(NEXT) | instid1(VALU_DEP_2)
	v_sub_co_u32 v16, vcc_lo, s24, v2
	v_sub_co_ci_u32_e32 v17, vcc_lo, s25, v3, vcc_lo
	v_mov_b32_e32 v2, 0
	v_mov_b32_e32 v3, 0
	s_mov_b64 s[22:23], 0
	s_mov_b32 s56, exec_lo
	s_delay_alu instid0(VALU_DEP_1)
	v_dual_mov_b32 v5, v3 :: v_dual_mov_b32 v4, v2
	v_dual_mov_b32 v7, v3 :: v_dual_mov_b32 v6, v2
	;; [unrolled: 1-line block ×3, first 2 shown]
	v_cmpx_gt_u64_e64 v[16:17], v[10:11]
	s_cbranch_execz .LBB133_65
; %bb.62:                               ;   in Loop: Header=BB133_27 Depth=1
	v_dual_mov_b32 v19, v11 :: v_dual_mov_b32 v18, v10
	s_and_b32 s68, s85, 0xfe
	s_mov_b32 s61, 0
	s_mov_b64 s[62:63], 0
	s_mov_b64 s[64:65], 0
	;; [unrolled: 1-line block ×3, first 2 shown]
.LBB133_63:                             ;   Parent Loop BB133_27 Depth=1
                                        ; =>  This Inner Loop Header: Depth=2
	v_mul_lo_u32 v4, v19, s42
	v_mul_lo_u32 v5, v18, s43
	v_mad_u64_u32 v[2:3], null, v18, s42, 0
	s_lshl_b64 s[4:5], s[42:43], 1
	s_delay_alu instid0(VALU_DEP_1) | instskip(NEXT) | instid1(VALU_DEP_1)
	v_add3_u32 v3, v3, v5, v4
	v_lshlrev_b64 v[2:3], 1, v[2:3]
	s_delay_alu instid0(VALU_DEP_1) | instskip(NEXT) | instid1(VALU_DEP_2)
	v_add_co_u32 v2, vcc_lo, s33, v2
	v_add_co_ci_u32_e32 v3, vcc_lo, s35, v3, vcc_lo
	s_delay_alu instid0(VALU_DEP_2) | instskip(NEXT) | instid1(VALU_DEP_2)
	v_add_co_u32 v4, vcc_lo, v2, s4
	v_add_co_ci_u32_e32 v5, vcc_lo, s5, v3, vcc_lo
	s_clause 0x1
	global_load_u16 v6, v[2:3], off
	global_load_u16 v7, v[4:5], off
	v_add_co_u32 v2, vcc_lo, v4, s4
	v_add_co_ci_u32_e32 v3, vcc_lo, s5, v5, vcc_lo
	global_load_u16 v4, v[2:3], off
	v_add_co_u32 v2, vcc_lo, v2, s4
	v_add_co_ci_u32_e32 v3, vcc_lo, s5, v3, vcc_lo
	v_add_co_u32 v18, vcc_lo, v18, s54
	v_add_co_ci_u32_e32 v19, vcc_lo, 0, v19, vcc_lo
	global_load_u16 v2, v[2:3], off
	v_cmp_ge_u64_e32 vcc_lo, v[18:19], v[16:17]
	s_waitcnt vmcnt(3)
	v_cmp_lt_i16_e64 s4, -1, v6
	v_and_b32_e32 v3, 0xffff, v6
	s_waitcnt vmcnt(2)
	v_and_b32_e32 v8, 0xffff, v7
	s_delay_alu instid0(VALU_DEP_3) | instskip(SKIP_3) | instid1(VALU_DEP_3)
	v_cndmask_b32_e64 v5, 0xffff, v27, s4
	v_cmp_lt_i16_e64 s4, -1, v7
	s_waitcnt vmcnt(1)
	v_cmp_lt_i16_e64 s5, -1, v4
	v_xor_b32_e32 v3, v5, v3
	s_delay_alu instid0(VALU_DEP_3) | instskip(SKIP_2) | instid1(VALU_DEP_3)
	v_cndmask_b32_e64 v9, 0xffff, v27, s4
	v_cmp_o_f16_e64 s4, v6, v6
	v_and_b32_e32 v6, 0xffff, v4
	v_xor_b32_e32 v5, v9, v8
	s_delay_alu instid0(VALU_DEP_3)
	v_cndmask_b32_e64 v3, 0xffff, v3, s4
	v_cmp_o_f16_e64 s4, v7, v7
	v_cndmask_b32_e64 v8, 0xffff, v27, s5
	s_waitcnt vmcnt(0)
	v_and_b32_e32 v7, 0xffff, v2
	v_cmp_o_f16_e64 s9, v2, v2
	v_and_b32_e32 v9, s91, v3
	v_cndmask_b32_e64 v5, 0xffff, v5, s4
	v_cmp_lt_i16_e64 s4, -1, v2
	v_xor_b32_e32 v6, v8, v6
	v_bfe_u32 v3, v3, s68, 2
	s_delay_alu instid0(VALU_DEP_3) | instskip(SKIP_1) | instid1(VALU_DEP_3)
	v_cndmask_b32_e64 v8, 0xffff, v27, s4
	v_cmp_o_f16_e64 s4, v4, v4
	v_cmp_eq_u32_e64 s5, 0, v3
	v_cmp_eq_u32_e64 s6, 1, v3
	;; [unrolled: 1-line block ×4, first 2 shown]
	v_cndmask_b32_e64 v4, 0xffff, v6, s4
	v_xor_b32_e32 v6, v8, v7
	v_cmp_eq_u32_e64 s4, s90, v9
	v_and_b32_e32 v7, s91, v5
	v_bfe_u32 v5, v5, s68, 2
	v_and_b32_e32 v3, s91, v4
	v_cndmask_b32_e64 v2, 0xffff, v6, s9
	v_bfe_u32 v4, v4, s68, 2
	v_cmp_eq_u32_e64 s9, s90, v7
	v_cmp_eq_u32_e64 s10, 0, v5
	s_and_b32 s5, s4, s5
	v_cmp_eq_u32_e64 s13, s90, v3
	v_cndmask_b32_e64 v6, 0, 1, s5
	v_and_b32_e32 v3, s91, v2
	v_bfe_u32 v2, v2, s68, 2
	v_cmp_eq_u32_e64 s14, 0, v4
	s_and_b32 s10, s9, s10
	v_cmp_eq_u32_e64 s5, 1, v5
	v_cmp_eq_u32_e64 s11, 2, v5
	v_cmp_eq_u32_e64 s12, 3, v5
	v_cmp_ne_u32_e64 s15, 0, v6
	v_cndmask_b32_e64 v5, 0, 1, s10
	v_cmp_eq_u32_e64 s18, s90, v3
	v_cmp_eq_u32_e64 s19, 0, v2
	s_and_b32 s14, s13, s14
	s_bcnt1_i32_b32 s69, s15
	v_cmp_ne_u32_e64 s15, 0, v5
	v_cndmask_b32_e64 v3, 0, 1, s14
	s_and_b32 s19, s18, s19
	v_cmp_eq_u32_e64 s14, 1, v2
	v_cmp_eq_u32_e64 s20, 2, v2
	;; [unrolled: 1-line block ×3, first 2 shown]
	v_cndmask_b32_e64 v2, 0, 1, s19
	s_bcnt1_i32_b32 s19, s15
	v_cmp_ne_u32_e64 s15, 0, v3
	s_add_i32 s69, s19, s69
	v_cmp_eq_u32_e64 s10, 1, v4
	v_cmp_ne_u32_e64 s19, 0, v2
	v_cmp_eq_u32_e64 s16, 2, v4
	s_bcnt1_i32_b32 s15, s15
	v_cmp_eq_u32_e64 s17, 3, v4
	s_add_i32 s15, s69, s15
	s_bcnt1_i32_b32 s19, s19
	s_delay_alu instid0(SALU_CYCLE_1) | instskip(NEXT) | instid1(SALU_CYCLE_1)
	s_add_i32 s15, s15, s19
	s_add_u32 s66, s66, s15
	s_addc_u32 s67, s67, 0
	s_and_b32 s6, s4, s6
	s_and_b32 s5, s9, s5
	v_cndmask_b32_e64 v2, 0, 1, s6
	v_cndmask_b32_e64 v3, 0, 1, s5
	s_and_b32 s5, s13, s10
	s_delay_alu instid0(SALU_CYCLE_1) | instskip(SKIP_1) | instid1(VALU_DEP_2)
	v_cndmask_b32_e64 v4, 0, 1, s5
	s_and_b32 s5, s18, s14
	v_cmp_ne_u32_e64 s6, 0, v3
	v_cndmask_b32_e64 v5, 0, 1, s5
	v_cmp_ne_u32_e64 s5, 0, v2
	v_cmp_ne_u32_e64 s10, 0, v4
	s_delay_alu instid0(VALU_DEP_4) | instskip(NEXT) | instid1(VALU_DEP_3)
	s_bcnt1_i32_b32 s6, s6
	v_cmp_ne_u32_e64 s14, 0, v5
	s_delay_alu instid0(VALU_DEP_3) | instskip(NEXT) | instid1(VALU_DEP_2)
	s_bcnt1_i32_b32 s5, s5
	s_bcnt1_i32_b32 s10, s10
	s_add_i32 s5, s6, s5
	s_delay_alu instid0(VALU_DEP_1) | instskip(SKIP_1) | instid1(SALU_CYCLE_1)
	s_bcnt1_i32_b32 s14, s14
	s_add_i32 s5, s5, s10
	s_add_i32 s5, s5, s14
	s_delay_alu instid0(SALU_CYCLE_1) | instskip(SKIP_2) | instid1(SALU_CYCLE_1)
	s_add_u32 s64, s64, s5
	s_addc_u32 s65, s65, 0
	s_and_b32 s5, s4, s7
	v_cndmask_b32_e64 v2, 0, 1, s5
	s_and_b32 s5, s9, s11
	s_delay_alu instid0(SALU_CYCLE_1) | instskip(SKIP_1) | instid1(SALU_CYCLE_1)
	v_cndmask_b32_e64 v3, 0, 1, s5
	s_and_b32 s5, s13, s16
	v_cndmask_b32_e64 v4, 0, 1, s5
	s_and_b32 s5, s18, s20
	s_delay_alu instid0(VALU_DEP_2) | instskip(SKIP_3) | instid1(VALU_DEP_4)
	v_cmp_ne_u32_e64 s6, 0, v3
	v_cndmask_b32_e64 v5, 0, 1, s5
	v_cmp_ne_u32_e64 s5, 0, v2
	v_cmp_ne_u32_e64 s7, 0, v4
	s_bcnt1_i32_b32 s6, s6
	s_delay_alu instid0(VALU_DEP_3) | instskip(NEXT) | instid1(VALU_DEP_3)
	v_cmp_ne_u32_e64 s10, 0, v5
	s_bcnt1_i32_b32 s5, s5
	s_delay_alu instid0(VALU_DEP_2) | instskip(SKIP_1) | instid1(VALU_DEP_1)
	s_bcnt1_i32_b32 s7, s7
	s_add_i32 s5, s6, s5
	s_bcnt1_i32_b32 s10, s10
	s_add_i32 s5, s5, s7
	s_delay_alu instid0(SALU_CYCLE_1) | instskip(NEXT) | instid1(SALU_CYCLE_1)
	s_add_i32 s5, s5, s10
	s_add_u32 s62, s62, s5
	s_addc_u32 s63, s63, 0
	s_and_b32 s4, s4, s8
	v_mov_b32_e32 v6, s62
	v_cndmask_b32_e64 v2, 0, 1, s4
	s_and_b32 s4, s9, s12
	v_mov_b32_e32 v7, s63
	v_cndmask_b32_e64 v3, 0, 1, s4
	s_and_b32 s4, s13, s17
	s_delay_alu instid0(SALU_CYCLE_1) | instskip(SKIP_1) | instid1(VALU_DEP_2)
	v_cndmask_b32_e64 v4, 0, 1, s4
	s_and_b32 s4, s18, s21
	v_cmp_ne_u32_e64 s5, 0, v3
	v_cndmask_b32_e64 v5, 0, 1, s4
	v_cmp_ne_u32_e64 s4, 0, v2
	v_cmp_ne_u32_e64 s6, 0, v4
	v_mov_b32_e32 v2, s66
	s_bcnt1_i32_b32 s5, s5
	v_cmp_ne_u32_e64 s7, 0, v5
	s_bcnt1_i32_b32 s4, s4
	s_bcnt1_i32_b32 s6, s6
	s_add_i32 s4, s5, s4
	v_mov_b32_e32 v4, s64
	s_bcnt1_i32_b32 s5, s7
	s_add_i32 s4, s4, s6
	v_mov_b32_e32 v3, s67
	s_add_i32 s4, s4, s5
	v_mov_b32_e32 v5, s65
	s_add_u32 s22, s22, s4
	s_addc_u32 s23, s23, 0
	s_delay_alu instid0(SALU_CYCLE_1) | instskip(SKIP_1) | instid1(SALU_CYCLE_1)
	v_dual_mov_b32 v8, s22 :: v_dual_mov_b32 v9, s23
	s_or_b32 s61, vcc_lo, s61
	s_and_not1_b32 exec_lo, exec_lo, s61
	s_cbranch_execnz .LBB133_63
; %bb.64:                               ;   in Loop: Header=BB133_27 Depth=1
	s_or_b32 exec_lo, exec_lo, s61
.LBB133_65:                             ;   in Loop: Header=BB133_27 Depth=1
	s_delay_alu instid0(SALU_CYCLE_1) | instskip(SKIP_3) | instid1(VALU_DEP_2)
	s_or_b32 exec_lo, exec_lo, s56
	v_add_co_u32 v16, vcc_lo, v16, v0
	v_add_co_ci_u32_e32 v17, vcc_lo, 0, v17, vcc_lo
	v_dual_mov_b32 v19, 0 :: v_dual_and_b32 v12, 0xffff, v29
	v_cmp_gt_u64_e32 vcc_lo, s[24:25], v[16:17]
	s_and_saveexec_b32 s5, vcc_lo
	s_cbranch_execz .LBB133_67
; %bb.66:                               ;   in Loop: Header=BB133_27 Depth=1
	v_mul_lo_u32 v29, v17, s42
	v_mul_lo_u32 v30, v16, s43
	v_mad_u64_u32 v[18:19], null, v16, s42, 0
	s_delay_alu instid0(VALU_DEP_1) | instskip(NEXT) | instid1(VALU_DEP_1)
	v_add3_u32 v19, v19, v30, v29
	v_lshlrev_b64 v[18:19], 1, v[18:19]
	s_delay_alu instid0(VALU_DEP_1) | instskip(NEXT) | instid1(VALU_DEP_1)
	v_add_co_u32 v18, s4, s33, v18
	v_add_co_ci_u32_e64 v19, s4, s35, v19, s4
	global_load_u16 v19, v[18:19], off
.LBB133_67:                             ;   in Loop: Header=BB133_27 Depth=1
	s_or_b32 exec_lo, exec_lo, s5
	s_and_saveexec_b32 s8, vcc_lo
	s_cbranch_execz .LBB133_74
; %bb.68:                               ;   in Loop: Header=BB133_27 Depth=1
	s_and_b32 s10, s85, 0xfe
	s_mov_b32 s9, 0
	s_branch .LBB133_70
.LBB133_69:                             ;   in Loop: Header=BB133_70 Depth=2
	s_or_b32 exec_lo, exec_lo, s5
	s_waitcnt vmcnt(0)
	v_cmp_lt_i16_e64 s4, -1, v19
	v_and_b32_e32 v29, 0xffff, v19
	s_and_b32 s5, exec_lo, vcc_lo
	s_delay_alu instid0(SALU_CYCLE_1) | instskip(NEXT) | instid1(VALU_DEP_2)
	s_or_b32 s9, s5, s9
	v_cndmask_b32_e64 v30, 0xffff, v27, s4
	v_cmp_o_f16_e64 s4, v19, v19
	s_delay_alu instid0(VALU_DEP_2) | instskip(NEXT) | instid1(VALU_DEP_1)
	v_xor_b32_e32 v29, v30, v29
	v_cndmask_b32_e64 v19, 0xffff, v29, s4
	s_delay_alu instid0(VALU_DEP_1) | instskip(SKIP_1) | instid1(VALU_DEP_2)
	v_and_b32_e32 v29, s91, v19
	v_bfe_u32 v19, v19, s10, 2
	v_cmp_eq_u32_e32 vcc_lo, s90, v29
	s_delay_alu instid0(VALU_DEP_2) | instskip(SKIP_3) | instid1(VALU_DEP_4)
	v_cmp_eq_u32_e64 s4, 0, v19
	v_cmp_eq_u32_e64 s5, 1, v19
	v_cmp_eq_u32_e64 s6, 2, v19
	v_cmp_eq_u32_e64 s7, 3, v19
	s_and_b32 s4, vcc_lo, s4
	s_delay_alu instid0(SALU_CYCLE_1) | instskip(SKIP_1) | instid1(SALU_CYCLE_1)
	v_cndmask_b32_e64 v19, 0, 1, s4
	s_and_b32 s4, vcc_lo, s5
	v_cndmask_b32_e64 v29, 0, 1, s4
	s_and_b32 s4, vcc_lo, s6
	s_delay_alu instid0(SALU_CYCLE_1)
	v_cndmask_b32_e64 v30, 0, 1, s4
	s_and_b32 s4, vcc_lo, s7
	v_cmp_ne_u32_e32 vcc_lo, 0, v19
	v_cndmask_b32_e64 v31, 0, 1, s4
	v_cmp_ne_u32_e64 s4, 0, v29
	v_cmp_ne_u32_e64 s5, 0, v30
	v_mov_b32_e32 v19, v18
	s_bcnt1_i32_b32 s7, vcc_lo
	v_cmp_ne_u32_e64 s6, 0, v31
	v_add_co_u32 v2, vcc_lo, v2, s7
	s_bcnt1_i32_b32 s4, s4
	v_add_co_ci_u32_e32 v3, vcc_lo, 0, v3, vcc_lo
	v_add_co_u32 v4, vcc_lo, v4, s4
	s_bcnt1_i32_b32 s5, s5
	v_add_co_ci_u32_e32 v5, vcc_lo, 0, v5, vcc_lo
	;; [unrolled: 3-line block ×3, first 2 shown]
	v_add_co_u32 v8, vcc_lo, v8, s4
	v_add_co_ci_u32_e32 v9, vcc_lo, 0, v9, vcc_lo
	s_and_not1_b32 exec_lo, exec_lo, s9
	s_cbranch_execz .LBB133_73
.LBB133_70:                             ;   Parent Loop BB133_27 Depth=1
                                        ; =>  This Inner Loop Header: Depth=2
	v_add_co_u32 v16, vcc_lo, v16, v12
	v_add_co_ci_u32_e32 v17, vcc_lo, 0, v17, vcc_lo
	v_mov_b32_e32 v18, 0
	s_mov_b32 s5, exec_lo
	s_delay_alu instid0(VALU_DEP_2)
	v_cmp_le_u64_e32 vcc_lo, s[24:25], v[16:17]
	v_cmpx_gt_u64_e64 s[24:25], v[16:17]
	s_cbranch_execz .LBB133_69
; %bb.71:                               ;   in Loop: Header=BB133_70 Depth=2
	v_mul_lo_u32 v18, v17, s42
	v_mul_lo_u32 v31, v16, s43
	v_mad_u64_u32 v[29:30], null, v16, s42, 0
	s_delay_alu instid0(VALU_DEP_1) | instskip(NEXT) | instid1(VALU_DEP_1)
	v_add3_u32 v30, v30, v31, v18
	v_lshlrev_b64 v[29:30], 1, v[29:30]
	s_delay_alu instid0(VALU_DEP_1) | instskip(NEXT) | instid1(VALU_DEP_1)
	v_add_co_u32 v29, s4, s33, v29
	v_add_co_ci_u32_e64 v30, s4, s35, v30, s4
	global_load_u16 v18, v[29:30], off
	s_branch .LBB133_69
.LBB133_72:                             ;   in Loop: Header=BB133_27 Depth=1
                                        ; implicit-def: $vgpr8_vgpr9
                                        ; implicit-def: $vgpr4_vgpr5
	s_cbranch_execnz .LBB133_75
	s_branch .LBB133_84
.LBB133_73:                             ;   in Loop: Header=BB133_27 Depth=1
	s_or_b32 exec_lo, exec_lo, s9
.LBB133_74:                             ;   in Loop: Header=BB133_27 Depth=1
	s_delay_alu instid0(SALU_CYCLE_1)
	s_or_b32 exec_lo, exec_lo, s8
	s_branch .LBB133_84
.LBB133_75:                             ;   in Loop: Header=BB133_27 Depth=1
	global_load_u16 v8, v13, s[58:59]
	s_mov_b64 s[62:63], 0
	s_mov_b32 s61, exec_lo
	s_waitcnt vmcnt(0)
	v_readfirstlane_b32 s4, v8
	v_and_b32_e32 v18, 0xffff, v8
	s_delay_alu instid0(VALU_DEP_2) | instskip(NEXT) | instid1(SALU_CYCLE_1)
	s_and_b32 s4, 0xffff, s4
	s_lshl_b32 s56, s4, 2
	s_delay_alu instid0(SALU_CYCLE_1) | instskip(SKIP_1) | instid1(VALU_DEP_1)
	v_cvt_f32_u32_e32 v2, s56
	s_sub_i32 s5, 0, s56
	v_rcp_iflag_f32_e32 v2, v2
	s_waitcnt_depctr 0xfff
	v_mul_f32_e32 v2, 0x4f7ffffe, v2
	s_delay_alu instid0(VALU_DEP_1) | instskip(NEXT) | instid1(VALU_DEP_1)
	v_cvt_u32_f32_e32 v2, v2
	v_readfirstlane_b32 s4, v2
	v_mov_b32_e32 v2, 0
	v_mov_b32_e32 v3, 0
	s_delay_alu instid0(VALU_DEP_3) | instskip(NEXT) | instid1(VALU_DEP_1)
	s_mul_i32 s5, s5, s4
	v_dual_mov_b32 v5, v3 :: v_dual_mov_b32 v4, v2
	s_mul_hi_u32 s5, s4, s5
	v_dual_mov_b32 v7, v3 :: v_dual_mov_b32 v6, v2
	s_add_i32 s4, s4, s5
	v_dual_mov_b32 v9, v3 :: v_dual_mov_b32 v8, v2
	s_mul_hi_u32 s4, s60, s4
	s_delay_alu instid0(SALU_CYCLE_1) | instskip(NEXT) | instid1(SALU_CYCLE_1)
	s_mul_i32 s4, s4, s56
	s_sub_i32 s4, s60, s4
	s_delay_alu instid0(SALU_CYCLE_1) | instskip(SKIP_2) | instid1(SALU_CYCLE_1)
	s_sub_i32 s5, s4, s56
	s_cmp_ge_u32 s4, s56
	s_cselect_b32 s4, s5, s4
	s_sub_i32 s5, s4, s56
	s_cmp_ge_u32 s4, s56
	s_cselect_b32 s4, s5, s4
	s_delay_alu instid0(SALU_CYCLE_1) | instskip(NEXT) | instid1(SALU_CYCLE_1)
	s_sub_i32 s54, s60, s4
	v_cmpx_gt_u32_e64 s54, v10
	s_cbranch_execz .LBB133_79
; %bb.76:                               ;   in Loop: Header=BB133_27 Depth=1
	v_dual_mov_b32 v19, v25 :: v_dual_lshlrev_b32 v12, 3, v18
	v_dual_mov_b32 v17, v11 :: v_dual_mov_b32 v16, v10
	s_and_b32 s92, s85, 0xfe
	s_mov_b32 s93, 0
	s_mov_b64 s[64:65], 0
	s_mov_b64 s[66:67], 0
	s_mov_b64 s[68:69], 0
.LBB133_77:                             ;   Parent Loop BB133_27 Depth=1
                                        ; =>  This Inner Loop Header: Depth=2
	ds_load_b64 v[2:3], v19
	v_add_co_u32 v16, vcc_lo, v16, s56
	v_add_co_ci_u32_e32 v17, vcc_lo, 0, v17, vcc_lo
	s_delay_alu instid0(VALU_DEP_1)
	v_cmp_le_u64_e32 vcc_lo, s[54:55], v[16:17]
	s_waitcnt lgkmcnt(0)
	v_cmp_lt_i16_e64 s4, -1, v2
	v_lshrrev_b32_e32 v4, 16, v2
	v_lshrrev_b32_e32 v9, 16, v3
	v_and_b32_e32 v5, 0xffff, v2
	v_and_b32_e32 v7, 0xffff, v3
	v_cndmask_b32_e64 v6, 0xffff, v27, s4
	v_cmp_lt_i16_e64 s4, -1, v3
	v_cmp_lt_i16_e64 s5, -1, v9
	s_delay_alu instid0(VALU_DEP_3) | instskip(NEXT) | instid1(VALU_DEP_3)
	v_xor_b32_e32 v5, v6, v5
	v_cndmask_b32_e64 v8, 0xffff, v27, s4
	v_cmp_lt_i16_e64 s4, -1, v4
	s_delay_alu instid0(VALU_DEP_2) | instskip(NEXT) | instid1(VALU_DEP_2)
	v_xor_b32_e32 v7, v8, v7
	v_cndmask_b32_e64 v6, 0xffff, v27, s4
	v_cmp_o_f16_e64 s4, v3, v3
	v_cndmask_b32_e64 v3, 0xffff, v27, s5
	v_cmp_o_f16_e64 s5, v2, v2
	s_delay_alu instid0(VALU_DEP_2) | instskip(NEXT) | instid1(VALU_DEP_2)
	v_xor_b32_e32 v3, v3, v9
	v_cndmask_b32_e64 v2, 0xffff, v5, s5
	v_xor_b32_e32 v5, v6, v4
	v_cmp_o_f16_e64 s5, v4, v4
	v_cndmask_b32_e64 v6, 0xffff, v7, s4
	v_cmp_o_f16_e64 s4, v9, v9
	s_delay_alu instid0(VALU_DEP_3) | instskip(SKIP_1) | instid1(VALU_DEP_3)
	v_cndmask_b32_e64 v4, 0xffff, v5, s5
	v_and_b32_e32 v5, s91, v2
	v_cndmask_b32_e64 v3, 0xffff, v3, s4
	v_and_b32_e32 v7, s91, v6
	v_bfe_u32 v2, v2, s92, 2
	v_bfe_u32 v6, v6, s92, 2
	v_cmp_eq_u32_e64 s4, s90, v5
	v_and_b32_e32 v5, s91, v4
	v_bfe_u32 v4, v4, s92, 2
	v_cmp_eq_u32_e64 s5, s90, v7
	v_and_b32_e32 v7, s91, v3
	v_bfe_u32 v3, v3, s92, 2
	v_cmp_eq_u32_e64 s6, 0, v2
	v_cmp_eq_u32_e64 s14, s90, v5
	;; [unrolled: 1-line block ×6, first 2 shown]
	s_and_b32 s6, s4, s6
	s_and_b32 s16, s14, s16
	v_cmp_eq_u32_e64 s8, 1, v2
	v_cmp_eq_u32_e64 s10, 2, v2
	;; [unrolled: 1-line block ×3, first 2 shown]
	v_cndmask_b32_e64 v2, 0, 1, s6
	s_and_b32 s6, s5, s7
	v_cmp_eq_u32_e64 s7, 1, v3
	v_cmp_eq_u32_e64 s19, 2, v3
	;; [unrolled: 1-line block ×3, first 2 shown]
	v_cndmask_b32_e64 v3, 0, 1, s16
	v_cndmask_b32_e64 v5, 0, 1, s6
	s_and_b32 s16, s15, s17
	v_cmp_eq_u32_e64 s6, 1, v4
	v_cmp_eq_u32_e64 s18, 2, v4
	;; [unrolled: 1-line block ×3, first 2 shown]
	v_cndmask_b32_e64 v4, 0, 1, s16
	v_cmp_ne_u32_e64 s16, 0, v2
	v_cmp_ne_u32_e64 s22, 0, v3
	;; [unrolled: 1-line block ×3, first 2 shown]
	v_cmp_eq_u32_e64 s9, 1, v6
	v_cmp_ne_u32_e64 s23, 0, v4
	s_bcnt1_i32_b32 s16, s16
	s_bcnt1_i32_b32 s22, s22
	;; [unrolled: 1-line block ×3, first 2 shown]
	s_add_i32 s16, s22, s16
	s_bcnt1_i32_b32 s23, s23
	s_add_i32 s16, s16, s17
	v_cmp_eq_u32_e64 s11, 2, v6
	s_add_i32 s16, s16, s23
	v_cmp_eq_u32_e64 s13, 3, v6
	s_add_u32 s68, s68, s16
	s_addc_u32 s69, s69, 0
	s_and_b32 s8, s4, s8
	s_and_b32 s6, s14, s6
	v_cndmask_b32_e64 v2, 0, 1, s8
	v_cndmask_b32_e64 v3, 0, 1, s6
	s_and_b32 s6, s5, s9
	v_add_nc_u32_e32 v19, v19, v12
	v_cndmask_b32_e64 v4, 0, 1, s6
	s_and_b32 s6, s15, s7
	v_cmp_ne_u32_e64 s7, 0, v3
	v_cndmask_b32_e64 v5, 0, 1, s6
	v_cmp_ne_u32_e64 s6, 0, v2
	v_cmp_ne_u32_e64 s8, 0, v4
	s_delay_alu instid0(VALU_DEP_4) | instskip(NEXT) | instid1(VALU_DEP_3)
	s_bcnt1_i32_b32 s7, s7
	v_cmp_ne_u32_e64 s9, 0, v5
	s_delay_alu instid0(VALU_DEP_3) | instskip(NEXT) | instid1(VALU_DEP_2)
	s_bcnt1_i32_b32 s6, s6
	s_bcnt1_i32_b32 s8, s8
	s_add_i32 s6, s7, s6
	s_delay_alu instid0(VALU_DEP_1) | instskip(SKIP_1) | instid1(SALU_CYCLE_1)
	s_bcnt1_i32_b32 s9, s9
	s_add_i32 s6, s6, s8
	s_add_i32 s6, s6, s9
	s_delay_alu instid0(SALU_CYCLE_1) | instskip(SKIP_2) | instid1(SALU_CYCLE_1)
	s_add_u32 s66, s66, s6
	s_addc_u32 s67, s67, 0
	s_and_b32 s6, s4, s10
	v_cndmask_b32_e64 v2, 0, 1, s6
	s_and_b32 s6, s14, s18
	s_delay_alu instid0(SALU_CYCLE_1) | instskip(SKIP_1) | instid1(SALU_CYCLE_1)
	v_cndmask_b32_e64 v3, 0, 1, s6
	s_and_b32 s6, s5, s11
	v_cndmask_b32_e64 v4, 0, 1, s6
	s_and_b32 s6, s15, s19
	s_delay_alu instid0(VALU_DEP_2) | instskip(SKIP_3) | instid1(VALU_DEP_4)
	v_cmp_ne_u32_e64 s7, 0, v3
	v_cndmask_b32_e64 v5, 0, 1, s6
	v_cmp_ne_u32_e64 s6, 0, v2
	v_cmp_ne_u32_e64 s8, 0, v4
	s_bcnt1_i32_b32 s7, s7
	s_delay_alu instid0(VALU_DEP_3) | instskip(NEXT) | instid1(VALU_DEP_3)
	v_cmp_ne_u32_e64 s9, 0, v5
	s_bcnt1_i32_b32 s6, s6
	s_delay_alu instid0(VALU_DEP_2) | instskip(SKIP_1) | instid1(VALU_DEP_1)
	s_bcnt1_i32_b32 s8, s8
	s_add_i32 s6, s7, s6
	s_bcnt1_i32_b32 s9, s9
	s_add_i32 s6, s6, s8
	s_delay_alu instid0(SALU_CYCLE_1) | instskip(NEXT) | instid1(SALU_CYCLE_1)
	s_add_i32 s6, s6, s9
	s_add_u32 s64, s64, s6
	s_addc_u32 s65, s65, 0
	s_and_b32 s4, s4, s12
	v_mov_b32_e32 v6, s64
	v_cndmask_b32_e64 v2, 0, 1, s4
	s_and_b32 s4, s14, s20
	v_mov_b32_e32 v7, s65
	v_cndmask_b32_e64 v3, 0, 1, s4
	s_and_b32 s4, s5, s13
	s_delay_alu instid0(SALU_CYCLE_1) | instskip(SKIP_1) | instid1(VALU_DEP_2)
	v_cndmask_b32_e64 v4, 0, 1, s4
	s_and_b32 s4, s15, s21
	v_cmp_ne_u32_e64 s5, 0, v3
	v_cndmask_b32_e64 v5, 0, 1, s4
	v_cmp_ne_u32_e64 s4, 0, v2
	v_mov_b32_e32 v2, s68
	v_cmp_ne_u32_e64 s6, 0, v4
	s_bcnt1_i32_b32 s5, s5
	v_cmp_ne_u32_e64 s7, 0, v5
	s_bcnt1_i32_b32 s4, s4
	v_mov_b32_e32 v4, s66
	s_bcnt1_i32_b32 s6, s6
	s_add_i32 s4, s5, s4
	s_bcnt1_i32_b32 s5, s7
	s_add_i32 s4, s4, s6
	v_mov_b32_e32 v3, s69
	s_add_i32 s4, s4, s5
	v_mov_b32_e32 v5, s67
	s_add_u32 s62, s62, s4
	s_addc_u32 s63, s63, 0
	s_delay_alu instid0(SALU_CYCLE_1) | instskip(SKIP_1) | instid1(SALU_CYCLE_1)
	v_dual_mov_b32 v8, s62 :: v_dual_mov_b32 v9, s63
	s_or_b32 s93, vcc_lo, s93
	s_and_not1_b32 exec_lo, exec_lo, s93
	s_cbranch_execnz .LBB133_77
; %bb.78:                               ;   in Loop: Header=BB133_27 Depth=1
	s_or_b32 exec_lo, exec_lo, s93
.LBB133_79:                             ;   in Loop: Header=BB133_27 Depth=1
	s_delay_alu instid0(SALU_CYCLE_1) | instskip(SKIP_2) | instid1(VALU_DEP_1)
	s_or_b32 exec_lo, exec_lo, s61
	v_add_nc_u32_e32 v12, s54, v0
	s_mov_b32 s9, exec_lo
	v_cmpx_gt_u32_e64 s60, v12
	s_cbranch_execz .LBB133_83
; %bb.80:                               ;   in Loop: Header=BB133_27 Depth=1
	v_mov_b32_e32 v17, v13
	v_dual_mov_b32 v16, v12 :: v_dual_lshlrev_b32 v19, 1, v12
	v_lshlrev_b32_e32 v29, 1, v18
	s_mov_b32 s11, 0
	s_and_b32 s10, s60, 0x7fffffff
	s_and_b32 s13, s85, 0xfe
	s_mov_b32 s12, s11
.LBB133_81:                             ;   Parent Loop BB133_27 Depth=1
                                        ; =>  This Inner Loop Header: Depth=2
	ds_load_u16 v12, v19
	v_add_co_u32 v16, vcc_lo, v16, v18
	v_add_co_ci_u32_e32 v17, vcc_lo, 0, v17, vcc_lo
	v_add_nc_u32_e32 v19, v19, v29
	s_delay_alu instid0(VALU_DEP_2) | instskip(SKIP_3) | instid1(VALU_DEP_2)
	v_cmp_le_u64_e32 vcc_lo, s[10:11], v[16:17]
	s_waitcnt lgkmcnt(0)
	v_cmp_lt_i16_e64 s4, -1, v12
	v_and_b32_e32 v30, 0xffff, v12
	v_cndmask_b32_e64 v31, 0xffff, v27, s4
	v_cmp_o_f16_e64 s4, v12, v12
	s_delay_alu instid0(VALU_DEP_2) | instskip(NEXT) | instid1(VALU_DEP_1)
	v_xor_b32_e32 v30, v31, v30
	v_cndmask_b32_e64 v12, 0xffff, v30, s4
	s_delay_alu instid0(VALU_DEP_1) | instskip(SKIP_1) | instid1(VALU_DEP_2)
	v_and_b32_e32 v30, s91, v12
	v_bfe_u32 v12, v12, s13, 2
	v_cmp_eq_u32_e64 s4, s90, v30
	s_delay_alu instid0(VALU_DEP_2) | instskip(SKIP_3) | instid1(VALU_DEP_4)
	v_cmp_eq_u32_e64 s5, 0, v12
	v_cmp_eq_u32_e64 s6, 1, v12
	;; [unrolled: 1-line block ×4, first 2 shown]
	s_and_b32 s5, s4, s5
	s_delay_alu instid0(SALU_CYCLE_1) | instskip(SKIP_1) | instid1(SALU_CYCLE_1)
	v_cndmask_b32_e64 v12, 0, 1, s5
	s_and_b32 s5, s4, s6
	v_cndmask_b32_e64 v30, 0, 1, s5
	s_and_b32 s5, s4, s7
	s_and_b32 s4, s4, s8
	v_cndmask_b32_e64 v31, 0, 1, s5
	v_cndmask_b32_e64 v32, 0, 1, s4
	v_cmp_ne_u32_e64 s4, 0, v12
	v_cmp_ne_u32_e64 s5, 0, v30
	s_delay_alu instid0(VALU_DEP_4) | instskip(NEXT) | instid1(VALU_DEP_4)
	v_cmp_ne_u32_e64 s6, 0, v31
	v_cmp_ne_u32_e64 s7, 0, v32
	s_delay_alu instid0(VALU_DEP_4) | instskip(NEXT) | instid1(VALU_DEP_3)
	s_bcnt1_i32_b32 s4, s4
	s_bcnt1_i32_b32 s5, s5
	v_add_co_u32 v2, s4, v2, s4
	s_delay_alu instid0(VALU_DEP_1)
	v_add_co_ci_u32_e64 v3, s4, 0, v3, s4
	v_add_co_u32 v4, s4, v4, s5
	s_bcnt1_i32_b32 s6, s6
	v_add_co_ci_u32_e64 v5, s4, 0, v5, s4
	v_add_co_u32 v6, s4, v6, s6
	s_bcnt1_i32_b32 s7, s7
	v_add_co_ci_u32_e64 v7, s4, 0, v7, s4
	v_add_co_u32 v8, s4, v8, s7
	s_delay_alu instid0(VALU_DEP_1) | instskip(SKIP_1) | instid1(SALU_CYCLE_1)
	v_add_co_ci_u32_e64 v9, s4, 0, v9, s4
	s_or_b32 s12, vcc_lo, s12
	s_and_not1_b32 exec_lo, exec_lo, s12
	s_cbranch_execnz .LBB133_81
; %bb.82:                               ;   in Loop: Header=BB133_27 Depth=1
	s_or_b32 exec_lo, exec_lo, s12
.LBB133_83:                             ;   in Loop: Header=BB133_27 Depth=1
	s_delay_alu instid0(SALU_CYCLE_1)
	s_or_b32 exec_lo, exec_lo, s9
.LBB133_84:                             ;   in Loop: Header=BB133_27 Depth=1
	s_lshl_b32 s4, s88, 7
	s_and_saveexec_b32 s5, s1
	s_cbranch_execz .LBB133_86
; %bb.85:                               ;   in Loop: Header=BB133_27 Depth=1
	v_or_b32_e32 v12, s4, v23
	s_delay_alu instid0(VALU_DEP_1)
	v_lshlrev_b32_e32 v12, 3, v12
	ds_store_b128 v12, v[2:5] offset:3072
	ds_store_b128 v12, v[6:9] offset:3088
.LBB133_86:                             ;   in Loop: Header=BB133_27 Depth=1
	s_or_b32 exec_lo, exec_lo, s5
	s_waitcnt vmcnt(0) lgkmcnt(0)
	s_barrier
	buffer_gl0_inv
	s_and_saveexec_b32 s5, s70
	s_cbranch_execz .LBB133_97
; %bb.87:                               ;   in Loop: Header=BB133_27 Depth=1
	v_mov_b32_e32 v2, 0
	v_mov_b32_e32 v3, 0
	s_and_not1_b32 vcc_lo, exec_lo, s77
	s_cbranch_vccnz .LBB133_96
; %bb.88:                               ;   in Loop: Header=BB133_27 Depth=1
	v_mov_b32_e32 v2, 0
	v_mov_b32_e32 v3, 0
	s_and_not1_b32 vcc_lo, exec_lo, s75
	s_cbranch_vccnz .LBB133_93
; %bb.89:                               ;   in Loop: Header=BB133_27 Depth=1
	v_lshl_add_u32 v4, s88, 10, v26
	s_mov_b32 s6, 0
	s_set_inst_prefetch_distance 0x1
	.p2align	6
.LBB133_90:                             ;   Parent Loop BB133_27 Depth=1
                                        ; =>  This Inner Loop Header: Depth=2
	ds_load_2addr_b64 v[5:8], v4 offset1:4
	ds_load_2addr_b64 v[16:19], v4 offset0:8 offset1:12
	ds_load_2addr_b64 v[29:32], v4 offset0:16 offset1:20
	s_add_i32 s6, s6, 8
	s_delay_alu instid0(SALU_CYCLE_1) | instskip(SKIP_3) | instid1(VALU_DEP_2)
	s_cmp_eq_u32 s76, s6
	s_waitcnt lgkmcnt(2)
	v_add_co_u32 v2, vcc_lo, v5, v2
	v_add_co_ci_u32_e32 v3, vcc_lo, v6, v3, vcc_lo
	v_add_co_u32 v2, vcc_lo, v7, v2
	s_delay_alu instid0(VALU_DEP_2)
	v_add_co_ci_u32_e32 v3, vcc_lo, v8, v3, vcc_lo
	ds_load_2addr_b64 v[5:8], v4 offset0:24 offset1:28
	s_waitcnt lgkmcnt(2)
	v_add_co_u32 v2, vcc_lo, v16, v2
	v_add_co_ci_u32_e32 v3, vcc_lo, v17, v3, vcc_lo
	v_add_nc_u32_e32 v4, 0x100, v4
	s_delay_alu instid0(VALU_DEP_3) | instskip(NEXT) | instid1(VALU_DEP_3)
	v_add_co_u32 v2, vcc_lo, v18, v2
	v_add_co_ci_u32_e32 v3, vcc_lo, v19, v3, vcc_lo
	s_waitcnt lgkmcnt(1)
	s_delay_alu instid0(VALU_DEP_2) | instskip(NEXT) | instid1(VALU_DEP_2)
	v_add_co_u32 v2, vcc_lo, v29, v2
	v_add_co_ci_u32_e32 v3, vcc_lo, v30, v3, vcc_lo
	s_delay_alu instid0(VALU_DEP_2) | instskip(NEXT) | instid1(VALU_DEP_2)
	v_add_co_u32 v2, vcc_lo, v31, v2
	v_add_co_ci_u32_e32 v3, vcc_lo, v32, v3, vcc_lo
	s_waitcnt lgkmcnt(0)
	s_delay_alu instid0(VALU_DEP_2) | instskip(NEXT) | instid1(VALU_DEP_2)
	v_add_co_u32 v2, vcc_lo, v5, v2
	v_add_co_ci_u32_e32 v3, vcc_lo, v6, v3, vcc_lo
	s_delay_alu instid0(VALU_DEP_2) | instskip(NEXT) | instid1(VALU_DEP_2)
	v_add_co_u32 v2, vcc_lo, v7, v2
	v_add_co_ci_u32_e32 v3, vcc_lo, v8, v3, vcc_lo
	s_cbranch_scc0 .LBB133_90
; %bb.91:                               ;   in Loop: Header=BB133_27 Depth=1
	s_set_inst_prefetch_distance 0x2
	s_mov_b32 s6, s76
	s_and_not1_b32 vcc_lo, exec_lo, s78
	s_cbranch_vccz .LBB133_94
	s_branch .LBB133_96
.LBB133_92:                             ;   in Loop: Header=BB133_27 Depth=1
                                        ; implicit-def: $vgpr2_vgpr3
	s_branch .LBB133_60
.LBB133_93:                             ;   in Loop: Header=BB133_27 Depth=1
	s_mov_b32 s6, 0
	s_and_not1_b32 vcc_lo, exec_lo, s78
	s_cbranch_vccnz .LBB133_96
.LBB133_94:                             ;   in Loop: Header=BB133_27 Depth=1
	s_lshl_b32 s7, s88, 10
	s_lshl_b32 s6, s6, 5
	s_delay_alu instid0(SALU_CYCLE_1)
	v_add3_u32 v4, s7, s6, v26
	s_mov_b32 s6, s74
.LBB133_95:                             ;   Parent Loop BB133_27 Depth=1
                                        ; =>  This Inner Loop Header: Depth=2
	ds_load_b64 v[5:6], v4
	v_add_nc_u32_e32 v4, 32, v4
	s_add_i32 s6, s6, -1
	s_delay_alu instid0(SALU_CYCLE_1)
	s_cmp_lg_u32 s6, 0
	s_waitcnt lgkmcnt(0)
	v_add_co_u32 v2, vcc_lo, v5, v2
	v_add_co_ci_u32_e32 v3, vcc_lo, v6, v3, vcc_lo
	s_cbranch_scc1 .LBB133_95
.LBB133_96:                             ;   in Loop: Header=BB133_27 Depth=1
	v_add_lshl_u32 v4, s4, v20, 3
	ds_store_b64 v4, v[2:3] offset:3072
.LBB133_97:                             ;   in Loop: Header=BB133_27 Depth=1
	s_or_b32 exec_lo, exec_lo, s5
	s_lshl_b32 s4, s4, 3
	s_waitcnt lgkmcnt(0)
	v_mov_b32_e32 v6, s4
	s_barrier
	buffer_gl0_inv
	s_and_b32 s17, s85, 0xfe
	s_mov_b32 s19, -1
	ds_load_b128 v[2:5], v6 offset:3072
	ds_load_b128 v[6:9], v6 offset:3088
	s_lshl_b32 s16, 3, s17
	s_delay_alu instid0(SALU_CYCLE_1)
	s_not_b32 s18, s16
	s_waitcnt lgkmcnt(1)
	v_readfirstlane_b32 s13, v3
	v_readfirstlane_b32 s12, v2
	;; [unrolled: 1-line block ×4, first 2 shown]
	s_waitcnt lgkmcnt(0)
	v_readfirstlane_b32 s8, v6
	v_readfirstlane_b32 s9, v7
	s_cmp_eq_u64 s[12:13], 1
	v_readfirstlane_b32 s6, v8
	s_cselect_b32 s4, -1, 0
	s_cmp_eq_u64 s[52:53], 1
	v_readfirstlane_b32 s7, v9
	s_cselect_b32 s5, -1, 0
	s_delay_alu instid0(SALU_CYCLE_1) | instskip(NEXT) | instid1(SALU_CYCLE_1)
	s_and_b32 s20, s4, s5
	s_and_b32 vcc_lo, exec_lo, s20
	s_cbranch_vccz .LBB133_112
; %bb.98:                               ;   in Loop: Header=BB133_27 Depth=1
	ds_load_b64 v[2:3], v13 offset:5120
	s_waitcnt lgkmcnt(0)
	s_barrier
	buffer_gl0_inv
	v_readfirstlane_b32 s14, v2
	v_readfirstlane_b32 s15, v3
	s_and_saveexec_b32 s4, s0
	s_cbranch_execz .LBB133_100
; %bb.99:                               ;   in Loop: Header=BB133_27 Depth=1
	ds_store_b16 v22, v13
.LBB133_100:                            ;   in Loop: Header=BB133_27 Depth=1
	s_or_b32 exec_lo, exec_lo, s4
	s_and_b32 s90, s90, s18
	s_or_b32 s91, s91, s16
	s_cmp_eq_u64 s[14:15], 0
	s_waitcnt lgkmcnt(0)
	s_barrier
	buffer_gl0_inv
	s_cbranch_scc1 .LBB133_113
; %bb.101:                              ;   in Loop: Header=BB133_27 Depth=1
	s_add_u32 s21, s71, s14
	s_addc_u32 s5, s72, s15
	s_mov_b32 s4, s55
	s_delay_alu instid0(SALU_CYCLE_1)
	s_cmp_lg_u64 s[4:5], 0
	s_cbranch_scc0 .LBB133_158
; %bb.102:                              ;   in Loop: Header=BB133_27 Depth=1
	v_cvt_f32_u32_e32 v2, s41
	s_sub_u32 s23, 0, s41
	s_subb_u32 s54, 0, 0
	s_delay_alu instid0(VALU_DEP_1) | instskip(NEXT) | instid1(VALU_DEP_1)
	v_fmac_f32_e64 v2, 0, 0x4f800000
	v_rcp_f32_e32 v2, v2
	s_waitcnt_depctr 0xfff
	v_mul_f32_e32 v2, 0x5f7ffffc, v2
	s_delay_alu instid0(VALU_DEP_1) | instskip(NEXT) | instid1(VALU_DEP_1)
	v_mul_f32_e32 v3, 0x2f800000, v2
	v_trunc_f32_e32 v3, v3
	s_delay_alu instid0(VALU_DEP_1) | instskip(SKIP_1) | instid1(VALU_DEP_2)
	v_fmac_f32_e32 v2, 0xcf800000, v3
	v_cvt_u32_f32_e32 v3, v3
	v_cvt_u32_f32_e32 v2, v2
	s_delay_alu instid0(VALU_DEP_2) | instskip(NEXT) | instid1(VALU_DEP_2)
	v_readfirstlane_b32 s4, v3
	v_readfirstlane_b32 s22, v2
	s_delay_alu instid0(VALU_DEP_2) | instskip(NEXT) | instid1(VALU_DEP_1)
	s_mul_i32 s56, s23, s4
	s_mul_hi_u32 s61, s23, s22
	s_mul_i32 s60, s54, s22
	s_add_i32 s56, s61, s56
	s_mul_i32 s62, s23, s22
	s_add_i32 s56, s56, s60
	s_mul_hi_u32 s61, s22, s62
	s_mul_hi_u32 s63, s4, s62
	s_mul_i32 s60, s4, s62
	s_mul_hi_u32 s62, s22, s56
	s_mul_i32 s22, s22, s56
	s_mul_hi_u32 s64, s4, s56
	s_add_u32 s22, s61, s22
	s_addc_u32 s61, 0, s62
	s_add_u32 s22, s22, s60
	s_mul_i32 s56, s4, s56
	s_addc_u32 s22, s61, s63
	s_addc_u32 s60, s64, 0
	s_add_u32 s22, s22, s56
	s_addc_u32 s56, 0, s60
	v_add_co_u32 v2, s22, v2, s22
	s_delay_alu instid0(VALU_DEP_1) | instskip(SKIP_1) | instid1(VALU_DEP_1)
	s_cmp_lg_u32 s22, 0
	s_addc_u32 s4, s4, s56
	v_readfirstlane_b32 s22, v2
	s_mul_i32 s56, s23, s4
	s_delay_alu instid0(VALU_DEP_1)
	s_mul_hi_u32 s60, s23, s22
	s_mul_i32 s54, s54, s22
	s_add_i32 s56, s60, s56
	s_mul_i32 s23, s23, s22
	s_add_i32 s56, s56, s54
	s_mul_hi_u32 s60, s4, s23
	s_mul_i32 s61, s4, s23
	s_mul_hi_u32 s23, s22, s23
	s_mul_hi_u32 s62, s22, s56
	s_mul_i32 s22, s22, s56
	s_mul_hi_u32 s54, s4, s56
	s_add_u32 s22, s23, s22
	s_addc_u32 s23, 0, s62
	s_add_u32 s22, s22, s61
	s_mul_i32 s56, s4, s56
	s_addc_u32 s22, s23, s60
	s_addc_u32 s23, s54, 0
	s_add_u32 s22, s22, s56
	s_addc_u32 s23, 0, s23
	v_add_co_u32 v2, s22, v2, s22
	s_delay_alu instid0(VALU_DEP_1) | instskip(SKIP_1) | instid1(VALU_DEP_1)
	s_cmp_lg_u32 s22, 0
	s_addc_u32 s4, s4, s23
	v_readfirstlane_b32 s22, v2
	s_mul_i32 s54, s21, s4
	s_mul_hi_u32 s23, s21, s4
	s_mul_hi_u32 s56, s5, s4
	s_mul_i32 s4, s5, s4
	s_mul_hi_u32 s60, s21, s22
	s_mul_hi_u32 s61, s5, s22
	s_mul_i32 s22, s5, s22
	s_add_u32 s54, s60, s54
	s_addc_u32 s23, 0, s23
	s_add_u32 s22, s54, s22
	s_addc_u32 s22, s23, s61
	s_addc_u32 s23, s56, 0
	s_add_u32 s4, s22, s4
	s_addc_u32 s22, 0, s23
	s_mul_hi_u32 s23, s41, s4
	s_mul_i32 s4, s41, s4
	s_mul_i32 s22, s41, s22
	v_sub_co_u32 v2, s4, s21, s4
	s_add_i32 s23, s23, s22
	s_cmp_lg_u32 s4, 0
	s_delay_alu instid0(VALU_DEP_1) | instskip(SKIP_2) | instid1(VALU_DEP_1)
	v_sub_co_u32 v3, s4, v2, s41
	s_subb_u32 s22, s5, s23
	s_cmp_lg_u32 s4, 0
	v_cmp_le_u32_e32 vcc_lo, s41, v3
	v_sub_co_u32 v4, s4, v3, s41
	s_subb_u32 s23, s22, 0
	s_cmp_lg_u32 s4, 0
	v_cndmask_b32_e64 v5, 0, -1, vcc_lo
	s_subb_u32 s4, s23, 0
	s_cmp_eq_u32 s23, 0
	v_mov_b32_e32 v7, s4
	s_cselect_b32 vcc_lo, -1, 0
	s_cmp_eq_u32 s22, 0
	v_cndmask_b32_e32 v5, -1, v5, vcc_lo
	v_cmp_le_u32_e32 vcc_lo, s41, v2
	s_cselect_b32 s4, -1, 0
	v_cndmask_b32_e64 v6, 0, -1, vcc_lo
	s_delay_alu instid0(VALU_DEP_3) | instskip(NEXT) | instid1(VALU_DEP_2)
	v_cmp_ne_u32_e32 vcc_lo, 0, v5
	v_cndmask_b32_e64 v5, -1, v6, s4
	v_cndmask_b32_e32 v6, s23, v7, vcc_lo
	v_cndmask_b32_e32 v4, v3, v4, vcc_lo
	s_delay_alu instid0(VALU_DEP_3) | instskip(NEXT) | instid1(VALU_DEP_3)
	v_cmp_ne_u32_e32 vcc_lo, 0, v5
	v_cndmask_b32_e32 v3, s22, v6, vcc_lo
	s_delay_alu instid0(VALU_DEP_3)
	v_cndmask_b32_e32 v2, v2, v4, vcc_lo
	s_cbranch_execnz .LBB133_104
.LBB133_103:                            ;   in Loop: Header=BB133_27 Depth=1
	v_cvt_f32_u32_e32 v2, s41
	s_sub_i32 s4, 0, s41
	s_delay_alu instid0(VALU_DEP_1) | instskip(SKIP_2) | instid1(VALU_DEP_1)
	v_rcp_iflag_f32_e32 v2, v2
	s_waitcnt_depctr 0xfff
	v_mul_f32_e32 v2, 0x4f7ffffe, v2
	v_cvt_u32_f32_e32 v2, v2
	s_delay_alu instid0(VALU_DEP_1) | instskip(NEXT) | instid1(VALU_DEP_1)
	v_mul_lo_u32 v3, s4, v2
	v_mul_hi_u32 v3, v2, v3
	s_delay_alu instid0(VALU_DEP_1) | instskip(NEXT) | instid1(VALU_DEP_1)
	v_add_nc_u32_e32 v2, v2, v3
	v_mul_hi_u32 v2, s21, v2
	s_delay_alu instid0(VALU_DEP_1) | instskip(NEXT) | instid1(VALU_DEP_1)
	v_mul_lo_u32 v2, v2, s41
	v_sub_nc_u32_e32 v2, s21, v2
	s_delay_alu instid0(VALU_DEP_1) | instskip(SKIP_1) | instid1(VALU_DEP_2)
	v_subrev_nc_u32_e32 v3, s41, v2
	v_cmp_le_u32_e32 vcc_lo, s41, v2
	v_cndmask_b32_e32 v2, v2, v3, vcc_lo
	s_delay_alu instid0(VALU_DEP_1) | instskip(SKIP_1) | instid1(VALU_DEP_2)
	v_subrev_nc_u32_e32 v3, s41, v2
	v_cmp_le_u32_e32 vcc_lo, s41, v2
	v_cndmask_b32_e32 v12, v2, v3, vcc_lo
	s_delay_alu instid0(VALU_DEP_1)
	v_dual_mov_b32 v2, v12 :: v_dual_mov_b32 v3, v13
.LBB133_104:                            ;   in Loop: Header=BB133_27 Depth=1
	s_delay_alu instid0(VALU_DEP_1) | instskip(NEXT) | instid1(VALU_DEP_2)
	v_sub_co_u32 v2, vcc_lo, s21, v2
	v_sub_co_ci_u32_e32 v3, vcc_lo, s5, v3, vcc_lo
	s_mov_b32 s4, 0
	s_mov_b32 s5, exec_lo
                                        ; implicit-def: $vgpr28
	s_delay_alu instid0(VALU_DEP_1)
	v_cmpx_gt_u64_e64 v[2:3], v[0:1]
	s_cbranch_execz .LBB133_115
; %bb.105:                              ;   in Loop: Header=BB133_27 Depth=1
	v_mov_b32_e32 v6, v21
	v_dual_mov_b32 v5, v1 :: v_dual_mov_b32 v4, v0
	s_mov_b32 s21, 0
                                        ; implicit-def: $sgpr22
	s_set_inst_prefetch_distance 0x1
	s_branch .LBB133_107
	.p2align	6
.LBB133_106:                            ;   in Loop: Header=BB133_107 Depth=2
	s_or_b32 exec_lo, exec_lo, s4
	s_waitcnt lgkmcnt(0)
	s_barrier
	buffer_gl0_inv
	ds_load_b32 v7, v13 offset:3072
	v_add_co_u32 v4, vcc_lo, v4, s41
	v_add_co_ci_u32_e32 v5, vcc_lo, 0, v5, vcc_lo
	v_add_nc_u32_e32 v6, s79, v6
	s_waitcnt lgkmcnt(0)
	s_barrier
	s_delay_alu instid0(VALU_DEP_2) | instskip(SKIP_2) | instid1(VALU_DEP_1)
	v_cmp_ge_u64_e32 vcc_lo, v[4:5], v[2:3]
	buffer_gl0_inv
	v_cmp_neq_f16_e64 s4, 0, v7
	s_or_b32 s23, vcc_lo, s4
	s_delay_alu instid0(SALU_CYCLE_1) | instskip(NEXT) | instid1(SALU_CYCLE_1)
	s_and_b32 s23, exec_lo, s23
	s_or_b32 s21, s23, s21
	s_and_not1_b32 s22, s22, exec_lo
	s_and_b32 s4, s4, exec_lo
	s_delay_alu instid0(SALU_CYCLE_1)
	s_or_b32 s22, s22, s4
	s_and_not1_b32 exec_lo, exec_lo, s21
	s_cbranch_execz .LBB133_114
.LBB133_107:                            ;   Parent Loop BB133_27 Depth=1
                                        ; =>  This Inner Loop Header: Depth=2
	s_delay_alu instid0(VALU_DEP_1)
	v_cmp_gt_u64_e32 vcc_lo, s[14:15], v[4:5]
	v_mov_b32_e32 v7, 0
	s_and_saveexec_b32 s4, vcc_lo
	s_cbranch_execz .LBB133_109
; %bb.108:                              ;   in Loop: Header=BB133_107 Depth=2
	ds_load_u16 v7, v6
.LBB133_109:                            ;   in Loop: Header=BB133_107 Depth=2
	s_or_b32 exec_lo, exec_lo, s4
	s_and_saveexec_b32 s4, vcc_lo
	s_cbranch_execz .LBB133_106
; %bb.110:                              ;   in Loop: Header=BB133_107 Depth=2
	s_waitcnt lgkmcnt(0)
	v_cmp_lt_i16_e32 vcc_lo, -1, v7
	v_and_b32_e32 v8, 0xffff, v7
	v_cndmask_b32_e32 v9, 0xffff, v27, vcc_lo
	v_cmp_o_f16_e32 vcc_lo, v7, v7
	s_delay_alu instid0(VALU_DEP_2) | instskip(NEXT) | instid1(VALU_DEP_1)
	v_xor_b32_e32 v8, v9, v8
	v_cndmask_b32_e32 v8, 0xffff, v8, vcc_lo
	s_delay_alu instid0(VALU_DEP_1) | instskip(NEXT) | instid1(VALU_DEP_1)
	v_and_b32_e32 v8, s91, v8
	v_cmp_eq_u32_e32 vcc_lo, s90, v8
	s_and_b32 exec_lo, exec_lo, vcc_lo
	s_cbranch_execz .LBB133_106
; %bb.111:                              ;   in Loop: Header=BB133_107 Depth=2
	v_perm_b32 v7, v7, s80, 0x5040100
	ds_store_b32 v13, v7 offset:3072
	s_branch .LBB133_106
.LBB133_112:                            ;   in Loop: Header=BB133_27 Depth=1
	s_mov_b32 s4, -1
                                        ; implicit-def: $sgpr5
                                        ; implicit-def: $sgpr15
                                        ; implicit-def: $sgpr14
	s_branch .LBB133_129
.LBB133_113:                            ;   in Loop: Header=BB133_27 Depth=1
	s_mov_b32 s5, -1
	s_mov_b32 s4, 0
                                        ; implicit-def: $sgpr14
                                        ; implicit-def: $vgpr28
	s_mov_b32 s15, s5
	s_cbranch_execnz .LBB133_116
	s_branch .LBB133_129
.LBB133_114:                            ;   in Loop: Header=BB133_27 Depth=1
	s_set_inst_prefetch_distance 0x2
	s_or_b32 exec_lo, exec_lo, s21
	v_lshrrev_b32_e32 v28, 16, v7
	s_and_b32 s4, s22, exec_lo
.LBB133_115:                            ;   in Loop: Header=BB133_27 Depth=1
	s_or_b32 exec_lo, exec_lo, s5
	s_mov_b32 s14, -1
	s_mov_b32 s5, 0
	s_delay_alu instid0(SALU_CYCLE_1)
	s_mov_b32 s15, s5
	s_branch .LBB133_129
.LBB133_116:                            ;   in Loop: Header=BB133_27 Depth=1
	s_mov_b32 s56, s55
	s_delay_alu instid0(SALU_CYCLE_1)
	s_cmp_lg_u64 s[56:57], 0
	s_cbranch_scc0 .LBB133_159
; %bb.117:                              ;   in Loop: Header=BB133_27 Depth=1
	v_cvt_f32_u32_e32 v2, s41
	s_sub_u32 s14, 0, s41
	s_subb_u32 s15, 0, 0
	s_delay_alu instid0(VALU_DEP_1) | instskip(NEXT) | instid1(VALU_DEP_1)
	v_fmac_f32_e64 v2, 0, 0x4f800000
	v_rcp_f32_e32 v2, v2
	s_waitcnt_depctr 0xfff
	v_mul_f32_e32 v2, 0x5f7ffffc, v2
	s_delay_alu instid0(VALU_DEP_1) | instskip(NEXT) | instid1(VALU_DEP_1)
	v_mul_f32_e32 v3, 0x2f800000, v2
	v_trunc_f32_e32 v3, v3
	s_delay_alu instid0(VALU_DEP_1) | instskip(SKIP_1) | instid1(VALU_DEP_2)
	v_fmac_f32_e32 v2, 0xcf800000, v3
	v_cvt_u32_f32_e32 v3, v3
	v_cvt_u32_f32_e32 v2, v2
	s_delay_alu instid0(VALU_DEP_2) | instskip(NEXT) | instid1(VALU_DEP_2)
	v_readfirstlane_b32 s4, v3
	v_readfirstlane_b32 s5, v2
	s_delay_alu instid0(VALU_DEP_2) | instskip(NEXT) | instid1(VALU_DEP_1)
	s_mul_i32 s21, s14, s4
	s_mul_hi_u32 s23, s14, s5
	s_mul_i32 s22, s15, s5
	s_add_i32 s21, s23, s21
	s_mul_i32 s54, s14, s5
	s_add_i32 s21, s21, s22
	s_mul_hi_u32 s23, s5, s54
	s_mul_hi_u32 s56, s4, s54
	s_mul_i32 s22, s4, s54
	s_mul_hi_u32 s54, s5, s21
	s_mul_i32 s5, s5, s21
	s_mul_hi_u32 s60, s4, s21
	s_add_u32 s5, s23, s5
	s_addc_u32 s23, 0, s54
	s_add_u32 s5, s5, s22
	s_mul_i32 s21, s4, s21
	s_addc_u32 s5, s23, s56
	s_addc_u32 s22, s60, 0
	s_add_u32 s5, s5, s21
	s_addc_u32 s21, 0, s22
	v_add_co_u32 v2, s5, v2, s5
	s_delay_alu instid0(VALU_DEP_1) | instskip(SKIP_1) | instid1(VALU_DEP_1)
	s_cmp_lg_u32 s5, 0
	s_addc_u32 s4, s4, s21
	v_readfirstlane_b32 s5, v2
	s_mul_i32 s21, s14, s4
	s_delay_alu instid0(VALU_DEP_1)
	s_mul_hi_u32 s22, s14, s5
	s_mul_i32 s15, s15, s5
	s_add_i32 s21, s22, s21
	s_mul_i32 s14, s14, s5
	s_add_i32 s21, s21, s15
	s_mul_hi_u32 s22, s4, s14
	s_mul_i32 s23, s4, s14
	s_mul_hi_u32 s14, s5, s14
	s_mul_hi_u32 s54, s5, s21
	s_mul_i32 s5, s5, s21
	s_mul_hi_u32 s15, s4, s21
	s_add_u32 s5, s14, s5
	s_addc_u32 s14, 0, s54
	s_add_u32 s5, s5, s23
	s_mul_i32 s21, s4, s21
	s_addc_u32 s5, s14, s22
	s_addc_u32 s14, s15, 0
	s_add_u32 s5, s5, s21
	s_addc_u32 s14, 0, s14
	v_add_co_u32 v2, s5, v2, s5
	s_delay_alu instid0(VALU_DEP_1) | instskip(SKIP_1) | instid1(VALU_DEP_1)
	s_cmp_lg_u32 s5, 0
	s_addc_u32 s4, s4, s14
	v_readfirstlane_b32 s5, v2
	s_mul_i32 s15, s73, s4
	s_mul_hi_u32 s14, s73, s4
	s_mul_hi_u32 s21, s57, s4
	s_mul_i32 s4, s57, s4
	s_mul_hi_u32 s22, s73, s5
	s_mul_hi_u32 s23, s57, s5
	s_mul_i32 s5, s57, s5
	s_add_u32 s15, s22, s15
	s_addc_u32 s14, 0, s14
	s_add_u32 s5, s15, s5
	s_addc_u32 s5, s14, s23
	s_addc_u32 s14, s21, 0
	s_add_u32 s4, s5, s4
	s_addc_u32 s5, 0, s14
	s_mul_hi_u32 s14, s41, s4
	s_mul_i32 s4, s41, s4
	s_mul_i32 s5, s41, s5
	v_sub_co_u32 v2, s4, s73, s4
	s_add_i32 s14, s14, s5
	s_cmp_lg_u32 s4, 0
	s_delay_alu instid0(VALU_DEP_1) | instskip(SKIP_2) | instid1(VALU_DEP_1)
	v_sub_co_u32 v3, s4, v2, s41
	s_subb_u32 s5, s57, s14
	s_cmp_lg_u32 s4, 0
	v_cmp_le_u32_e32 vcc_lo, s41, v3
	v_sub_co_u32 v4, s4, v3, s41
	s_subb_u32 s14, s5, 0
	s_cmp_lg_u32 s4, 0
	v_cndmask_b32_e64 v5, 0, -1, vcc_lo
	s_subb_u32 s4, s14, 0
	s_cmp_eq_u32 s14, 0
	v_mov_b32_e32 v7, s4
	s_cselect_b32 vcc_lo, -1, 0
	s_cmp_eq_u32 s5, 0
	v_cndmask_b32_e32 v5, -1, v5, vcc_lo
	v_cmp_le_u32_e32 vcc_lo, s41, v2
	s_cselect_b32 s4, -1, 0
	v_cndmask_b32_e64 v6, 0, -1, vcc_lo
	s_delay_alu instid0(VALU_DEP_3) | instskip(NEXT) | instid1(VALU_DEP_2)
	v_cmp_ne_u32_e32 vcc_lo, 0, v5
	v_cndmask_b32_e64 v5, -1, v6, s4
	v_cndmask_b32_e32 v6, s14, v7, vcc_lo
	v_cndmask_b32_e32 v4, v3, v4, vcc_lo
	s_delay_alu instid0(VALU_DEP_3) | instskip(NEXT) | instid1(VALU_DEP_3)
	v_cmp_ne_u32_e32 vcc_lo, 0, v5
	v_cndmask_b32_e32 v3, s5, v6, vcc_lo
	s_delay_alu instid0(VALU_DEP_3)
	v_cndmask_b32_e32 v2, v2, v4, vcc_lo
	s_cbranch_execnz .LBB133_119
.LBB133_118:                            ;   in Loop: Header=BB133_27 Depth=1
	v_cvt_f32_u32_e32 v2, s41
	s_sub_i32 s4, 0, s41
	s_delay_alu instid0(VALU_DEP_1) | instskip(SKIP_2) | instid1(VALU_DEP_1)
	v_rcp_iflag_f32_e32 v2, v2
	s_waitcnt_depctr 0xfff
	v_mul_f32_e32 v2, 0x4f7ffffe, v2
	v_cvt_u32_f32_e32 v2, v2
	s_delay_alu instid0(VALU_DEP_1) | instskip(NEXT) | instid1(VALU_DEP_1)
	v_mul_lo_u32 v3, s4, v2
	v_mul_hi_u32 v3, v2, v3
	s_delay_alu instid0(VALU_DEP_1) | instskip(NEXT) | instid1(VALU_DEP_1)
	v_add_nc_u32_e32 v2, v2, v3
	v_mul_hi_u32 v2, s73, v2
	s_delay_alu instid0(VALU_DEP_1) | instskip(NEXT) | instid1(VALU_DEP_1)
	v_mul_lo_u32 v2, v2, s41
	v_sub_nc_u32_e32 v2, s73, v2
	s_delay_alu instid0(VALU_DEP_1) | instskip(SKIP_1) | instid1(VALU_DEP_2)
	v_subrev_nc_u32_e32 v3, s41, v2
	v_cmp_le_u32_e32 vcc_lo, s41, v2
	v_cndmask_b32_e32 v2, v2, v3, vcc_lo
	s_delay_alu instid0(VALU_DEP_1) | instskip(SKIP_1) | instid1(VALU_DEP_2)
	v_subrev_nc_u32_e32 v3, s41, v2
	v_cmp_le_u32_e32 vcc_lo, s41, v2
	v_cndmask_b32_e32 v12, v2, v3, vcc_lo
	s_delay_alu instid0(VALU_DEP_1)
	v_dual_mov_b32 v2, v12 :: v_dual_mov_b32 v3, v13
.LBB133_119:                            ;   in Loop: Header=BB133_27 Depth=1
	s_delay_alu instid0(VALU_DEP_1) | instskip(NEXT) | instid1(VALU_DEP_2)
	v_sub_co_u32 v2, vcc_lo, s73, v2
	v_sub_co_ci_u32_e32 v3, vcc_lo, s57, v3, vcc_lo
	s_mov_b32 s4, 0
	s_mov_b32 s5, exec_lo
                                        ; implicit-def: $vgpr28
	s_delay_alu instid0(VALU_DEP_1)
	v_cmpx_gt_u64_e64 v[2:3], v[0:1]
	s_cbranch_execz .LBB133_128
; %bb.120:                              ;   in Loop: Header=BB133_27 Depth=1
	v_dual_mov_b32 v5, v1 :: v_dual_mov_b32 v4, v0
	s_mov_b32 s14, 0
                                        ; implicit-def: $sgpr15
	s_branch .LBB133_122
.LBB133_121:                            ;   in Loop: Header=BB133_122 Depth=2
	s_or_b32 exec_lo, exec_lo, s4
	s_waitcnt vmcnt(0) lgkmcnt(0)
	s_barrier
	buffer_gl0_inv
	ds_load_b32 v6, v13 offset:3072
	v_add_co_u32 v4, vcc_lo, v4, s41
	v_add_co_ci_u32_e32 v5, vcc_lo, 0, v5, vcc_lo
	s_waitcnt lgkmcnt(0)
	s_barrier
	buffer_gl0_inv
	v_cmp_ge_u64_e32 vcc_lo, v[4:5], v[2:3]
	v_cmp_neq_f16_e64 s4, 0, v6
	s_delay_alu instid0(VALU_DEP_1) | instskip(NEXT) | instid1(SALU_CYCLE_1)
	s_or_b32 s21, vcc_lo, s4
	s_and_b32 s21, exec_lo, s21
	s_delay_alu instid0(SALU_CYCLE_1) | instskip(SKIP_2) | instid1(SALU_CYCLE_1)
	s_or_b32 s14, s21, s14
	s_and_not1_b32 s15, s15, exec_lo
	s_and_b32 s4, s4, exec_lo
	s_or_b32 s15, s15, s4
	s_and_not1_b32 exec_lo, exec_lo, s14
	s_cbranch_execz .LBB133_127
.LBB133_122:                            ;   Parent Loop BB133_27 Depth=1
                                        ; =>  This Inner Loop Header: Depth=2
	s_delay_alu instid0(VALU_DEP_1)
	v_cmp_gt_u64_e32 vcc_lo, s[24:25], v[4:5]
	v_mov_b32_e32 v6, 0
	s_and_saveexec_b32 s21, vcc_lo
	s_cbranch_execz .LBB133_124
; %bb.123:                              ;   in Loop: Header=BB133_122 Depth=2
	v_mul_lo_u32 v8, v5, s42
	v_mul_lo_u32 v9, v4, s43
	v_mad_u64_u32 v[6:7], null, v4, s42, 0
	s_delay_alu instid0(VALU_DEP_1) | instskip(NEXT) | instid1(VALU_DEP_1)
	v_add3_u32 v7, v7, v9, v8
	v_lshlrev_b64 v[6:7], 1, v[6:7]
	s_delay_alu instid0(VALU_DEP_1) | instskip(NEXT) | instid1(VALU_DEP_1)
	v_add_co_u32 v6, s4, s33, v6
	v_add_co_ci_u32_e64 v7, s4, s35, v7, s4
	global_load_u16 v6, v[6:7], off
.LBB133_124:                            ;   in Loop: Header=BB133_122 Depth=2
	s_or_b32 exec_lo, exec_lo, s21
	s_and_saveexec_b32 s4, vcc_lo
	s_cbranch_execz .LBB133_121
; %bb.125:                              ;   in Loop: Header=BB133_122 Depth=2
	s_waitcnt vmcnt(0)
	v_cmp_lt_i16_e32 vcc_lo, -1, v6
	v_dual_cndmask_b32 v8, 0xffff, v27 :: v_dual_and_b32 v7, 0xffff, v6
	v_cmp_o_f16_e32 vcc_lo, v6, v6
	s_delay_alu instid0(VALU_DEP_2) | instskip(NEXT) | instid1(VALU_DEP_1)
	v_xor_b32_e32 v7, v8, v7
	v_cndmask_b32_e32 v7, 0xffff, v7, vcc_lo
	s_delay_alu instid0(VALU_DEP_1) | instskip(NEXT) | instid1(VALU_DEP_1)
	v_and_b32_e32 v7, s91, v7
	v_cmp_eq_u32_e32 vcc_lo, s90, v7
	s_and_b32 exec_lo, exec_lo, vcc_lo
	s_cbranch_execz .LBB133_121
; %bb.126:                              ;   in Loop: Header=BB133_122 Depth=2
	v_perm_b32 v6, v6, s80, 0x5040100
	ds_store_b32 v13, v6 offset:3072
	s_branch .LBB133_121
.LBB133_127:                            ;   in Loop: Header=BB133_27 Depth=1
	s_or_b32 exec_lo, exec_lo, s14
	v_lshrrev_b32_e32 v28, 16, v6
	s_and_b32 s4, s15, exec_lo
.LBB133_128:                            ;   in Loop: Header=BB133_27 Depth=1
	s_or_b32 exec_lo, exec_lo, s5
	s_mov_b32 s15, -1
	s_mov_b32 s5, 0
	s_mov_b32 s14, 0
.LBB133_129:                            ;   in Loop: Header=BB133_27 Depth=1
	s_and_not1_b32 s21, s86, exec_lo
	s_and_b32 s5, s5, exec_lo
	s_and_b32 s15, s15, exec_lo
	s_or_b32 s86, s21, s5
	s_and_not1_b32 s5, s89, exec_lo
	s_and_not1_b32 s21, s87, exec_lo
	s_and_b32 s14, s14, exec_lo
	s_or_b32 s89, s5, s15
	s_or_b32 s87, s21, s14
	s_and_saveexec_b32 s14, s4
	s_cbranch_execz .LBB133_26
; %bb.130:                              ;   in Loop: Header=BB133_27 Depth=1
	s_xor_b32 s4, s20, -1
	s_mov_b32 s54, 1
	s_and_not1_b32 vcc_lo, exec_lo, s4
	s_cbranch_vccnz .LBB133_141
; %bb.131:                              ;   in Loop: Header=BB133_27 Depth=1
	v_cmp_gt_u64_e64 s4, s[52:53], s[12:13]
                                        ; implicit-def: $sgpr54
                                        ; implicit-def: $sgpr5
                                        ; implicit-def: $sgpr15
	s_delay_alu instid0(VALU_DEP_1)
	s_and_b32 vcc_lo, exec_lo, s4
	s_mov_b32 s4, -1
	s_cbranch_vccnz .LBB133_137
; %bb.132:                              ;   in Loop: Header=BB133_27 Depth=1
	ds_load_b64 v[2:3], v13 offset:5120
	s_waitcnt lgkmcnt(0)
	v_cmp_ne_u64_e32 vcc_lo, 0, v[2:3]
	s_cbranch_vccnz .LBB133_136
; %bb.133:                              ;   in Loop: Header=BB133_27 Depth=1
	s_and_saveexec_b32 s4, s3
	s_cbranch_execz .LBB133_135
; %bb.134:                              ;   in Loop: Header=BB133_27 Depth=1
	v_dual_mov_b32 v2, s12 :: v_dual_mov_b32 v3, s13
	ds_store_b64 v13, v[2:3] offset:5128
.LBB133_135:                            ;   in Loop: Header=BB133_27 Depth=1
	s_or_b32 exec_lo, exec_lo, s4
	s_waitcnt lgkmcnt(0)
	s_barrier
	buffer_gl0_inv
.LBB133_136:                            ;   in Loop: Header=BB133_27 Depth=1
	s_and_b32 s5, s90, s18
	s_or_b32 s15, s91, s16
	s_mov_b32 s4, 0
	s_mov_b32 s54, 8
.LBB133_137:                            ;   in Loop: Header=BB133_27 Depth=1
	s_and_not1_b32 vcc_lo, exec_lo, s4
	s_cbranch_vccnz .LBB133_139
; %bb.138:                              ;   in Loop: Header=BB133_27 Depth=1
	s_sub_u32 s52, s52, s12
	s_subb_u32 s53, s53, s13
	s_mov_b32 s4, -1
	s_mov_b32 s54, 0
	s_mov_b32 s5, s90
	;; [unrolled: 1-line block ×3, first 2 shown]
.LBB133_139:                            ;   in Loop: Header=BB133_27 Depth=1
	s_delay_alu instid0(SALU_CYCLE_1)
	s_mov_b32 s91, s15
	s_mov_b32 s90, s5
	s_and_b32 vcc_lo, exec_lo, s4
	s_mov_b32 s15, -1
	s_cbranch_vccnz .LBB133_142
.LBB133_140:                            ;   in Loop: Header=BB133_27 Depth=1
	s_mov_b32 s5, -1
                                        ; implicit-def: $sgpr12
                                        ; implicit-def: $sgpr19
                                        ; implicit-def: $sgpr13
	s_delay_alu instid0(SALU_CYCLE_1) | instskip(NEXT) | instid1(SALU_CYCLE_1)
	s_and_saveexec_b32 s4, s5
	s_xor_b32 s4, exec_lo, s4
	s_cbranch_execz .LBB133_25
	s_branch .LBB133_288
.LBB133_141:                            ;   in Loop: Header=BB133_27 Depth=1
	s_mov_b64 s[52:53], 1
	s_mov_b32 s15, -1
	s_branch .LBB133_140
.LBB133_142:                            ;   in Loop: Header=BB133_27 Depth=1
	s_cmp_eq_u64 s[10:11], 1
	s_cselect_b32 s4, -1, 0
	s_cmp_eq_u64 s[52:53], 1
	s_cselect_b32 s5, -1, 0
	s_delay_alu instid0(SALU_CYCLE_1)
	s_and_b32 s21, s4, s5
	s_mov_b32 s4, -1
	s_and_b32 vcc_lo, exec_lo, s21
	s_cbranch_vccz .LBB133_157
; %bb.143:                              ;   in Loop: Header=BB133_27 Depth=1
	ds_load_b64 v[2:3], v13 offset:5120
	s_waitcnt lgkmcnt(0)
	s_barrier
	buffer_gl0_inv
	v_readfirstlane_b32 s12, v2
	v_readfirstlane_b32 s13, v3
	s_and_saveexec_b32 s4, s0
	s_cbranch_execz .LBB133_145
; %bb.144:                              ;   in Loop: Header=BB133_27 Depth=1
	ds_store_b16 v22, v13
.LBB133_145:                            ;   in Loop: Header=BB133_27 Depth=1
	s_or_b32 exec_lo, exec_lo, s4
	s_lshl_b32 s4, 1, s17
	s_and_b32 s5, s90, s18
	s_or_b32 s91, s91, s16
	s_or_b32 s90, s5, s4
	s_cmp_eq_u64 s[12:13], 0
	s_waitcnt lgkmcnt(0)
	s_barrier
	buffer_gl0_inv
	s_cbranch_scc1 .LBB133_160
; %bb.146:                              ;   in Loop: Header=BB133_27 Depth=1
	s_add_u32 s19, s71, s12
	s_addc_u32 s5, s72, s13
	s_mov_b32 s4, s55
	s_delay_alu instid0(SALU_CYCLE_1)
	s_cmp_lg_u64 s[4:5], 0
	s_cbranch_scc0 .LBB133_205
; %bb.147:                              ;   in Loop: Header=BB133_27 Depth=1
	v_cvt_f32_u32_e32 v2, s41
	s_sub_u32 s22, 0, s41
	s_subb_u32 s23, 0, 0
	s_delay_alu instid0(VALU_DEP_1) | instskip(NEXT) | instid1(VALU_DEP_1)
	v_fmac_f32_e64 v2, 0, 0x4f800000
	v_rcp_f32_e32 v2, v2
	s_waitcnt_depctr 0xfff
	v_mul_f32_e32 v2, 0x5f7ffffc, v2
	s_delay_alu instid0(VALU_DEP_1) | instskip(NEXT) | instid1(VALU_DEP_1)
	v_mul_f32_e32 v3, 0x2f800000, v2
	v_trunc_f32_e32 v3, v3
	s_delay_alu instid0(VALU_DEP_1) | instskip(SKIP_1) | instid1(VALU_DEP_2)
	v_fmac_f32_e32 v2, 0xcf800000, v3
	v_cvt_u32_f32_e32 v3, v3
	v_cvt_u32_f32_e32 v2, v2
	s_delay_alu instid0(VALU_DEP_2) | instskip(NEXT) | instid1(VALU_DEP_2)
	v_readfirstlane_b32 s4, v3
	v_readfirstlane_b32 s20, v2
	s_delay_alu instid0(VALU_DEP_2) | instskip(NEXT) | instid1(VALU_DEP_1)
	s_mul_i32 s54, s22, s4
	s_mul_hi_u32 s60, s22, s20
	s_mul_i32 s56, s23, s20
	s_add_i32 s54, s60, s54
	s_mul_i32 s61, s22, s20
	s_add_i32 s54, s54, s56
	s_mul_hi_u32 s60, s20, s61
	s_mul_hi_u32 s62, s4, s61
	s_mul_i32 s56, s4, s61
	s_mul_hi_u32 s61, s20, s54
	s_mul_i32 s20, s20, s54
	s_mul_hi_u32 s63, s4, s54
	s_add_u32 s20, s60, s20
	s_addc_u32 s60, 0, s61
	s_add_u32 s20, s20, s56
	s_mul_i32 s54, s4, s54
	s_addc_u32 s20, s60, s62
	s_addc_u32 s56, s63, 0
	s_add_u32 s20, s20, s54
	s_addc_u32 s54, 0, s56
	v_add_co_u32 v2, s20, v2, s20
	s_delay_alu instid0(VALU_DEP_1) | instskip(SKIP_1) | instid1(VALU_DEP_1)
	s_cmp_lg_u32 s20, 0
	s_addc_u32 s4, s4, s54
	v_readfirstlane_b32 s20, v2
	s_mul_i32 s54, s22, s4
	s_delay_alu instid0(VALU_DEP_1)
	s_mul_hi_u32 s56, s22, s20
	s_mul_i32 s23, s23, s20
	s_add_i32 s54, s56, s54
	s_mul_i32 s22, s22, s20
	s_add_i32 s54, s54, s23
	s_mul_hi_u32 s56, s4, s22
	s_mul_i32 s60, s4, s22
	s_mul_hi_u32 s22, s20, s22
	s_mul_hi_u32 s61, s20, s54
	s_mul_i32 s20, s20, s54
	s_mul_hi_u32 s23, s4, s54
	s_add_u32 s20, s22, s20
	s_addc_u32 s22, 0, s61
	s_add_u32 s20, s20, s60
	s_mul_i32 s54, s4, s54
	s_addc_u32 s20, s22, s56
	s_addc_u32 s22, s23, 0
	s_add_u32 s20, s20, s54
	s_addc_u32 s22, 0, s22
	v_add_co_u32 v2, s20, v2, s20
	s_delay_alu instid0(VALU_DEP_1) | instskip(SKIP_1) | instid1(VALU_DEP_1)
	s_cmp_lg_u32 s20, 0
	s_addc_u32 s4, s4, s22
	v_readfirstlane_b32 s20, v2
	s_mul_i32 s23, s19, s4
	s_mul_hi_u32 s22, s19, s4
	s_mul_hi_u32 s54, s5, s4
	s_mul_i32 s4, s5, s4
	s_mul_hi_u32 s56, s19, s20
	s_mul_hi_u32 s60, s5, s20
	s_mul_i32 s20, s5, s20
	s_add_u32 s23, s56, s23
	s_addc_u32 s22, 0, s22
	s_add_u32 s20, s23, s20
	s_addc_u32 s20, s22, s60
	s_addc_u32 s22, s54, 0
	s_add_u32 s4, s20, s4
	s_addc_u32 s20, 0, s22
	s_mul_hi_u32 s22, s41, s4
	s_mul_i32 s4, s41, s4
	s_mul_i32 s20, s41, s20
	v_sub_co_u32 v2, s4, s19, s4
	s_add_i32 s22, s22, s20
	s_cmp_lg_u32 s4, 0
	s_delay_alu instid0(VALU_DEP_1) | instskip(SKIP_2) | instid1(VALU_DEP_1)
	v_sub_co_u32 v3, s4, v2, s41
	s_subb_u32 s20, s5, s22
	s_cmp_lg_u32 s4, 0
	v_cmp_le_u32_e32 vcc_lo, s41, v3
	v_sub_co_u32 v4, s4, v3, s41
	s_subb_u32 s22, s20, 0
	s_cmp_lg_u32 s4, 0
	v_cndmask_b32_e64 v5, 0, -1, vcc_lo
	s_subb_u32 s4, s22, 0
	s_cmp_eq_u32 s22, 0
	v_mov_b32_e32 v7, s4
	s_cselect_b32 vcc_lo, -1, 0
	s_cmp_eq_u32 s20, 0
	v_cndmask_b32_e32 v5, -1, v5, vcc_lo
	v_cmp_le_u32_e32 vcc_lo, s41, v2
	s_cselect_b32 s4, -1, 0
	v_cndmask_b32_e64 v6, 0, -1, vcc_lo
	s_delay_alu instid0(VALU_DEP_3) | instskip(NEXT) | instid1(VALU_DEP_2)
	v_cmp_ne_u32_e32 vcc_lo, 0, v5
	v_cndmask_b32_e64 v5, -1, v6, s4
	v_cndmask_b32_e32 v6, s22, v7, vcc_lo
	v_cndmask_b32_e32 v4, v3, v4, vcc_lo
	s_delay_alu instid0(VALU_DEP_3) | instskip(NEXT) | instid1(VALU_DEP_3)
	v_cmp_ne_u32_e32 vcc_lo, 0, v5
	v_cndmask_b32_e32 v3, s20, v6, vcc_lo
	s_delay_alu instid0(VALU_DEP_3)
	v_cndmask_b32_e32 v2, v2, v4, vcc_lo
	s_cbranch_execnz .LBB133_149
.LBB133_148:                            ;   in Loop: Header=BB133_27 Depth=1
	v_cvt_f32_u32_e32 v2, s41
	s_sub_i32 s4, 0, s41
	s_delay_alu instid0(VALU_DEP_1) | instskip(SKIP_2) | instid1(VALU_DEP_1)
	v_rcp_iflag_f32_e32 v2, v2
	s_waitcnt_depctr 0xfff
	v_mul_f32_e32 v2, 0x4f7ffffe, v2
	v_cvt_u32_f32_e32 v2, v2
	s_delay_alu instid0(VALU_DEP_1) | instskip(NEXT) | instid1(VALU_DEP_1)
	v_mul_lo_u32 v3, s4, v2
	v_mul_hi_u32 v3, v2, v3
	s_delay_alu instid0(VALU_DEP_1) | instskip(NEXT) | instid1(VALU_DEP_1)
	v_add_nc_u32_e32 v2, v2, v3
	v_mul_hi_u32 v2, s19, v2
	s_delay_alu instid0(VALU_DEP_1) | instskip(NEXT) | instid1(VALU_DEP_1)
	v_mul_lo_u32 v2, v2, s41
	v_sub_nc_u32_e32 v2, s19, v2
	s_delay_alu instid0(VALU_DEP_1) | instskip(SKIP_1) | instid1(VALU_DEP_2)
	v_subrev_nc_u32_e32 v3, s41, v2
	v_cmp_le_u32_e32 vcc_lo, s41, v2
	v_cndmask_b32_e32 v2, v2, v3, vcc_lo
	s_delay_alu instid0(VALU_DEP_1) | instskip(SKIP_1) | instid1(VALU_DEP_2)
	v_subrev_nc_u32_e32 v3, s41, v2
	v_cmp_le_u32_e32 vcc_lo, s41, v2
	v_cndmask_b32_e32 v12, v2, v3, vcc_lo
	s_delay_alu instid0(VALU_DEP_1)
	v_dual_mov_b32 v2, v12 :: v_dual_mov_b32 v3, v13
.LBB133_149:                            ;   in Loop: Header=BB133_27 Depth=1
	s_delay_alu instid0(VALU_DEP_1) | instskip(NEXT) | instid1(VALU_DEP_2)
	v_sub_co_u32 v2, vcc_lo, s19, v2
	v_sub_co_ci_u32_e32 v3, vcc_lo, s5, v3, vcc_lo
	s_mov_b32 s4, 0
	s_mov_b32 s5, exec_lo
                                        ; implicit-def: $vgpr28
	s_delay_alu instid0(VALU_DEP_1)
	v_cmpx_gt_u64_e64 v[2:3], v[0:1]
	s_cbranch_execz .LBB133_162
; %bb.150:                              ;   in Loop: Header=BB133_27 Depth=1
	v_mov_b32_e32 v6, v21
	v_dual_mov_b32 v5, v1 :: v_dual_mov_b32 v4, v0
	s_mov_b32 s19, 0
                                        ; implicit-def: $sgpr20
	s_set_inst_prefetch_distance 0x1
	s_branch .LBB133_152
	.p2align	6
.LBB133_151:                            ;   in Loop: Header=BB133_152 Depth=2
	s_or_b32 exec_lo, exec_lo, s4
	s_waitcnt lgkmcnt(0)
	s_barrier
	buffer_gl0_inv
	ds_load_b32 v7, v13 offset:3072
	v_add_co_u32 v4, vcc_lo, v4, s41
	v_add_co_ci_u32_e32 v5, vcc_lo, 0, v5, vcc_lo
	v_add_nc_u32_e32 v6, s79, v6
	s_waitcnt lgkmcnt(0)
	s_barrier
	s_delay_alu instid0(VALU_DEP_2) | instskip(SKIP_2) | instid1(VALU_DEP_1)
	v_cmp_ge_u64_e32 vcc_lo, v[4:5], v[2:3]
	buffer_gl0_inv
	v_cmp_neq_f16_e64 s4, 0, v7
	s_or_b32 s22, vcc_lo, s4
	s_delay_alu instid0(SALU_CYCLE_1) | instskip(NEXT) | instid1(SALU_CYCLE_1)
	s_and_b32 s22, exec_lo, s22
	s_or_b32 s19, s22, s19
	s_and_not1_b32 s20, s20, exec_lo
	s_and_b32 s4, s4, exec_lo
	s_delay_alu instid0(SALU_CYCLE_1)
	s_or_b32 s20, s20, s4
	s_and_not1_b32 exec_lo, exec_lo, s19
	s_cbranch_execz .LBB133_161
.LBB133_152:                            ;   Parent Loop BB133_27 Depth=1
                                        ; =>  This Inner Loop Header: Depth=2
	s_delay_alu instid0(VALU_DEP_1)
	v_cmp_gt_u64_e32 vcc_lo, s[12:13], v[4:5]
	v_mov_b32_e32 v7, 0
	s_and_saveexec_b32 s4, vcc_lo
	s_cbranch_execz .LBB133_154
; %bb.153:                              ;   in Loop: Header=BB133_152 Depth=2
	ds_load_u16 v7, v6
.LBB133_154:                            ;   in Loop: Header=BB133_152 Depth=2
	s_or_b32 exec_lo, exec_lo, s4
	s_and_saveexec_b32 s4, vcc_lo
	s_cbranch_execz .LBB133_151
; %bb.155:                              ;   in Loop: Header=BB133_152 Depth=2
	s_waitcnt lgkmcnt(0)
	v_cmp_lt_i16_e32 vcc_lo, -1, v7
	v_and_b32_e32 v8, 0xffff, v7
	v_cndmask_b32_e32 v9, 0xffff, v27, vcc_lo
	v_cmp_o_f16_e32 vcc_lo, v7, v7
	s_delay_alu instid0(VALU_DEP_2) | instskip(NEXT) | instid1(VALU_DEP_1)
	v_xor_b32_e32 v8, v9, v8
	v_cndmask_b32_e32 v8, 0xffff, v8, vcc_lo
	s_delay_alu instid0(VALU_DEP_1) | instskip(NEXT) | instid1(VALU_DEP_1)
	v_and_b32_e32 v8, s91, v8
	v_cmp_eq_u32_e32 vcc_lo, s90, v8
	s_and_b32 exec_lo, exec_lo, vcc_lo
	s_cbranch_execz .LBB133_151
; %bb.156:                              ;   in Loop: Header=BB133_152 Depth=2
	v_perm_b32 v7, v7, s80, 0x5040100
	ds_store_b32 v13, v7 offset:3072
	s_branch .LBB133_151
.LBB133_157:                            ;   in Loop: Header=BB133_27 Depth=1
                                        ; implicit-def: $sgpr13
                                        ; implicit-def: $sgpr19
                                        ; implicit-def: $sgpr12
	s_branch .LBB133_176
.LBB133_158:                            ;   in Loop: Header=BB133_27 Depth=1
                                        ; implicit-def: $vgpr2_vgpr3
	s_branch .LBB133_103
.LBB133_159:                            ;   in Loop: Header=BB133_27 Depth=1
                                        ; implicit-def: $vgpr2_vgpr3
	s_branch .LBB133_118
.LBB133_160:                            ;   in Loop: Header=BB133_27 Depth=1
	s_mov_b32 s13, -1
	s_mov_b32 s4, 0
                                        ; implicit-def: $sgpr12
                                        ; implicit-def: $vgpr28
	s_mov_b32 s19, s13
	s_cbranch_execnz .LBB133_163
	s_branch .LBB133_176
.LBB133_161:                            ;   in Loop: Header=BB133_27 Depth=1
	s_set_inst_prefetch_distance 0x2
	s_or_b32 exec_lo, exec_lo, s19
	v_lshrrev_b32_e32 v28, 16, v7
	s_and_b32 s4, s20, exec_lo
.LBB133_162:                            ;   in Loop: Header=BB133_27 Depth=1
	s_or_b32 exec_lo, exec_lo, s5
	s_mov_b32 s12, -1
	s_mov_b32 s13, 0
	s_delay_alu instid0(SALU_CYCLE_1)
	s_mov_b32 s19, s13
	s_branch .LBB133_176
.LBB133_163:                            ;   in Loop: Header=BB133_27 Depth=1
	s_mov_b32 s56, s55
	s_delay_alu instid0(SALU_CYCLE_1)
	s_cmp_lg_u64 s[56:57], 0
	s_cbranch_scc0 .LBB133_206
; %bb.164:                              ;   in Loop: Header=BB133_27 Depth=1
	v_cvt_f32_u32_e32 v2, s41
	s_sub_u32 s12, 0, s41
	s_subb_u32 s13, 0, 0
	s_delay_alu instid0(VALU_DEP_1) | instskip(NEXT) | instid1(VALU_DEP_1)
	v_fmac_f32_e64 v2, 0, 0x4f800000
	v_rcp_f32_e32 v2, v2
	s_waitcnt_depctr 0xfff
	v_mul_f32_e32 v2, 0x5f7ffffc, v2
	s_delay_alu instid0(VALU_DEP_1) | instskip(NEXT) | instid1(VALU_DEP_1)
	v_mul_f32_e32 v3, 0x2f800000, v2
	v_trunc_f32_e32 v3, v3
	s_delay_alu instid0(VALU_DEP_1) | instskip(SKIP_1) | instid1(VALU_DEP_2)
	v_fmac_f32_e32 v2, 0xcf800000, v3
	v_cvt_u32_f32_e32 v3, v3
	v_cvt_u32_f32_e32 v2, v2
	s_delay_alu instid0(VALU_DEP_2) | instskip(NEXT) | instid1(VALU_DEP_2)
	v_readfirstlane_b32 s4, v3
	v_readfirstlane_b32 s5, v2
	s_delay_alu instid0(VALU_DEP_2) | instskip(NEXT) | instid1(VALU_DEP_1)
	s_mul_i32 s19, s12, s4
	s_mul_hi_u32 s22, s12, s5
	s_mul_i32 s20, s13, s5
	s_add_i32 s19, s22, s19
	s_mul_i32 s23, s12, s5
	s_add_i32 s19, s19, s20
	s_mul_hi_u32 s22, s5, s23
	s_mul_hi_u32 s54, s4, s23
	s_mul_i32 s20, s4, s23
	s_mul_hi_u32 s23, s5, s19
	s_mul_i32 s5, s5, s19
	s_mul_hi_u32 s56, s4, s19
	s_add_u32 s5, s22, s5
	s_addc_u32 s22, 0, s23
	s_add_u32 s5, s5, s20
	s_mul_i32 s19, s4, s19
	s_addc_u32 s5, s22, s54
	s_addc_u32 s20, s56, 0
	s_add_u32 s5, s5, s19
	s_addc_u32 s19, 0, s20
	v_add_co_u32 v2, s5, v2, s5
	s_delay_alu instid0(VALU_DEP_1) | instskip(SKIP_1) | instid1(VALU_DEP_1)
	s_cmp_lg_u32 s5, 0
	s_addc_u32 s4, s4, s19
	v_readfirstlane_b32 s5, v2
	s_mul_i32 s19, s12, s4
	s_delay_alu instid0(VALU_DEP_1)
	s_mul_hi_u32 s20, s12, s5
	s_mul_i32 s13, s13, s5
	s_add_i32 s19, s20, s19
	s_mul_i32 s12, s12, s5
	s_add_i32 s19, s19, s13
	s_mul_hi_u32 s20, s4, s12
	s_mul_i32 s22, s4, s12
	s_mul_hi_u32 s12, s5, s12
	s_mul_hi_u32 s23, s5, s19
	s_mul_i32 s5, s5, s19
	s_mul_hi_u32 s13, s4, s19
	s_add_u32 s5, s12, s5
	s_addc_u32 s12, 0, s23
	s_add_u32 s5, s5, s22
	s_mul_i32 s19, s4, s19
	s_addc_u32 s5, s12, s20
	s_addc_u32 s12, s13, 0
	s_add_u32 s5, s5, s19
	s_addc_u32 s12, 0, s12
	v_add_co_u32 v2, s5, v2, s5
	s_delay_alu instid0(VALU_DEP_1) | instskip(SKIP_1) | instid1(VALU_DEP_1)
	s_cmp_lg_u32 s5, 0
	s_addc_u32 s4, s4, s12
	v_readfirstlane_b32 s5, v2
	s_mul_i32 s13, s73, s4
	s_mul_hi_u32 s12, s73, s4
	s_mul_hi_u32 s19, s57, s4
	s_mul_i32 s4, s57, s4
	s_mul_hi_u32 s20, s73, s5
	s_mul_hi_u32 s22, s57, s5
	s_mul_i32 s5, s57, s5
	s_add_u32 s13, s20, s13
	s_addc_u32 s12, 0, s12
	s_add_u32 s5, s13, s5
	s_addc_u32 s5, s12, s22
	s_addc_u32 s12, s19, 0
	s_add_u32 s4, s5, s4
	s_addc_u32 s5, 0, s12
	s_mul_hi_u32 s12, s41, s4
	s_mul_i32 s4, s41, s4
	s_mul_i32 s5, s41, s5
	v_sub_co_u32 v2, s4, s73, s4
	s_add_i32 s12, s12, s5
	s_cmp_lg_u32 s4, 0
	s_delay_alu instid0(VALU_DEP_1) | instskip(SKIP_2) | instid1(VALU_DEP_1)
	v_sub_co_u32 v3, s4, v2, s41
	s_subb_u32 s5, s57, s12
	s_cmp_lg_u32 s4, 0
	v_cmp_le_u32_e32 vcc_lo, s41, v3
	v_sub_co_u32 v4, s4, v3, s41
	s_subb_u32 s12, s5, 0
	s_cmp_lg_u32 s4, 0
	v_cndmask_b32_e64 v5, 0, -1, vcc_lo
	s_subb_u32 s4, s12, 0
	s_cmp_eq_u32 s12, 0
	v_mov_b32_e32 v7, s4
	s_cselect_b32 vcc_lo, -1, 0
	s_cmp_eq_u32 s5, 0
	v_cndmask_b32_e32 v5, -1, v5, vcc_lo
	v_cmp_le_u32_e32 vcc_lo, s41, v2
	s_cselect_b32 s4, -1, 0
	v_cndmask_b32_e64 v6, 0, -1, vcc_lo
	s_delay_alu instid0(VALU_DEP_3) | instskip(NEXT) | instid1(VALU_DEP_2)
	v_cmp_ne_u32_e32 vcc_lo, 0, v5
	v_cndmask_b32_e64 v5, -1, v6, s4
	v_cndmask_b32_e32 v6, s12, v7, vcc_lo
	v_cndmask_b32_e32 v4, v3, v4, vcc_lo
	s_delay_alu instid0(VALU_DEP_3) | instskip(NEXT) | instid1(VALU_DEP_3)
	v_cmp_ne_u32_e32 vcc_lo, 0, v5
	v_cndmask_b32_e32 v3, s5, v6, vcc_lo
	s_delay_alu instid0(VALU_DEP_3)
	v_cndmask_b32_e32 v2, v2, v4, vcc_lo
	s_cbranch_execnz .LBB133_166
.LBB133_165:                            ;   in Loop: Header=BB133_27 Depth=1
	v_cvt_f32_u32_e32 v2, s41
	s_sub_i32 s4, 0, s41
	s_delay_alu instid0(VALU_DEP_1) | instskip(SKIP_2) | instid1(VALU_DEP_1)
	v_rcp_iflag_f32_e32 v2, v2
	s_waitcnt_depctr 0xfff
	v_mul_f32_e32 v2, 0x4f7ffffe, v2
	v_cvt_u32_f32_e32 v2, v2
	s_delay_alu instid0(VALU_DEP_1) | instskip(NEXT) | instid1(VALU_DEP_1)
	v_mul_lo_u32 v3, s4, v2
	v_mul_hi_u32 v3, v2, v3
	s_delay_alu instid0(VALU_DEP_1) | instskip(NEXT) | instid1(VALU_DEP_1)
	v_add_nc_u32_e32 v2, v2, v3
	v_mul_hi_u32 v2, s73, v2
	s_delay_alu instid0(VALU_DEP_1) | instskip(NEXT) | instid1(VALU_DEP_1)
	v_mul_lo_u32 v2, v2, s41
	v_sub_nc_u32_e32 v2, s73, v2
	s_delay_alu instid0(VALU_DEP_1) | instskip(SKIP_1) | instid1(VALU_DEP_2)
	v_subrev_nc_u32_e32 v3, s41, v2
	v_cmp_le_u32_e32 vcc_lo, s41, v2
	v_cndmask_b32_e32 v2, v2, v3, vcc_lo
	s_delay_alu instid0(VALU_DEP_1) | instskip(SKIP_1) | instid1(VALU_DEP_2)
	v_subrev_nc_u32_e32 v3, s41, v2
	v_cmp_le_u32_e32 vcc_lo, s41, v2
	v_cndmask_b32_e32 v12, v2, v3, vcc_lo
	s_delay_alu instid0(VALU_DEP_1)
	v_dual_mov_b32 v2, v12 :: v_dual_mov_b32 v3, v13
.LBB133_166:                            ;   in Loop: Header=BB133_27 Depth=1
	s_delay_alu instid0(VALU_DEP_1) | instskip(NEXT) | instid1(VALU_DEP_2)
	v_sub_co_u32 v2, vcc_lo, s73, v2
	v_sub_co_ci_u32_e32 v3, vcc_lo, s57, v3, vcc_lo
	s_mov_b32 s4, 0
	s_mov_b32 s5, exec_lo
                                        ; implicit-def: $vgpr28
	s_delay_alu instid0(VALU_DEP_1)
	v_cmpx_gt_u64_e64 v[2:3], v[0:1]
	s_cbranch_execz .LBB133_175
; %bb.167:                              ;   in Loop: Header=BB133_27 Depth=1
	v_dual_mov_b32 v5, v1 :: v_dual_mov_b32 v4, v0
	s_mov_b32 s12, 0
                                        ; implicit-def: $sgpr13
	s_branch .LBB133_169
.LBB133_168:                            ;   in Loop: Header=BB133_169 Depth=2
	s_or_b32 exec_lo, exec_lo, s4
	s_waitcnt vmcnt(0) lgkmcnt(0)
	s_barrier
	buffer_gl0_inv
	ds_load_b32 v6, v13 offset:3072
	v_add_co_u32 v4, vcc_lo, v4, s41
	v_add_co_ci_u32_e32 v5, vcc_lo, 0, v5, vcc_lo
	s_waitcnt lgkmcnt(0)
	s_barrier
	buffer_gl0_inv
	v_cmp_ge_u64_e32 vcc_lo, v[4:5], v[2:3]
	v_cmp_neq_f16_e64 s4, 0, v6
	s_delay_alu instid0(VALU_DEP_1) | instskip(NEXT) | instid1(SALU_CYCLE_1)
	s_or_b32 s19, vcc_lo, s4
	s_and_b32 s19, exec_lo, s19
	s_delay_alu instid0(SALU_CYCLE_1) | instskip(SKIP_2) | instid1(SALU_CYCLE_1)
	s_or_b32 s12, s19, s12
	s_and_not1_b32 s13, s13, exec_lo
	s_and_b32 s4, s4, exec_lo
	s_or_b32 s13, s13, s4
	s_and_not1_b32 exec_lo, exec_lo, s12
	s_cbranch_execz .LBB133_174
.LBB133_169:                            ;   Parent Loop BB133_27 Depth=1
                                        ; =>  This Inner Loop Header: Depth=2
	s_delay_alu instid0(VALU_DEP_1)
	v_cmp_gt_u64_e32 vcc_lo, s[24:25], v[4:5]
	v_mov_b32_e32 v6, 0
	s_and_saveexec_b32 s19, vcc_lo
	s_cbranch_execz .LBB133_171
; %bb.170:                              ;   in Loop: Header=BB133_169 Depth=2
	v_mul_lo_u32 v8, v5, s42
	v_mul_lo_u32 v9, v4, s43
	v_mad_u64_u32 v[6:7], null, v4, s42, 0
	s_delay_alu instid0(VALU_DEP_1) | instskip(NEXT) | instid1(VALU_DEP_1)
	v_add3_u32 v7, v7, v9, v8
	v_lshlrev_b64 v[6:7], 1, v[6:7]
	s_delay_alu instid0(VALU_DEP_1) | instskip(NEXT) | instid1(VALU_DEP_1)
	v_add_co_u32 v6, s4, s33, v6
	v_add_co_ci_u32_e64 v7, s4, s35, v7, s4
	global_load_u16 v6, v[6:7], off
.LBB133_171:                            ;   in Loop: Header=BB133_169 Depth=2
	s_or_b32 exec_lo, exec_lo, s19
	s_and_saveexec_b32 s4, vcc_lo
	s_cbranch_execz .LBB133_168
; %bb.172:                              ;   in Loop: Header=BB133_169 Depth=2
	s_waitcnt vmcnt(0)
	v_cmp_lt_i16_e32 vcc_lo, -1, v6
	v_dual_cndmask_b32 v8, 0xffff, v27 :: v_dual_and_b32 v7, 0xffff, v6
	v_cmp_o_f16_e32 vcc_lo, v6, v6
	s_delay_alu instid0(VALU_DEP_2) | instskip(NEXT) | instid1(VALU_DEP_1)
	v_xor_b32_e32 v7, v8, v7
	v_cndmask_b32_e32 v7, 0xffff, v7, vcc_lo
	s_delay_alu instid0(VALU_DEP_1) | instskip(NEXT) | instid1(VALU_DEP_1)
	v_and_b32_e32 v7, s91, v7
	v_cmp_eq_u32_e32 vcc_lo, s90, v7
	s_and_b32 exec_lo, exec_lo, vcc_lo
	s_cbranch_execz .LBB133_168
; %bb.173:                              ;   in Loop: Header=BB133_169 Depth=2
	v_perm_b32 v6, v6, s80, 0x5040100
	ds_store_b32 v13, v6 offset:3072
	s_branch .LBB133_168
.LBB133_174:                            ;   in Loop: Header=BB133_27 Depth=1
	s_or_b32 exec_lo, exec_lo, s12
	v_lshrrev_b32_e32 v28, 16, v6
	s_and_b32 s4, s13, exec_lo
.LBB133_175:                            ;   in Loop: Header=BB133_27 Depth=1
	s_or_b32 exec_lo, exec_lo, s5
	s_mov_b32 s19, -1
	s_mov_b32 s13, 0
	s_mov_b32 s12, 0
.LBB133_176:                            ;   in Loop: Header=BB133_27 Depth=1
	s_mov_b32 s5, 0
                                        ; implicit-def: $sgpr54
	s_and_saveexec_b32 s20, s4
	s_cbranch_execz .LBB133_287
; %bb.177:                              ;   in Loop: Header=BB133_27 Depth=1
	s_xor_b32 s4, s21, -1
	s_mov_b32 s54, 1
	s_and_not1_b32 vcc_lo, exec_lo, s4
	s_cbranch_vccnz .LBB133_188
; %bb.178:                              ;   in Loop: Header=BB133_27 Depth=1
	v_cmp_gt_u64_e64 s4, s[52:53], s[10:11]
                                        ; implicit-def: $sgpr54
                                        ; implicit-def: $sgpr5
                                        ; implicit-def: $sgpr21
	s_delay_alu instid0(VALU_DEP_1)
	s_and_b32 vcc_lo, exec_lo, s4
	s_mov_b32 s4, -1
	s_cbranch_vccnz .LBB133_184
; %bb.179:                              ;   in Loop: Header=BB133_27 Depth=1
	ds_load_b64 v[2:3], v13 offset:5120
	s_waitcnt lgkmcnt(0)
	v_cmp_ne_u64_e32 vcc_lo, 0, v[2:3]
	s_cbranch_vccnz .LBB133_183
; %bb.180:                              ;   in Loop: Header=BB133_27 Depth=1
	s_and_saveexec_b32 s4, s3
	s_cbranch_execz .LBB133_182
; %bb.181:                              ;   in Loop: Header=BB133_27 Depth=1
	v_dual_mov_b32 v2, s10 :: v_dual_mov_b32 v3, s11
	ds_store_b64 v13, v[2:3] offset:5128
.LBB133_182:                            ;   in Loop: Header=BB133_27 Depth=1
	s_or_b32 exec_lo, exec_lo, s4
	s_waitcnt lgkmcnt(0)
	s_barrier
	buffer_gl0_inv
.LBB133_183:                            ;   in Loop: Header=BB133_27 Depth=1
	s_lshl_b32 s4, 1, s17
	s_and_b32 s5, s90, s18
	s_or_b32 s21, s91, s16
	s_or_b32 s5, s5, s4
	s_mov_b32 s4, 0
	s_mov_b32 s54, 8
.LBB133_184:                            ;   in Loop: Header=BB133_27 Depth=1
	s_and_not1_b32 vcc_lo, exec_lo, s4
	s_cbranch_vccnz .LBB133_186
; %bb.185:                              ;   in Loop: Header=BB133_27 Depth=1
	s_sub_u32 s52, s52, s10
	s_subb_u32 s53, s53, s11
	s_mov_b32 s4, -1
	s_mov_b32 s54, 0
	s_mov_b32 s5, s90
	;; [unrolled: 1-line block ×3, first 2 shown]
.LBB133_186:                            ;   in Loop: Header=BB133_27 Depth=1
	s_delay_alu instid0(SALU_CYCLE_1)
	s_mov_b32 s91, s21
	s_mov_b32 s90, s5
	s_and_not1_b32 vcc_lo, exec_lo, s4
	s_mov_b32 s5, -1
	s_cbranch_vccz .LBB133_189
.LBB133_187:                            ;   in Loop: Header=BB133_27 Depth=1
                                        ; implicit-def: $sgpr11
                                        ; implicit-def: $sgpr21
                                        ; implicit-def: $sgpr10
	s_branch .LBB133_286
.LBB133_188:                            ;   in Loop: Header=BB133_27 Depth=1
	s_mov_b64 s[52:53], 1
	s_mov_b32 s5, -1
	s_cbranch_execnz .LBB133_187
.LBB133_189:                            ;   in Loop: Header=BB133_27 Depth=1
	s_cmp_eq_u64 s[8:9], 1
	s_cselect_b32 s4, -1, 0
	s_cmp_eq_u64 s[52:53], 1
	s_cselect_b32 s5, -1, 0
	s_delay_alu instid0(SALU_CYCLE_1)
	s_and_b32 s23, s4, s5
	s_mov_b32 s4, -1
	s_and_b32 vcc_lo, exec_lo, s23
	s_cbranch_vccz .LBB133_204
; %bb.190:                              ;   in Loop: Header=BB133_27 Depth=1
	ds_load_b64 v[2:3], v13 offset:5120
	s_waitcnt lgkmcnt(0)
	s_barrier
	buffer_gl0_inv
	v_readfirstlane_b32 s10, v2
	v_readfirstlane_b32 s11, v3
	s_and_saveexec_b32 s4, s0
	s_cbranch_execz .LBB133_192
; %bb.191:                              ;   in Loop: Header=BB133_27 Depth=1
	ds_store_b16 v22, v13
.LBB133_192:                            ;   in Loop: Header=BB133_27 Depth=1
	s_or_b32 exec_lo, exec_lo, s4
	s_lshl_b32 s4, 2, s17
	s_and_b32 s5, s90, s18
	s_or_b32 s91, s91, s16
	s_or_b32 s90, s5, s4
	s_cmp_eq_u64 s[10:11], 0
	s_waitcnt lgkmcnt(0)
	s_barrier
	buffer_gl0_inv
	s_cbranch_scc1 .LBB133_207
; %bb.193:                              ;   in Loop: Header=BB133_27 Depth=1
	s_add_u32 s21, s71, s10
	s_addc_u32 s5, s72, s11
	s_mov_b32 s4, s55
	s_delay_alu instid0(SALU_CYCLE_1)
	s_cmp_lg_u64 s[4:5], 0
	s_cbranch_scc0 .LBB133_252
; %bb.194:                              ;   in Loop: Header=BB133_27 Depth=1
	v_cvt_f32_u32_e32 v2, s41
	s_sub_u32 s54, 0, s41
	s_subb_u32 s56, 0, 0
	s_delay_alu instid0(VALU_DEP_1) | instskip(NEXT) | instid1(VALU_DEP_1)
	v_fmac_f32_e64 v2, 0, 0x4f800000
	v_rcp_f32_e32 v2, v2
	s_waitcnt_depctr 0xfff
	v_mul_f32_e32 v2, 0x5f7ffffc, v2
	s_delay_alu instid0(VALU_DEP_1) | instskip(NEXT) | instid1(VALU_DEP_1)
	v_mul_f32_e32 v3, 0x2f800000, v2
	v_trunc_f32_e32 v3, v3
	s_delay_alu instid0(VALU_DEP_1) | instskip(SKIP_1) | instid1(VALU_DEP_2)
	v_fmac_f32_e32 v2, 0xcf800000, v3
	v_cvt_u32_f32_e32 v3, v3
	v_cvt_u32_f32_e32 v2, v2
	s_delay_alu instid0(VALU_DEP_2) | instskip(NEXT) | instid1(VALU_DEP_2)
	v_readfirstlane_b32 s4, v3
	v_readfirstlane_b32 s22, v2
	s_delay_alu instid0(VALU_DEP_2) | instskip(NEXT) | instid1(VALU_DEP_1)
	s_mul_i32 s60, s54, s4
	s_mul_hi_u32 s62, s54, s22
	s_mul_i32 s61, s56, s22
	s_add_i32 s60, s62, s60
	s_mul_i32 s63, s54, s22
	s_add_i32 s60, s60, s61
	s_mul_hi_u32 s62, s22, s63
	s_mul_hi_u32 s64, s4, s63
	s_mul_i32 s61, s4, s63
	s_mul_hi_u32 s63, s22, s60
	s_mul_i32 s22, s22, s60
	s_mul_hi_u32 s65, s4, s60
	s_add_u32 s22, s62, s22
	s_addc_u32 s62, 0, s63
	s_add_u32 s22, s22, s61
	s_mul_i32 s60, s4, s60
	s_addc_u32 s22, s62, s64
	s_addc_u32 s61, s65, 0
	s_add_u32 s22, s22, s60
	s_addc_u32 s60, 0, s61
	v_add_co_u32 v2, s22, v2, s22
	s_delay_alu instid0(VALU_DEP_1) | instskip(SKIP_1) | instid1(VALU_DEP_1)
	s_cmp_lg_u32 s22, 0
	s_addc_u32 s4, s4, s60
	v_readfirstlane_b32 s22, v2
	s_mul_i32 s60, s54, s4
	s_delay_alu instid0(VALU_DEP_1)
	s_mul_hi_u32 s61, s54, s22
	s_mul_i32 s56, s56, s22
	s_add_i32 s60, s61, s60
	s_mul_i32 s54, s54, s22
	s_add_i32 s60, s60, s56
	s_mul_hi_u32 s61, s4, s54
	s_mul_i32 s62, s4, s54
	s_mul_hi_u32 s54, s22, s54
	s_mul_hi_u32 s63, s22, s60
	s_mul_i32 s22, s22, s60
	s_mul_hi_u32 s56, s4, s60
	s_add_u32 s22, s54, s22
	s_addc_u32 s54, 0, s63
	s_add_u32 s22, s22, s62
	s_mul_i32 s60, s4, s60
	s_addc_u32 s22, s54, s61
	s_addc_u32 s54, s56, 0
	s_add_u32 s22, s22, s60
	s_addc_u32 s54, 0, s54
	v_add_co_u32 v2, s22, v2, s22
	s_delay_alu instid0(VALU_DEP_1) | instskip(SKIP_1) | instid1(VALU_DEP_1)
	s_cmp_lg_u32 s22, 0
	s_addc_u32 s4, s4, s54
	v_readfirstlane_b32 s22, v2
	s_mul_i32 s56, s21, s4
	s_mul_hi_u32 s54, s21, s4
	s_mul_hi_u32 s60, s5, s4
	s_mul_i32 s4, s5, s4
	s_mul_hi_u32 s61, s21, s22
	s_mul_hi_u32 s62, s5, s22
	s_mul_i32 s22, s5, s22
	s_add_u32 s56, s61, s56
	s_addc_u32 s54, 0, s54
	s_add_u32 s22, s56, s22
	s_addc_u32 s22, s54, s62
	s_addc_u32 s54, s60, 0
	s_add_u32 s4, s22, s4
	s_addc_u32 s22, 0, s54
	s_mul_hi_u32 s54, s41, s4
	s_mul_i32 s4, s41, s4
	s_mul_i32 s22, s41, s22
	v_sub_co_u32 v2, s4, s21, s4
	s_add_i32 s54, s54, s22
	s_cmp_lg_u32 s4, 0
	s_delay_alu instid0(VALU_DEP_1) | instskip(SKIP_2) | instid1(VALU_DEP_1)
	v_sub_co_u32 v3, s4, v2, s41
	s_subb_u32 s22, s5, s54
	s_cmp_lg_u32 s4, 0
	v_cmp_le_u32_e32 vcc_lo, s41, v3
	v_sub_co_u32 v4, s4, v3, s41
	s_subb_u32 s54, s22, 0
	s_cmp_lg_u32 s4, 0
	v_cndmask_b32_e64 v5, 0, -1, vcc_lo
	s_subb_u32 s4, s54, 0
	s_cmp_eq_u32 s54, 0
	v_mov_b32_e32 v7, s4
	s_cselect_b32 vcc_lo, -1, 0
	s_cmp_eq_u32 s22, 0
	v_cndmask_b32_e32 v5, -1, v5, vcc_lo
	v_cmp_le_u32_e32 vcc_lo, s41, v2
	s_cselect_b32 s4, -1, 0
	v_cndmask_b32_e64 v6, 0, -1, vcc_lo
	s_delay_alu instid0(VALU_DEP_3) | instskip(NEXT) | instid1(VALU_DEP_2)
	v_cmp_ne_u32_e32 vcc_lo, 0, v5
	v_cndmask_b32_e64 v5, -1, v6, s4
	v_cndmask_b32_e32 v6, s54, v7, vcc_lo
	v_cndmask_b32_e32 v4, v3, v4, vcc_lo
	s_delay_alu instid0(VALU_DEP_3) | instskip(NEXT) | instid1(VALU_DEP_3)
	v_cmp_ne_u32_e32 vcc_lo, 0, v5
	v_cndmask_b32_e32 v3, s22, v6, vcc_lo
	s_delay_alu instid0(VALU_DEP_3)
	v_cndmask_b32_e32 v2, v2, v4, vcc_lo
	s_cbranch_execnz .LBB133_196
.LBB133_195:                            ;   in Loop: Header=BB133_27 Depth=1
	v_cvt_f32_u32_e32 v2, s41
	s_sub_i32 s4, 0, s41
	s_delay_alu instid0(VALU_DEP_1) | instskip(SKIP_2) | instid1(VALU_DEP_1)
	v_rcp_iflag_f32_e32 v2, v2
	s_waitcnt_depctr 0xfff
	v_mul_f32_e32 v2, 0x4f7ffffe, v2
	v_cvt_u32_f32_e32 v2, v2
	s_delay_alu instid0(VALU_DEP_1) | instskip(NEXT) | instid1(VALU_DEP_1)
	v_mul_lo_u32 v3, s4, v2
	v_mul_hi_u32 v3, v2, v3
	s_delay_alu instid0(VALU_DEP_1) | instskip(NEXT) | instid1(VALU_DEP_1)
	v_add_nc_u32_e32 v2, v2, v3
	v_mul_hi_u32 v2, s21, v2
	s_delay_alu instid0(VALU_DEP_1) | instskip(NEXT) | instid1(VALU_DEP_1)
	v_mul_lo_u32 v2, v2, s41
	v_sub_nc_u32_e32 v2, s21, v2
	s_delay_alu instid0(VALU_DEP_1) | instskip(SKIP_1) | instid1(VALU_DEP_2)
	v_subrev_nc_u32_e32 v3, s41, v2
	v_cmp_le_u32_e32 vcc_lo, s41, v2
	v_cndmask_b32_e32 v2, v2, v3, vcc_lo
	s_delay_alu instid0(VALU_DEP_1) | instskip(SKIP_1) | instid1(VALU_DEP_2)
	v_subrev_nc_u32_e32 v3, s41, v2
	v_cmp_le_u32_e32 vcc_lo, s41, v2
	v_cndmask_b32_e32 v12, v2, v3, vcc_lo
	s_delay_alu instid0(VALU_DEP_1)
	v_dual_mov_b32 v2, v12 :: v_dual_mov_b32 v3, v13
.LBB133_196:                            ;   in Loop: Header=BB133_27 Depth=1
	s_delay_alu instid0(VALU_DEP_1) | instskip(NEXT) | instid1(VALU_DEP_2)
	v_sub_co_u32 v2, vcc_lo, s21, v2
	v_sub_co_ci_u32_e32 v3, vcc_lo, s5, v3, vcc_lo
	s_mov_b32 s4, 0
	s_mov_b32 s5, exec_lo
                                        ; implicit-def: $vgpr28
	s_delay_alu instid0(VALU_DEP_1)
	v_cmpx_gt_u64_e64 v[2:3], v[0:1]
	s_cbranch_execz .LBB133_209
; %bb.197:                              ;   in Loop: Header=BB133_27 Depth=1
	v_mov_b32_e32 v6, v21
	v_dual_mov_b32 v5, v1 :: v_dual_mov_b32 v4, v0
	s_mov_b32 s21, 0
                                        ; implicit-def: $sgpr22
	s_set_inst_prefetch_distance 0x1
	s_branch .LBB133_199
	.p2align	6
.LBB133_198:                            ;   in Loop: Header=BB133_199 Depth=2
	s_or_b32 exec_lo, exec_lo, s4
	s_waitcnt lgkmcnt(0)
	s_barrier
	buffer_gl0_inv
	ds_load_b32 v7, v13 offset:3072
	v_add_co_u32 v4, vcc_lo, v4, s41
	v_add_co_ci_u32_e32 v5, vcc_lo, 0, v5, vcc_lo
	v_add_nc_u32_e32 v6, s79, v6
	s_waitcnt lgkmcnt(0)
	s_barrier
	s_delay_alu instid0(VALU_DEP_2) | instskip(SKIP_2) | instid1(VALU_DEP_1)
	v_cmp_ge_u64_e32 vcc_lo, v[4:5], v[2:3]
	buffer_gl0_inv
	v_cmp_neq_f16_e64 s4, 0, v7
	s_or_b32 s54, vcc_lo, s4
	s_delay_alu instid0(SALU_CYCLE_1) | instskip(NEXT) | instid1(SALU_CYCLE_1)
	s_and_b32 s54, exec_lo, s54
	s_or_b32 s21, s54, s21
	s_and_not1_b32 s22, s22, exec_lo
	s_and_b32 s4, s4, exec_lo
	s_delay_alu instid0(SALU_CYCLE_1)
	s_or_b32 s22, s22, s4
	s_and_not1_b32 exec_lo, exec_lo, s21
	s_cbranch_execz .LBB133_208
.LBB133_199:                            ;   Parent Loop BB133_27 Depth=1
                                        ; =>  This Inner Loop Header: Depth=2
	s_delay_alu instid0(VALU_DEP_1)
	v_cmp_gt_u64_e32 vcc_lo, s[10:11], v[4:5]
	v_mov_b32_e32 v7, 0
	s_and_saveexec_b32 s4, vcc_lo
	s_cbranch_execz .LBB133_201
; %bb.200:                              ;   in Loop: Header=BB133_199 Depth=2
	ds_load_u16 v7, v6
.LBB133_201:                            ;   in Loop: Header=BB133_199 Depth=2
	s_or_b32 exec_lo, exec_lo, s4
	s_and_saveexec_b32 s4, vcc_lo
	s_cbranch_execz .LBB133_198
; %bb.202:                              ;   in Loop: Header=BB133_199 Depth=2
	s_waitcnt lgkmcnt(0)
	v_cmp_lt_i16_e32 vcc_lo, -1, v7
	v_and_b32_e32 v8, 0xffff, v7
	v_cndmask_b32_e32 v9, 0xffff, v27, vcc_lo
	v_cmp_o_f16_e32 vcc_lo, v7, v7
	s_delay_alu instid0(VALU_DEP_2) | instskip(NEXT) | instid1(VALU_DEP_1)
	v_xor_b32_e32 v8, v9, v8
	v_cndmask_b32_e32 v8, 0xffff, v8, vcc_lo
	s_delay_alu instid0(VALU_DEP_1) | instskip(NEXT) | instid1(VALU_DEP_1)
	v_and_b32_e32 v8, s91, v8
	v_cmp_eq_u32_e32 vcc_lo, s90, v8
	s_and_b32 exec_lo, exec_lo, vcc_lo
	s_cbranch_execz .LBB133_198
; %bb.203:                              ;   in Loop: Header=BB133_199 Depth=2
	v_perm_b32 v7, v7, s80, 0x5040100
	ds_store_b32 v13, v7 offset:3072
	s_branch .LBB133_198
.LBB133_204:                            ;   in Loop: Header=BB133_27 Depth=1
                                        ; implicit-def: $sgpr10
                                        ; implicit-def: $sgpr21
                                        ; implicit-def: $sgpr11
	s_branch .LBB133_223
.LBB133_205:                            ;   in Loop: Header=BB133_27 Depth=1
                                        ; implicit-def: $vgpr2_vgpr3
	s_branch .LBB133_148
.LBB133_206:                            ;   in Loop: Header=BB133_27 Depth=1
                                        ; implicit-def: $vgpr2_vgpr3
	s_branch .LBB133_165
.LBB133_207:                            ;   in Loop: Header=BB133_27 Depth=1
	s_mov_b32 s10, -1
	s_mov_b32 s4, 0
                                        ; implicit-def: $sgpr11
                                        ; implicit-def: $vgpr28
	s_mov_b32 s21, s10
	s_cbranch_execnz .LBB133_210
	s_branch .LBB133_223
.LBB133_208:                            ;   in Loop: Header=BB133_27 Depth=1
	s_set_inst_prefetch_distance 0x2
	s_or_b32 exec_lo, exec_lo, s21
	v_lshrrev_b32_e32 v28, 16, v7
	s_and_b32 s4, s22, exec_lo
.LBB133_209:                            ;   in Loop: Header=BB133_27 Depth=1
	s_or_b32 exec_lo, exec_lo, s5
	s_mov_b32 s11, -1
	s_mov_b32 s10, 0
	s_delay_alu instid0(SALU_CYCLE_1)
	s_mov_b32 s21, s10
	s_branch .LBB133_223
.LBB133_210:                            ;   in Loop: Header=BB133_27 Depth=1
	s_mov_b32 s56, s55
	s_delay_alu instid0(SALU_CYCLE_1)
	s_cmp_lg_u64 s[56:57], 0
	s_cbranch_scc0 .LBB133_253
; %bb.211:                              ;   in Loop: Header=BB133_27 Depth=1
	v_cvt_f32_u32_e32 v2, s41
	s_sub_u32 s10, 0, s41
	s_subb_u32 s11, 0, 0
	s_delay_alu instid0(VALU_DEP_1) | instskip(NEXT) | instid1(VALU_DEP_1)
	v_fmac_f32_e64 v2, 0, 0x4f800000
	v_rcp_f32_e32 v2, v2
	s_waitcnt_depctr 0xfff
	v_mul_f32_e32 v2, 0x5f7ffffc, v2
	s_delay_alu instid0(VALU_DEP_1) | instskip(NEXT) | instid1(VALU_DEP_1)
	v_mul_f32_e32 v3, 0x2f800000, v2
	v_trunc_f32_e32 v3, v3
	s_delay_alu instid0(VALU_DEP_1) | instskip(SKIP_1) | instid1(VALU_DEP_2)
	v_fmac_f32_e32 v2, 0xcf800000, v3
	v_cvt_u32_f32_e32 v3, v3
	v_cvt_u32_f32_e32 v2, v2
	s_delay_alu instid0(VALU_DEP_2) | instskip(NEXT) | instid1(VALU_DEP_2)
	v_readfirstlane_b32 s4, v3
	v_readfirstlane_b32 s5, v2
	s_delay_alu instid0(VALU_DEP_2) | instskip(NEXT) | instid1(VALU_DEP_1)
	s_mul_i32 s21, s10, s4
	s_mul_hi_u32 s54, s10, s5
	s_mul_i32 s22, s11, s5
	s_add_i32 s21, s54, s21
	s_mul_i32 s56, s10, s5
	s_add_i32 s21, s21, s22
	s_mul_hi_u32 s54, s5, s56
	s_mul_hi_u32 s60, s4, s56
	s_mul_i32 s22, s4, s56
	s_mul_hi_u32 s56, s5, s21
	s_mul_i32 s5, s5, s21
	s_mul_hi_u32 s61, s4, s21
	s_add_u32 s5, s54, s5
	s_addc_u32 s54, 0, s56
	s_add_u32 s5, s5, s22
	s_mul_i32 s21, s4, s21
	s_addc_u32 s5, s54, s60
	s_addc_u32 s22, s61, 0
	s_add_u32 s5, s5, s21
	s_addc_u32 s21, 0, s22
	v_add_co_u32 v2, s5, v2, s5
	s_delay_alu instid0(VALU_DEP_1) | instskip(SKIP_1) | instid1(VALU_DEP_1)
	s_cmp_lg_u32 s5, 0
	s_addc_u32 s4, s4, s21
	v_readfirstlane_b32 s5, v2
	s_mul_i32 s21, s10, s4
	s_delay_alu instid0(VALU_DEP_1)
	s_mul_hi_u32 s22, s10, s5
	s_mul_i32 s11, s11, s5
	s_add_i32 s21, s22, s21
	s_mul_i32 s10, s10, s5
	s_add_i32 s21, s21, s11
	s_mul_hi_u32 s22, s4, s10
	s_mul_i32 s54, s4, s10
	s_mul_hi_u32 s10, s5, s10
	s_mul_hi_u32 s56, s5, s21
	s_mul_i32 s5, s5, s21
	s_mul_hi_u32 s11, s4, s21
	s_add_u32 s5, s10, s5
	s_addc_u32 s10, 0, s56
	s_add_u32 s5, s5, s54
	s_mul_i32 s21, s4, s21
	s_addc_u32 s5, s10, s22
	s_addc_u32 s10, s11, 0
	s_add_u32 s5, s5, s21
	s_addc_u32 s10, 0, s10
	v_add_co_u32 v2, s5, v2, s5
	s_delay_alu instid0(VALU_DEP_1) | instskip(SKIP_1) | instid1(VALU_DEP_1)
	s_cmp_lg_u32 s5, 0
	s_addc_u32 s4, s4, s10
	v_readfirstlane_b32 s5, v2
	s_mul_i32 s11, s73, s4
	s_mul_hi_u32 s10, s73, s4
	s_mul_hi_u32 s21, s57, s4
	s_mul_i32 s4, s57, s4
	s_mul_hi_u32 s22, s73, s5
	s_mul_hi_u32 s54, s57, s5
	s_mul_i32 s5, s57, s5
	s_add_u32 s11, s22, s11
	s_addc_u32 s10, 0, s10
	s_add_u32 s5, s11, s5
	s_addc_u32 s5, s10, s54
	s_addc_u32 s10, s21, 0
	s_add_u32 s4, s5, s4
	s_addc_u32 s5, 0, s10
	s_mul_hi_u32 s10, s41, s4
	s_mul_i32 s4, s41, s4
	s_mul_i32 s5, s41, s5
	v_sub_co_u32 v2, s4, s73, s4
	s_add_i32 s10, s10, s5
	s_cmp_lg_u32 s4, 0
	s_delay_alu instid0(VALU_DEP_1) | instskip(SKIP_2) | instid1(VALU_DEP_1)
	v_sub_co_u32 v3, s4, v2, s41
	s_subb_u32 s5, s57, s10
	s_cmp_lg_u32 s4, 0
	v_cmp_le_u32_e32 vcc_lo, s41, v3
	v_sub_co_u32 v4, s4, v3, s41
	s_subb_u32 s10, s5, 0
	s_cmp_lg_u32 s4, 0
	v_cndmask_b32_e64 v5, 0, -1, vcc_lo
	s_subb_u32 s4, s10, 0
	s_cmp_eq_u32 s10, 0
	v_mov_b32_e32 v7, s4
	s_cselect_b32 vcc_lo, -1, 0
	s_cmp_eq_u32 s5, 0
	v_cndmask_b32_e32 v5, -1, v5, vcc_lo
	v_cmp_le_u32_e32 vcc_lo, s41, v2
	s_cselect_b32 s4, -1, 0
	v_cndmask_b32_e64 v6, 0, -1, vcc_lo
	s_delay_alu instid0(VALU_DEP_3) | instskip(NEXT) | instid1(VALU_DEP_2)
	v_cmp_ne_u32_e32 vcc_lo, 0, v5
	v_cndmask_b32_e64 v5, -1, v6, s4
	v_cndmask_b32_e32 v6, s10, v7, vcc_lo
	v_cndmask_b32_e32 v4, v3, v4, vcc_lo
	s_delay_alu instid0(VALU_DEP_3) | instskip(NEXT) | instid1(VALU_DEP_3)
	v_cmp_ne_u32_e32 vcc_lo, 0, v5
	v_cndmask_b32_e32 v3, s5, v6, vcc_lo
	s_delay_alu instid0(VALU_DEP_3)
	v_cndmask_b32_e32 v2, v2, v4, vcc_lo
	s_cbranch_execnz .LBB133_213
.LBB133_212:                            ;   in Loop: Header=BB133_27 Depth=1
	v_cvt_f32_u32_e32 v2, s41
	s_sub_i32 s4, 0, s41
	s_delay_alu instid0(VALU_DEP_1) | instskip(SKIP_2) | instid1(VALU_DEP_1)
	v_rcp_iflag_f32_e32 v2, v2
	s_waitcnt_depctr 0xfff
	v_mul_f32_e32 v2, 0x4f7ffffe, v2
	v_cvt_u32_f32_e32 v2, v2
	s_delay_alu instid0(VALU_DEP_1) | instskip(NEXT) | instid1(VALU_DEP_1)
	v_mul_lo_u32 v3, s4, v2
	v_mul_hi_u32 v3, v2, v3
	s_delay_alu instid0(VALU_DEP_1) | instskip(NEXT) | instid1(VALU_DEP_1)
	v_add_nc_u32_e32 v2, v2, v3
	v_mul_hi_u32 v2, s73, v2
	s_delay_alu instid0(VALU_DEP_1) | instskip(NEXT) | instid1(VALU_DEP_1)
	v_mul_lo_u32 v2, v2, s41
	v_sub_nc_u32_e32 v2, s73, v2
	s_delay_alu instid0(VALU_DEP_1) | instskip(SKIP_1) | instid1(VALU_DEP_2)
	v_subrev_nc_u32_e32 v3, s41, v2
	v_cmp_le_u32_e32 vcc_lo, s41, v2
	v_cndmask_b32_e32 v2, v2, v3, vcc_lo
	s_delay_alu instid0(VALU_DEP_1) | instskip(SKIP_1) | instid1(VALU_DEP_2)
	v_subrev_nc_u32_e32 v3, s41, v2
	v_cmp_le_u32_e32 vcc_lo, s41, v2
	v_cndmask_b32_e32 v12, v2, v3, vcc_lo
	s_delay_alu instid0(VALU_DEP_1)
	v_dual_mov_b32 v2, v12 :: v_dual_mov_b32 v3, v13
.LBB133_213:                            ;   in Loop: Header=BB133_27 Depth=1
	s_delay_alu instid0(VALU_DEP_1) | instskip(NEXT) | instid1(VALU_DEP_2)
	v_sub_co_u32 v2, vcc_lo, s73, v2
	v_sub_co_ci_u32_e32 v3, vcc_lo, s57, v3, vcc_lo
	s_mov_b32 s4, 0
	s_mov_b32 s5, exec_lo
                                        ; implicit-def: $vgpr28
	s_delay_alu instid0(VALU_DEP_1)
	v_cmpx_gt_u64_e64 v[2:3], v[0:1]
	s_cbranch_execz .LBB133_222
; %bb.214:                              ;   in Loop: Header=BB133_27 Depth=1
	v_dual_mov_b32 v5, v1 :: v_dual_mov_b32 v4, v0
	s_mov_b32 s10, 0
                                        ; implicit-def: $sgpr11
	s_branch .LBB133_216
.LBB133_215:                            ;   in Loop: Header=BB133_216 Depth=2
	s_or_b32 exec_lo, exec_lo, s4
	s_waitcnt vmcnt(0) lgkmcnt(0)
	s_barrier
	buffer_gl0_inv
	ds_load_b32 v6, v13 offset:3072
	v_add_co_u32 v4, vcc_lo, v4, s41
	v_add_co_ci_u32_e32 v5, vcc_lo, 0, v5, vcc_lo
	s_waitcnt lgkmcnt(0)
	s_barrier
	buffer_gl0_inv
	v_cmp_ge_u64_e32 vcc_lo, v[4:5], v[2:3]
	v_cmp_neq_f16_e64 s4, 0, v6
	s_delay_alu instid0(VALU_DEP_1) | instskip(NEXT) | instid1(SALU_CYCLE_1)
	s_or_b32 s21, vcc_lo, s4
	s_and_b32 s21, exec_lo, s21
	s_delay_alu instid0(SALU_CYCLE_1) | instskip(SKIP_2) | instid1(SALU_CYCLE_1)
	s_or_b32 s10, s21, s10
	s_and_not1_b32 s11, s11, exec_lo
	s_and_b32 s4, s4, exec_lo
	s_or_b32 s11, s11, s4
	s_and_not1_b32 exec_lo, exec_lo, s10
	s_cbranch_execz .LBB133_221
.LBB133_216:                            ;   Parent Loop BB133_27 Depth=1
                                        ; =>  This Inner Loop Header: Depth=2
	s_delay_alu instid0(VALU_DEP_1)
	v_cmp_gt_u64_e32 vcc_lo, s[24:25], v[4:5]
	v_mov_b32_e32 v6, 0
	s_and_saveexec_b32 s21, vcc_lo
	s_cbranch_execz .LBB133_218
; %bb.217:                              ;   in Loop: Header=BB133_216 Depth=2
	v_mul_lo_u32 v8, v5, s42
	v_mul_lo_u32 v9, v4, s43
	v_mad_u64_u32 v[6:7], null, v4, s42, 0
	s_delay_alu instid0(VALU_DEP_1) | instskip(NEXT) | instid1(VALU_DEP_1)
	v_add3_u32 v7, v7, v9, v8
	v_lshlrev_b64 v[6:7], 1, v[6:7]
	s_delay_alu instid0(VALU_DEP_1) | instskip(NEXT) | instid1(VALU_DEP_1)
	v_add_co_u32 v6, s4, s33, v6
	v_add_co_ci_u32_e64 v7, s4, s35, v7, s4
	global_load_u16 v6, v[6:7], off
.LBB133_218:                            ;   in Loop: Header=BB133_216 Depth=2
	s_or_b32 exec_lo, exec_lo, s21
	s_and_saveexec_b32 s4, vcc_lo
	s_cbranch_execz .LBB133_215
; %bb.219:                              ;   in Loop: Header=BB133_216 Depth=2
	s_waitcnt vmcnt(0)
	v_cmp_lt_i16_e32 vcc_lo, -1, v6
	v_dual_cndmask_b32 v8, 0xffff, v27 :: v_dual_and_b32 v7, 0xffff, v6
	v_cmp_o_f16_e32 vcc_lo, v6, v6
	s_delay_alu instid0(VALU_DEP_2) | instskip(NEXT) | instid1(VALU_DEP_1)
	v_xor_b32_e32 v7, v8, v7
	v_cndmask_b32_e32 v7, 0xffff, v7, vcc_lo
	s_delay_alu instid0(VALU_DEP_1) | instskip(NEXT) | instid1(VALU_DEP_1)
	v_and_b32_e32 v7, s91, v7
	v_cmp_eq_u32_e32 vcc_lo, s90, v7
	s_and_b32 exec_lo, exec_lo, vcc_lo
	s_cbranch_execz .LBB133_215
; %bb.220:                              ;   in Loop: Header=BB133_216 Depth=2
	v_perm_b32 v6, v6, s80, 0x5040100
	ds_store_b32 v13, v6 offset:3072
	s_branch .LBB133_215
.LBB133_221:                            ;   in Loop: Header=BB133_27 Depth=1
	s_or_b32 exec_lo, exec_lo, s10
	v_lshrrev_b32_e32 v28, 16, v6
	s_and_b32 s4, s11, exec_lo
.LBB133_222:                            ;   in Loop: Header=BB133_27 Depth=1
	s_or_b32 exec_lo, exec_lo, s5
	s_mov_b32 s21, -1
	s_mov_b32 s10, 0
	s_mov_b32 s11, 0
.LBB133_223:                            ;   in Loop: Header=BB133_27 Depth=1
	s_mov_b32 s5, 0
                                        ; implicit-def: $sgpr54
	s_and_saveexec_b32 s22, s4
	s_cbranch_execz .LBB133_285
; %bb.224:                              ;   in Loop: Header=BB133_27 Depth=1
	s_xor_b32 s4, s23, -1
	s_mov_b32 s54, 1
	s_and_not1_b32 vcc_lo, exec_lo, s4
	s_cbranch_vccnz .LBB133_235
; %bb.225:                              ;   in Loop: Header=BB133_27 Depth=1
	v_cmp_gt_u64_e64 s4, s[52:53], s[8:9]
                                        ; implicit-def: $sgpr54
                                        ; implicit-def: $sgpr5
                                        ; implicit-def: $sgpr23
	s_delay_alu instid0(VALU_DEP_1)
	s_and_b32 vcc_lo, exec_lo, s4
	s_mov_b32 s4, -1
	s_cbranch_vccnz .LBB133_231
; %bb.226:                              ;   in Loop: Header=BB133_27 Depth=1
	ds_load_b64 v[2:3], v13 offset:5120
	s_waitcnt lgkmcnt(0)
	v_cmp_ne_u64_e32 vcc_lo, 0, v[2:3]
	s_cbranch_vccnz .LBB133_230
; %bb.227:                              ;   in Loop: Header=BB133_27 Depth=1
	s_and_saveexec_b32 s4, s3
	s_cbranch_execz .LBB133_229
; %bb.228:                              ;   in Loop: Header=BB133_27 Depth=1
	v_dual_mov_b32 v2, s8 :: v_dual_mov_b32 v3, s9
	ds_store_b64 v13, v[2:3] offset:5128
.LBB133_229:                            ;   in Loop: Header=BB133_27 Depth=1
	s_or_b32 exec_lo, exec_lo, s4
	s_waitcnt lgkmcnt(0)
	s_barrier
	buffer_gl0_inv
.LBB133_230:                            ;   in Loop: Header=BB133_27 Depth=1
	s_lshl_b32 s4, 2, s17
	s_and_b32 s5, s90, s18
	s_or_b32 s23, s91, s16
	s_or_b32 s5, s5, s4
	s_mov_b32 s4, 0
	s_mov_b32 s54, 8
.LBB133_231:                            ;   in Loop: Header=BB133_27 Depth=1
	s_and_not1_b32 vcc_lo, exec_lo, s4
	s_cbranch_vccnz .LBB133_233
; %bb.232:                              ;   in Loop: Header=BB133_27 Depth=1
	s_sub_u32 s52, s52, s8
	s_subb_u32 s53, s53, s9
	s_mov_b32 s4, -1
	s_mov_b32 s54, 0
	s_mov_b32 s5, s90
	s_mov_b32 s23, s91
.LBB133_233:                            ;   in Loop: Header=BB133_27 Depth=1
	s_delay_alu instid0(SALU_CYCLE_1)
	s_mov_b32 s91, s23
	s_mov_b32 s90, s5
	s_and_not1_b32 vcc_lo, exec_lo, s4
	s_mov_b32 s60, -1
	s_cbranch_vccz .LBB133_236
.LBB133_234:                            ;   in Loop: Header=BB133_27 Depth=1
                                        ; implicit-def: $sgpr8
                                        ; implicit-def: $sgpr18
                                        ; implicit-def: $sgpr9
	s_branch .LBB133_284
.LBB133_235:                            ;   in Loop: Header=BB133_27 Depth=1
	s_mov_b64 s[52:53], 1
	s_mov_b32 s60, -1
	s_cbranch_execnz .LBB133_234
.LBB133_236:                            ;   in Loop: Header=BB133_27 Depth=1
	s_cmp_eq_u64 s[6:7], 1
	s_mov_b32 s23, -1
	s_cselect_b32 s4, -1, 0
	s_cmp_eq_u64 s[52:53], 1
	s_cselect_b32 s5, -1, 0
	s_delay_alu instid0(SALU_CYCLE_1) | instskip(NEXT) | instid1(SALU_CYCLE_1)
	s_and_b32 s17, s4, s5
	s_and_b32 vcc_lo, exec_lo, s17
	s_cbranch_vccz .LBB133_251
; %bb.237:                              ;   in Loop: Header=BB133_27 Depth=1
	ds_load_b64 v[2:3], v13 offset:5120
	s_waitcnt lgkmcnt(0)
	s_barrier
	buffer_gl0_inv
	v_readfirstlane_b32 s8, v2
	v_readfirstlane_b32 s9, v3
	s_and_saveexec_b32 s4, s0
	s_cbranch_execz .LBB133_239
; %bb.238:                              ;   in Loop: Header=BB133_27 Depth=1
	ds_store_b16 v22, v13
.LBB133_239:                            ;   in Loop: Header=BB133_27 Depth=1
	s_or_b32 exec_lo, exec_lo, s4
	s_or_b32 s90, s90, s16
	s_or_b32 s91, s91, s16
	s_cmp_eq_u64 s[8:9], 0
	s_waitcnt lgkmcnt(0)
	s_barrier
	buffer_gl0_inv
	s_cbranch_scc1 .LBB133_254
; %bb.240:                              ;   in Loop: Header=BB133_27 Depth=1
	s_add_u32 s18, s71, s8
	s_addc_u32 s5, s72, s9
	s_mov_b32 s4, s55
	s_delay_alu instid0(SALU_CYCLE_1)
	s_cmp_lg_u64 s[4:5], 0
	s_cbranch_scc0 .LBB133_290
; %bb.241:                              ;   in Loop: Header=BB133_27 Depth=1
	v_cvt_f32_u32_e32 v2, s41
	s_sub_u32 s54, 0, s41
	s_subb_u32 s56, 0, 0
	s_delay_alu instid0(VALU_DEP_1) | instskip(NEXT) | instid1(VALU_DEP_1)
	v_fmac_f32_e64 v2, 0, 0x4f800000
	v_rcp_f32_e32 v2, v2
	s_waitcnt_depctr 0xfff
	v_mul_f32_e32 v2, 0x5f7ffffc, v2
	s_delay_alu instid0(VALU_DEP_1) | instskip(NEXT) | instid1(VALU_DEP_1)
	v_mul_f32_e32 v3, 0x2f800000, v2
	v_trunc_f32_e32 v3, v3
	s_delay_alu instid0(VALU_DEP_1) | instskip(SKIP_1) | instid1(VALU_DEP_2)
	v_fmac_f32_e32 v2, 0xcf800000, v3
	v_cvt_u32_f32_e32 v3, v3
	v_cvt_u32_f32_e32 v2, v2
	s_delay_alu instid0(VALU_DEP_2) | instskip(NEXT) | instid1(VALU_DEP_2)
	v_readfirstlane_b32 s4, v3
	v_readfirstlane_b32 s23, v2
	s_delay_alu instid0(VALU_DEP_2) | instskip(NEXT) | instid1(VALU_DEP_1)
	s_mul_i32 s60, s54, s4
	s_mul_hi_u32 s62, s54, s23
	s_mul_i32 s61, s56, s23
	s_add_i32 s60, s62, s60
	s_mul_i32 s63, s54, s23
	s_add_i32 s60, s60, s61
	s_mul_hi_u32 s62, s23, s63
	s_mul_hi_u32 s64, s4, s63
	s_mul_i32 s61, s4, s63
	s_mul_hi_u32 s63, s23, s60
	s_mul_i32 s23, s23, s60
	s_mul_hi_u32 s65, s4, s60
	s_add_u32 s23, s62, s23
	s_addc_u32 s62, 0, s63
	s_add_u32 s23, s23, s61
	s_mul_i32 s60, s4, s60
	s_addc_u32 s23, s62, s64
	s_addc_u32 s61, s65, 0
	s_add_u32 s23, s23, s60
	s_addc_u32 s60, 0, s61
	v_add_co_u32 v2, s23, v2, s23
	s_delay_alu instid0(VALU_DEP_1) | instskip(SKIP_1) | instid1(VALU_DEP_1)
	s_cmp_lg_u32 s23, 0
	s_addc_u32 s4, s4, s60
	v_readfirstlane_b32 s23, v2
	s_mul_i32 s60, s54, s4
	s_delay_alu instid0(VALU_DEP_1)
	s_mul_hi_u32 s61, s54, s23
	s_mul_i32 s56, s56, s23
	s_add_i32 s60, s61, s60
	s_mul_i32 s54, s54, s23
	s_add_i32 s60, s60, s56
	s_mul_hi_u32 s61, s4, s54
	s_mul_i32 s62, s4, s54
	s_mul_hi_u32 s54, s23, s54
	s_mul_hi_u32 s63, s23, s60
	s_mul_i32 s23, s23, s60
	s_mul_hi_u32 s56, s4, s60
	s_add_u32 s23, s54, s23
	s_addc_u32 s54, 0, s63
	s_add_u32 s23, s23, s62
	s_mul_i32 s60, s4, s60
	s_addc_u32 s23, s54, s61
	s_addc_u32 s54, s56, 0
	s_add_u32 s23, s23, s60
	s_addc_u32 s54, 0, s54
	v_add_co_u32 v2, s23, v2, s23
	s_delay_alu instid0(VALU_DEP_1) | instskip(SKIP_1) | instid1(VALU_DEP_1)
	s_cmp_lg_u32 s23, 0
	s_addc_u32 s4, s4, s54
	v_readfirstlane_b32 s23, v2
	s_mul_i32 s56, s18, s4
	s_mul_hi_u32 s54, s18, s4
	s_mul_hi_u32 s60, s5, s4
	s_mul_i32 s4, s5, s4
	s_mul_hi_u32 s61, s18, s23
	s_mul_hi_u32 s62, s5, s23
	s_mul_i32 s23, s5, s23
	s_add_u32 s56, s61, s56
	s_addc_u32 s54, 0, s54
	s_add_u32 s23, s56, s23
	s_addc_u32 s23, s54, s62
	s_addc_u32 s54, s60, 0
	s_add_u32 s4, s23, s4
	s_addc_u32 s23, 0, s54
	s_mul_hi_u32 s54, s41, s4
	s_mul_i32 s4, s41, s4
	s_mul_i32 s23, s41, s23
	v_sub_co_u32 v2, s4, s18, s4
	s_add_i32 s54, s54, s23
	s_cmp_lg_u32 s4, 0
	s_delay_alu instid0(VALU_DEP_1) | instskip(SKIP_2) | instid1(VALU_DEP_1)
	v_sub_co_u32 v3, s4, v2, s41
	s_subb_u32 s23, s5, s54
	s_cmp_lg_u32 s4, 0
	v_cmp_le_u32_e32 vcc_lo, s41, v3
	v_sub_co_u32 v4, s4, v3, s41
	s_subb_u32 s54, s23, 0
	s_cmp_lg_u32 s4, 0
	v_cndmask_b32_e64 v5, 0, -1, vcc_lo
	s_subb_u32 s4, s54, 0
	s_cmp_eq_u32 s54, 0
	v_mov_b32_e32 v7, s4
	s_cselect_b32 vcc_lo, -1, 0
	s_cmp_eq_u32 s23, 0
	v_cndmask_b32_e32 v5, -1, v5, vcc_lo
	v_cmp_le_u32_e32 vcc_lo, s41, v2
	s_cselect_b32 s4, -1, 0
	v_cndmask_b32_e64 v6, 0, -1, vcc_lo
	s_delay_alu instid0(VALU_DEP_3) | instskip(NEXT) | instid1(VALU_DEP_2)
	v_cmp_ne_u32_e32 vcc_lo, 0, v5
	v_cndmask_b32_e64 v5, -1, v6, s4
	v_cndmask_b32_e32 v6, s54, v7, vcc_lo
	v_cndmask_b32_e32 v4, v3, v4, vcc_lo
	s_delay_alu instid0(VALU_DEP_3) | instskip(NEXT) | instid1(VALU_DEP_3)
	v_cmp_ne_u32_e32 vcc_lo, 0, v5
	v_cndmask_b32_e32 v3, s23, v6, vcc_lo
	s_delay_alu instid0(VALU_DEP_3)
	v_cndmask_b32_e32 v2, v2, v4, vcc_lo
	s_cbranch_execnz .LBB133_243
.LBB133_242:                            ;   in Loop: Header=BB133_27 Depth=1
	v_cvt_f32_u32_e32 v2, s41
	s_sub_i32 s4, 0, s41
	s_delay_alu instid0(VALU_DEP_1) | instskip(SKIP_2) | instid1(VALU_DEP_1)
	v_rcp_iflag_f32_e32 v2, v2
	s_waitcnt_depctr 0xfff
	v_mul_f32_e32 v2, 0x4f7ffffe, v2
	v_cvt_u32_f32_e32 v2, v2
	s_delay_alu instid0(VALU_DEP_1) | instskip(NEXT) | instid1(VALU_DEP_1)
	v_mul_lo_u32 v3, s4, v2
	v_mul_hi_u32 v3, v2, v3
	s_delay_alu instid0(VALU_DEP_1) | instskip(NEXT) | instid1(VALU_DEP_1)
	v_add_nc_u32_e32 v2, v2, v3
	v_mul_hi_u32 v2, s18, v2
	s_delay_alu instid0(VALU_DEP_1) | instskip(NEXT) | instid1(VALU_DEP_1)
	v_mul_lo_u32 v2, v2, s41
	v_sub_nc_u32_e32 v2, s18, v2
	s_delay_alu instid0(VALU_DEP_1) | instskip(SKIP_1) | instid1(VALU_DEP_2)
	v_subrev_nc_u32_e32 v3, s41, v2
	v_cmp_le_u32_e32 vcc_lo, s41, v2
	v_cndmask_b32_e32 v2, v2, v3, vcc_lo
	s_delay_alu instid0(VALU_DEP_1) | instskip(SKIP_1) | instid1(VALU_DEP_2)
	v_subrev_nc_u32_e32 v3, s41, v2
	v_cmp_le_u32_e32 vcc_lo, s41, v2
	v_cndmask_b32_e32 v12, v2, v3, vcc_lo
	s_delay_alu instid0(VALU_DEP_1)
	v_dual_mov_b32 v2, v12 :: v_dual_mov_b32 v3, v13
.LBB133_243:                            ;   in Loop: Header=BB133_27 Depth=1
	s_delay_alu instid0(VALU_DEP_1) | instskip(NEXT) | instid1(VALU_DEP_2)
	v_sub_co_u32 v2, vcc_lo, s18, v2
	v_sub_co_ci_u32_e32 v3, vcc_lo, s5, v3, vcc_lo
	s_mov_b32 s23, 0
	s_mov_b32 s5, exec_lo
                                        ; implicit-def: $vgpr28
	s_delay_alu instid0(VALU_DEP_1)
	v_cmpx_gt_u64_e64 v[2:3], v[0:1]
	s_cbranch_execz .LBB133_256
; %bb.244:                              ;   in Loop: Header=BB133_27 Depth=1
	v_mov_b32_e32 v6, v21
	v_dual_mov_b32 v5, v1 :: v_dual_mov_b32 v4, v0
	s_mov_b32 s18, 0
                                        ; implicit-def: $sgpr23
	s_set_inst_prefetch_distance 0x1
	s_branch .LBB133_246
	.p2align	6
.LBB133_245:                            ;   in Loop: Header=BB133_246 Depth=2
	s_or_b32 exec_lo, exec_lo, s4
	s_waitcnt lgkmcnt(0)
	s_barrier
	buffer_gl0_inv
	ds_load_b32 v7, v13 offset:3072
	v_add_co_u32 v4, vcc_lo, v4, s41
	v_add_co_ci_u32_e32 v5, vcc_lo, 0, v5, vcc_lo
	v_add_nc_u32_e32 v6, s79, v6
	s_waitcnt lgkmcnt(0)
	s_barrier
	s_delay_alu instid0(VALU_DEP_2) | instskip(SKIP_2) | instid1(VALU_DEP_1)
	v_cmp_ge_u64_e32 vcc_lo, v[4:5], v[2:3]
	buffer_gl0_inv
	v_cmp_neq_f16_e64 s4, 0, v7
	s_or_b32 s54, vcc_lo, s4
	s_delay_alu instid0(SALU_CYCLE_1) | instskip(NEXT) | instid1(SALU_CYCLE_1)
	s_and_b32 s54, exec_lo, s54
	s_or_b32 s18, s54, s18
	s_and_not1_b32 s23, s23, exec_lo
	s_and_b32 s4, s4, exec_lo
	s_delay_alu instid0(SALU_CYCLE_1)
	s_or_b32 s23, s23, s4
	s_and_not1_b32 exec_lo, exec_lo, s18
	s_cbranch_execz .LBB133_255
.LBB133_246:                            ;   Parent Loop BB133_27 Depth=1
                                        ; =>  This Inner Loop Header: Depth=2
	s_delay_alu instid0(VALU_DEP_1)
	v_cmp_gt_u64_e32 vcc_lo, s[8:9], v[4:5]
	v_mov_b32_e32 v7, 0
	s_and_saveexec_b32 s4, vcc_lo
	s_cbranch_execz .LBB133_248
; %bb.247:                              ;   in Loop: Header=BB133_246 Depth=2
	ds_load_u16 v7, v6
.LBB133_248:                            ;   in Loop: Header=BB133_246 Depth=2
	s_or_b32 exec_lo, exec_lo, s4
	s_and_saveexec_b32 s4, vcc_lo
	s_cbranch_execz .LBB133_245
; %bb.249:                              ;   in Loop: Header=BB133_246 Depth=2
	s_waitcnt lgkmcnt(0)
	v_cmp_lt_i16_e32 vcc_lo, -1, v7
	v_and_b32_e32 v8, 0xffff, v7
	v_cndmask_b32_e32 v9, 0xffff, v27, vcc_lo
	v_cmp_o_f16_e32 vcc_lo, v7, v7
	s_delay_alu instid0(VALU_DEP_2) | instskip(NEXT) | instid1(VALU_DEP_1)
	v_xor_b32_e32 v8, v9, v8
	v_cndmask_b32_e32 v8, 0xffff, v8, vcc_lo
	s_delay_alu instid0(VALU_DEP_1) | instskip(NEXT) | instid1(VALU_DEP_1)
	v_and_b32_e32 v8, s91, v8
	v_cmp_eq_u32_e32 vcc_lo, s90, v8
	s_and_b32 exec_lo, exec_lo, vcc_lo
	s_cbranch_execz .LBB133_245
; %bb.250:                              ;   in Loop: Header=BB133_246 Depth=2
	v_perm_b32 v7, v7, s80, 0x5040100
	ds_store_b32 v13, v7 offset:3072
	s_branch .LBB133_245
.LBB133_251:                            ;   in Loop: Header=BB133_27 Depth=1
                                        ; implicit-def: $sgpr8
                                        ; implicit-def: $sgpr18
                                        ; implicit-def: $sgpr9
	s_branch .LBB133_270
.LBB133_252:                            ;   in Loop: Header=BB133_27 Depth=1
                                        ; implicit-def: $vgpr2_vgpr3
	s_branch .LBB133_195
.LBB133_253:                            ;   in Loop: Header=BB133_27 Depth=1
                                        ; implicit-def: $vgpr2_vgpr3
	s_branch .LBB133_212
.LBB133_254:                            ;   in Loop: Header=BB133_27 Depth=1
	s_mov_b32 s8, -1
	s_mov_b32 s23, 0
                                        ; implicit-def: $sgpr9
                                        ; implicit-def: $vgpr28
	s_mov_b32 s18, s8
	s_cbranch_execnz .LBB133_257
	s_branch .LBB133_270
.LBB133_255:                            ;   in Loop: Header=BB133_27 Depth=1
	s_set_inst_prefetch_distance 0x2
	s_or_b32 exec_lo, exec_lo, s18
	v_lshrrev_b32_e32 v28, 16, v7
	s_and_b32 s23, s23, exec_lo
.LBB133_256:                            ;   in Loop: Header=BB133_27 Depth=1
	s_or_b32 exec_lo, exec_lo, s5
	s_mov_b32 s9, -1
	s_mov_b32 s8, 0
	s_delay_alu instid0(SALU_CYCLE_1)
	s_mov_b32 s18, s8
	s_branch .LBB133_270
.LBB133_257:                            ;   in Loop: Header=BB133_27 Depth=1
	s_mov_b32 s56, s55
	s_delay_alu instid0(SALU_CYCLE_1)
	s_cmp_lg_u64 s[56:57], 0
	s_cbranch_scc0 .LBB133_291
; %bb.258:                              ;   in Loop: Header=BB133_27 Depth=1
	v_cvt_f32_u32_e32 v2, s41
	s_sub_u32 s8, 0, s41
	s_subb_u32 s9, 0, 0
	s_delay_alu instid0(VALU_DEP_1) | instskip(NEXT) | instid1(VALU_DEP_1)
	v_fmac_f32_e64 v2, 0, 0x4f800000
	v_rcp_f32_e32 v2, v2
	s_waitcnt_depctr 0xfff
	v_mul_f32_e32 v2, 0x5f7ffffc, v2
	s_delay_alu instid0(VALU_DEP_1) | instskip(NEXT) | instid1(VALU_DEP_1)
	v_mul_f32_e32 v3, 0x2f800000, v2
	v_trunc_f32_e32 v3, v3
	s_delay_alu instid0(VALU_DEP_1) | instskip(SKIP_1) | instid1(VALU_DEP_2)
	v_fmac_f32_e32 v2, 0xcf800000, v3
	v_cvt_u32_f32_e32 v3, v3
	v_cvt_u32_f32_e32 v2, v2
	s_delay_alu instid0(VALU_DEP_2) | instskip(NEXT) | instid1(VALU_DEP_2)
	v_readfirstlane_b32 s4, v3
	v_readfirstlane_b32 s5, v2
	s_delay_alu instid0(VALU_DEP_2) | instskip(NEXT) | instid1(VALU_DEP_1)
	s_mul_i32 s18, s8, s4
	s_mul_hi_u32 s54, s8, s5
	s_mul_i32 s23, s9, s5
	s_add_i32 s18, s54, s18
	s_mul_i32 s56, s8, s5
	s_add_i32 s18, s18, s23
	s_mul_hi_u32 s54, s5, s56
	s_mul_hi_u32 s60, s4, s56
	s_mul_i32 s23, s4, s56
	s_mul_hi_u32 s56, s5, s18
	s_mul_i32 s5, s5, s18
	s_mul_hi_u32 s61, s4, s18
	s_add_u32 s5, s54, s5
	s_addc_u32 s54, 0, s56
	s_add_u32 s5, s5, s23
	s_mul_i32 s18, s4, s18
	s_addc_u32 s5, s54, s60
	s_addc_u32 s23, s61, 0
	s_add_u32 s5, s5, s18
	s_addc_u32 s18, 0, s23
	v_add_co_u32 v2, s5, v2, s5
	s_delay_alu instid0(VALU_DEP_1) | instskip(SKIP_1) | instid1(VALU_DEP_1)
	s_cmp_lg_u32 s5, 0
	s_addc_u32 s4, s4, s18
	v_readfirstlane_b32 s5, v2
	s_mul_i32 s18, s8, s4
	s_delay_alu instid0(VALU_DEP_1)
	s_mul_hi_u32 s23, s8, s5
	s_mul_i32 s9, s9, s5
	s_add_i32 s18, s23, s18
	s_mul_i32 s8, s8, s5
	s_add_i32 s18, s18, s9
	s_mul_hi_u32 s23, s4, s8
	s_mul_i32 s54, s4, s8
	s_mul_hi_u32 s8, s5, s8
	s_mul_hi_u32 s56, s5, s18
	s_mul_i32 s5, s5, s18
	s_mul_hi_u32 s9, s4, s18
	s_add_u32 s5, s8, s5
	s_addc_u32 s8, 0, s56
	s_add_u32 s5, s5, s54
	s_mul_i32 s18, s4, s18
	s_addc_u32 s5, s8, s23
	s_addc_u32 s8, s9, 0
	s_add_u32 s5, s5, s18
	s_addc_u32 s8, 0, s8
	v_add_co_u32 v2, s5, v2, s5
	s_delay_alu instid0(VALU_DEP_1) | instskip(SKIP_1) | instid1(VALU_DEP_1)
	s_cmp_lg_u32 s5, 0
	s_addc_u32 s4, s4, s8
	v_readfirstlane_b32 s5, v2
	s_mul_i32 s9, s73, s4
	s_mul_hi_u32 s8, s73, s4
	s_mul_hi_u32 s18, s57, s4
	s_mul_i32 s4, s57, s4
	s_mul_hi_u32 s23, s73, s5
	s_mul_hi_u32 s54, s57, s5
	s_mul_i32 s5, s57, s5
	s_add_u32 s9, s23, s9
	s_addc_u32 s8, 0, s8
	s_add_u32 s5, s9, s5
	s_addc_u32 s5, s8, s54
	s_addc_u32 s8, s18, 0
	s_add_u32 s4, s5, s4
	s_addc_u32 s5, 0, s8
	s_mul_hi_u32 s8, s41, s4
	s_mul_i32 s4, s41, s4
	s_mul_i32 s5, s41, s5
	v_sub_co_u32 v2, s4, s73, s4
	s_add_i32 s8, s8, s5
	s_cmp_lg_u32 s4, 0
	s_delay_alu instid0(VALU_DEP_1) | instskip(SKIP_2) | instid1(VALU_DEP_1)
	v_sub_co_u32 v3, s4, v2, s41
	s_subb_u32 s5, s57, s8
	s_cmp_lg_u32 s4, 0
	v_cmp_le_u32_e32 vcc_lo, s41, v3
	v_sub_co_u32 v4, s4, v3, s41
	s_subb_u32 s8, s5, 0
	s_cmp_lg_u32 s4, 0
	v_cndmask_b32_e64 v5, 0, -1, vcc_lo
	s_subb_u32 s4, s8, 0
	s_cmp_eq_u32 s8, 0
	v_mov_b32_e32 v7, s4
	s_cselect_b32 vcc_lo, -1, 0
	s_cmp_eq_u32 s5, 0
	v_cndmask_b32_e32 v5, -1, v5, vcc_lo
	v_cmp_le_u32_e32 vcc_lo, s41, v2
	s_cselect_b32 s4, -1, 0
	v_cndmask_b32_e64 v6, 0, -1, vcc_lo
	s_delay_alu instid0(VALU_DEP_3) | instskip(NEXT) | instid1(VALU_DEP_2)
	v_cmp_ne_u32_e32 vcc_lo, 0, v5
	v_cndmask_b32_e64 v5, -1, v6, s4
	v_cndmask_b32_e32 v6, s8, v7, vcc_lo
	v_cndmask_b32_e32 v4, v3, v4, vcc_lo
	s_delay_alu instid0(VALU_DEP_3) | instskip(NEXT) | instid1(VALU_DEP_3)
	v_cmp_ne_u32_e32 vcc_lo, 0, v5
	v_cndmask_b32_e32 v3, s5, v6, vcc_lo
	s_delay_alu instid0(VALU_DEP_3)
	v_cndmask_b32_e32 v2, v2, v4, vcc_lo
	s_cbranch_execnz .LBB133_260
.LBB133_259:                            ;   in Loop: Header=BB133_27 Depth=1
	v_cvt_f32_u32_e32 v2, s41
	s_sub_i32 s4, 0, s41
	s_delay_alu instid0(VALU_DEP_1) | instskip(SKIP_2) | instid1(VALU_DEP_1)
	v_rcp_iflag_f32_e32 v2, v2
	s_waitcnt_depctr 0xfff
	v_mul_f32_e32 v2, 0x4f7ffffe, v2
	v_cvt_u32_f32_e32 v2, v2
	s_delay_alu instid0(VALU_DEP_1) | instskip(NEXT) | instid1(VALU_DEP_1)
	v_mul_lo_u32 v3, s4, v2
	v_mul_hi_u32 v3, v2, v3
	s_delay_alu instid0(VALU_DEP_1) | instskip(NEXT) | instid1(VALU_DEP_1)
	v_add_nc_u32_e32 v2, v2, v3
	v_mul_hi_u32 v2, s73, v2
	s_delay_alu instid0(VALU_DEP_1) | instskip(NEXT) | instid1(VALU_DEP_1)
	v_mul_lo_u32 v2, v2, s41
	v_sub_nc_u32_e32 v2, s73, v2
	s_delay_alu instid0(VALU_DEP_1) | instskip(SKIP_1) | instid1(VALU_DEP_2)
	v_subrev_nc_u32_e32 v3, s41, v2
	v_cmp_le_u32_e32 vcc_lo, s41, v2
	v_cndmask_b32_e32 v2, v2, v3, vcc_lo
	s_delay_alu instid0(VALU_DEP_1) | instskip(SKIP_1) | instid1(VALU_DEP_2)
	v_subrev_nc_u32_e32 v3, s41, v2
	v_cmp_le_u32_e32 vcc_lo, s41, v2
	v_cndmask_b32_e32 v12, v2, v3, vcc_lo
	s_delay_alu instid0(VALU_DEP_1)
	v_dual_mov_b32 v2, v12 :: v_dual_mov_b32 v3, v13
.LBB133_260:                            ;   in Loop: Header=BB133_27 Depth=1
	s_delay_alu instid0(VALU_DEP_1) | instskip(NEXT) | instid1(VALU_DEP_2)
	v_sub_co_u32 v2, vcc_lo, s73, v2
	v_sub_co_ci_u32_e32 v3, vcc_lo, s57, v3, vcc_lo
	s_mov_b32 s23, 0
	s_mov_b32 s5, exec_lo
                                        ; implicit-def: $vgpr28
	s_delay_alu instid0(VALU_DEP_1)
	v_cmpx_gt_u64_e64 v[2:3], v[0:1]
	s_cbranch_execz .LBB133_269
; %bb.261:                              ;   in Loop: Header=BB133_27 Depth=1
	v_dual_mov_b32 v5, v1 :: v_dual_mov_b32 v4, v0
	s_mov_b32 s8, 0
                                        ; implicit-def: $sgpr9
	s_branch .LBB133_263
.LBB133_262:                            ;   in Loop: Header=BB133_263 Depth=2
	s_or_b32 exec_lo, exec_lo, s4
	s_waitcnt vmcnt(0) lgkmcnt(0)
	s_barrier
	buffer_gl0_inv
	ds_load_b32 v6, v13 offset:3072
	v_add_co_u32 v4, vcc_lo, v4, s41
	v_add_co_ci_u32_e32 v5, vcc_lo, 0, v5, vcc_lo
	s_waitcnt lgkmcnt(0)
	s_barrier
	buffer_gl0_inv
	v_cmp_ge_u64_e32 vcc_lo, v[4:5], v[2:3]
	v_cmp_neq_f16_e64 s4, 0, v6
	s_delay_alu instid0(VALU_DEP_1) | instskip(NEXT) | instid1(SALU_CYCLE_1)
	s_or_b32 s18, vcc_lo, s4
	s_and_b32 s18, exec_lo, s18
	s_delay_alu instid0(SALU_CYCLE_1) | instskip(SKIP_2) | instid1(SALU_CYCLE_1)
	s_or_b32 s8, s18, s8
	s_and_not1_b32 s9, s9, exec_lo
	s_and_b32 s4, s4, exec_lo
	s_or_b32 s9, s9, s4
	s_and_not1_b32 exec_lo, exec_lo, s8
	s_cbranch_execz .LBB133_268
.LBB133_263:                            ;   Parent Loop BB133_27 Depth=1
                                        ; =>  This Inner Loop Header: Depth=2
	s_delay_alu instid0(VALU_DEP_1)
	v_cmp_gt_u64_e32 vcc_lo, s[24:25], v[4:5]
	v_mov_b32_e32 v6, 0
	s_and_saveexec_b32 s18, vcc_lo
	s_cbranch_execz .LBB133_265
; %bb.264:                              ;   in Loop: Header=BB133_263 Depth=2
	v_mul_lo_u32 v8, v5, s42
	v_mul_lo_u32 v9, v4, s43
	v_mad_u64_u32 v[6:7], null, v4, s42, 0
	s_delay_alu instid0(VALU_DEP_1) | instskip(NEXT) | instid1(VALU_DEP_1)
	v_add3_u32 v7, v7, v9, v8
	v_lshlrev_b64 v[6:7], 1, v[6:7]
	s_delay_alu instid0(VALU_DEP_1) | instskip(NEXT) | instid1(VALU_DEP_1)
	v_add_co_u32 v6, s4, s33, v6
	v_add_co_ci_u32_e64 v7, s4, s35, v7, s4
	global_load_u16 v6, v[6:7], off
.LBB133_265:                            ;   in Loop: Header=BB133_263 Depth=2
	s_or_b32 exec_lo, exec_lo, s18
	s_and_saveexec_b32 s4, vcc_lo
	s_cbranch_execz .LBB133_262
; %bb.266:                              ;   in Loop: Header=BB133_263 Depth=2
	s_waitcnt vmcnt(0)
	v_cmp_lt_i16_e32 vcc_lo, -1, v6
	v_dual_cndmask_b32 v8, 0xffff, v27 :: v_dual_and_b32 v7, 0xffff, v6
	v_cmp_o_f16_e32 vcc_lo, v6, v6
	s_delay_alu instid0(VALU_DEP_2) | instskip(NEXT) | instid1(VALU_DEP_1)
	v_xor_b32_e32 v7, v8, v7
	v_cndmask_b32_e32 v7, 0xffff, v7, vcc_lo
	s_delay_alu instid0(VALU_DEP_1) | instskip(NEXT) | instid1(VALU_DEP_1)
	v_and_b32_e32 v7, s91, v7
	v_cmp_eq_u32_e32 vcc_lo, s90, v7
	s_and_b32 exec_lo, exec_lo, vcc_lo
	s_cbranch_execz .LBB133_262
; %bb.267:                              ;   in Loop: Header=BB133_263 Depth=2
	v_perm_b32 v6, v6, s80, 0x5040100
	ds_store_b32 v13, v6 offset:3072
	s_branch .LBB133_262
.LBB133_268:                            ;   in Loop: Header=BB133_27 Depth=1
	s_or_b32 exec_lo, exec_lo, s8
	v_lshrrev_b32_e32 v28, 16, v6
	s_and_b32 s23, s9, exec_lo
.LBB133_269:                            ;   in Loop: Header=BB133_27 Depth=1
	s_or_b32 exec_lo, exec_lo, s5
	s_mov_b32 s18, -1
	s_mov_b32 s8, 0
	s_mov_b32 s9, 0
.LBB133_270:                            ;   in Loop: Header=BB133_27 Depth=1
	s_mov_b32 s60, 0
                                        ; implicit-def: $sgpr54
                                        ; implicit-def: $sgpr4_sgpr5
	s_and_saveexec_b32 s56, s23
	s_cbranch_execz .LBB133_283
; %bb.271:                              ;   in Loop: Header=BB133_27 Depth=1
	s_xor_b32 s17, s17, -1
	s_mov_b64 s[4:5], 1
	s_and_not1_b32 vcc_lo, exec_lo, s17
	s_mov_b32 s54, 1
	s_cbranch_vccnz .LBB133_282
; %bb.272:                              ;   in Loop: Header=BB133_27 Depth=1
	v_cmp_gt_u64_e64 s4, s[52:53], s[6:7]
	s_delay_alu instid0(VALU_DEP_1)
	s_and_b32 vcc_lo, exec_lo, s4
	s_cbranch_vccnz .LBB133_278
; %bb.273:                              ;   in Loop: Header=BB133_27 Depth=1
	ds_load_b64 v[2:3], v13 offset:5120
	s_waitcnt lgkmcnt(0)
	v_cmp_ne_u64_e32 vcc_lo, 0, v[2:3]
	s_cbranch_vccnz .LBB133_277
; %bb.274:                              ;   in Loop: Header=BB133_27 Depth=1
	s_and_saveexec_b32 s4, s3
	s_cbranch_execz .LBB133_276
; %bb.275:                              ;   in Loop: Header=BB133_27 Depth=1
	v_dual_mov_b32 v2, s6 :: v_dual_mov_b32 v3, s7
	ds_store_b64 v13, v[2:3] offset:5128
.LBB133_276:                            ;   in Loop: Header=BB133_27 Depth=1
	s_or_b32 exec_lo, exec_lo, s4
	s_waitcnt lgkmcnt(0)
	s_barrier
	buffer_gl0_inv
.LBB133_277:                            ;   in Loop: Header=BB133_27 Depth=1
	s_or_b32 s17, s90, s16
	s_or_b32 s16, s91, s16
	s_mov_b32 s4, 0
	s_mov_b32 s54, 8
	s_branch .LBB133_279
.LBB133_278:                            ;   in Loop: Header=BB133_27 Depth=1
	s_mov_b32 s4, -1
                                        ; implicit-def: $sgpr54
                                        ; implicit-def: $sgpr17
                                        ; implicit-def: $sgpr16
.LBB133_279:                            ;   in Loop: Header=BB133_27 Depth=1
	s_delay_alu instid0(SALU_CYCLE_1)
	s_and_not1_b32 vcc_lo, exec_lo, s4
	s_cbranch_vccnz .LBB133_281
; %bb.280:                              ;   in Loop: Header=BB133_27 Depth=1
	s_sub_u32 s52, s52, s6
	s_subb_u32 s53, s53, s7
	s_mov_b32 s54, 8
	s_mov_b32 s17, s90
	;; [unrolled: 1-line block ×3, first 2 shown]
.LBB133_281:                            ;   in Loop: Header=BB133_27 Depth=1
	s_mov_b64 s[4:5], s[52:53]
	s_mov_b32 s90, s17
	s_mov_b32 s91, s16
.LBB133_282:                            ;   in Loop: Header=BB133_27 Depth=1
	s_mov_b32 s60, exec_lo
.LBB133_283:                            ;   in Loop: Header=BB133_27 Depth=1
	s_or_b32 exec_lo, exec_lo, s56
	s_mov_b64 s[52:53], s[4:5]
.LBB133_284:                            ;   in Loop: Header=BB133_27 Depth=1
	s_and_not1_b32 s4, s10, exec_lo
	s_and_b32 s5, s8, exec_lo
	s_and_not1_b32 s6, s11, exec_lo
	s_or_b32 s10, s4, s5
	s_and_not1_b32 s4, s21, exec_lo
	s_and_b32 s5, s18, exec_lo
	s_and_b32 s7, s9, exec_lo
	s_or_b32 s21, s4, s5
	s_or_b32 s11, s6, s7
	s_and_b32 s5, s60, exec_lo
.LBB133_285:                            ;   in Loop: Header=BB133_27 Depth=1
	s_or_b32 exec_lo, exec_lo, s22
.LBB133_286:                            ;   in Loop: Header=BB133_27 Depth=1
	s_delay_alu instid0(SALU_CYCLE_1)
	s_and_not1_b32 s4, s13, exec_lo
	s_and_b32 s6, s10, exec_lo
	s_and_not1_b32 s7, s12, exec_lo
	s_or_b32 s13, s4, s6
	s_and_not1_b32 s4, s19, exec_lo
	s_and_b32 s6, s21, exec_lo
	s_and_b32 s8, s11, exec_lo
	s_or_b32 s19, s4, s6
	s_or_b32 s12, s7, s8
	s_and_b32 s5, s5, exec_lo
.LBB133_287:                            ;   in Loop: Header=BB133_27 Depth=1
	s_or_b32 exec_lo, exec_lo, s20
	s_and_saveexec_b32 s4, s5
	s_delay_alu instid0(SALU_CYCLE_1)
	s_xor_b32 s4, exec_lo, s4
	s_cbranch_execz .LBB133_25
.LBB133_288:                            ;   in Loop: Header=BB133_27 Depth=1
	s_and_b32 s5, s54, -9
	s_delay_alu instid0(SALU_CYCLE_1)
	s_cmp_eq_u32 s5, 0
	s_cbranch_scc1 .LBB133_23
; %bb.289:                              ;   in Loop: Header=BB133_27 Depth=1
	s_mov_b32 s5, -1
	s_mov_b32 s6, -1
                                        ; implicit-def: $sgpr91
                                        ; implicit-def: $sgpr52_sgpr53
                                        ; implicit-def: $sgpr85
                                        ; implicit-def: $sgpr88
	s_branch .LBB133_24
.LBB133_290:                            ;   in Loop: Header=BB133_27 Depth=1
                                        ; implicit-def: $vgpr2_vgpr3
	s_branch .LBB133_242
.LBB133_291:                            ;   in Loop: Header=BB133_27 Depth=1
                                        ; implicit-def: $vgpr2_vgpr3
	s_branch .LBB133_259
.LBB133_292:
	s_or_b32 exec_lo, exec_lo, s81
	s_xor_b32 s3, s84, -1
	s_xor_b32 s1, s82, -1
	;; [unrolled: 1-line block ×3, first 2 shown]
	s_mov_b32 s0, 0
	s_and_saveexec_b32 s5, s1
	s_delay_alu instid0(SALU_CYCLE_1)
	s_xor_b32 s1, exec_lo, s5
	s_cbranch_execz .LBB133_306
; %bb.293:
	s_and_saveexec_b32 s0, s3
	s_delay_alu instid0(SALU_CYCLE_1)
	s_xor_b32 s3, exec_lo, s0
	s_cbranch_execz .LBB133_304
; %bb.294:
	s_and_saveexec_b32 s0, s4
	s_delay_alu instid0(SALU_CYCLE_1)
	s_xor_b32 s0, exec_lo, s0
; %bb.295:
	v_and_b32_e32 v3, 0x8000, v2
	v_mov_b32_e32 v4, 0xffff
	s_delay_alu instid0(VALU_DEP_2) | instskip(NEXT) | instid1(VALU_DEP_2)
	v_cmp_eq_u32_e32 vcc_lo, 0, v3
	v_cndmask_b32_e32 v3, 0x8000, v4, vcc_lo
	s_delay_alu instid0(VALU_DEP_1)
	v_xor_b32_e32 v28, v3, v2
; %bb.296:
	s_or_b32 exec_lo, exec_lo, s0
	s_mul_i32 s0, s48, s47
	s_mul_hi_u32 s4, s48, s46
	s_mul_i32 s5, s48, s46
	s_add_i32 s4, s4, s0
	s_sub_u32 s0, s34, s5
	s_subb_u32 s4, 0, s4
	s_mul_i32 s5, s0, s39
	s_mul_hi_u32 s6, s0, s38
	s_mul_hi_u32 s7, s48, s36
	s_add_i32 s6, s6, s5
	s_mul_i32 s5, s48, s37
	s_mul_i32 s8, s4, s38
	s_add_i32 s5, s7, s5
	s_mul_i32 s4, s48, s36
	s_add_i32 s7, s6, s8
	s_lshl_b64 s[4:5], s[4:5], 1
	s_mul_i32 s6, s0, s38
	s_add_u32 s0, s50, s4
	s_addc_u32 s8, s51, s5
	s_lshl_b64 s[4:5], s[6:7], 1
	v_mov_b32_e32 v2, 0
	s_add_u32 s4, s0, s4
	s_addc_u32 s5, s8, s5
	global_store_b16 v2, v28, s[4:5]
	s_and_saveexec_b32 s4, s2
	s_cbranch_execz .LBB133_303
; %bb.297:
	v_cmp_u_f16_e32 vcc_lo, v28, v28
	s_mov_b32 s2, 0
                                        ; implicit-def: $sgpr5
                                        ; implicit-def: $sgpr8
                                        ; implicit-def: $sgpr7
	s_xor_b32 s6, vcc_lo, -1
	s_set_inst_prefetch_distance 0x1
	s_branch .LBB133_299
	.p2align	6
.LBB133_298:                            ;   in Loop: Header=BB133_299 Depth=1
	s_or_b32 exec_lo, exec_lo, s0
	s_delay_alu instid0(SALU_CYCLE_1) | instskip(NEXT) | instid1(SALU_CYCLE_1)
	s_and_b32 s0, exec_lo, s8
	s_or_b32 s2, s0, s2
	s_and_not1_b32 s0, s5, exec_lo
	s_and_b32 s5, s7, exec_lo
	s_delay_alu instid0(SALU_CYCLE_1)
	s_or_b32 s5, s0, s5
	s_and_not1_b32 exec_lo, exec_lo, s2
	s_cbranch_execz .LBB133_301
.LBB133_299:                            ; =>This Inner Loop Header: Depth=1
	v_dual_mov_b32 v3, v1 :: v_dual_mov_b32 v2, v0
	s_or_b32 s7, s7, exec_lo
	s_or_b32 s8, s8, exec_lo
	s_delay_alu instid0(VALU_DEP_1) | instskip(NEXT) | instid1(VALU_DEP_2)
	v_mul_lo_u32 v4, v3, s42
	v_mul_lo_u32 v5, v2, s43
	v_mad_u64_u32 v[0:1], null, v2, s42, 0
	s_delay_alu instid0(VALU_DEP_1) | instskip(NEXT) | instid1(VALU_DEP_1)
	v_add3_u32 v1, v1, v5, v4
	v_lshlrev_b64 v[0:1], 1, v[0:1]
	s_delay_alu instid0(VALU_DEP_1) | instskip(NEXT) | instid1(VALU_DEP_2)
	v_add_co_u32 v0, vcc_lo, s33, v0
	v_add_co_ci_u32_e32 v1, vcc_lo, s35, v1, vcc_lo
	global_load_u16 v0, v[0:1], off
	s_waitcnt vmcnt(0)
	v_cmp_o_f16_e32 vcc_lo, v0, v0
	v_cmp_neq_f16_e64 s0, v0, v28
                                        ; implicit-def: $vgpr0_vgpr1
	s_or_b32 s9, s6, vcc_lo
	s_delay_alu instid0(VALU_DEP_1) | instid1(SALU_CYCLE_1)
	s_and_b32 s9, s0, s9
	s_delay_alu instid0(SALU_CYCLE_1)
	s_and_saveexec_b32 s0, s9
	s_cbranch_execz .LBB133_298
; %bb.300:                              ;   in Loop: Header=BB133_299 Depth=1
	v_add_co_u32 v0, vcc_lo, v2, s41
	v_add_co_ci_u32_e32 v1, vcc_lo, 0, v3, vcc_lo
	s_and_not1_b32 s8, s8, exec_lo
	s_and_not1_b32 s7, s7, exec_lo
	s_delay_alu instid0(VALU_DEP_1) | instskip(SKIP_1) | instid1(SALU_CYCLE_1)
	v_cmp_le_u64_e32 vcc_lo, s[24:25], v[0:1]
	s_and_b32 s9, vcc_lo, exec_lo
	s_or_b32 s8, s8, s9
	s_branch .LBB133_298
.LBB133_301:
	s_set_inst_prefetch_distance 0x2
	s_or_b32 exec_lo, exec_lo, s2
	s_and_saveexec_b32 s0, s5
	s_delay_alu instid0(SALU_CYCLE_1)
	s_xor_b32 s0, exec_lo, s0
	s_cbranch_execz .LBB133_303
; %bb.302:
	s_mul_i32 s0, s40, s27
	s_mul_hi_u32 s2, s40, s26
	s_mul_i32 s5, s40, s26
	s_add_i32 s2, s2, s0
	s_sub_u32 s0, s34, s5
	s_subb_u32 s2, 0, s2
	s_mul_i32 s5, s0, s31
	s_mul_hi_u32 s6, s0, s30
	s_mul_hi_u32 s7, s40, s28
	s_add_i32 s5, s6, s5
	s_mul_i32 s6, s40, s29
	s_mul_i32 s2, s2, s30
	s_add_i32 s7, s7, s6
	s_mul_i32 s6, s40, s28
	s_add_i32 s9, s5, s2
	s_lshl_b64 s[6:7], s[6:7], 3
	s_mul_i32 s8, s0, s30
	s_add_u32 s0, s44, s6
	s_addc_u32 s2, s45, s7
	s_lshl_b64 s[6:7], s[8:9], 3
	v_mov_b32_e32 v0, 0
	s_add_u32 s6, s0, s6
	s_addc_u32 s7, s2, s7
	global_store_b64 v0, v[2:3], s[6:7]
.LBB133_303:
	s_or_b32 exec_lo, exec_lo, s4
.LBB133_304:
	s_or_saveexec_b32 s0, s3
	s_mov_b32 s2, 0
	s_xor_b32 exec_lo, exec_lo, s0
	s_cbranch_execnz .LBB133_312
.LBB133_305:
	s_or_b32 exec_lo, exec_lo, s0
	s_delay_alu instid0(SALU_CYCLE_1)
	s_and_b32 s0, s2, exec_lo
.LBB133_306:
	s_and_not1_saveexec_b32 s1, s1
	s_cbranch_execnz .LBB133_310
; %bb.307:
	s_or_b32 exec_lo, exec_lo, s1
	s_and_saveexec_b32 s1, s0
.LBB133_308:
	; divergent unreachable
.LBB133_309:
	s_nop 0
	s_sendmsg sendmsg(MSG_DEALLOC_VGPRS)
	s_endpgm
.LBB133_310:
	s_cbranch_execnz .LBB133_314
; %bb.311:
	s_or_b32 s0, s0, exec_lo
	s_or_b32 exec_lo, exec_lo, s1
	s_and_saveexec_b32 s1, s0
	s_cbranch_execnz .LBB133_308
	s_branch .LBB133_309
.LBB133_312:
	s_cbranch_execnz .LBB133_316
; %bb.313:
	s_mov_b32 s2, exec_lo
	s_branch .LBB133_305
.LBB133_314:
	s_trap 2
	s_sendmsg_rtn_b32 s0, sendmsg(MSG_RTN_GET_DOORBELL)
	s_mov_b32 ttmp2, m0
	s_waitcnt lgkmcnt(0)
	s_and_b32 s0, s0, 0x3ff
	s_delay_alu instid0(SALU_CYCLE_1) | instskip(NEXT) | instid1(SALU_CYCLE_1)
	s_bitset1_b32 s0, 10
	s_mov_b32 m0, s0
	s_sendmsg sendmsg(MSG_INTERRUPT)
	s_mov_b32 m0, ttmp2
.LBB133_315:                            ; =>This Inner Loop Header: Depth=1
	s_sethalt 5
	s_branch .LBB133_315
.LBB133_316:
	s_trap 2
	s_sendmsg_rtn_b32 s0, sendmsg(MSG_RTN_GET_DOORBELL)
	s_mov_b32 ttmp2, m0
	s_waitcnt lgkmcnt(0)
	s_and_b32 s0, s0, 0x3ff
	s_delay_alu instid0(SALU_CYCLE_1) | instskip(NEXT) | instid1(SALU_CYCLE_1)
	s_bitset1_b32 s0, 10
	s_mov_b32 m0, s0
	s_sendmsg sendmsg(MSG_INTERRUPT)
	s_mov_b32 m0, ttmp2
.LBB133_317:                            ; =>This Inner Loop Header: Depth=1
	s_sethalt 5
	s_branch .LBB133_317
	.section	.rodata,"a",@progbits
	.p2align	6, 0x0
	.amdhsa_kernel _ZN2at6native12_GLOBAL__N_112gatherMedianIN3c104HalfEmLi2EEEvNS_4cuda6detail10TensorInfoIT_T0_EENS7_IlS9_EENS7_IKS8_S9_EES9_S9_S9_b
		.amdhsa_group_segment_fixed_size 5152
		.amdhsa_private_segment_fixed_size 0
		.amdhsa_kernarg_size 1536
		.amdhsa_user_sgpr_count 13
		.amdhsa_user_sgpr_dispatch_ptr 0
		.amdhsa_user_sgpr_queue_ptr 0
		.amdhsa_user_sgpr_kernarg_segment_ptr 1
		.amdhsa_user_sgpr_dispatch_id 0
		.amdhsa_user_sgpr_private_segment_size 0
		.amdhsa_wavefront_size32 1
		.amdhsa_uses_dynamic_stack 0
		.amdhsa_enable_private_segment 0
		.amdhsa_system_sgpr_workgroup_id_x 1
		.amdhsa_system_sgpr_workgroup_id_y 1
		.amdhsa_system_sgpr_workgroup_id_z 1
		.amdhsa_system_sgpr_workgroup_info 0
		.amdhsa_system_vgpr_workitem_id 0
		.amdhsa_next_free_vgpr 33
		.amdhsa_next_free_sgpr 94
		.amdhsa_reserve_vcc 1
		.amdhsa_float_round_mode_32 0
		.amdhsa_float_round_mode_16_64 0
		.amdhsa_float_denorm_mode_32 3
		.amdhsa_float_denorm_mode_16_64 3
		.amdhsa_dx10_clamp 1
		.amdhsa_ieee_mode 1
		.amdhsa_fp16_overflow 0
		.amdhsa_workgroup_processor_mode 1
		.amdhsa_memory_ordered 1
		.amdhsa_forward_progress 0
		.amdhsa_shared_vgpr_count 0
		.amdhsa_exception_fp_ieee_invalid_op 0
		.amdhsa_exception_fp_denorm_src 0
		.amdhsa_exception_fp_ieee_div_zero 0
		.amdhsa_exception_fp_ieee_overflow 0
		.amdhsa_exception_fp_ieee_underflow 0
		.amdhsa_exception_fp_ieee_inexact 0
		.amdhsa_exception_int_div_zero 0
	.end_amdhsa_kernel
	.section	.text._ZN2at6native12_GLOBAL__N_112gatherMedianIN3c104HalfEmLi2EEEvNS_4cuda6detail10TensorInfoIT_T0_EENS7_IlS9_EENS7_IKS8_S9_EES9_S9_S9_b,"axG",@progbits,_ZN2at6native12_GLOBAL__N_112gatherMedianIN3c104HalfEmLi2EEEvNS_4cuda6detail10TensorInfoIT_T0_EENS7_IlS9_EENS7_IKS8_S9_EES9_S9_S9_b,comdat
.Lfunc_end133:
	.size	_ZN2at6native12_GLOBAL__N_112gatherMedianIN3c104HalfEmLi2EEEvNS_4cuda6detail10TensorInfoIT_T0_EENS7_IlS9_EENS7_IKS8_S9_EES9_S9_S9_b, .Lfunc_end133-_ZN2at6native12_GLOBAL__N_112gatherMedianIN3c104HalfEmLi2EEEvNS_4cuda6detail10TensorInfoIT_T0_EENS7_IlS9_EENS7_IKS8_S9_EES9_S9_S9_b
                                        ; -- End function
	.section	.AMDGPU.csdata,"",@progbits
; Kernel info:
; codeLenInByte = 18196
; NumSgprs: 96
; NumVgprs: 33
; ScratchSize: 0
; MemoryBound: 0
; FloatMode: 240
; IeeeMode: 1
; LDSByteSize: 5152 bytes/workgroup (compile time only)
; SGPRBlocks: 11
; VGPRBlocks: 4
; NumSGPRsForWavesPerEU: 96
; NumVGPRsForWavesPerEU: 33
; Occupancy: 16
; WaveLimiterHint : 1
; COMPUTE_PGM_RSRC2:SCRATCH_EN: 0
; COMPUTE_PGM_RSRC2:USER_SGPR: 13
; COMPUTE_PGM_RSRC2:TRAP_HANDLER: 0
; COMPUTE_PGM_RSRC2:TGID_X_EN: 1
; COMPUTE_PGM_RSRC2:TGID_Y_EN: 1
; COMPUTE_PGM_RSRC2:TGID_Z_EN: 1
; COMPUTE_PGM_RSRC2:TIDIG_COMP_CNT: 0
	.section	.text._ZN2at6native12_GLOBAL__N_112gatherMedianIN3c104HalfEmLi3EEEvNS_4cuda6detail10TensorInfoIT_T0_EENS7_IlS9_EENS7_IKS8_S9_EES9_S9_S9_b,"axG",@progbits,_ZN2at6native12_GLOBAL__N_112gatherMedianIN3c104HalfEmLi3EEEvNS_4cuda6detail10TensorInfoIT_T0_EENS7_IlS9_EENS7_IKS8_S9_EES9_S9_S9_b,comdat
	.globl	_ZN2at6native12_GLOBAL__N_112gatherMedianIN3c104HalfEmLi3EEEvNS_4cuda6detail10TensorInfoIT_T0_EENS7_IlS9_EENS7_IKS8_S9_EES9_S9_S9_b ; -- Begin function _ZN2at6native12_GLOBAL__N_112gatherMedianIN3c104HalfEmLi3EEEvNS_4cuda6detail10TensorInfoIT_T0_EENS7_IlS9_EENS7_IKS8_S9_EES9_S9_S9_b
	.p2align	8
	.type	_ZN2at6native12_GLOBAL__N_112gatherMedianIN3c104HalfEmLi3EEEvNS_4cuda6detail10TensorInfoIT_T0_EENS7_IlS9_EENS7_IKS8_S9_EES9_S9_S9_b,@function
_ZN2at6native12_GLOBAL__N_112gatherMedianIN3c104HalfEmLi3EEEvNS_4cuda6detail10TensorInfoIT_T0_EENS7_IlS9_EENS7_IKS8_S9_EES9_S9_S9_b: ; @_ZN2at6native12_GLOBAL__N_112gatherMedianIN3c104HalfEmLi3EEEvNS_4cuda6detail10TensorInfoIT_T0_EENS7_IlS9_EENS7_IKS8_S9_EES9_S9_S9_b
; %bb.0:
	s_clause 0x1
	s_load_b64 s[16:17], s[0:1], 0x500
	s_load_b128 s[24:27], s[0:1], 0x4e0
	s_add_u32 s18, s0, 0x500
	s_addc_u32 s19, s1, 0
	s_mov_b32 s35, 0
	s_waitcnt lgkmcnt(0)
	s_mul_i32 s2, s17, s15
	s_delay_alu instid0(SALU_CYCLE_1) | instskip(NEXT) | instid1(SALU_CYCLE_1)
	s_add_i32 s2, s2, s14
	s_mul_i32 s2, s2, s16
	s_delay_alu instid0(SALU_CYCLE_1) | instskip(NEXT) | instid1(SALU_CYCLE_1)
	s_add_i32 s34, s2, s13
	v_cmp_ge_u64_e64 s2, s[34:35], s[26:27]
	s_delay_alu instid0(VALU_DEP_1)
	s_and_b32 vcc_lo, exec_lo, s2
	s_cbranch_vccnz .LBB134_315
; %bb.1:
	s_load_b128 s[36:39], s[0:1], 0x10
	s_mov_b64 s[52:53], 0
	s_mov_b64 s[54:55], 0
	s_waitcnt lgkmcnt(0)
	v_cmp_lt_u64_e64 s2, s[34:35], s[38:39]
	s_delay_alu instid0(VALU_DEP_1)
	s_and_b32 vcc_lo, exec_lo, s2
	s_cbranch_vccnz .LBB134_3
; %bb.2:
	v_cvt_f32_u32_e32 v1, s38
	s_sub_i32 s3, 0, s38
	s_mov_b32 s55, 0
	s_delay_alu instid0(VALU_DEP_1) | instskip(SKIP_2) | instid1(VALU_DEP_1)
	v_rcp_iflag_f32_e32 v1, v1
	s_waitcnt_depctr 0xfff
	v_mul_f32_e32 v1, 0x4f7ffffe, v1
	v_cvt_u32_f32_e32 v1, v1
	s_delay_alu instid0(VALU_DEP_1) | instskip(NEXT) | instid1(VALU_DEP_1)
	v_readfirstlane_b32 s2, v1
	s_mul_i32 s3, s3, s2
	s_delay_alu instid0(SALU_CYCLE_1) | instskip(NEXT) | instid1(SALU_CYCLE_1)
	s_mul_hi_u32 s3, s2, s3
	s_add_i32 s2, s2, s3
	s_delay_alu instid0(SALU_CYCLE_1) | instskip(NEXT) | instid1(SALU_CYCLE_1)
	s_mul_hi_u32 s2, s34, s2
	s_mul_i32 s3, s2, s38
	s_add_i32 s4, s2, 1
	s_sub_i32 s3, s34, s3
	s_delay_alu instid0(SALU_CYCLE_1)
	s_sub_i32 s5, s3, s38
	s_cmp_ge_u32 s3, s38
	s_cselect_b32 s2, s4, s2
	s_cselect_b32 s3, s5, s3
	s_add_i32 s4, s2, 1
	s_cmp_ge_u32 s3, s38
	s_cselect_b32 s54, s4, s2
.LBB134_3:
	s_load_b128 s[28:31], s[0:1], 0x1b0
	v_cmp_lt_u64_e64 s2, s[54:55], s[36:37]
	s_delay_alu instid0(VALU_DEP_1)
	s_and_b32 vcc_lo, exec_lo, s2
	s_cbranch_vccnz .LBB134_5
; %bb.4:
	v_cvt_f32_u32_e32 v1, s36
	s_sub_i32 s3, 0, s36
	s_delay_alu instid0(VALU_DEP_1) | instskip(SKIP_2) | instid1(VALU_DEP_1)
	v_rcp_iflag_f32_e32 v1, v1
	s_waitcnt_depctr 0xfff
	v_mul_f32_e32 v1, 0x4f7ffffe, v1
	v_cvt_u32_f32_e32 v1, v1
	s_delay_alu instid0(VALU_DEP_1) | instskip(NEXT) | instid1(VALU_DEP_1)
	v_readfirstlane_b32 s2, v1
	s_mul_i32 s3, s3, s2
	s_delay_alu instid0(SALU_CYCLE_1) | instskip(NEXT) | instid1(SALU_CYCLE_1)
	s_mul_hi_u32 s3, s2, s3
	s_add_i32 s2, s2, s3
	s_delay_alu instid0(SALU_CYCLE_1) | instskip(NEXT) | instid1(SALU_CYCLE_1)
	s_mul_hi_u32 s2, s54, s2
	s_mul_i32 s3, s2, s36
	s_add_i32 s4, s2, 1
	s_sub_i32 s3, s54, s3
	s_delay_alu instid0(SALU_CYCLE_1)
	s_sub_i32 s5, s3, s36
	s_cmp_ge_u32 s3, s36
	s_cselect_b32 s2, s4, s2
	s_cselect_b32 s3, s5, s3
	s_add_i32 s4, s2, 1
	s_cmp_ge_u32 s3, s36
	s_cselect_b32 s52, s4, s2
.LBB134_5:
	s_waitcnt lgkmcnt(0)
	v_cmp_lt_u64_e64 s2, s[34:35], s[30:31]
	s_mov_b64 s[26:27], 0
	s_mov_b64 s[48:49], 0
	s_delay_alu instid0(VALU_DEP_1)
	s_and_b32 vcc_lo, exec_lo, s2
	s_cbranch_vccnz .LBB134_7
; %bb.6:
	v_cvt_f32_u32_e32 v1, s30
	s_sub_i32 s3, 0, s30
	s_mov_b32 s49, 0
	s_delay_alu instid0(VALU_DEP_1) | instskip(SKIP_2) | instid1(VALU_DEP_1)
	v_rcp_iflag_f32_e32 v1, v1
	s_waitcnt_depctr 0xfff
	v_mul_f32_e32 v1, 0x4f7ffffe, v1
	v_cvt_u32_f32_e32 v1, v1
	s_delay_alu instid0(VALU_DEP_1) | instskip(NEXT) | instid1(VALU_DEP_1)
	v_readfirstlane_b32 s2, v1
	s_mul_i32 s3, s3, s2
	s_delay_alu instid0(SALU_CYCLE_1) | instskip(NEXT) | instid1(SALU_CYCLE_1)
	s_mul_hi_u32 s3, s2, s3
	s_add_i32 s2, s2, s3
	s_delay_alu instid0(SALU_CYCLE_1) | instskip(NEXT) | instid1(SALU_CYCLE_1)
	s_mul_hi_u32 s2, s34, s2
	s_mul_i32 s3, s2, s30
	s_add_i32 s4, s2, 1
	s_sub_i32 s3, s34, s3
	s_delay_alu instid0(SALU_CYCLE_1)
	s_sub_i32 s5, s3, s30
	s_cmp_ge_u32 s3, s30
	s_cselect_b32 s2, s4, s2
	s_cselect_b32 s3, s5, s3
	s_add_i32 s4, s2, 1
	s_cmp_ge_u32 s3, s30
	s_cselect_b32 s48, s4, s2
.LBB134_7:
	s_clause 0x3
	s_load_b64 s[50:51], s[0:1], 0x4f0
	s_load_b64 s[2:3], s[0:1], 0x420
	s_load_b128 s[4:7], s[0:1], 0x410
	s_load_b128 s[8:11], s[0:1], 0x350
	v_cmp_lt_u64_e64 s12, s[48:49], s[28:29]
	s_delay_alu instid0(VALU_DEP_1)
	s_and_b32 vcc_lo, exec_lo, s12
	s_cbranch_vccnz .LBB134_9
; %bb.8:
	v_cvt_f32_u32_e32 v1, s28
	s_sub_i32 s14, 0, s28
	s_delay_alu instid0(VALU_DEP_1) | instskip(SKIP_2) | instid1(VALU_DEP_1)
	v_rcp_iflag_f32_e32 v1, v1
	s_waitcnt_depctr 0xfff
	v_mul_f32_e32 v1, 0x4f7ffffe, v1
	v_cvt_u32_f32_e32 v1, v1
	s_delay_alu instid0(VALU_DEP_1) | instskip(NEXT) | instid1(VALU_DEP_1)
	v_readfirstlane_b32 s12, v1
	s_mul_i32 s14, s14, s12
	s_delay_alu instid0(SALU_CYCLE_1) | instskip(NEXT) | instid1(SALU_CYCLE_1)
	s_mul_hi_u32 s14, s12, s14
	s_add_i32 s12, s12, s14
	s_delay_alu instid0(SALU_CYCLE_1) | instskip(NEXT) | instid1(SALU_CYCLE_1)
	s_mul_hi_u32 s12, s48, s12
	s_mul_i32 s14, s12, s28
	s_add_i32 s15, s12, 1
	s_sub_i32 s14, s48, s14
	s_delay_alu instid0(SALU_CYCLE_1)
	s_sub_i32 s17, s14, s28
	s_cmp_ge_u32 s14, s28
	s_cselect_b32 s12, s15, s12
	s_cselect_b32 s14, s17, s14
	s_add_i32 s15, s12, 1
	s_cmp_ge_u32 s14, s28
	s_cselect_b32 s26, s15, s12
.LBB134_9:
	s_load_b64 s[14:15], s[0:1], 0x340
	s_waitcnt lgkmcnt(0)
	v_cmp_lt_u64_e64 s12, s[34:35], s[10:11]
	s_mov_b64 s[20:21], 0
	s_mov_b64 s[22:23], 0
	s_delay_alu instid0(VALU_DEP_1)
	s_and_b32 vcc_lo, exec_lo, s12
	s_cbranch_vccnz .LBB134_11
; %bb.10:
	v_cvt_f32_u32_e32 v1, s10
	s_sub_i32 s17, 0, s10
	s_mov_b32 s23, 0
	s_delay_alu instid0(VALU_DEP_1) | instskip(SKIP_2) | instid1(VALU_DEP_1)
	v_rcp_iflag_f32_e32 v1, v1
	s_waitcnt_depctr 0xfff
	v_mul_f32_e32 v1, 0x4f7ffffe, v1
	v_cvt_u32_f32_e32 v1, v1
	s_delay_alu instid0(VALU_DEP_1) | instskip(NEXT) | instid1(VALU_DEP_1)
	v_readfirstlane_b32 s12, v1
	s_mul_i32 s17, s17, s12
	s_delay_alu instid0(SALU_CYCLE_1) | instskip(NEXT) | instid1(SALU_CYCLE_1)
	s_mul_hi_u32 s17, s12, s17
	s_add_i32 s12, s12, s17
	s_delay_alu instid0(SALU_CYCLE_1) | instskip(NEXT) | instid1(SALU_CYCLE_1)
	s_mul_hi_u32 s12, s34, s12
	s_mul_i32 s17, s12, s10
	s_add_i32 s21, s12, 1
	s_sub_i32 s17, s34, s17
	s_delay_alu instid0(SALU_CYCLE_1)
	s_sub_i32 s22, s17, s10
	s_cmp_ge_u32 s17, s10
	s_cselect_b32 s12, s21, s12
	s_cselect_b32 s17, s22, s17
	s_add_i32 s21, s12, 1
	s_cmp_ge_u32 s17, s10
	s_cselect_b32 s22, s21, s12
.LBB134_11:
	s_clause 0x3
	s_load_b64 s[56:57], s[0:1], 0x280
	s_load_b128 s[40:43], s[0:1], 0x270
	s_load_b64 s[60:61], s[0:1], 0xe0
	s_load_b128 s[44:47], s[0:1], 0xd0
	v_cmp_lt_u64_e64 s12, s[22:23], s[8:9]
	s_delay_alu instid0(VALU_DEP_1)
	s_and_b32 vcc_lo, exec_lo, s12
	s_cbranch_vccnz .LBB134_13
; %bb.12:
	v_cvt_f32_u32_e32 v1, s8
	s_sub_i32 s17, 0, s8
	s_delay_alu instid0(VALU_DEP_1) | instskip(SKIP_2) | instid1(VALU_DEP_1)
	v_rcp_iflag_f32_e32 v1, v1
	s_waitcnt_depctr 0xfff
	v_mul_f32_e32 v1, 0x4f7ffffe, v1
	v_cvt_u32_f32_e32 v1, v1
	s_delay_alu instid0(VALU_DEP_1) | instskip(NEXT) | instid1(VALU_DEP_1)
	v_readfirstlane_b32 s12, v1
	s_mul_i32 s17, s17, s12
	s_delay_alu instid0(SALU_CYCLE_1) | instskip(NEXT) | instid1(SALU_CYCLE_1)
	s_mul_hi_u32 s17, s12, s17
	s_add_i32 s12, s12, s17
	s_delay_alu instid0(SALU_CYCLE_1) | instskip(NEXT) | instid1(SALU_CYCLE_1)
	s_mul_hi_u32 s12, s22, s12
	s_mul_i32 s17, s12, s8
	s_add_i32 s20, s12, 1
	s_sub_i32 s17, s22, s17
	s_delay_alu instid0(SALU_CYCLE_1)
	s_sub_i32 s21, s17, s8
	s_cmp_ge_u32 s17, s8
	s_cselect_b32 s12, s20, s12
	s_cselect_b32 s17, s21, s17
	s_add_i32 s20, s12, 1
	s_cmp_ge_u32 s17, s8
	s_cselect_b32 s20, s20, s12
.LBB134_13:
	s_mul_i32 s11, s22, s11
	s_mul_hi_u32 s12, s22, s10
	s_mul_i32 s10, s22, s10
	s_add_i32 s12, s12, s11
	s_sub_u32 s10, s34, s10
	s_subb_u32 s12, 0, s12
	s_mul_i32 s3, s10, s3
	s_mul_hi_u32 s11, s10, s2
	s_mul_i32 s12, s12, s2
	s_add_i32 s3, s11, s3
	s_clause 0x1
	s_load_b64 s[58:59], s[0:1], 0x1a0
	s_load_b64 s[62:63], s[0:1], 0x0
	s_add_i32 s11, s3, s12
	s_mul_i32 s3, s20, s9
	s_mul_hi_u32 s9, s20, s8
	s_mul_i32 s8, s20, s8
	s_add_i32 s9, s9, s3
	s_sub_u32 s3, s22, s8
	s_subb_u32 s9, s23, s9
	s_mul_i32 s7, s3, s7
	s_mul_hi_u32 s8, s3, s6
	s_mul_i32 s5, s20, s5
	s_add_i32 s7, s8, s7
	s_mul_hi_u32 s8, s20, s4
	s_mul_i32 s4, s20, s4
	s_add_i32 s5, s8, s5
	s_mul_i32 s9, s9, s6
	s_lshl_b64 s[4:5], s[4:5], 1
	v_dual_mov_b32 v1, 0 :: v_dual_mov_b32 v2, 0
	s_add_i32 s7, s7, s9
	s_mul_i32 s6, s3, s6
	s_add_u32 s3, s14, s4
	s_addc_u32 s8, s15, s5
	s_lshl_b64 s[4:5], s[6:7], 1
	s_mul_i32 s10, s10, s2
	s_add_u32 s3, s3, s4
	v_cmp_gt_u64_e64 s2, s[24:25], v[0:1]
	s_addc_u32 s6, s8, s5
	v_mov_b32_e32 v3, 0
	s_lshl_b64 s[4:5], s[10:11], 1
	s_delay_alu instid0(SALU_CYCLE_1)
	s_add_u32 s27, s3, s4
	s_addc_u32 s33, s6, s5
	s_and_saveexec_b32 s4, s2
	s_cbranch_execz .LBB134_17
; %bb.14:
	s_load_b32 s3, s[18:19], 0xc
	v_dual_mov_b32 v2, 0 :: v_dual_mov_b32 v5, v1
	v_dual_mov_b32 v3, 0 :: v_dual_mov_b32 v4, v0
	s_mov_b32 s5, 0
	s_waitcnt lgkmcnt(0)
	s_and_b32 s6, s3, 0xffff
	.p2align	6
.LBB134_15:                             ; =>This Inner Loop Header: Depth=1
	v_mul_lo_u32 v8, v5, s50
	v_mul_lo_u32 v9, v4, s51
	v_mad_u64_u32 v[6:7], null, v4, s50, 0
	s_delay_alu instid0(VALU_DEP_1) | instskip(NEXT) | instid1(VALU_DEP_1)
	v_add3_u32 v7, v7, v9, v8
	v_lshlrev_b64 v[6:7], 1, v[6:7]
	s_delay_alu instid0(VALU_DEP_1) | instskip(NEXT) | instid1(VALU_DEP_2)
	v_add_co_u32 v6, vcc_lo, s27, v6
	v_add_co_ci_u32_e32 v7, vcc_lo, s33, v7, vcc_lo
	v_add_co_u32 v4, vcc_lo, v4, s6
	v_add_co_ci_u32_e32 v5, vcc_lo, 0, v5, vcc_lo
	global_load_u16 v6, v[6:7], off
	s_waitcnt vmcnt(0)
	v_cmp_u_f16_e32 vcc_lo, v6, v6
	v_cndmask_b32_e64 v6, 0, 1, vcc_lo
	v_cmp_le_u64_e32 vcc_lo, s[24:25], v[4:5]
	s_delay_alu instid0(VALU_DEP_2) | instskip(NEXT) | instid1(VALU_DEP_1)
	v_add_co_u32 v2, s3, v2, v6
	v_add_co_ci_u32_e64 v3, s3, 0, v3, s3
	s_or_b32 s5, vcc_lo, s5
	s_delay_alu instid0(SALU_CYCLE_1)
	s_and_not1_b32 exec_lo, exec_lo, s5
	s_cbranch_execnz .LBB134_15
; %bb.16:
	s_or_b32 exec_lo, exec_lo, s5
.LBB134_17:
	s_delay_alu instid0(SALU_CYCLE_1) | instskip(SKIP_1) | instid1(VALU_DEP_1)
	s_or_b32 exec_lo, exec_lo, s4
	v_cmp_eq_u32_e64 s3, 0, v0
	s_and_saveexec_b32 s4, s3
	s_cbranch_execz .LBB134_19
; %bb.18:
	v_mov_b32_e32 v4, 0
	s_delay_alu instid0(VALU_DEP_1)
	v_mov_b32_e32 v5, v4
	ds_store_b64 v4, v[4:5] offset:5136
.LBB134_19:
	s_or_b32 exec_lo, exec_lo, s4
	s_mov_b64 s[4:5], 0
	s_mov_b32 s6, exec_lo
	s_waitcnt lgkmcnt(0)
	s_barrier
	buffer_gl0_inv
	v_cmpx_ne_u64_e32 0, v[2:3]
	s_cbranch_execz .LBB134_24
; %bb.20:
	s_mov_b32 s7, exec_lo
.LBB134_21:                             ; =>This Inner Loop Header: Depth=1
	s_delay_alu instid0(SALU_CYCLE_1) | instskip(NEXT) | instid1(SALU_CYCLE_1)
	s_ctz_i32_b32 s8, s7
	v_readlane_b32 s9, v2, s8
	v_readlane_b32 s10, v3, s8
	s_delay_alu instid0(VALU_DEP_2) | instskip(NEXT) | instid1(VALU_DEP_1)
	s_add_u32 s4, s4, s9
	s_addc_u32 s5, s5, s10
	s_lshl_b32 s8, 1, s8
	s_delay_alu instid0(SALU_CYCLE_1) | instskip(NEXT) | instid1(SALU_CYCLE_1)
	s_and_not1_b32 s7, s7, s8
	s_cmp_lg_u32 s7, 0
	s_cbranch_scc1 .LBB134_21
; %bb.22:
	v_mbcnt_lo_u32_b32 v2, exec_lo, 0
	s_mov_b32 s7, exec_lo
	s_delay_alu instid0(VALU_DEP_1)
	v_cmpx_eq_u32_e32 0, v2
	s_xor_b32 s7, exec_lo, s7
	s_cbranch_execz .LBB134_24
; %bb.23:
	v_mov_b32_e32 v2, s4
	v_dual_mov_b32 v4, 0 :: v_dual_mov_b32 v3, s5
	ds_add_u64 v4, v[2:3] offset:5136
.LBB134_24:
	s_or_b32 exec_lo, exec_lo, s6
	v_mov_b32_e32 v2, 0
	s_waitcnt lgkmcnt(0)
	s_barrier
	buffer_gl0_inv
	s_load_b32 s4, s[0:1], 0x4f8
	ds_load_b64 v[2:3], v2 offset:5136
	s_mov_b64 s[64:65], s[24:25]
	s_waitcnt lgkmcnt(0)
	s_bitcmp1_b32 s4, 0
	v_readfirstlane_b32 s0, v2
	v_readfirstlane_b32 s1, v3
	s_cselect_b32 s4, -1, 0
	s_delay_alu instid0(VALU_DEP_1) | instskip(NEXT) | instid1(VALU_DEP_1)
	v_cmp_lt_i64_e64 s5, s[0:1], 1
	s_or_b32 s4, s4, s5
	s_delay_alu instid0(SALU_CYCLE_1)
	s_and_not1_b32 vcc_lo, exec_lo, s4
	s_cbranch_vccnz .LBB134_26
; %bb.25:
	s_not_b64 s[0:1], s[0:1]
	s_delay_alu instid0(SALU_CYCLE_1) | instskip(SKIP_1) | instid1(SALU_CYCLE_1)
	s_add_u32 s0, s0, s24
	s_addc_u32 s1, s1, s25
	s_lshr_b64 s[0:1], s[0:1], 1
	s_delay_alu instid0(SALU_CYCLE_1)
	s_add_u32 s64, s0, 1
	s_addc_u32 s65, s1, 0
.LBB134_26:
	s_and_saveexec_b32 s0, s3
	s_cbranch_execz .LBB134_28
; %bb.27:
	v_dual_mov_b32 v2, 0 :: v_dual_mov_b32 v5, s25
	s_delay_alu instid0(VALU_DEP_1)
	v_dual_mov_b32 v4, s24 :: v_dual_mov_b32 v3, v2
	ds_store_b32 v2, v2 offset:5144
	ds_store_b128 v2, v[2:5] offset:5120
.LBB134_28:
	s_or_b32 exec_lo, exec_lo, s0
	v_mad_u64_u32 v[2:3], null, v0, s50, 0
	s_waitcnt lgkmcnt(0)
	s_barrier
	buffer_gl0_inv
	s_load_b32 s5, s[18:19], 0xc
	v_mbcnt_lo_u32_b32 v20, -1, 0
	v_cmp_gt_u32_e32 vcc_lo, 32, v0
	v_mad_u64_u32 v[4:5], null, v0, s51, v[3:4]
	v_dual_mov_b32 v28, 0 :: v_dual_lshlrev_b32 v21, 1, v0
	s_delay_alu instid0(VALU_DEP_4) | instskip(SKIP_2) | instid1(VALU_DEP_4)
	v_cmp_gt_i32_e64 s4, 4, v20
	v_dual_mov_b32 v13, 0 :: v_dual_lshlrev_b32 v10, 2, v0
	v_lshrrev_b32_e32 v5, 3, v0
	v_dual_mov_b32 v3, v4 :: v_dual_add_nc_u32 v22, 0xc00, v21
	s_delay_alu instid0(VALU_DEP_4) | instskip(SKIP_2) | instid1(VALU_DEP_3)
	s_and_b32 s82, vcc_lo, s4
	v_cmp_lt_u64_e64 s53, 0x600, s[24:25]
	v_cmp_gt_u32_e64 s0, 2, v0
	v_lshlrev_b64 v[2:3], 1, v[2:3]
	v_cmp_eq_u32_e64 s1, 0, v20
	v_mov_b32_e32 v11, v13
	v_and_b32_e32 v23, 0x7c, v5
	s_waitcnt lgkmcnt(0)
	s_and_b32 s35, s5, 0xffff
	s_bfe_u32 s4, s5, 0xb0005
	s_add_u32 s83, s35, -1
	s_addc_u32 s84, 0, -1
	s_add_u32 s85, s83, s24
	s_addc_u32 s69, s84, s25
	s_cmp_lt_u32 s13, s16
	v_add_co_u32 v14, vcc_lo, s27, v2
	s_cselect_b32 s6, 12, 18
	v_add_co_ci_u32_e32 v15, vcc_lo, s33, v3, vcc_lo
	v_lshlrev_b64 v[2:3], v20, -1
	s_add_u32 s70, s18, s6
	s_addc_u32 s71, s19, 0
	s_add_i32 s6, s4, -1
	s_bfe_u32 s86, s35, 0x30005
	s_cmp_gt_u32 s6, 6
	v_not_b32_e32 v24, v2
	s_cselect_b32 s87, -1, 0
	s_and_b32 s88, s4, 0x7f8
	v_cmp_gt_u16_e64 s89, s5, 31
	v_lshlrev_b32_e32 v25, 3, v0
	v_lshl_or_b32 v26, v20, 3, 0xc00
	v_mov_b32_e32 v27, 0x8000
	s_cmp_lg_u32 s86, 0
	s_mov_b32 s67, 0
	s_cselect_b32 s90, -1, 0
	s_lshl_b32 s91, s35, 1
	s_mov_b32 s97, 14
	s_movk_i32 s92, 0x3c00
	s_mov_b32 s93, 0
	s_mov_b32 s100, 0
	;; [unrolled: 1-line block ×4, first 2 shown]
                                        ; implicit-def: $sgpr94
                                        ; implicit-def: $sgpr96
                                        ; implicit-def: $sgpr95
                                        ; implicit-def: $sgpr99
                                        ; implicit-def: $sgpr101
                                        ; implicit-def: $sgpr98
	s_branch .LBB134_33
.LBB134_29:                             ;   in Loop: Header=BB134_33 Depth=1
	s_xor_b32 s100, s100, 1
	s_add_i32 s7, s97, -2
	s_cmp_eq_u32 s97, 0
	s_mov_b32 s5, 0
	s_cselect_b32 s6, -1, 0
	s_mov_b32 s97, s7
.LBB134_30:                             ;   in Loop: Header=BB134_33 Depth=1
	s_and_not1_b32 s7, s13, exec_lo
	s_and_b32 s5, s5, exec_lo
	s_and_not1_b32 s19, s19, exec_lo
	s_or_b32 s13, s7, s5
	s_and_not1_b32 s12, s12, exec_lo
	s_or_not1_b32 s15, s6, exec_lo
.LBB134_31:                             ;   in Loop: Header=BB134_33 Depth=1
	s_or_b32 exec_lo, exec_lo, s4
	s_delay_alu instid0(SALU_CYCLE_1)
	s_and_not1_b32 s4, s98, exec_lo
	s_and_b32 s5, s13, exec_lo
	s_and_not1_b32 s6, s99, exec_lo
	s_or_b32 s98, s4, s5
	s_and_not1_b32 s4, s101, exec_lo
	s_and_b32 s5, s19, exec_lo
	s_and_b32 s7, s12, exec_lo
	s_or_b32 s101, s4, s5
	s_or_b32 s99, s6, s7
	s_or_not1_b32 s19, s15, exec_lo
.LBB134_32:                             ;   in Loop: Header=BB134_33 Depth=1
	s_or_b32 exec_lo, exec_lo, s14
	s_delay_alu instid0(SALU_CYCLE_1)
	s_and_b32 s4, exec_lo, s19
	v_mov_b32_e32 v2, s102
	s_or_b32 s93, s4, s93
	s_and_not1_b32 s4, s95, exec_lo
	s_and_b32 s5, s98, exec_lo
	s_and_not1_b32 s6, s94, exec_lo
	s_or_b32 s95, s4, s5
	s_and_not1_b32 s4, s96, exec_lo
	s_and_b32 s5, s101, exec_lo
	s_and_b32 s7, s99, exec_lo
	s_or_b32 s96, s4, s5
	s_or_b32 s94, s6, s7
	s_and_not1_b32 exec_lo, exec_lo, s93
	s_cbranch_execz .LBB134_298
.LBB134_33:                             ; =>This Loop Header: Depth=1
                                        ;     Child Loop BB134_38 Depth 2
                                        ;     Child Loop BB134_56 Depth 2
	;; [unrolled: 1-line block ×16, first 2 shown]
	ds_load_b128 v[2:5], v13 offset:5120
	s_waitcnt lgkmcnt(0)
	v_readfirstlane_b32 s73, v3
	v_readfirstlane_b32 s72, v2
	s_delay_alu instid0(VALU_DEP_1)
	s_cmp_lg_u64 s[72:73], 0
	s_cbranch_scc1 .LBB134_63
; %bb.34:                               ;   in Loop: Header=BB134_33 Depth=1
	s_and_b32 vcc_lo, exec_lo, s53
	s_cbranch_vccz .LBB134_46
; %bb.35:                               ;   in Loop: Header=BB134_33 Depth=1
	v_cmp_gt_u64_e32 vcc_lo, 0x601, v[4:5]
	s_mov_b32 s6, 0
	s_mov_b32 s4, 0
	s_cbranch_vccz .LBB134_47
; %bb.36:                               ;   in Loop: Header=BB134_33 Depth=1
	global_load_u16 v2, v13, s[70:71]
	global_load_u16 v5, v[14:15], off
	s_mov_b32 s7, 0
	s_waitcnt vmcnt(1)
	v_dual_mov_b32 v3, v1 :: v_dual_and_b32 v4, 0xffff, v2
	v_mov_b32_e32 v2, v0
	s_branch .LBB134_38
.LBB134_37:                             ;   in Loop: Header=BB134_38 Depth=2
	s_or_b32 exec_lo, exec_lo, s5
	v_mov_b32_e32 v5, v6
	s_and_not1_b32 exec_lo, exec_lo, s7
	s_cbranch_execz .LBB134_48
.LBB134_38:                             ;   Parent Loop BB134_33 Depth=1
                                        ; =>  This Inner Loop Header: Depth=2
	s_delay_alu instid0(VALU_DEP_1) | instskip(NEXT) | instid1(VALU_DEP_3)
	v_add_co_u32 v2, vcc_lo, v2, v4
	v_add_co_ci_u32_e32 v3, vcc_lo, 0, v3, vcc_lo
	s_waitcnt lgkmcnt(0)
	v_dual_mov_b32 v7, 0 :: v_dual_mov_b32 v6, 0
	s_mov_b32 s5, exec_lo
	s_delay_alu instid0(VALU_DEP_2)
	v_cmp_le_u64_e32 vcc_lo, s[24:25], v[2:3]
	v_cmpx_gt_u64_e64 s[24:25], v[2:3]
	s_cbranch_execz .LBB134_40
; %bb.39:                               ;   in Loop: Header=BB134_38 Depth=2
	v_mul_lo_u32 v6, v3, s50
	v_mul_lo_u32 v12, v2, s51
	v_mad_u64_u32 v[8:9], null, v2, s50, 0
	s_delay_alu instid0(VALU_DEP_1) | instskip(NEXT) | instid1(VALU_DEP_1)
	v_add3_u32 v9, v9, v12, v6
	v_lshlrev_b64 v[8:9], 1, v[8:9]
	s_delay_alu instid0(VALU_DEP_1) | instskip(NEXT) | instid1(VALU_DEP_1)
	v_add_co_u32 v8, s4, s27, v8
	v_add_co_ci_u32_e64 v9, s4, s33, v9, s4
	global_load_u16 v6, v[8:9], off
.LBB134_40:                             ;   in Loop: Header=BB134_38 Depth=2
	s_or_b32 exec_lo, exec_lo, s5
	s_waitcnt vmcnt(0)
	v_cmp_lt_i16_e64 s4, -1, v5
	v_and_b32_e32 v8, 0xffff, v5
	s_delay_alu instid0(VALU_DEP_2) | instskip(SKIP_1) | instid1(VALU_DEP_2)
	v_cndmask_b32_e64 v9, 0xffff, v27, s4
	v_cmp_o_f16_e64 s4, v5, v5
	v_xor_b32_e32 v8, v9, v8
	s_delay_alu instid0(VALU_DEP_1) | instskip(NEXT) | instid1(VALU_DEP_1)
	v_cndmask_b32_e64 v8, 0xffff, v8, s4
	v_and_b32_e32 v8, s103, v8
	s_delay_alu instid0(VALU_DEP_1) | instskip(NEXT) | instid1(VALU_DEP_1)
	v_cmp_eq_u32_e64 s4, s102, v8
	s_cmp_lg_u32 s4, 0
	s_cselect_b32 s5, -1, 0
	s_delay_alu instid0(SALU_CYCLE_1) | instskip(NEXT) | instid1(SALU_CYCLE_1)
	s_and_b32 s5, s1, s5
	s_and_saveexec_b32 s8, s5
	s_cbranch_execz .LBB134_44
; %bb.41:                               ;   in Loop: Header=BB134_38 Depth=2
	s_mov_b32 s11, exec_lo
	s_bcnt1_i32_b32 s9, s4
	v_mbcnt_lo_u32_b32 v7, s11, 0
	s_mov_b32 s10, exec_lo
                                        ; implicit-def: $vgpr8
	s_delay_alu instid0(VALU_DEP_1)
	v_cmpx_eq_u32_e32 0, v7
	s_cbranch_execz .LBB134_43
; %bb.42:                               ;   in Loop: Header=BB134_38 Depth=2
	s_bcnt1_i32_b32 s5, s11
	s_delay_alu instid0(SALU_CYCLE_1) | instskip(NEXT) | instid1(SALU_CYCLE_1)
	s_mul_i32 s5, s9, s5
	v_mov_b32_e32 v8, s5
	ds_add_rtn_u32 v8, v13, v8 offset:5144
.LBB134_43:                             ;   in Loop: Header=BB134_38 Depth=2
	s_or_b32 exec_lo, exec_lo, s10
	s_waitcnt lgkmcnt(0)
	v_readfirstlane_b32 s5, v8
	s_delay_alu instid0(VALU_DEP_1)
	v_mad_u32_u24 v7, s9, v7, s5
.LBB134_44:                             ;   in Loop: Header=BB134_38 Depth=2
	s_or_b32 exec_lo, exec_lo, s8
	ds_bpermute_b32 v7, v13, v7
	s_and_b32 s5, exec_lo, vcc_lo
	s_delay_alu instid0(SALU_CYCLE_1)
	s_or_b32 s7, s5, s7
	s_and_saveexec_b32 s5, s4
	s_cbranch_execz .LBB134_37
; %bb.45:                               ;   in Loop: Header=BB134_38 Depth=2
	v_and_b32_e32 v8, s4, v24
	s_delay_alu instid0(VALU_DEP_1) | instskip(NEXT) | instid1(VALU_DEP_1)
	v_bcnt_u32_b32 v8, v8, 0
	v_lshlrev_b32_e32 v8, 1, v8
	s_waitcnt lgkmcnt(0)
	s_delay_alu instid0(VALU_DEP_1)
	v_lshl_add_u32 v7, v7, 1, v8
	ds_store_b16 v7, v5
	s_branch .LBB134_37
.LBB134_46:                             ;   in Loop: Header=BB134_33 Depth=1
	s_mov_b32 s4, 0
                                        ; implicit-def: $sgpr72_sgpr73
	s_cbranch_execnz .LBB134_51
	s_branch .LBB134_61
.LBB134_47:                             ;   in Loop: Header=BB134_33 Depth=1
	s_mov_b64 s[72:73], 0
	s_and_b32 vcc_lo, exec_lo, s6
	s_cbranch_vccnz .LBB134_51
	s_branch .LBB134_61
.LBB134_48:                             ;   in Loop: Header=BB134_33 Depth=1
	s_or_b32 exec_lo, exec_lo, s7
	s_waitcnt lgkmcnt(0)
	s_barrier
	buffer_gl0_inv
	s_and_saveexec_b32 s4, s3
	s_cbranch_execz .LBB134_50
; %bb.49:                               ;   in Loop: Header=BB134_33 Depth=1
	ds_load_b32 v2, v13 offset:5144
	s_waitcnt lgkmcnt(0)
	v_ashrrev_i32_e32 v3, 31, v2
	ds_store_b64 v13, v[2:3] offset:5120
.LBB134_50:                             ;   in Loop: Header=BB134_33 Depth=1
	s_or_b32 exec_lo, exec_lo, s4
	s_waitcnt lgkmcnt(0)
	s_mov_b32 s4, -1
	s_barrier
	s_mov_b64 s[72:73], 0
	s_and_b32 vcc_lo, exec_lo, s6
	s_cbranch_vccz .LBB134_61
.LBB134_51:                             ;   in Loop: Header=BB134_33 Depth=1
	v_mov_b32_e32 v4, 0
	s_and_saveexec_b32 s4, s2
	s_cbranch_execz .LBB134_53
; %bb.52:                               ;   in Loop: Header=BB134_33 Depth=1
	global_load_u16 v4, v[14:15], off
.LBB134_53:                             ;   in Loop: Header=BB134_33 Depth=1
	s_or_b32 exec_lo, exec_lo, s4
	s_and_saveexec_b32 s5, s2
	s_cbranch_execz .LBB134_58
; %bb.54:                               ;   in Loop: Header=BB134_33 Depth=1
	global_load_u16 v2, v13, s[70:71]
	s_mov_b32 s6, 0
	s_waitcnt vmcnt(0)
	v_dual_mov_b32 v6, v21 :: v_dual_and_b32 v5, 0xffff, v2
	v_dual_mov_b32 v3, v1 :: v_dual_mov_b32 v2, v0
	s_delay_alu instid0(VALU_DEP_2)
	v_lshlrev_b32_e32 v7, 1, v5
	s_set_inst_prefetch_distance 0x1
	s_branch .LBB134_56
	.p2align	6
.LBB134_55:                             ;   in Loop: Header=BB134_56 Depth=2
	s_or_b32 exec_lo, exec_lo, s7
	ds_store_b16 v6, v4
	v_add_nc_u32_e32 v6, v6, v7
	s_waitcnt vmcnt(0)
	v_mov_b32_e32 v4, v8
	s_and_b32 s4, exec_lo, vcc_lo
	s_delay_alu instid0(SALU_CYCLE_1) | instskip(NEXT) | instid1(SALU_CYCLE_1)
	s_or_b32 s6, s4, s6
	s_and_not1_b32 exec_lo, exec_lo, s6
	s_cbranch_execz .LBB134_58
.LBB134_56:                             ;   Parent Loop BB134_33 Depth=1
                                        ; =>  This Inner Loop Header: Depth=2
	s_delay_alu instid0(VALU_DEP_2) | instskip(SKIP_3) | instid1(VALU_DEP_2)
	v_add_co_u32 v2, vcc_lo, v2, v5
	v_add_co_ci_u32_e32 v3, vcc_lo, 0, v3, vcc_lo
	v_mov_b32_e32 v8, 0
	s_mov_b32 s7, exec_lo
	v_cmp_le_u64_e32 vcc_lo, s[24:25], v[2:3]
	v_cmpx_gt_u64_e64 s[24:25], v[2:3]
	s_cbranch_execz .LBB134_55
; %bb.57:                               ;   in Loop: Header=BB134_56 Depth=2
	v_mul_lo_u32 v12, v3, s50
	v_mul_lo_u32 v16, v2, s51
	v_mad_u64_u32 v[8:9], null, v2, s50, 0
	s_delay_alu instid0(VALU_DEP_1) | instskip(NEXT) | instid1(VALU_DEP_1)
	v_add3_u32 v9, v9, v16, v12
	v_lshlrev_b64 v[8:9], 1, v[8:9]
	s_delay_alu instid0(VALU_DEP_1) | instskip(NEXT) | instid1(VALU_DEP_1)
	v_add_co_u32 v8, s4, s27, v8
	v_add_co_ci_u32_e64 v9, s4, s33, v9, s4
	global_load_u16 v8, v[8:9], off
	s_branch .LBB134_55
.LBB134_58:                             ;   in Loop: Header=BB134_33 Depth=1
	s_set_inst_prefetch_distance 0x2
	s_or_b32 exec_lo, exec_lo, s5
	s_waitcnt vmcnt(0) lgkmcnt(0)
	s_barrier
	buffer_gl0_inv
	s_and_saveexec_b32 s4, s3
	s_cbranch_execz .LBB134_60
; %bb.59:                               ;   in Loop: Header=BB134_33 Depth=1
	v_dual_mov_b32 v2, s24 :: v_dual_mov_b32 v3, s25
	ds_store_b64 v13, v[2:3] offset:5120
.LBB134_60:                             ;   in Loop: Header=BB134_33 Depth=1
	s_or_b32 exec_lo, exec_lo, s4
	s_mov_b32 s4, -1
	s_waitcnt lgkmcnt(0)
	s_barrier
                                        ; implicit-def: $sgpr72_sgpr73
.LBB134_61:                             ;   in Loop: Header=BB134_33 Depth=1
	s_and_b32 vcc_lo, exec_lo, s4
	s_cbranch_vccz .LBB134_63
; %bb.62:                               ;   in Loop: Header=BB134_33 Depth=1
	buffer_gl0_inv
	ds_load_b64 v[2:3], v13 offset:5120
	s_waitcnt lgkmcnt(0)
	v_readfirstlane_b32 s72, v2
.LBB134_63:                             ;   in Loop: Header=BB134_33 Depth=1
	s_delay_alu instid0(VALU_DEP_1)
	s_cmp_lt_i32 s72, 1
	s_cbranch_scc0 .LBB134_78
; %bb.64:                               ;   in Loop: Header=BB134_33 Depth=1
	global_load_u16 v29, v13, s[70:71]
	s_mov_b32 s5, s25
	s_waitcnt vmcnt(0)
	v_readfirstlane_b32 s4, v29
	s_delay_alu instid0(VALU_DEP_1)
	s_and_b32 s6, 0xffff, s4
	s_mov_b32 s4, s67
	s_lshl_b32 s66, s6, 2
	s_cmp_lg_u64 s[4:5], 0
	s_cbranch_scc0 .LBB134_98
; %bb.65:                               ;   in Loop: Header=BB134_33 Depth=1
	v_cvt_f32_u32_e32 v2, s66
	s_sub_u32 s6, 0, s66
	s_subb_u32 s7, 0, 0
	s_delay_alu instid0(VALU_DEP_1) | instskip(NEXT) | instid1(VALU_DEP_1)
	v_fmac_f32_e64 v2, 0, 0x4f800000
	v_rcp_f32_e32 v2, v2
	s_waitcnt_depctr 0xfff
	v_mul_f32_e32 v2, 0x5f7ffffc, v2
	s_delay_alu instid0(VALU_DEP_1) | instskip(NEXT) | instid1(VALU_DEP_1)
	v_mul_f32_e32 v3, 0x2f800000, v2
	v_trunc_f32_e32 v3, v3
	s_delay_alu instid0(VALU_DEP_1) | instskip(SKIP_1) | instid1(VALU_DEP_2)
	v_fmac_f32_e32 v2, 0xcf800000, v3
	v_cvt_u32_f32_e32 v3, v3
	v_cvt_u32_f32_e32 v2, v2
	s_delay_alu instid0(VALU_DEP_2) | instskip(NEXT) | instid1(VALU_DEP_2)
	v_readfirstlane_b32 s4, v3
	v_readfirstlane_b32 s5, v2
	s_delay_alu instid0(VALU_DEP_2) | instskip(NEXT) | instid1(VALU_DEP_1)
	s_mul_i32 s8, s6, s4
	s_mul_hi_u32 s10, s6, s5
	s_mul_i32 s9, s7, s5
	s_add_i32 s8, s10, s8
	s_mul_i32 s11, s6, s5
	s_add_i32 s8, s8, s9
	s_mul_hi_u32 s10, s5, s11
	s_mul_hi_u32 s12, s4, s11
	s_mul_i32 s9, s4, s11
	s_mul_hi_u32 s11, s5, s8
	s_mul_i32 s5, s5, s8
	s_mul_hi_u32 s13, s4, s8
	s_add_u32 s5, s10, s5
	s_addc_u32 s10, 0, s11
	s_add_u32 s5, s5, s9
	s_mul_i32 s8, s4, s8
	s_addc_u32 s5, s10, s12
	s_addc_u32 s9, s13, 0
	s_add_u32 s5, s5, s8
	s_addc_u32 s8, 0, s9
	v_add_co_u32 v2, s5, v2, s5
	s_delay_alu instid0(VALU_DEP_1) | instskip(SKIP_1) | instid1(VALU_DEP_1)
	s_cmp_lg_u32 s5, 0
	s_addc_u32 s4, s4, s8
	v_readfirstlane_b32 s5, v2
	s_mul_i32 s8, s6, s4
	s_delay_alu instid0(VALU_DEP_1)
	s_mul_hi_u32 s9, s6, s5
	s_mul_i32 s7, s7, s5
	s_add_i32 s8, s9, s8
	s_mul_i32 s6, s6, s5
	s_add_i32 s8, s8, s7
	s_mul_hi_u32 s9, s4, s6
	s_mul_i32 s10, s4, s6
	s_mul_hi_u32 s6, s5, s6
	s_mul_hi_u32 s11, s5, s8
	s_mul_i32 s5, s5, s8
	s_mul_hi_u32 s7, s4, s8
	s_add_u32 s5, s6, s5
	s_addc_u32 s6, 0, s11
	s_add_u32 s5, s5, s10
	s_mul_i32 s8, s4, s8
	s_addc_u32 s5, s6, s9
	s_addc_u32 s6, s7, 0
	s_add_u32 s5, s5, s8
	s_addc_u32 s6, 0, s6
	v_add_co_u32 v2, s5, v2, s5
	s_delay_alu instid0(VALU_DEP_1) | instskip(SKIP_1) | instid1(VALU_DEP_1)
	s_cmp_lg_u32 s5, 0
	s_addc_u32 s4, s4, s6
	v_readfirstlane_b32 s5, v2
	s_mul_i32 s7, s24, s4
	s_mul_hi_u32 s6, s24, s4
	s_mul_hi_u32 s8, s25, s4
	s_mul_i32 s4, s25, s4
	s_mul_hi_u32 s9, s24, s5
	s_mul_hi_u32 s10, s25, s5
	s_mul_i32 s5, s25, s5
	s_add_u32 s7, s9, s7
	s_addc_u32 s6, 0, s6
	s_add_u32 s5, s7, s5
	s_addc_u32 s5, s6, s10
	s_addc_u32 s6, s8, 0
	s_add_u32 s4, s5, s4
	s_addc_u32 s5, 0, s6
	s_mul_hi_u32 s6, s66, s4
	s_mul_i32 s4, s66, s4
	s_mul_i32 s5, s66, s5
	v_sub_co_u32 v2, s4, s24, s4
	s_add_i32 s6, s6, s5
	s_cmp_lg_u32 s4, 0
	s_delay_alu instid0(VALU_DEP_1) | instskip(SKIP_2) | instid1(VALU_DEP_1)
	v_sub_co_u32 v3, s4, v2, s66
	s_subb_u32 s5, s25, s6
	s_cmp_lg_u32 s4, 0
	v_cmp_le_u32_e32 vcc_lo, s66, v3
	v_sub_co_u32 v4, s4, v3, s66
	s_subb_u32 s6, s5, 0
	s_cmp_lg_u32 s4, 0
	v_cndmask_b32_e64 v5, 0, -1, vcc_lo
	s_subb_u32 s4, s6, 0
	s_cmp_eq_u32 s6, 0
	v_mov_b32_e32 v7, s4
	s_cselect_b32 vcc_lo, -1, 0
	s_cmp_eq_u32 s5, 0
	v_cndmask_b32_e32 v5, -1, v5, vcc_lo
	v_cmp_le_u32_e32 vcc_lo, s66, v2
	s_cselect_b32 s4, -1, 0
	v_cndmask_b32_e64 v6, 0, -1, vcc_lo
	s_delay_alu instid0(VALU_DEP_3) | instskip(NEXT) | instid1(VALU_DEP_2)
	v_cmp_ne_u32_e32 vcc_lo, 0, v5
	v_cndmask_b32_e64 v5, -1, v6, s4
	v_cndmask_b32_e32 v6, s6, v7, vcc_lo
	v_cndmask_b32_e32 v4, v3, v4, vcc_lo
	s_delay_alu instid0(VALU_DEP_3) | instskip(NEXT) | instid1(VALU_DEP_3)
	v_cmp_ne_u32_e32 vcc_lo, 0, v5
	v_cndmask_b32_e32 v3, s5, v6, vcc_lo
	s_delay_alu instid0(VALU_DEP_3)
	v_cndmask_b32_e32 v2, v2, v4, vcc_lo
	s_cbranch_execnz .LBB134_67
.LBB134_66:                             ;   in Loop: Header=BB134_33 Depth=1
	v_cvt_f32_u32_e32 v2, s66
	s_sub_i32 s4, 0, s66
	s_delay_alu instid0(VALU_DEP_1) | instskip(SKIP_2) | instid1(VALU_DEP_1)
	v_rcp_iflag_f32_e32 v2, v2
	s_waitcnt_depctr 0xfff
	v_mul_f32_e32 v2, 0x4f7ffffe, v2
	v_cvt_u32_f32_e32 v2, v2
	s_delay_alu instid0(VALU_DEP_1) | instskip(NEXT) | instid1(VALU_DEP_1)
	v_mul_lo_u32 v3, s4, v2
	v_mul_hi_u32 v3, v2, v3
	s_delay_alu instid0(VALU_DEP_1) | instskip(NEXT) | instid1(VALU_DEP_1)
	v_add_nc_u32_e32 v2, v2, v3
	v_mul_hi_u32 v2, s24, v2
	s_delay_alu instid0(VALU_DEP_1) | instskip(NEXT) | instid1(VALU_DEP_1)
	v_mul_lo_u32 v2, v2, s66
	v_sub_nc_u32_e32 v2, s24, v2
	s_delay_alu instid0(VALU_DEP_1) | instskip(SKIP_1) | instid1(VALU_DEP_2)
	v_subrev_nc_u32_e32 v3, s66, v2
	v_cmp_le_u32_e32 vcc_lo, s66, v2
	v_cndmask_b32_e32 v2, v2, v3, vcc_lo
	s_delay_alu instid0(VALU_DEP_1) | instskip(SKIP_1) | instid1(VALU_DEP_2)
	v_subrev_nc_u32_e32 v3, s66, v2
	v_cmp_le_u32_e32 vcc_lo, s66, v2
	v_cndmask_b32_e32 v12, v2, v3, vcc_lo
	s_delay_alu instid0(VALU_DEP_1)
	v_dual_mov_b32 v2, v12 :: v_dual_mov_b32 v3, v13
.LBB134_67:                             ;   in Loop: Header=BB134_33 Depth=1
	s_delay_alu instid0(VALU_DEP_1) | instskip(NEXT) | instid1(VALU_DEP_2)
	v_sub_co_u32 v16, vcc_lo, s24, v2
	v_sub_co_ci_u32_e32 v17, vcc_lo, s25, v3, vcc_lo
	v_mov_b32_e32 v2, 0
	v_mov_b32_e32 v3, 0
	s_mov_b64 s[22:23], 0
	s_mov_b32 s68, exec_lo
	s_delay_alu instid0(VALU_DEP_1)
	v_dual_mov_b32 v5, v3 :: v_dual_mov_b32 v4, v2
	v_dual_mov_b32 v7, v3 :: v_dual_mov_b32 v6, v2
	;; [unrolled: 1-line block ×3, first 2 shown]
	v_cmpx_gt_u64_e64 v[16:17], v[10:11]
	s_cbranch_execz .LBB134_71
; %bb.68:                               ;   in Loop: Header=BB134_33 Depth=1
	v_dual_mov_b32 v19, v11 :: v_dual_mov_b32 v18, v10
	s_and_b32 s80, s97, 0xfe
	s_mov_b32 s73, 0
	s_mov_b64 s[74:75], 0
	s_mov_b64 s[76:77], 0
	;; [unrolled: 1-line block ×3, first 2 shown]
.LBB134_69:                             ;   Parent Loop BB134_33 Depth=1
                                        ; =>  This Inner Loop Header: Depth=2
	v_mul_lo_u32 v4, v19, s50
	v_mul_lo_u32 v5, v18, s51
	v_mad_u64_u32 v[2:3], null, v18, s50, 0
	s_lshl_b64 s[4:5], s[50:51], 1
	s_delay_alu instid0(VALU_DEP_1) | instskip(NEXT) | instid1(VALU_DEP_1)
	v_add3_u32 v3, v3, v5, v4
	v_lshlrev_b64 v[2:3], 1, v[2:3]
	s_delay_alu instid0(VALU_DEP_1) | instskip(NEXT) | instid1(VALU_DEP_2)
	v_add_co_u32 v2, vcc_lo, s27, v2
	v_add_co_ci_u32_e32 v3, vcc_lo, s33, v3, vcc_lo
	s_delay_alu instid0(VALU_DEP_2) | instskip(NEXT) | instid1(VALU_DEP_2)
	v_add_co_u32 v4, vcc_lo, v2, s4
	v_add_co_ci_u32_e32 v5, vcc_lo, s5, v3, vcc_lo
	s_clause 0x1
	global_load_u16 v6, v[2:3], off
	global_load_u16 v7, v[4:5], off
	v_add_co_u32 v2, vcc_lo, v4, s4
	v_add_co_ci_u32_e32 v3, vcc_lo, s5, v5, vcc_lo
	global_load_u16 v4, v[2:3], off
	v_add_co_u32 v2, vcc_lo, v2, s4
	v_add_co_ci_u32_e32 v3, vcc_lo, s5, v3, vcc_lo
	v_add_co_u32 v18, vcc_lo, v18, s66
	v_add_co_ci_u32_e32 v19, vcc_lo, 0, v19, vcc_lo
	global_load_u16 v2, v[2:3], off
	v_cmp_ge_u64_e32 vcc_lo, v[18:19], v[16:17]
	s_waitcnt vmcnt(3)
	v_cmp_lt_i16_e64 s4, -1, v6
	v_and_b32_e32 v3, 0xffff, v6
	s_waitcnt vmcnt(2)
	v_and_b32_e32 v8, 0xffff, v7
	s_delay_alu instid0(VALU_DEP_3) | instskip(SKIP_3) | instid1(VALU_DEP_3)
	v_cndmask_b32_e64 v5, 0xffff, v27, s4
	v_cmp_lt_i16_e64 s4, -1, v7
	s_waitcnt vmcnt(1)
	v_cmp_lt_i16_e64 s5, -1, v4
	v_xor_b32_e32 v3, v5, v3
	s_delay_alu instid0(VALU_DEP_3) | instskip(SKIP_2) | instid1(VALU_DEP_3)
	v_cndmask_b32_e64 v9, 0xffff, v27, s4
	v_cmp_o_f16_e64 s4, v6, v6
	v_and_b32_e32 v6, 0xffff, v4
	v_xor_b32_e32 v5, v9, v8
	s_delay_alu instid0(VALU_DEP_3)
	v_cndmask_b32_e64 v3, 0xffff, v3, s4
	v_cmp_o_f16_e64 s4, v7, v7
	v_cndmask_b32_e64 v8, 0xffff, v27, s5
	s_waitcnt vmcnt(0)
	v_and_b32_e32 v7, 0xffff, v2
	v_cmp_o_f16_e64 s9, v2, v2
	v_and_b32_e32 v9, s103, v3
	v_cndmask_b32_e64 v5, 0xffff, v5, s4
	v_cmp_lt_i16_e64 s4, -1, v2
	v_xor_b32_e32 v6, v8, v6
	v_bfe_u32 v3, v3, s80, 2
	s_delay_alu instid0(VALU_DEP_3) | instskip(SKIP_1) | instid1(VALU_DEP_3)
	v_cndmask_b32_e64 v8, 0xffff, v27, s4
	v_cmp_o_f16_e64 s4, v4, v4
	v_cmp_eq_u32_e64 s5, 0, v3
	v_cmp_eq_u32_e64 s6, 1, v3
	;; [unrolled: 1-line block ×4, first 2 shown]
	v_cndmask_b32_e64 v4, 0xffff, v6, s4
	v_xor_b32_e32 v6, v8, v7
	v_cmp_eq_u32_e64 s4, s102, v9
	v_and_b32_e32 v7, s103, v5
	v_bfe_u32 v5, v5, s80, 2
	v_and_b32_e32 v3, s103, v4
	v_cndmask_b32_e64 v2, 0xffff, v6, s9
	v_bfe_u32 v4, v4, s80, 2
	v_cmp_eq_u32_e64 s9, s102, v7
	v_cmp_eq_u32_e64 s10, 0, v5
	s_and_b32 s5, s4, s5
	v_cmp_eq_u32_e64 s13, s102, v3
	v_cndmask_b32_e64 v6, 0, 1, s5
	v_and_b32_e32 v3, s103, v2
	v_bfe_u32 v2, v2, s80, 2
	v_cmp_eq_u32_e64 s14, 0, v4
	s_and_b32 s10, s9, s10
	v_cmp_eq_u32_e64 s5, 1, v5
	v_cmp_eq_u32_e64 s11, 2, v5
	;; [unrolled: 1-line block ×3, first 2 shown]
	v_cmp_ne_u32_e64 s15, 0, v6
	v_cndmask_b32_e64 v5, 0, 1, s10
	v_cmp_eq_u32_e64 s18, s102, v3
	v_cmp_eq_u32_e64 s19, 0, v2
	s_and_b32 s14, s13, s14
	s_bcnt1_i32_b32 s81, s15
	v_cmp_ne_u32_e64 s15, 0, v5
	v_cndmask_b32_e64 v3, 0, 1, s14
	s_and_b32 s19, s18, s19
	v_cmp_eq_u32_e64 s14, 1, v2
	v_cmp_eq_u32_e64 s20, 2, v2
	;; [unrolled: 1-line block ×3, first 2 shown]
	v_cndmask_b32_e64 v2, 0, 1, s19
	s_bcnt1_i32_b32 s19, s15
	v_cmp_ne_u32_e64 s15, 0, v3
	s_add_i32 s81, s19, s81
	v_cmp_eq_u32_e64 s10, 1, v4
	v_cmp_ne_u32_e64 s19, 0, v2
	v_cmp_eq_u32_e64 s16, 2, v4
	s_bcnt1_i32_b32 s15, s15
	v_cmp_eq_u32_e64 s17, 3, v4
	s_add_i32 s15, s81, s15
	s_bcnt1_i32_b32 s19, s19
	s_delay_alu instid0(SALU_CYCLE_1) | instskip(NEXT) | instid1(SALU_CYCLE_1)
	s_add_i32 s15, s15, s19
	s_add_u32 s78, s78, s15
	s_addc_u32 s79, s79, 0
	s_and_b32 s6, s4, s6
	s_and_b32 s5, s9, s5
	v_cndmask_b32_e64 v2, 0, 1, s6
	v_cndmask_b32_e64 v3, 0, 1, s5
	s_and_b32 s5, s13, s10
	s_delay_alu instid0(SALU_CYCLE_1) | instskip(SKIP_1) | instid1(VALU_DEP_2)
	v_cndmask_b32_e64 v4, 0, 1, s5
	s_and_b32 s5, s18, s14
	v_cmp_ne_u32_e64 s6, 0, v3
	v_cndmask_b32_e64 v5, 0, 1, s5
	v_cmp_ne_u32_e64 s5, 0, v2
	v_cmp_ne_u32_e64 s10, 0, v4
	s_delay_alu instid0(VALU_DEP_4) | instskip(NEXT) | instid1(VALU_DEP_3)
	s_bcnt1_i32_b32 s6, s6
	v_cmp_ne_u32_e64 s14, 0, v5
	s_delay_alu instid0(VALU_DEP_3) | instskip(NEXT) | instid1(VALU_DEP_2)
	s_bcnt1_i32_b32 s5, s5
	s_bcnt1_i32_b32 s10, s10
	s_add_i32 s5, s6, s5
	s_delay_alu instid0(VALU_DEP_1) | instskip(SKIP_1) | instid1(SALU_CYCLE_1)
	s_bcnt1_i32_b32 s14, s14
	s_add_i32 s5, s5, s10
	s_add_i32 s5, s5, s14
	s_delay_alu instid0(SALU_CYCLE_1) | instskip(SKIP_2) | instid1(SALU_CYCLE_1)
	s_add_u32 s76, s76, s5
	s_addc_u32 s77, s77, 0
	s_and_b32 s5, s4, s7
	v_cndmask_b32_e64 v2, 0, 1, s5
	s_and_b32 s5, s9, s11
	s_delay_alu instid0(SALU_CYCLE_1) | instskip(SKIP_1) | instid1(SALU_CYCLE_1)
	v_cndmask_b32_e64 v3, 0, 1, s5
	s_and_b32 s5, s13, s16
	v_cndmask_b32_e64 v4, 0, 1, s5
	s_and_b32 s5, s18, s20
	s_delay_alu instid0(VALU_DEP_2) | instskip(SKIP_3) | instid1(VALU_DEP_4)
	v_cmp_ne_u32_e64 s6, 0, v3
	v_cndmask_b32_e64 v5, 0, 1, s5
	v_cmp_ne_u32_e64 s5, 0, v2
	v_cmp_ne_u32_e64 s7, 0, v4
	s_bcnt1_i32_b32 s6, s6
	s_delay_alu instid0(VALU_DEP_3) | instskip(NEXT) | instid1(VALU_DEP_3)
	v_cmp_ne_u32_e64 s10, 0, v5
	s_bcnt1_i32_b32 s5, s5
	s_delay_alu instid0(VALU_DEP_2) | instskip(SKIP_1) | instid1(VALU_DEP_1)
	s_bcnt1_i32_b32 s7, s7
	s_add_i32 s5, s6, s5
	s_bcnt1_i32_b32 s10, s10
	s_add_i32 s5, s5, s7
	s_delay_alu instid0(SALU_CYCLE_1) | instskip(NEXT) | instid1(SALU_CYCLE_1)
	s_add_i32 s5, s5, s10
	s_add_u32 s74, s74, s5
	s_addc_u32 s75, s75, 0
	s_and_b32 s4, s4, s8
	v_mov_b32_e32 v6, s74
	v_cndmask_b32_e64 v2, 0, 1, s4
	s_and_b32 s4, s9, s12
	v_mov_b32_e32 v7, s75
	v_cndmask_b32_e64 v3, 0, 1, s4
	s_and_b32 s4, s13, s17
	s_delay_alu instid0(SALU_CYCLE_1) | instskip(SKIP_1) | instid1(VALU_DEP_2)
	v_cndmask_b32_e64 v4, 0, 1, s4
	s_and_b32 s4, s18, s21
	v_cmp_ne_u32_e64 s5, 0, v3
	v_cndmask_b32_e64 v5, 0, 1, s4
	v_cmp_ne_u32_e64 s4, 0, v2
	v_cmp_ne_u32_e64 s6, 0, v4
	v_mov_b32_e32 v2, s78
	s_bcnt1_i32_b32 s5, s5
	v_cmp_ne_u32_e64 s7, 0, v5
	s_bcnt1_i32_b32 s4, s4
	s_bcnt1_i32_b32 s6, s6
	s_add_i32 s4, s5, s4
	v_mov_b32_e32 v4, s76
	s_bcnt1_i32_b32 s5, s7
	s_add_i32 s4, s4, s6
	v_mov_b32_e32 v3, s79
	s_add_i32 s4, s4, s5
	v_mov_b32_e32 v5, s77
	s_add_u32 s22, s22, s4
	s_addc_u32 s23, s23, 0
	s_delay_alu instid0(SALU_CYCLE_1) | instskip(SKIP_1) | instid1(SALU_CYCLE_1)
	v_dual_mov_b32 v8, s22 :: v_dual_mov_b32 v9, s23
	s_or_b32 s73, vcc_lo, s73
	s_and_not1_b32 exec_lo, exec_lo, s73
	s_cbranch_execnz .LBB134_69
; %bb.70:                               ;   in Loop: Header=BB134_33 Depth=1
	s_or_b32 exec_lo, exec_lo, s73
.LBB134_71:                             ;   in Loop: Header=BB134_33 Depth=1
	s_delay_alu instid0(SALU_CYCLE_1) | instskip(SKIP_3) | instid1(VALU_DEP_2)
	s_or_b32 exec_lo, exec_lo, s68
	v_add_co_u32 v16, vcc_lo, v16, v0
	v_add_co_ci_u32_e32 v17, vcc_lo, 0, v17, vcc_lo
	v_dual_mov_b32 v19, 0 :: v_dual_and_b32 v12, 0xffff, v29
	v_cmp_gt_u64_e32 vcc_lo, s[24:25], v[16:17]
	s_and_saveexec_b32 s5, vcc_lo
	s_cbranch_execz .LBB134_73
; %bb.72:                               ;   in Loop: Header=BB134_33 Depth=1
	v_mul_lo_u32 v29, v17, s50
	v_mul_lo_u32 v30, v16, s51
	v_mad_u64_u32 v[18:19], null, v16, s50, 0
	s_delay_alu instid0(VALU_DEP_1) | instskip(NEXT) | instid1(VALU_DEP_1)
	v_add3_u32 v19, v19, v30, v29
	v_lshlrev_b64 v[18:19], 1, v[18:19]
	s_delay_alu instid0(VALU_DEP_1) | instskip(NEXT) | instid1(VALU_DEP_1)
	v_add_co_u32 v18, s4, s27, v18
	v_add_co_ci_u32_e64 v19, s4, s33, v19, s4
	global_load_u16 v19, v[18:19], off
.LBB134_73:                             ;   in Loop: Header=BB134_33 Depth=1
	s_or_b32 exec_lo, exec_lo, s5
	s_and_saveexec_b32 s8, vcc_lo
	s_cbranch_execz .LBB134_80
; %bb.74:                               ;   in Loop: Header=BB134_33 Depth=1
	s_and_b32 s10, s97, 0xfe
	s_mov_b32 s9, 0
	s_branch .LBB134_76
.LBB134_75:                             ;   in Loop: Header=BB134_76 Depth=2
	s_or_b32 exec_lo, exec_lo, s5
	s_waitcnt vmcnt(0)
	v_cmp_lt_i16_e64 s4, -1, v19
	v_and_b32_e32 v29, 0xffff, v19
	s_and_b32 s5, exec_lo, vcc_lo
	s_delay_alu instid0(SALU_CYCLE_1) | instskip(NEXT) | instid1(VALU_DEP_2)
	s_or_b32 s9, s5, s9
	v_cndmask_b32_e64 v30, 0xffff, v27, s4
	v_cmp_o_f16_e64 s4, v19, v19
	s_delay_alu instid0(VALU_DEP_2) | instskip(NEXT) | instid1(VALU_DEP_1)
	v_xor_b32_e32 v29, v30, v29
	v_cndmask_b32_e64 v19, 0xffff, v29, s4
	s_delay_alu instid0(VALU_DEP_1) | instskip(SKIP_1) | instid1(VALU_DEP_2)
	v_and_b32_e32 v29, s103, v19
	v_bfe_u32 v19, v19, s10, 2
	v_cmp_eq_u32_e32 vcc_lo, s102, v29
	s_delay_alu instid0(VALU_DEP_2) | instskip(SKIP_3) | instid1(VALU_DEP_4)
	v_cmp_eq_u32_e64 s4, 0, v19
	v_cmp_eq_u32_e64 s5, 1, v19
	;; [unrolled: 1-line block ×4, first 2 shown]
	s_and_b32 s4, vcc_lo, s4
	s_delay_alu instid0(SALU_CYCLE_1) | instskip(SKIP_1) | instid1(SALU_CYCLE_1)
	v_cndmask_b32_e64 v19, 0, 1, s4
	s_and_b32 s4, vcc_lo, s5
	v_cndmask_b32_e64 v29, 0, 1, s4
	s_and_b32 s4, vcc_lo, s6
	s_delay_alu instid0(SALU_CYCLE_1)
	v_cndmask_b32_e64 v30, 0, 1, s4
	s_and_b32 s4, vcc_lo, s7
	v_cmp_ne_u32_e32 vcc_lo, 0, v19
	v_cndmask_b32_e64 v31, 0, 1, s4
	v_cmp_ne_u32_e64 s4, 0, v29
	v_cmp_ne_u32_e64 s5, 0, v30
	v_mov_b32_e32 v19, v18
	s_bcnt1_i32_b32 s7, vcc_lo
	v_cmp_ne_u32_e64 s6, 0, v31
	v_add_co_u32 v2, vcc_lo, v2, s7
	s_bcnt1_i32_b32 s4, s4
	v_add_co_ci_u32_e32 v3, vcc_lo, 0, v3, vcc_lo
	v_add_co_u32 v4, vcc_lo, v4, s4
	s_bcnt1_i32_b32 s5, s5
	v_add_co_ci_u32_e32 v5, vcc_lo, 0, v5, vcc_lo
	;; [unrolled: 3-line block ×3, first 2 shown]
	v_add_co_u32 v8, vcc_lo, v8, s4
	v_add_co_ci_u32_e32 v9, vcc_lo, 0, v9, vcc_lo
	s_and_not1_b32 exec_lo, exec_lo, s9
	s_cbranch_execz .LBB134_79
.LBB134_76:                             ;   Parent Loop BB134_33 Depth=1
                                        ; =>  This Inner Loop Header: Depth=2
	v_add_co_u32 v16, vcc_lo, v16, v12
	v_add_co_ci_u32_e32 v17, vcc_lo, 0, v17, vcc_lo
	v_mov_b32_e32 v18, 0
	s_mov_b32 s5, exec_lo
	s_delay_alu instid0(VALU_DEP_2)
	v_cmp_le_u64_e32 vcc_lo, s[24:25], v[16:17]
	v_cmpx_gt_u64_e64 s[24:25], v[16:17]
	s_cbranch_execz .LBB134_75
; %bb.77:                               ;   in Loop: Header=BB134_76 Depth=2
	v_mul_lo_u32 v18, v17, s50
	v_mul_lo_u32 v31, v16, s51
	v_mad_u64_u32 v[29:30], null, v16, s50, 0
	s_delay_alu instid0(VALU_DEP_1) | instskip(NEXT) | instid1(VALU_DEP_1)
	v_add3_u32 v30, v30, v31, v18
	v_lshlrev_b64 v[29:30], 1, v[29:30]
	s_delay_alu instid0(VALU_DEP_1) | instskip(NEXT) | instid1(VALU_DEP_1)
	v_add_co_u32 v29, s4, s27, v29
	v_add_co_ci_u32_e64 v30, s4, s33, v30, s4
	global_load_u16 v18, v[29:30], off
	s_branch .LBB134_75
.LBB134_78:                             ;   in Loop: Header=BB134_33 Depth=1
                                        ; implicit-def: $vgpr8_vgpr9
                                        ; implicit-def: $vgpr4_vgpr5
	s_cbranch_execnz .LBB134_81
	s_branch .LBB134_90
.LBB134_79:                             ;   in Loop: Header=BB134_33 Depth=1
	s_or_b32 exec_lo, exec_lo, s9
.LBB134_80:                             ;   in Loop: Header=BB134_33 Depth=1
	s_delay_alu instid0(SALU_CYCLE_1)
	s_or_b32 exec_lo, exec_lo, s8
	s_branch .LBB134_90
.LBB134_81:                             ;   in Loop: Header=BB134_33 Depth=1
	global_load_u16 v8, v13, s[70:71]
	s_mov_b64 s[74:75], 0
	s_mov_b32 s73, exec_lo
	s_waitcnt vmcnt(0)
	v_readfirstlane_b32 s4, v8
	v_and_b32_e32 v18, 0xffff, v8
	s_delay_alu instid0(VALU_DEP_2) | instskip(NEXT) | instid1(SALU_CYCLE_1)
	s_and_b32 s4, 0xffff, s4
	s_lshl_b32 s68, s4, 2
	s_delay_alu instid0(SALU_CYCLE_1) | instskip(SKIP_1) | instid1(VALU_DEP_1)
	v_cvt_f32_u32_e32 v2, s68
	s_sub_i32 s5, 0, s68
	v_rcp_iflag_f32_e32 v2, v2
	s_waitcnt_depctr 0xfff
	v_mul_f32_e32 v2, 0x4f7ffffe, v2
	s_delay_alu instid0(VALU_DEP_1) | instskip(NEXT) | instid1(VALU_DEP_1)
	v_cvt_u32_f32_e32 v2, v2
	v_readfirstlane_b32 s4, v2
	v_mov_b32_e32 v2, 0
	v_mov_b32_e32 v3, 0
	s_delay_alu instid0(VALU_DEP_3) | instskip(NEXT) | instid1(VALU_DEP_1)
	s_mul_i32 s5, s5, s4
	v_dual_mov_b32 v5, v3 :: v_dual_mov_b32 v4, v2
	s_mul_hi_u32 s5, s4, s5
	v_dual_mov_b32 v7, v3 :: v_dual_mov_b32 v6, v2
	s_add_i32 s4, s4, s5
	v_dual_mov_b32 v9, v3 :: v_dual_mov_b32 v8, v2
	s_mul_hi_u32 s4, s72, s4
	s_delay_alu instid0(SALU_CYCLE_1) | instskip(NEXT) | instid1(SALU_CYCLE_1)
	s_mul_i32 s4, s4, s68
	s_sub_i32 s4, s72, s4
	s_delay_alu instid0(SALU_CYCLE_1) | instskip(SKIP_2) | instid1(SALU_CYCLE_1)
	s_sub_i32 s5, s4, s68
	s_cmp_ge_u32 s4, s68
	s_cselect_b32 s4, s5, s4
	s_sub_i32 s5, s4, s68
	s_cmp_ge_u32 s4, s68
	s_cselect_b32 s4, s5, s4
	s_delay_alu instid0(SALU_CYCLE_1) | instskip(NEXT) | instid1(SALU_CYCLE_1)
	s_sub_i32 s66, s72, s4
	v_cmpx_gt_u32_e64 s66, v10
	s_cbranch_execz .LBB134_85
; %bb.82:                               ;   in Loop: Header=BB134_33 Depth=1
	v_dual_mov_b32 v19, v25 :: v_dual_lshlrev_b32 v12, 3, v18
	v_dual_mov_b32 v17, v11 :: v_dual_mov_b32 v16, v10
	s_and_b32 s104, s97, 0xfe
	s_mov_b32 vcc_hi, 0
	s_mov_b64 s[76:77], 0
	s_mov_b64 s[78:79], 0
	;; [unrolled: 1-line block ×3, first 2 shown]
.LBB134_83:                             ;   Parent Loop BB134_33 Depth=1
                                        ; =>  This Inner Loop Header: Depth=2
	ds_load_b64 v[2:3], v19
	v_add_co_u32 v16, vcc_lo, v16, s68
	v_add_co_ci_u32_e32 v17, vcc_lo, 0, v17, vcc_lo
	s_delay_alu instid0(VALU_DEP_1)
	v_cmp_le_u64_e32 vcc_lo, s[66:67], v[16:17]
	s_waitcnt lgkmcnt(0)
	v_lshrrev_b32_e32 v4, 16, v2
	v_cmp_lt_i16_e64 s4, -1, v2
	v_cmp_lt_i16_e64 s5, -1, v3
	v_lshrrev_b32_e32 v7, 16, v3
	v_and_b32_e32 v5, 0xffff, v2
	v_cmp_o_f16_e64 s7, v2, v2
	v_cndmask_b32_e64 v2, 0xffff, v27, s4
	v_cmp_lt_i16_e64 s4, -1, v4
	v_and_b32_e32 v6, 0xffff, v3
	v_cmp_o_f16_e64 s6, v3, v3
	v_cndmask_b32_e64 v3, 0xffff, v27, s5
	v_cmp_lt_i16_e64 s5, -1, v7
	v_cndmask_b32_e64 v8, 0xffff, v27, s4
	v_xor_b32_e32 v2, v2, v5
	v_cmp_o_f16_e64 s9, v4, v4
	v_xor_b32_e32 v3, v3, v6
	v_cndmask_b32_e64 v5, 0xffff, v27, s5
	v_xor_b32_e32 v4, v8, v4
	v_cndmask_b32_e64 v2, 0xffff, v2, s7
	v_cmp_o_f16_e64 s8, v7, v7
	v_cndmask_b32_e64 v3, 0xffff, v3, s6
	v_xor_b32_e32 v5, v5, v7
	v_cndmask_b32_e64 v4, 0xffff, v4, s9
	v_and_b32_e32 v6, s103, v2
	v_bfe_u32 v2, v2, s104, 2
	v_and_b32_e32 v7, s103, v3
	v_cndmask_b32_e64 v5, 0xffff, v5, s8
	v_bfe_u32 v3, v3, s104, 2
	v_cmp_eq_u32_e64 s4, s102, v6
	v_and_b32_e32 v6, s103, v4
	v_bfe_u32 v4, v4, s104, 2
	v_cmp_eq_u32_e64 s5, s102, v7
	v_and_b32_e32 v7, s103, v5
	v_bfe_u32 v5, v5, s104, 2
	v_cmp_eq_u32_e64 s6, 0, v2
	v_cmp_eq_u32_e64 s14, s102, v6
	;; [unrolled: 1-line block ×6, first 2 shown]
	s_and_b32 s22, s4, s6
	s_and_b32 s16, s14, s16
	v_cmp_eq_u32_e64 s8, 1, v2
	v_cmp_eq_u32_e64 s10, 2, v2
	;; [unrolled: 1-line block ×3, first 2 shown]
	s_and_b32 s23, s5, s7
	v_cmp_eq_u32_e64 s6, 1, v4
	v_cmp_eq_u32_e64 s18, 2, v4
	;; [unrolled: 1-line block ×3, first 2 shown]
	v_cndmask_b32_e64 v2, 0, 1, s22
	v_cndmask_b32_e64 v4, 0, 1, s16
	v_cmp_eq_u32_e64 s9, 1, v3
	v_cmp_eq_u32_e64 s11, 2, v3
	;; [unrolled: 1-line block ×3, first 2 shown]
	v_cndmask_b32_e64 v3, 0, 1, s23
	s_and_b32 s17, s15, s17
	v_cmp_eq_u32_e64 s7, 1, v5
	v_cmp_eq_u32_e64 s19, 2, v5
	;; [unrolled: 1-line block ×3, first 2 shown]
	v_cndmask_b32_e64 v5, 0, 1, s17
	v_cmp_ne_u32_e64 s16, 0, v2
	v_cmp_ne_u32_e64 s22, 0, v4
	;; [unrolled: 1-line block ×3, first 2 shown]
	s_delay_alu instid0(VALU_DEP_4) | instskip(NEXT) | instid1(VALU_DEP_4)
	v_cmp_ne_u32_e64 s23, 0, v5
	s_bcnt1_i32_b32 s16, s16
	s_delay_alu instid0(VALU_DEP_3) | instskip(NEXT) | instid1(VALU_DEP_2)
	s_bcnt1_i32_b32 s22, s22
	s_bcnt1_i32_b32 s17, s17
	s_add_i32 s16, s22, s16
	s_bcnt1_i32_b32 s23, s23
	s_add_i32 s16, s16, s17
	s_delay_alu instid0(SALU_CYCLE_1) | instskip(NEXT) | instid1(SALU_CYCLE_1)
	s_add_i32 s16, s16, s23
	s_add_u32 s80, s80, s16
	s_addc_u32 s81, s81, 0
	s_and_b32 s8, s4, s8
	s_and_b32 s6, s14, s6
	;; [unrolled: 1-line block ×3, first 2 shown]
	v_cndmask_b32_e64 v2, 0, 1, s8
	v_cndmask_b32_e64 v3, 0, 1, s6
	s_and_b32 s7, s15, s7
	v_cndmask_b32_e64 v4, 0, 1, s9
	v_cndmask_b32_e64 v5, 0, 1, s7
	v_cmp_ne_u32_e64 s6, 0, v2
	v_cmp_ne_u32_e64 s7, 0, v3
	v_add_nc_u32_e32 v19, v19, v12
	v_cmp_ne_u32_e64 s8, 0, v4
	v_cmp_ne_u32_e64 s9, 0, v5
	s_bcnt1_i32_b32 s6, s6
	s_bcnt1_i32_b32 s7, s7
	s_delay_alu instid0(VALU_DEP_2) | instskip(SKIP_3) | instid1(SALU_CYCLE_1)
	s_bcnt1_i32_b32 s8, s8
	s_add_i32 s6, s7, s6
	s_bcnt1_i32_b32 s9, s9
	s_add_i32 s6, s6, s8
	s_add_i32 s6, s6, s9
	s_delay_alu instid0(SALU_CYCLE_1)
	s_add_u32 s78, s78, s6
	s_addc_u32 s79, s79, 0
	s_and_b32 s6, s4, s10
	s_and_b32 s7, s14, s18
	;; [unrolled: 1-line block ×3, first 2 shown]
	v_cndmask_b32_e64 v2, 0, 1, s6
	v_cndmask_b32_e64 v3, 0, 1, s7
	s_and_b32 s9, s15, s19
	v_cndmask_b32_e64 v4, 0, 1, s8
	v_cndmask_b32_e64 v5, 0, 1, s9
	v_cmp_ne_u32_e64 s6, 0, v2
	v_cmp_ne_u32_e64 s7, 0, v3
	s_delay_alu instid0(VALU_DEP_4) | instskip(NEXT) | instid1(VALU_DEP_4)
	v_cmp_ne_u32_e64 s8, 0, v4
	v_cmp_ne_u32_e64 s9, 0, v5
	s_delay_alu instid0(VALU_DEP_4) | instskip(NEXT) | instid1(VALU_DEP_3)
	s_bcnt1_i32_b32 s6, s6
	s_bcnt1_i32_b32 s7, s7
	s_delay_alu instid0(VALU_DEP_2) | instskip(SKIP_3) | instid1(SALU_CYCLE_1)
	s_bcnt1_i32_b32 s8, s8
	s_add_i32 s6, s7, s6
	s_bcnt1_i32_b32 s9, s9
	s_add_i32 s6, s6, s8
	s_add_i32 s6, s6, s9
	s_delay_alu instid0(SALU_CYCLE_1)
	s_add_u32 s76, s76, s6
	s_addc_u32 s77, s77, 0
	s_and_b32 s4, s4, s12
	s_and_b32 s6, s14, s20
	;; [unrolled: 1-line block ×3, first 2 shown]
	v_cndmask_b32_e64 v2, 0, 1, s4
	v_cndmask_b32_e64 v3, 0, 1, s6
	s_and_b32 s7, s15, s21
	v_cndmask_b32_e64 v4, 0, 1, s5
	v_cndmask_b32_e64 v5, 0, 1, s7
	v_cmp_ne_u32_e64 s4, 0, v2
	v_cmp_ne_u32_e64 s5, 0, v3
	v_mov_b32_e32 v2, s80
	v_cmp_ne_u32_e64 s6, 0, v4
	v_cmp_ne_u32_e64 s7, 0, v5
	s_bcnt1_i32_b32 s4, s4
	s_bcnt1_i32_b32 s5, s5
	v_mov_b32_e32 v4, s78
	s_bcnt1_i32_b32 s6, s6
	s_add_i32 s4, s5, s4
	s_bcnt1_i32_b32 s5, s7
	s_add_i32 s4, s4, s6
	v_mov_b32_e32 v6, s76
	s_add_i32 s4, s4, s5
	v_mov_b32_e32 v3, s81
	s_add_u32 s74, s74, s4
	s_addc_u32 s75, s75, 0
	v_dual_mov_b32 v8, s74 :: v_dual_mov_b32 v5, s79
	v_mov_b32_e32 v7, s77
	v_mov_b32_e32 v9, s75
	s_or_b32 vcc_hi, vcc_lo, vcc_hi
	s_delay_alu instid0(SALU_CYCLE_1)
	s_and_not1_b32 exec_lo, exec_lo, vcc_hi
	s_cbranch_execnz .LBB134_83
; %bb.84:                               ;   in Loop: Header=BB134_33 Depth=1
	s_or_b32 exec_lo, exec_lo, vcc_hi
.LBB134_85:                             ;   in Loop: Header=BB134_33 Depth=1
	s_delay_alu instid0(SALU_CYCLE_1) | instskip(SKIP_2) | instid1(VALU_DEP_1)
	s_or_b32 exec_lo, exec_lo, s73
	v_add_nc_u32_e32 v12, s66, v0
	s_mov_b32 s9, exec_lo
	v_cmpx_gt_u32_e64 s72, v12
	s_cbranch_execz .LBB134_89
; %bb.86:                               ;   in Loop: Header=BB134_33 Depth=1
	v_mov_b32_e32 v17, v13
	v_dual_mov_b32 v16, v12 :: v_dual_lshlrev_b32 v19, 1, v12
	v_lshlrev_b32_e32 v29, 1, v18
	s_mov_b32 s11, 0
	s_and_b32 s10, s72, 0x7fffffff
	s_and_b32 s13, s97, 0xfe
	s_mov_b32 s12, s11
.LBB134_87:                             ;   Parent Loop BB134_33 Depth=1
                                        ; =>  This Inner Loop Header: Depth=2
	ds_load_u16 v12, v19
	v_add_co_u32 v16, vcc_lo, v16, v18
	v_add_co_ci_u32_e32 v17, vcc_lo, 0, v17, vcc_lo
	v_add_nc_u32_e32 v19, v19, v29
	s_delay_alu instid0(VALU_DEP_2) | instskip(SKIP_3) | instid1(VALU_DEP_2)
	v_cmp_le_u64_e32 vcc_lo, s[10:11], v[16:17]
	s_waitcnt lgkmcnt(0)
	v_cmp_lt_i16_e64 s4, -1, v12
	v_and_b32_e32 v30, 0xffff, v12
	v_cndmask_b32_e64 v31, 0xffff, v27, s4
	v_cmp_o_f16_e64 s4, v12, v12
	s_delay_alu instid0(VALU_DEP_2) | instskip(NEXT) | instid1(VALU_DEP_1)
	v_xor_b32_e32 v30, v31, v30
	v_cndmask_b32_e64 v12, 0xffff, v30, s4
	s_delay_alu instid0(VALU_DEP_1) | instskip(SKIP_1) | instid1(VALU_DEP_2)
	v_and_b32_e32 v30, s103, v12
	v_bfe_u32 v12, v12, s13, 2
	v_cmp_eq_u32_e64 s4, s102, v30
	s_delay_alu instid0(VALU_DEP_2) | instskip(SKIP_3) | instid1(VALU_DEP_4)
	v_cmp_eq_u32_e64 s5, 0, v12
	v_cmp_eq_u32_e64 s6, 1, v12
	;; [unrolled: 1-line block ×4, first 2 shown]
	s_and_b32 s5, s4, s5
	s_delay_alu instid0(SALU_CYCLE_1) | instskip(SKIP_1) | instid1(SALU_CYCLE_1)
	v_cndmask_b32_e64 v12, 0, 1, s5
	s_and_b32 s5, s4, s6
	v_cndmask_b32_e64 v30, 0, 1, s5
	s_and_b32 s5, s4, s7
	s_and_b32 s4, s4, s8
	v_cndmask_b32_e64 v31, 0, 1, s5
	v_cndmask_b32_e64 v32, 0, 1, s4
	v_cmp_ne_u32_e64 s4, 0, v12
	v_cmp_ne_u32_e64 s5, 0, v30
	s_delay_alu instid0(VALU_DEP_4) | instskip(NEXT) | instid1(VALU_DEP_4)
	v_cmp_ne_u32_e64 s6, 0, v31
	v_cmp_ne_u32_e64 s7, 0, v32
	s_delay_alu instid0(VALU_DEP_4) | instskip(NEXT) | instid1(VALU_DEP_3)
	s_bcnt1_i32_b32 s4, s4
	s_bcnt1_i32_b32 s5, s5
	v_add_co_u32 v2, s4, v2, s4
	s_delay_alu instid0(VALU_DEP_1)
	v_add_co_ci_u32_e64 v3, s4, 0, v3, s4
	v_add_co_u32 v4, s4, v4, s5
	s_bcnt1_i32_b32 s6, s6
	v_add_co_ci_u32_e64 v5, s4, 0, v5, s4
	v_add_co_u32 v6, s4, v6, s6
	s_bcnt1_i32_b32 s7, s7
	v_add_co_ci_u32_e64 v7, s4, 0, v7, s4
	v_add_co_u32 v8, s4, v8, s7
	s_delay_alu instid0(VALU_DEP_1) | instskip(SKIP_1) | instid1(SALU_CYCLE_1)
	v_add_co_ci_u32_e64 v9, s4, 0, v9, s4
	s_or_b32 s12, vcc_lo, s12
	s_and_not1_b32 exec_lo, exec_lo, s12
	s_cbranch_execnz .LBB134_87
; %bb.88:                               ;   in Loop: Header=BB134_33 Depth=1
	s_or_b32 exec_lo, exec_lo, s12
.LBB134_89:                             ;   in Loop: Header=BB134_33 Depth=1
	s_delay_alu instid0(SALU_CYCLE_1)
	s_or_b32 exec_lo, exec_lo, s9
.LBB134_90:                             ;   in Loop: Header=BB134_33 Depth=1
	s_lshl_b32 s4, s100, 7
	s_and_saveexec_b32 s5, s1
	s_cbranch_execz .LBB134_92
; %bb.91:                               ;   in Loop: Header=BB134_33 Depth=1
	v_or_b32_e32 v12, s4, v23
	s_delay_alu instid0(VALU_DEP_1)
	v_lshlrev_b32_e32 v12, 3, v12
	ds_store_b128 v12, v[2:5] offset:3072
	ds_store_b128 v12, v[6:9] offset:3088
.LBB134_92:                             ;   in Loop: Header=BB134_33 Depth=1
	s_or_b32 exec_lo, exec_lo, s5
	s_waitcnt vmcnt(0) lgkmcnt(0)
	s_barrier
	buffer_gl0_inv
	s_and_saveexec_b32 s5, s82
	s_cbranch_execz .LBB134_103
; %bb.93:                               ;   in Loop: Header=BB134_33 Depth=1
	v_mov_b32_e32 v2, 0
	v_mov_b32_e32 v3, 0
	s_and_not1_b32 vcc_lo, exec_lo, s89
	s_cbranch_vccnz .LBB134_102
; %bb.94:                               ;   in Loop: Header=BB134_33 Depth=1
	v_mov_b32_e32 v2, 0
	v_mov_b32_e32 v3, 0
	s_and_not1_b32 vcc_lo, exec_lo, s87
	s_cbranch_vccnz .LBB134_99
; %bb.95:                               ;   in Loop: Header=BB134_33 Depth=1
	v_lshl_add_u32 v4, s100, 10, v26
	s_mov_b32 s6, 0
	s_set_inst_prefetch_distance 0x1
	.p2align	6
.LBB134_96:                             ;   Parent Loop BB134_33 Depth=1
                                        ; =>  This Inner Loop Header: Depth=2
	ds_load_2addr_b64 v[5:8], v4 offset1:4
	ds_load_2addr_b64 v[16:19], v4 offset0:8 offset1:12
	ds_load_2addr_b64 v[29:32], v4 offset0:16 offset1:20
	s_add_i32 s6, s6, 8
	s_delay_alu instid0(SALU_CYCLE_1) | instskip(SKIP_3) | instid1(VALU_DEP_2)
	s_cmp_eq_u32 s88, s6
	s_waitcnt lgkmcnt(2)
	v_add_co_u32 v2, vcc_lo, v5, v2
	v_add_co_ci_u32_e32 v3, vcc_lo, v6, v3, vcc_lo
	v_add_co_u32 v2, vcc_lo, v7, v2
	s_delay_alu instid0(VALU_DEP_2)
	v_add_co_ci_u32_e32 v3, vcc_lo, v8, v3, vcc_lo
	ds_load_2addr_b64 v[5:8], v4 offset0:24 offset1:28
	s_waitcnt lgkmcnt(2)
	v_add_co_u32 v2, vcc_lo, v16, v2
	v_add_co_ci_u32_e32 v3, vcc_lo, v17, v3, vcc_lo
	v_add_nc_u32_e32 v4, 0x100, v4
	s_delay_alu instid0(VALU_DEP_3) | instskip(NEXT) | instid1(VALU_DEP_3)
	v_add_co_u32 v2, vcc_lo, v18, v2
	v_add_co_ci_u32_e32 v3, vcc_lo, v19, v3, vcc_lo
	s_waitcnt lgkmcnt(1)
	s_delay_alu instid0(VALU_DEP_2) | instskip(NEXT) | instid1(VALU_DEP_2)
	v_add_co_u32 v2, vcc_lo, v29, v2
	v_add_co_ci_u32_e32 v3, vcc_lo, v30, v3, vcc_lo
	s_delay_alu instid0(VALU_DEP_2) | instskip(NEXT) | instid1(VALU_DEP_2)
	v_add_co_u32 v2, vcc_lo, v31, v2
	v_add_co_ci_u32_e32 v3, vcc_lo, v32, v3, vcc_lo
	s_waitcnt lgkmcnt(0)
	s_delay_alu instid0(VALU_DEP_2) | instskip(NEXT) | instid1(VALU_DEP_2)
	v_add_co_u32 v2, vcc_lo, v5, v2
	v_add_co_ci_u32_e32 v3, vcc_lo, v6, v3, vcc_lo
	s_delay_alu instid0(VALU_DEP_2) | instskip(NEXT) | instid1(VALU_DEP_2)
	v_add_co_u32 v2, vcc_lo, v7, v2
	v_add_co_ci_u32_e32 v3, vcc_lo, v8, v3, vcc_lo
	s_cbranch_scc0 .LBB134_96
; %bb.97:                               ;   in Loop: Header=BB134_33 Depth=1
	s_set_inst_prefetch_distance 0x2
	s_mov_b32 s6, s88
	s_and_not1_b32 vcc_lo, exec_lo, s90
	s_cbranch_vccz .LBB134_100
	s_branch .LBB134_102
.LBB134_98:                             ;   in Loop: Header=BB134_33 Depth=1
                                        ; implicit-def: $vgpr2_vgpr3
	s_branch .LBB134_66
.LBB134_99:                             ;   in Loop: Header=BB134_33 Depth=1
	s_mov_b32 s6, 0
	s_and_not1_b32 vcc_lo, exec_lo, s90
	s_cbranch_vccnz .LBB134_102
.LBB134_100:                            ;   in Loop: Header=BB134_33 Depth=1
	s_lshl_b32 s7, s100, 10
	s_lshl_b32 s6, s6, 5
	s_delay_alu instid0(SALU_CYCLE_1)
	v_add3_u32 v4, s7, s6, v26
	s_mov_b32 s6, s86
.LBB134_101:                            ;   Parent Loop BB134_33 Depth=1
                                        ; =>  This Inner Loop Header: Depth=2
	ds_load_b64 v[5:6], v4
	v_add_nc_u32_e32 v4, 32, v4
	s_add_i32 s6, s6, -1
	s_delay_alu instid0(SALU_CYCLE_1)
	s_cmp_lg_u32 s6, 0
	s_waitcnt lgkmcnt(0)
	v_add_co_u32 v2, vcc_lo, v5, v2
	v_add_co_ci_u32_e32 v3, vcc_lo, v6, v3, vcc_lo
	s_cbranch_scc1 .LBB134_101
.LBB134_102:                            ;   in Loop: Header=BB134_33 Depth=1
	v_add_lshl_u32 v4, s4, v20, 3
	ds_store_b64 v4, v[2:3] offset:3072
.LBB134_103:                            ;   in Loop: Header=BB134_33 Depth=1
	s_or_b32 exec_lo, exec_lo, s5
	s_lshl_b32 s4, s4, 3
	s_waitcnt lgkmcnt(0)
	v_mov_b32_e32 v6, s4
	s_barrier
	buffer_gl0_inv
	s_and_b32 s17, s97, 0xfe
	s_mov_b32 s19, -1
	ds_load_b128 v[2:5], v6 offset:3072
	ds_load_b128 v[6:9], v6 offset:3088
	s_lshl_b32 s16, 3, s17
	s_delay_alu instid0(SALU_CYCLE_1)
	s_not_b32 s18, s16
	s_waitcnt lgkmcnt(1)
	v_readfirstlane_b32 s13, v3
	v_readfirstlane_b32 s12, v2
	;; [unrolled: 1-line block ×4, first 2 shown]
	s_waitcnt lgkmcnt(0)
	v_readfirstlane_b32 s8, v6
	v_readfirstlane_b32 s9, v7
	s_cmp_eq_u64 s[12:13], 1
	v_readfirstlane_b32 s6, v8
	s_cselect_b32 s4, -1, 0
	s_cmp_eq_u64 s[64:65], 1
	v_readfirstlane_b32 s7, v9
	s_cselect_b32 s5, -1, 0
	s_delay_alu instid0(SALU_CYCLE_1) | instskip(NEXT) | instid1(SALU_CYCLE_1)
	s_and_b32 s20, s4, s5
	s_and_b32 vcc_lo, exec_lo, s20
	s_cbranch_vccz .LBB134_118
; %bb.104:                              ;   in Loop: Header=BB134_33 Depth=1
	ds_load_b64 v[2:3], v13 offset:5120
	s_waitcnt lgkmcnt(0)
	s_barrier
	buffer_gl0_inv
	v_readfirstlane_b32 s14, v2
	v_readfirstlane_b32 s15, v3
	s_and_saveexec_b32 s4, s0
	s_cbranch_execz .LBB134_106
; %bb.105:                              ;   in Loop: Header=BB134_33 Depth=1
	ds_store_b16 v22, v13
.LBB134_106:                            ;   in Loop: Header=BB134_33 Depth=1
	s_or_b32 exec_lo, exec_lo, s4
	s_and_b32 s102, s102, s18
	s_or_b32 s103, s103, s16
	s_cmp_eq_u64 s[14:15], 0
	s_waitcnt lgkmcnt(0)
	s_barrier
	buffer_gl0_inv
	s_cbranch_scc1 .LBB134_119
; %bb.107:                              ;   in Loop: Header=BB134_33 Depth=1
	s_add_u32 s21, s83, s14
	s_addc_u32 s5, s84, s15
	s_mov_b32 s4, s67
	s_delay_alu instid0(SALU_CYCLE_1)
	s_cmp_lg_u64 s[4:5], 0
	s_cbranch_scc0 .LBB134_164
; %bb.108:                              ;   in Loop: Header=BB134_33 Depth=1
	v_cvt_f32_u32_e32 v2, s35
	s_sub_u32 s23, 0, s35
	s_subb_u32 s66, 0, 0
	s_delay_alu instid0(VALU_DEP_1) | instskip(NEXT) | instid1(VALU_DEP_1)
	v_fmac_f32_e64 v2, 0, 0x4f800000
	v_rcp_f32_e32 v2, v2
	s_waitcnt_depctr 0xfff
	v_mul_f32_e32 v2, 0x5f7ffffc, v2
	s_delay_alu instid0(VALU_DEP_1) | instskip(NEXT) | instid1(VALU_DEP_1)
	v_mul_f32_e32 v3, 0x2f800000, v2
	v_trunc_f32_e32 v3, v3
	s_delay_alu instid0(VALU_DEP_1) | instskip(SKIP_1) | instid1(VALU_DEP_2)
	v_fmac_f32_e32 v2, 0xcf800000, v3
	v_cvt_u32_f32_e32 v3, v3
	v_cvt_u32_f32_e32 v2, v2
	s_delay_alu instid0(VALU_DEP_2) | instskip(NEXT) | instid1(VALU_DEP_2)
	v_readfirstlane_b32 s4, v3
	v_readfirstlane_b32 s22, v2
	s_delay_alu instid0(VALU_DEP_2) | instskip(NEXT) | instid1(VALU_DEP_1)
	s_mul_i32 s68, s23, s4
	s_mul_hi_u32 s73, s23, s22
	s_mul_i32 s72, s66, s22
	s_add_i32 s68, s73, s68
	s_mul_i32 s74, s23, s22
	s_add_i32 s68, s68, s72
	s_mul_hi_u32 s73, s22, s74
	s_mul_hi_u32 s75, s4, s74
	s_mul_i32 s72, s4, s74
	s_mul_hi_u32 s74, s22, s68
	s_mul_i32 s22, s22, s68
	s_mul_hi_u32 s76, s4, s68
	s_add_u32 s22, s73, s22
	s_addc_u32 s73, 0, s74
	s_add_u32 s22, s22, s72
	s_mul_i32 s68, s4, s68
	s_addc_u32 s22, s73, s75
	s_addc_u32 s72, s76, 0
	s_add_u32 s22, s22, s68
	s_addc_u32 s68, 0, s72
	v_add_co_u32 v2, s22, v2, s22
	s_delay_alu instid0(VALU_DEP_1) | instskip(SKIP_1) | instid1(VALU_DEP_1)
	s_cmp_lg_u32 s22, 0
	s_addc_u32 s4, s4, s68
	v_readfirstlane_b32 s22, v2
	s_mul_i32 s68, s23, s4
	s_delay_alu instid0(VALU_DEP_1)
	s_mul_hi_u32 s72, s23, s22
	s_mul_i32 s66, s66, s22
	s_add_i32 s68, s72, s68
	s_mul_i32 s23, s23, s22
	s_add_i32 s68, s68, s66
	s_mul_hi_u32 s72, s4, s23
	s_mul_i32 s73, s4, s23
	s_mul_hi_u32 s23, s22, s23
	s_mul_hi_u32 s74, s22, s68
	s_mul_i32 s22, s22, s68
	s_mul_hi_u32 s66, s4, s68
	s_add_u32 s22, s23, s22
	s_addc_u32 s23, 0, s74
	s_add_u32 s22, s22, s73
	s_mul_i32 s68, s4, s68
	s_addc_u32 s22, s23, s72
	s_addc_u32 s23, s66, 0
	s_add_u32 s22, s22, s68
	s_addc_u32 s23, 0, s23
	v_add_co_u32 v2, s22, v2, s22
	s_delay_alu instid0(VALU_DEP_1) | instskip(SKIP_1) | instid1(VALU_DEP_1)
	s_cmp_lg_u32 s22, 0
	s_addc_u32 s4, s4, s23
	v_readfirstlane_b32 s22, v2
	s_mul_i32 s66, s21, s4
	s_mul_hi_u32 s23, s21, s4
	s_mul_hi_u32 s68, s5, s4
	s_mul_i32 s4, s5, s4
	s_mul_hi_u32 s72, s21, s22
	s_mul_hi_u32 s73, s5, s22
	s_mul_i32 s22, s5, s22
	s_add_u32 s66, s72, s66
	s_addc_u32 s23, 0, s23
	s_add_u32 s22, s66, s22
	s_addc_u32 s22, s23, s73
	s_addc_u32 s23, s68, 0
	s_add_u32 s4, s22, s4
	s_addc_u32 s22, 0, s23
	s_mul_hi_u32 s23, s35, s4
	s_mul_i32 s4, s35, s4
	s_mul_i32 s22, s35, s22
	v_sub_co_u32 v2, s4, s21, s4
	s_add_i32 s23, s23, s22
	s_cmp_lg_u32 s4, 0
	s_delay_alu instid0(VALU_DEP_1) | instskip(SKIP_2) | instid1(VALU_DEP_1)
	v_sub_co_u32 v3, s4, v2, s35
	s_subb_u32 s22, s5, s23
	s_cmp_lg_u32 s4, 0
	v_cmp_le_u32_e32 vcc_lo, s35, v3
	v_sub_co_u32 v4, s4, v3, s35
	s_subb_u32 s23, s22, 0
	s_cmp_lg_u32 s4, 0
	v_cndmask_b32_e64 v5, 0, -1, vcc_lo
	s_subb_u32 s4, s23, 0
	s_cmp_eq_u32 s23, 0
	v_mov_b32_e32 v7, s4
	s_cselect_b32 vcc_lo, -1, 0
	s_cmp_eq_u32 s22, 0
	v_cndmask_b32_e32 v5, -1, v5, vcc_lo
	v_cmp_le_u32_e32 vcc_lo, s35, v2
	s_cselect_b32 s4, -1, 0
	v_cndmask_b32_e64 v6, 0, -1, vcc_lo
	s_delay_alu instid0(VALU_DEP_3) | instskip(NEXT) | instid1(VALU_DEP_2)
	v_cmp_ne_u32_e32 vcc_lo, 0, v5
	v_cndmask_b32_e64 v5, -1, v6, s4
	v_cndmask_b32_e32 v6, s23, v7, vcc_lo
	v_cndmask_b32_e32 v4, v3, v4, vcc_lo
	s_delay_alu instid0(VALU_DEP_3) | instskip(NEXT) | instid1(VALU_DEP_3)
	v_cmp_ne_u32_e32 vcc_lo, 0, v5
	v_cndmask_b32_e32 v3, s22, v6, vcc_lo
	s_delay_alu instid0(VALU_DEP_3)
	v_cndmask_b32_e32 v2, v2, v4, vcc_lo
	s_cbranch_execnz .LBB134_110
.LBB134_109:                            ;   in Loop: Header=BB134_33 Depth=1
	v_cvt_f32_u32_e32 v2, s35
	s_sub_i32 s4, 0, s35
	s_delay_alu instid0(VALU_DEP_1) | instskip(SKIP_2) | instid1(VALU_DEP_1)
	v_rcp_iflag_f32_e32 v2, v2
	s_waitcnt_depctr 0xfff
	v_mul_f32_e32 v2, 0x4f7ffffe, v2
	v_cvt_u32_f32_e32 v2, v2
	s_delay_alu instid0(VALU_DEP_1) | instskip(NEXT) | instid1(VALU_DEP_1)
	v_mul_lo_u32 v3, s4, v2
	v_mul_hi_u32 v3, v2, v3
	s_delay_alu instid0(VALU_DEP_1) | instskip(NEXT) | instid1(VALU_DEP_1)
	v_add_nc_u32_e32 v2, v2, v3
	v_mul_hi_u32 v2, s21, v2
	s_delay_alu instid0(VALU_DEP_1) | instskip(NEXT) | instid1(VALU_DEP_1)
	v_mul_lo_u32 v2, v2, s35
	v_sub_nc_u32_e32 v2, s21, v2
	s_delay_alu instid0(VALU_DEP_1) | instskip(SKIP_1) | instid1(VALU_DEP_2)
	v_subrev_nc_u32_e32 v3, s35, v2
	v_cmp_le_u32_e32 vcc_lo, s35, v2
	v_cndmask_b32_e32 v2, v2, v3, vcc_lo
	s_delay_alu instid0(VALU_DEP_1) | instskip(SKIP_1) | instid1(VALU_DEP_2)
	v_subrev_nc_u32_e32 v3, s35, v2
	v_cmp_le_u32_e32 vcc_lo, s35, v2
	v_cndmask_b32_e32 v12, v2, v3, vcc_lo
	s_delay_alu instid0(VALU_DEP_1)
	v_dual_mov_b32 v2, v12 :: v_dual_mov_b32 v3, v13
.LBB134_110:                            ;   in Loop: Header=BB134_33 Depth=1
	s_delay_alu instid0(VALU_DEP_1) | instskip(NEXT) | instid1(VALU_DEP_2)
	v_sub_co_u32 v2, vcc_lo, s21, v2
	v_sub_co_ci_u32_e32 v3, vcc_lo, s5, v3, vcc_lo
	s_mov_b32 s4, 0
	s_mov_b32 s5, exec_lo
                                        ; implicit-def: $vgpr28
	s_delay_alu instid0(VALU_DEP_1)
	v_cmpx_gt_u64_e64 v[2:3], v[0:1]
	s_cbranch_execz .LBB134_121
; %bb.111:                              ;   in Loop: Header=BB134_33 Depth=1
	v_mov_b32_e32 v6, v21
	v_dual_mov_b32 v5, v1 :: v_dual_mov_b32 v4, v0
	s_mov_b32 s21, 0
                                        ; implicit-def: $sgpr22
	s_set_inst_prefetch_distance 0x1
	s_branch .LBB134_113
	.p2align	6
.LBB134_112:                            ;   in Loop: Header=BB134_113 Depth=2
	s_or_b32 exec_lo, exec_lo, s4
	s_waitcnt lgkmcnt(0)
	s_barrier
	buffer_gl0_inv
	ds_load_b32 v7, v13 offset:3072
	v_add_co_u32 v4, vcc_lo, v4, s35
	v_add_co_ci_u32_e32 v5, vcc_lo, 0, v5, vcc_lo
	v_add_nc_u32_e32 v6, s91, v6
	s_waitcnt lgkmcnt(0)
	s_barrier
	s_delay_alu instid0(VALU_DEP_2) | instskip(SKIP_2) | instid1(VALU_DEP_1)
	v_cmp_ge_u64_e32 vcc_lo, v[4:5], v[2:3]
	buffer_gl0_inv
	v_cmp_neq_f16_e64 s4, 0, v7
	s_or_b32 s23, vcc_lo, s4
	s_delay_alu instid0(SALU_CYCLE_1) | instskip(NEXT) | instid1(SALU_CYCLE_1)
	s_and_b32 s23, exec_lo, s23
	s_or_b32 s21, s23, s21
	s_and_not1_b32 s22, s22, exec_lo
	s_and_b32 s4, s4, exec_lo
	s_delay_alu instid0(SALU_CYCLE_1)
	s_or_b32 s22, s22, s4
	s_and_not1_b32 exec_lo, exec_lo, s21
	s_cbranch_execz .LBB134_120
.LBB134_113:                            ;   Parent Loop BB134_33 Depth=1
                                        ; =>  This Inner Loop Header: Depth=2
	s_delay_alu instid0(VALU_DEP_1)
	v_cmp_gt_u64_e32 vcc_lo, s[14:15], v[4:5]
	v_mov_b32_e32 v7, 0
	s_and_saveexec_b32 s4, vcc_lo
	s_cbranch_execz .LBB134_115
; %bb.114:                              ;   in Loop: Header=BB134_113 Depth=2
	ds_load_u16 v7, v6
.LBB134_115:                            ;   in Loop: Header=BB134_113 Depth=2
	s_or_b32 exec_lo, exec_lo, s4
	s_and_saveexec_b32 s4, vcc_lo
	s_cbranch_execz .LBB134_112
; %bb.116:                              ;   in Loop: Header=BB134_113 Depth=2
	s_waitcnt lgkmcnt(0)
	v_cmp_lt_i16_e32 vcc_lo, -1, v7
	v_and_b32_e32 v8, 0xffff, v7
	v_cndmask_b32_e32 v9, 0xffff, v27, vcc_lo
	v_cmp_o_f16_e32 vcc_lo, v7, v7
	s_delay_alu instid0(VALU_DEP_2) | instskip(NEXT) | instid1(VALU_DEP_1)
	v_xor_b32_e32 v8, v9, v8
	v_cndmask_b32_e32 v8, 0xffff, v8, vcc_lo
	s_delay_alu instid0(VALU_DEP_1) | instskip(NEXT) | instid1(VALU_DEP_1)
	v_and_b32_e32 v8, s103, v8
	v_cmp_eq_u32_e32 vcc_lo, s102, v8
	s_and_b32 exec_lo, exec_lo, vcc_lo
	s_cbranch_execz .LBB134_112
; %bb.117:                              ;   in Loop: Header=BB134_113 Depth=2
	v_perm_b32 v7, v7, s92, 0x5040100
	ds_store_b32 v13, v7 offset:3072
	s_branch .LBB134_112
.LBB134_118:                            ;   in Loop: Header=BB134_33 Depth=1
	s_mov_b32 s4, -1
                                        ; implicit-def: $sgpr5
                                        ; implicit-def: $sgpr15
                                        ; implicit-def: $sgpr14
	s_branch .LBB134_135
.LBB134_119:                            ;   in Loop: Header=BB134_33 Depth=1
	s_mov_b32 s5, -1
	s_mov_b32 s4, 0
                                        ; implicit-def: $sgpr14
                                        ; implicit-def: $vgpr28
	s_mov_b32 s15, s5
	s_cbranch_execnz .LBB134_122
	s_branch .LBB134_135
.LBB134_120:                            ;   in Loop: Header=BB134_33 Depth=1
	s_set_inst_prefetch_distance 0x2
	s_or_b32 exec_lo, exec_lo, s21
	v_lshrrev_b32_e32 v28, 16, v7
	s_and_b32 s4, s22, exec_lo
.LBB134_121:                            ;   in Loop: Header=BB134_33 Depth=1
	s_or_b32 exec_lo, exec_lo, s5
	s_mov_b32 s14, -1
	s_mov_b32 s5, 0
	s_delay_alu instid0(SALU_CYCLE_1)
	s_mov_b32 s15, s5
	s_branch .LBB134_135
.LBB134_122:                            ;   in Loop: Header=BB134_33 Depth=1
	s_mov_b32 s68, s67
	s_delay_alu instid0(SALU_CYCLE_1)
	s_cmp_lg_u64 s[68:69], 0
	s_cbranch_scc0 .LBB134_165
; %bb.123:                              ;   in Loop: Header=BB134_33 Depth=1
	v_cvt_f32_u32_e32 v2, s35
	s_sub_u32 s14, 0, s35
	s_subb_u32 s15, 0, 0
	s_delay_alu instid0(VALU_DEP_1) | instskip(NEXT) | instid1(VALU_DEP_1)
	v_fmac_f32_e64 v2, 0, 0x4f800000
	v_rcp_f32_e32 v2, v2
	s_waitcnt_depctr 0xfff
	v_mul_f32_e32 v2, 0x5f7ffffc, v2
	s_delay_alu instid0(VALU_DEP_1) | instskip(NEXT) | instid1(VALU_DEP_1)
	v_mul_f32_e32 v3, 0x2f800000, v2
	v_trunc_f32_e32 v3, v3
	s_delay_alu instid0(VALU_DEP_1) | instskip(SKIP_1) | instid1(VALU_DEP_2)
	v_fmac_f32_e32 v2, 0xcf800000, v3
	v_cvt_u32_f32_e32 v3, v3
	v_cvt_u32_f32_e32 v2, v2
	s_delay_alu instid0(VALU_DEP_2) | instskip(NEXT) | instid1(VALU_DEP_2)
	v_readfirstlane_b32 s4, v3
	v_readfirstlane_b32 s5, v2
	s_delay_alu instid0(VALU_DEP_2) | instskip(NEXT) | instid1(VALU_DEP_1)
	s_mul_i32 s21, s14, s4
	s_mul_hi_u32 s23, s14, s5
	s_mul_i32 s22, s15, s5
	s_add_i32 s21, s23, s21
	s_mul_i32 s66, s14, s5
	s_add_i32 s21, s21, s22
	s_mul_hi_u32 s23, s5, s66
	s_mul_hi_u32 s68, s4, s66
	s_mul_i32 s22, s4, s66
	s_mul_hi_u32 s66, s5, s21
	s_mul_i32 s5, s5, s21
	s_mul_hi_u32 s72, s4, s21
	s_add_u32 s5, s23, s5
	s_addc_u32 s23, 0, s66
	s_add_u32 s5, s5, s22
	s_mul_i32 s21, s4, s21
	s_addc_u32 s5, s23, s68
	s_addc_u32 s22, s72, 0
	s_add_u32 s5, s5, s21
	s_addc_u32 s21, 0, s22
	v_add_co_u32 v2, s5, v2, s5
	s_delay_alu instid0(VALU_DEP_1) | instskip(SKIP_1) | instid1(VALU_DEP_1)
	s_cmp_lg_u32 s5, 0
	s_addc_u32 s4, s4, s21
	v_readfirstlane_b32 s5, v2
	s_mul_i32 s21, s14, s4
	s_delay_alu instid0(VALU_DEP_1)
	s_mul_hi_u32 s22, s14, s5
	s_mul_i32 s15, s15, s5
	s_add_i32 s21, s22, s21
	s_mul_i32 s14, s14, s5
	s_add_i32 s21, s21, s15
	s_mul_hi_u32 s22, s4, s14
	s_mul_i32 s23, s4, s14
	s_mul_hi_u32 s14, s5, s14
	s_mul_hi_u32 s66, s5, s21
	s_mul_i32 s5, s5, s21
	s_mul_hi_u32 s15, s4, s21
	s_add_u32 s5, s14, s5
	s_addc_u32 s14, 0, s66
	s_add_u32 s5, s5, s23
	s_mul_i32 s21, s4, s21
	s_addc_u32 s5, s14, s22
	s_addc_u32 s14, s15, 0
	s_add_u32 s5, s5, s21
	s_addc_u32 s14, 0, s14
	v_add_co_u32 v2, s5, v2, s5
	s_delay_alu instid0(VALU_DEP_1) | instskip(SKIP_1) | instid1(VALU_DEP_1)
	s_cmp_lg_u32 s5, 0
	s_addc_u32 s4, s4, s14
	v_readfirstlane_b32 s5, v2
	s_mul_i32 s15, s85, s4
	s_mul_hi_u32 s14, s85, s4
	s_mul_hi_u32 s21, s69, s4
	s_mul_i32 s4, s69, s4
	s_mul_hi_u32 s22, s85, s5
	s_mul_hi_u32 s23, s69, s5
	s_mul_i32 s5, s69, s5
	s_add_u32 s15, s22, s15
	s_addc_u32 s14, 0, s14
	s_add_u32 s5, s15, s5
	s_addc_u32 s5, s14, s23
	s_addc_u32 s14, s21, 0
	s_add_u32 s4, s5, s4
	s_addc_u32 s5, 0, s14
	s_mul_hi_u32 s14, s35, s4
	s_mul_i32 s4, s35, s4
	s_mul_i32 s5, s35, s5
	v_sub_co_u32 v2, s4, s85, s4
	s_add_i32 s14, s14, s5
	s_cmp_lg_u32 s4, 0
	s_delay_alu instid0(VALU_DEP_1) | instskip(SKIP_2) | instid1(VALU_DEP_1)
	v_sub_co_u32 v3, s4, v2, s35
	s_subb_u32 s5, s69, s14
	s_cmp_lg_u32 s4, 0
	v_cmp_le_u32_e32 vcc_lo, s35, v3
	v_sub_co_u32 v4, s4, v3, s35
	s_subb_u32 s14, s5, 0
	s_cmp_lg_u32 s4, 0
	v_cndmask_b32_e64 v5, 0, -1, vcc_lo
	s_subb_u32 s4, s14, 0
	s_cmp_eq_u32 s14, 0
	v_mov_b32_e32 v7, s4
	s_cselect_b32 vcc_lo, -1, 0
	s_cmp_eq_u32 s5, 0
	v_cndmask_b32_e32 v5, -1, v5, vcc_lo
	v_cmp_le_u32_e32 vcc_lo, s35, v2
	s_cselect_b32 s4, -1, 0
	v_cndmask_b32_e64 v6, 0, -1, vcc_lo
	s_delay_alu instid0(VALU_DEP_3) | instskip(NEXT) | instid1(VALU_DEP_2)
	v_cmp_ne_u32_e32 vcc_lo, 0, v5
	v_cndmask_b32_e64 v5, -1, v6, s4
	v_cndmask_b32_e32 v6, s14, v7, vcc_lo
	v_cndmask_b32_e32 v4, v3, v4, vcc_lo
	s_delay_alu instid0(VALU_DEP_3) | instskip(NEXT) | instid1(VALU_DEP_3)
	v_cmp_ne_u32_e32 vcc_lo, 0, v5
	v_cndmask_b32_e32 v3, s5, v6, vcc_lo
	s_delay_alu instid0(VALU_DEP_3)
	v_cndmask_b32_e32 v2, v2, v4, vcc_lo
	s_cbranch_execnz .LBB134_125
.LBB134_124:                            ;   in Loop: Header=BB134_33 Depth=1
	v_cvt_f32_u32_e32 v2, s35
	s_sub_i32 s4, 0, s35
	s_delay_alu instid0(VALU_DEP_1) | instskip(SKIP_2) | instid1(VALU_DEP_1)
	v_rcp_iflag_f32_e32 v2, v2
	s_waitcnt_depctr 0xfff
	v_mul_f32_e32 v2, 0x4f7ffffe, v2
	v_cvt_u32_f32_e32 v2, v2
	s_delay_alu instid0(VALU_DEP_1) | instskip(NEXT) | instid1(VALU_DEP_1)
	v_mul_lo_u32 v3, s4, v2
	v_mul_hi_u32 v3, v2, v3
	s_delay_alu instid0(VALU_DEP_1) | instskip(NEXT) | instid1(VALU_DEP_1)
	v_add_nc_u32_e32 v2, v2, v3
	v_mul_hi_u32 v2, s85, v2
	s_delay_alu instid0(VALU_DEP_1) | instskip(NEXT) | instid1(VALU_DEP_1)
	v_mul_lo_u32 v2, v2, s35
	v_sub_nc_u32_e32 v2, s85, v2
	s_delay_alu instid0(VALU_DEP_1) | instskip(SKIP_1) | instid1(VALU_DEP_2)
	v_subrev_nc_u32_e32 v3, s35, v2
	v_cmp_le_u32_e32 vcc_lo, s35, v2
	v_cndmask_b32_e32 v2, v2, v3, vcc_lo
	s_delay_alu instid0(VALU_DEP_1) | instskip(SKIP_1) | instid1(VALU_DEP_2)
	v_subrev_nc_u32_e32 v3, s35, v2
	v_cmp_le_u32_e32 vcc_lo, s35, v2
	v_cndmask_b32_e32 v12, v2, v3, vcc_lo
	s_delay_alu instid0(VALU_DEP_1)
	v_dual_mov_b32 v2, v12 :: v_dual_mov_b32 v3, v13
.LBB134_125:                            ;   in Loop: Header=BB134_33 Depth=1
	s_delay_alu instid0(VALU_DEP_1) | instskip(NEXT) | instid1(VALU_DEP_2)
	v_sub_co_u32 v2, vcc_lo, s85, v2
	v_sub_co_ci_u32_e32 v3, vcc_lo, s69, v3, vcc_lo
	s_mov_b32 s4, 0
	s_mov_b32 s5, exec_lo
                                        ; implicit-def: $vgpr28
	s_delay_alu instid0(VALU_DEP_1)
	v_cmpx_gt_u64_e64 v[2:3], v[0:1]
	s_cbranch_execz .LBB134_134
; %bb.126:                              ;   in Loop: Header=BB134_33 Depth=1
	v_dual_mov_b32 v5, v1 :: v_dual_mov_b32 v4, v0
	s_mov_b32 s14, 0
                                        ; implicit-def: $sgpr15
	s_branch .LBB134_128
.LBB134_127:                            ;   in Loop: Header=BB134_128 Depth=2
	s_or_b32 exec_lo, exec_lo, s4
	s_waitcnt vmcnt(0) lgkmcnt(0)
	s_barrier
	buffer_gl0_inv
	ds_load_b32 v6, v13 offset:3072
	v_add_co_u32 v4, vcc_lo, v4, s35
	v_add_co_ci_u32_e32 v5, vcc_lo, 0, v5, vcc_lo
	s_waitcnt lgkmcnt(0)
	s_barrier
	buffer_gl0_inv
	v_cmp_ge_u64_e32 vcc_lo, v[4:5], v[2:3]
	v_cmp_neq_f16_e64 s4, 0, v6
	s_delay_alu instid0(VALU_DEP_1) | instskip(NEXT) | instid1(SALU_CYCLE_1)
	s_or_b32 s21, vcc_lo, s4
	s_and_b32 s21, exec_lo, s21
	s_delay_alu instid0(SALU_CYCLE_1) | instskip(SKIP_2) | instid1(SALU_CYCLE_1)
	s_or_b32 s14, s21, s14
	s_and_not1_b32 s15, s15, exec_lo
	s_and_b32 s4, s4, exec_lo
	s_or_b32 s15, s15, s4
	s_and_not1_b32 exec_lo, exec_lo, s14
	s_cbranch_execz .LBB134_133
.LBB134_128:                            ;   Parent Loop BB134_33 Depth=1
                                        ; =>  This Inner Loop Header: Depth=2
	s_delay_alu instid0(VALU_DEP_1)
	v_cmp_gt_u64_e32 vcc_lo, s[24:25], v[4:5]
	v_mov_b32_e32 v6, 0
	s_and_saveexec_b32 s21, vcc_lo
	s_cbranch_execz .LBB134_130
; %bb.129:                              ;   in Loop: Header=BB134_128 Depth=2
	v_mul_lo_u32 v8, v5, s50
	v_mul_lo_u32 v9, v4, s51
	v_mad_u64_u32 v[6:7], null, v4, s50, 0
	s_delay_alu instid0(VALU_DEP_1) | instskip(NEXT) | instid1(VALU_DEP_1)
	v_add3_u32 v7, v7, v9, v8
	v_lshlrev_b64 v[6:7], 1, v[6:7]
	s_delay_alu instid0(VALU_DEP_1) | instskip(NEXT) | instid1(VALU_DEP_1)
	v_add_co_u32 v6, s4, s27, v6
	v_add_co_ci_u32_e64 v7, s4, s33, v7, s4
	global_load_u16 v6, v[6:7], off
.LBB134_130:                            ;   in Loop: Header=BB134_128 Depth=2
	s_or_b32 exec_lo, exec_lo, s21
	s_and_saveexec_b32 s4, vcc_lo
	s_cbranch_execz .LBB134_127
; %bb.131:                              ;   in Loop: Header=BB134_128 Depth=2
	s_waitcnt vmcnt(0)
	v_cmp_lt_i16_e32 vcc_lo, -1, v6
	v_dual_cndmask_b32 v8, 0xffff, v27 :: v_dual_and_b32 v7, 0xffff, v6
	v_cmp_o_f16_e32 vcc_lo, v6, v6
	s_delay_alu instid0(VALU_DEP_2) | instskip(NEXT) | instid1(VALU_DEP_1)
	v_xor_b32_e32 v7, v8, v7
	v_cndmask_b32_e32 v7, 0xffff, v7, vcc_lo
	s_delay_alu instid0(VALU_DEP_1) | instskip(NEXT) | instid1(VALU_DEP_1)
	v_and_b32_e32 v7, s103, v7
	v_cmp_eq_u32_e32 vcc_lo, s102, v7
	s_and_b32 exec_lo, exec_lo, vcc_lo
	s_cbranch_execz .LBB134_127
; %bb.132:                              ;   in Loop: Header=BB134_128 Depth=2
	v_perm_b32 v6, v6, s92, 0x5040100
	ds_store_b32 v13, v6 offset:3072
	s_branch .LBB134_127
.LBB134_133:                            ;   in Loop: Header=BB134_33 Depth=1
	s_or_b32 exec_lo, exec_lo, s14
	v_lshrrev_b32_e32 v28, 16, v6
	s_and_b32 s4, s15, exec_lo
.LBB134_134:                            ;   in Loop: Header=BB134_33 Depth=1
	s_or_b32 exec_lo, exec_lo, s5
	s_mov_b32 s15, -1
	s_mov_b32 s5, 0
	s_mov_b32 s14, 0
.LBB134_135:                            ;   in Loop: Header=BB134_33 Depth=1
	s_and_not1_b32 s21, s98, exec_lo
	s_and_b32 s5, s5, exec_lo
	s_and_b32 s15, s15, exec_lo
	s_or_b32 s98, s21, s5
	s_and_not1_b32 s5, s101, exec_lo
	s_and_not1_b32 s21, s99, exec_lo
	s_and_b32 s14, s14, exec_lo
	s_or_b32 s101, s5, s15
	s_or_b32 s99, s21, s14
	s_and_saveexec_b32 s14, s4
	s_cbranch_execz .LBB134_32
; %bb.136:                              ;   in Loop: Header=BB134_33 Depth=1
	s_xor_b32 s4, s20, -1
	s_mov_b32 s66, 1
	s_and_not1_b32 vcc_lo, exec_lo, s4
	s_cbranch_vccnz .LBB134_147
; %bb.137:                              ;   in Loop: Header=BB134_33 Depth=1
	v_cmp_gt_u64_e64 s4, s[64:65], s[12:13]
                                        ; implicit-def: $sgpr66
                                        ; implicit-def: $sgpr5
                                        ; implicit-def: $sgpr15
	s_delay_alu instid0(VALU_DEP_1)
	s_and_b32 vcc_lo, exec_lo, s4
	s_mov_b32 s4, -1
	s_cbranch_vccnz .LBB134_143
; %bb.138:                              ;   in Loop: Header=BB134_33 Depth=1
	ds_load_b64 v[2:3], v13 offset:5120
	s_waitcnt lgkmcnt(0)
	v_cmp_ne_u64_e32 vcc_lo, 0, v[2:3]
	s_cbranch_vccnz .LBB134_142
; %bb.139:                              ;   in Loop: Header=BB134_33 Depth=1
	s_and_saveexec_b32 s4, s3
	s_cbranch_execz .LBB134_141
; %bb.140:                              ;   in Loop: Header=BB134_33 Depth=1
	v_dual_mov_b32 v2, s12 :: v_dual_mov_b32 v3, s13
	ds_store_b64 v13, v[2:3] offset:5128
.LBB134_141:                            ;   in Loop: Header=BB134_33 Depth=1
	s_or_b32 exec_lo, exec_lo, s4
	s_waitcnt lgkmcnt(0)
	s_barrier
	buffer_gl0_inv
.LBB134_142:                            ;   in Loop: Header=BB134_33 Depth=1
	s_and_b32 s5, s102, s18
	s_or_b32 s15, s103, s16
	s_mov_b32 s4, 0
	s_mov_b32 s66, 8
.LBB134_143:                            ;   in Loop: Header=BB134_33 Depth=1
	s_and_not1_b32 vcc_lo, exec_lo, s4
	s_cbranch_vccnz .LBB134_145
; %bb.144:                              ;   in Loop: Header=BB134_33 Depth=1
	s_sub_u32 s64, s64, s12
	s_subb_u32 s65, s65, s13
	s_mov_b32 s4, -1
	s_mov_b32 s66, 0
	s_mov_b32 s5, s102
	;; [unrolled: 1-line block ×3, first 2 shown]
.LBB134_145:                            ;   in Loop: Header=BB134_33 Depth=1
	s_delay_alu instid0(SALU_CYCLE_1)
	s_mov_b32 s103, s15
	s_mov_b32 s102, s5
	s_and_b32 vcc_lo, exec_lo, s4
	s_mov_b32 s15, -1
	s_cbranch_vccnz .LBB134_148
.LBB134_146:                            ;   in Loop: Header=BB134_33 Depth=1
	s_mov_b32 s5, -1
                                        ; implicit-def: $sgpr12
                                        ; implicit-def: $sgpr19
                                        ; implicit-def: $sgpr13
	s_delay_alu instid0(SALU_CYCLE_1) | instskip(NEXT) | instid1(SALU_CYCLE_1)
	s_and_saveexec_b32 s4, s5
	s_xor_b32 s4, exec_lo, s4
	s_cbranch_execz .LBB134_31
	s_branch .LBB134_294
.LBB134_147:                            ;   in Loop: Header=BB134_33 Depth=1
	s_mov_b64 s[64:65], 1
	s_mov_b32 s15, -1
	s_branch .LBB134_146
.LBB134_148:                            ;   in Loop: Header=BB134_33 Depth=1
	s_cmp_eq_u64 s[10:11], 1
	s_cselect_b32 s4, -1, 0
	s_cmp_eq_u64 s[64:65], 1
	s_cselect_b32 s5, -1, 0
	s_delay_alu instid0(SALU_CYCLE_1)
	s_and_b32 s21, s4, s5
	s_mov_b32 s4, -1
	s_and_b32 vcc_lo, exec_lo, s21
	s_cbranch_vccz .LBB134_163
; %bb.149:                              ;   in Loop: Header=BB134_33 Depth=1
	ds_load_b64 v[2:3], v13 offset:5120
	s_waitcnt lgkmcnt(0)
	s_barrier
	buffer_gl0_inv
	v_readfirstlane_b32 s12, v2
	v_readfirstlane_b32 s13, v3
	s_and_saveexec_b32 s4, s0
	s_cbranch_execz .LBB134_151
; %bb.150:                              ;   in Loop: Header=BB134_33 Depth=1
	ds_store_b16 v22, v13
.LBB134_151:                            ;   in Loop: Header=BB134_33 Depth=1
	s_or_b32 exec_lo, exec_lo, s4
	s_lshl_b32 s4, 1, s17
	s_and_b32 s5, s102, s18
	s_or_b32 s103, s103, s16
	s_or_b32 s102, s5, s4
	s_cmp_eq_u64 s[12:13], 0
	s_waitcnt lgkmcnt(0)
	s_barrier
	buffer_gl0_inv
	s_cbranch_scc1 .LBB134_166
; %bb.152:                              ;   in Loop: Header=BB134_33 Depth=1
	s_add_u32 s19, s83, s12
	s_addc_u32 s5, s84, s13
	s_mov_b32 s4, s67
	s_delay_alu instid0(SALU_CYCLE_1)
	s_cmp_lg_u64 s[4:5], 0
	s_cbranch_scc0 .LBB134_211
; %bb.153:                              ;   in Loop: Header=BB134_33 Depth=1
	v_cvt_f32_u32_e32 v2, s35
	s_sub_u32 s22, 0, s35
	s_subb_u32 s23, 0, 0
	s_delay_alu instid0(VALU_DEP_1) | instskip(NEXT) | instid1(VALU_DEP_1)
	v_fmac_f32_e64 v2, 0, 0x4f800000
	v_rcp_f32_e32 v2, v2
	s_waitcnt_depctr 0xfff
	v_mul_f32_e32 v2, 0x5f7ffffc, v2
	s_delay_alu instid0(VALU_DEP_1) | instskip(NEXT) | instid1(VALU_DEP_1)
	v_mul_f32_e32 v3, 0x2f800000, v2
	v_trunc_f32_e32 v3, v3
	s_delay_alu instid0(VALU_DEP_1) | instskip(SKIP_1) | instid1(VALU_DEP_2)
	v_fmac_f32_e32 v2, 0xcf800000, v3
	v_cvt_u32_f32_e32 v3, v3
	v_cvt_u32_f32_e32 v2, v2
	s_delay_alu instid0(VALU_DEP_2) | instskip(NEXT) | instid1(VALU_DEP_2)
	v_readfirstlane_b32 s4, v3
	v_readfirstlane_b32 s20, v2
	s_delay_alu instid0(VALU_DEP_2) | instskip(NEXT) | instid1(VALU_DEP_1)
	s_mul_i32 s66, s22, s4
	s_mul_hi_u32 s72, s22, s20
	s_mul_i32 s68, s23, s20
	s_add_i32 s66, s72, s66
	s_mul_i32 s73, s22, s20
	s_add_i32 s66, s66, s68
	s_mul_hi_u32 s72, s20, s73
	s_mul_hi_u32 s74, s4, s73
	s_mul_i32 s68, s4, s73
	s_mul_hi_u32 s73, s20, s66
	s_mul_i32 s20, s20, s66
	s_mul_hi_u32 s75, s4, s66
	s_add_u32 s20, s72, s20
	s_addc_u32 s72, 0, s73
	s_add_u32 s20, s20, s68
	s_mul_i32 s66, s4, s66
	s_addc_u32 s20, s72, s74
	s_addc_u32 s68, s75, 0
	s_add_u32 s20, s20, s66
	s_addc_u32 s66, 0, s68
	v_add_co_u32 v2, s20, v2, s20
	s_delay_alu instid0(VALU_DEP_1) | instskip(SKIP_1) | instid1(VALU_DEP_1)
	s_cmp_lg_u32 s20, 0
	s_addc_u32 s4, s4, s66
	v_readfirstlane_b32 s20, v2
	s_mul_i32 s66, s22, s4
	s_delay_alu instid0(VALU_DEP_1)
	s_mul_hi_u32 s68, s22, s20
	s_mul_i32 s23, s23, s20
	s_add_i32 s66, s68, s66
	s_mul_i32 s22, s22, s20
	s_add_i32 s66, s66, s23
	s_mul_hi_u32 s68, s4, s22
	s_mul_i32 s72, s4, s22
	s_mul_hi_u32 s22, s20, s22
	s_mul_hi_u32 s73, s20, s66
	s_mul_i32 s20, s20, s66
	s_mul_hi_u32 s23, s4, s66
	s_add_u32 s20, s22, s20
	s_addc_u32 s22, 0, s73
	s_add_u32 s20, s20, s72
	s_mul_i32 s66, s4, s66
	s_addc_u32 s20, s22, s68
	s_addc_u32 s22, s23, 0
	s_add_u32 s20, s20, s66
	s_addc_u32 s22, 0, s22
	v_add_co_u32 v2, s20, v2, s20
	s_delay_alu instid0(VALU_DEP_1) | instskip(SKIP_1) | instid1(VALU_DEP_1)
	s_cmp_lg_u32 s20, 0
	s_addc_u32 s4, s4, s22
	v_readfirstlane_b32 s20, v2
	s_mul_i32 s23, s19, s4
	s_mul_hi_u32 s22, s19, s4
	s_mul_hi_u32 s66, s5, s4
	s_mul_i32 s4, s5, s4
	s_mul_hi_u32 s68, s19, s20
	s_mul_hi_u32 s72, s5, s20
	s_mul_i32 s20, s5, s20
	s_add_u32 s23, s68, s23
	s_addc_u32 s22, 0, s22
	s_add_u32 s20, s23, s20
	s_addc_u32 s20, s22, s72
	s_addc_u32 s22, s66, 0
	s_add_u32 s4, s20, s4
	s_addc_u32 s20, 0, s22
	s_mul_hi_u32 s22, s35, s4
	s_mul_i32 s4, s35, s4
	s_mul_i32 s20, s35, s20
	v_sub_co_u32 v2, s4, s19, s4
	s_add_i32 s22, s22, s20
	s_cmp_lg_u32 s4, 0
	s_delay_alu instid0(VALU_DEP_1) | instskip(SKIP_2) | instid1(VALU_DEP_1)
	v_sub_co_u32 v3, s4, v2, s35
	s_subb_u32 s20, s5, s22
	s_cmp_lg_u32 s4, 0
	v_cmp_le_u32_e32 vcc_lo, s35, v3
	v_sub_co_u32 v4, s4, v3, s35
	s_subb_u32 s22, s20, 0
	s_cmp_lg_u32 s4, 0
	v_cndmask_b32_e64 v5, 0, -1, vcc_lo
	s_subb_u32 s4, s22, 0
	s_cmp_eq_u32 s22, 0
	v_mov_b32_e32 v7, s4
	s_cselect_b32 vcc_lo, -1, 0
	s_cmp_eq_u32 s20, 0
	v_cndmask_b32_e32 v5, -1, v5, vcc_lo
	v_cmp_le_u32_e32 vcc_lo, s35, v2
	s_cselect_b32 s4, -1, 0
	v_cndmask_b32_e64 v6, 0, -1, vcc_lo
	s_delay_alu instid0(VALU_DEP_3) | instskip(NEXT) | instid1(VALU_DEP_2)
	v_cmp_ne_u32_e32 vcc_lo, 0, v5
	v_cndmask_b32_e64 v5, -1, v6, s4
	v_cndmask_b32_e32 v6, s22, v7, vcc_lo
	v_cndmask_b32_e32 v4, v3, v4, vcc_lo
	s_delay_alu instid0(VALU_DEP_3) | instskip(NEXT) | instid1(VALU_DEP_3)
	v_cmp_ne_u32_e32 vcc_lo, 0, v5
	v_cndmask_b32_e32 v3, s20, v6, vcc_lo
	s_delay_alu instid0(VALU_DEP_3)
	v_cndmask_b32_e32 v2, v2, v4, vcc_lo
	s_cbranch_execnz .LBB134_155
.LBB134_154:                            ;   in Loop: Header=BB134_33 Depth=1
	v_cvt_f32_u32_e32 v2, s35
	s_sub_i32 s4, 0, s35
	s_delay_alu instid0(VALU_DEP_1) | instskip(SKIP_2) | instid1(VALU_DEP_1)
	v_rcp_iflag_f32_e32 v2, v2
	s_waitcnt_depctr 0xfff
	v_mul_f32_e32 v2, 0x4f7ffffe, v2
	v_cvt_u32_f32_e32 v2, v2
	s_delay_alu instid0(VALU_DEP_1) | instskip(NEXT) | instid1(VALU_DEP_1)
	v_mul_lo_u32 v3, s4, v2
	v_mul_hi_u32 v3, v2, v3
	s_delay_alu instid0(VALU_DEP_1) | instskip(NEXT) | instid1(VALU_DEP_1)
	v_add_nc_u32_e32 v2, v2, v3
	v_mul_hi_u32 v2, s19, v2
	s_delay_alu instid0(VALU_DEP_1) | instskip(NEXT) | instid1(VALU_DEP_1)
	v_mul_lo_u32 v2, v2, s35
	v_sub_nc_u32_e32 v2, s19, v2
	s_delay_alu instid0(VALU_DEP_1) | instskip(SKIP_1) | instid1(VALU_DEP_2)
	v_subrev_nc_u32_e32 v3, s35, v2
	v_cmp_le_u32_e32 vcc_lo, s35, v2
	v_cndmask_b32_e32 v2, v2, v3, vcc_lo
	s_delay_alu instid0(VALU_DEP_1) | instskip(SKIP_1) | instid1(VALU_DEP_2)
	v_subrev_nc_u32_e32 v3, s35, v2
	v_cmp_le_u32_e32 vcc_lo, s35, v2
	v_cndmask_b32_e32 v12, v2, v3, vcc_lo
	s_delay_alu instid0(VALU_DEP_1)
	v_dual_mov_b32 v2, v12 :: v_dual_mov_b32 v3, v13
.LBB134_155:                            ;   in Loop: Header=BB134_33 Depth=1
	s_delay_alu instid0(VALU_DEP_1) | instskip(NEXT) | instid1(VALU_DEP_2)
	v_sub_co_u32 v2, vcc_lo, s19, v2
	v_sub_co_ci_u32_e32 v3, vcc_lo, s5, v3, vcc_lo
	s_mov_b32 s4, 0
	s_mov_b32 s5, exec_lo
                                        ; implicit-def: $vgpr28
	s_delay_alu instid0(VALU_DEP_1)
	v_cmpx_gt_u64_e64 v[2:3], v[0:1]
	s_cbranch_execz .LBB134_168
; %bb.156:                              ;   in Loop: Header=BB134_33 Depth=1
	v_mov_b32_e32 v6, v21
	v_dual_mov_b32 v5, v1 :: v_dual_mov_b32 v4, v0
	s_mov_b32 s19, 0
                                        ; implicit-def: $sgpr20
	s_set_inst_prefetch_distance 0x1
	s_branch .LBB134_158
	.p2align	6
.LBB134_157:                            ;   in Loop: Header=BB134_158 Depth=2
	s_or_b32 exec_lo, exec_lo, s4
	s_waitcnt lgkmcnt(0)
	s_barrier
	buffer_gl0_inv
	ds_load_b32 v7, v13 offset:3072
	v_add_co_u32 v4, vcc_lo, v4, s35
	v_add_co_ci_u32_e32 v5, vcc_lo, 0, v5, vcc_lo
	v_add_nc_u32_e32 v6, s91, v6
	s_waitcnt lgkmcnt(0)
	s_barrier
	s_delay_alu instid0(VALU_DEP_2) | instskip(SKIP_2) | instid1(VALU_DEP_1)
	v_cmp_ge_u64_e32 vcc_lo, v[4:5], v[2:3]
	buffer_gl0_inv
	v_cmp_neq_f16_e64 s4, 0, v7
	s_or_b32 s22, vcc_lo, s4
	s_delay_alu instid0(SALU_CYCLE_1) | instskip(NEXT) | instid1(SALU_CYCLE_1)
	s_and_b32 s22, exec_lo, s22
	s_or_b32 s19, s22, s19
	s_and_not1_b32 s20, s20, exec_lo
	s_and_b32 s4, s4, exec_lo
	s_delay_alu instid0(SALU_CYCLE_1)
	s_or_b32 s20, s20, s4
	s_and_not1_b32 exec_lo, exec_lo, s19
	s_cbranch_execz .LBB134_167
.LBB134_158:                            ;   Parent Loop BB134_33 Depth=1
                                        ; =>  This Inner Loop Header: Depth=2
	s_delay_alu instid0(VALU_DEP_1)
	v_cmp_gt_u64_e32 vcc_lo, s[12:13], v[4:5]
	v_mov_b32_e32 v7, 0
	s_and_saveexec_b32 s4, vcc_lo
	s_cbranch_execz .LBB134_160
; %bb.159:                              ;   in Loop: Header=BB134_158 Depth=2
	ds_load_u16 v7, v6
.LBB134_160:                            ;   in Loop: Header=BB134_158 Depth=2
	s_or_b32 exec_lo, exec_lo, s4
	s_and_saveexec_b32 s4, vcc_lo
	s_cbranch_execz .LBB134_157
; %bb.161:                              ;   in Loop: Header=BB134_158 Depth=2
	s_waitcnt lgkmcnt(0)
	v_cmp_lt_i16_e32 vcc_lo, -1, v7
	v_and_b32_e32 v8, 0xffff, v7
	v_cndmask_b32_e32 v9, 0xffff, v27, vcc_lo
	v_cmp_o_f16_e32 vcc_lo, v7, v7
	s_delay_alu instid0(VALU_DEP_2) | instskip(NEXT) | instid1(VALU_DEP_1)
	v_xor_b32_e32 v8, v9, v8
	v_cndmask_b32_e32 v8, 0xffff, v8, vcc_lo
	s_delay_alu instid0(VALU_DEP_1) | instskip(NEXT) | instid1(VALU_DEP_1)
	v_and_b32_e32 v8, s103, v8
	v_cmp_eq_u32_e32 vcc_lo, s102, v8
	s_and_b32 exec_lo, exec_lo, vcc_lo
	s_cbranch_execz .LBB134_157
; %bb.162:                              ;   in Loop: Header=BB134_158 Depth=2
	v_perm_b32 v7, v7, s92, 0x5040100
	ds_store_b32 v13, v7 offset:3072
	s_branch .LBB134_157
.LBB134_163:                            ;   in Loop: Header=BB134_33 Depth=1
                                        ; implicit-def: $sgpr13
                                        ; implicit-def: $sgpr19
                                        ; implicit-def: $sgpr12
	s_branch .LBB134_182
.LBB134_164:                            ;   in Loop: Header=BB134_33 Depth=1
                                        ; implicit-def: $vgpr2_vgpr3
	s_branch .LBB134_109
.LBB134_165:                            ;   in Loop: Header=BB134_33 Depth=1
                                        ; implicit-def: $vgpr2_vgpr3
	s_branch .LBB134_124
.LBB134_166:                            ;   in Loop: Header=BB134_33 Depth=1
	s_mov_b32 s13, -1
	s_mov_b32 s4, 0
                                        ; implicit-def: $sgpr12
                                        ; implicit-def: $vgpr28
	s_mov_b32 s19, s13
	s_cbranch_execnz .LBB134_169
	s_branch .LBB134_182
.LBB134_167:                            ;   in Loop: Header=BB134_33 Depth=1
	s_set_inst_prefetch_distance 0x2
	s_or_b32 exec_lo, exec_lo, s19
	v_lshrrev_b32_e32 v28, 16, v7
	s_and_b32 s4, s20, exec_lo
.LBB134_168:                            ;   in Loop: Header=BB134_33 Depth=1
	s_or_b32 exec_lo, exec_lo, s5
	s_mov_b32 s12, -1
	s_mov_b32 s13, 0
	s_delay_alu instid0(SALU_CYCLE_1)
	s_mov_b32 s19, s13
	s_branch .LBB134_182
.LBB134_169:                            ;   in Loop: Header=BB134_33 Depth=1
	s_mov_b32 s68, s67
	s_delay_alu instid0(SALU_CYCLE_1)
	s_cmp_lg_u64 s[68:69], 0
	s_cbranch_scc0 .LBB134_212
; %bb.170:                              ;   in Loop: Header=BB134_33 Depth=1
	v_cvt_f32_u32_e32 v2, s35
	s_sub_u32 s12, 0, s35
	s_subb_u32 s13, 0, 0
	s_delay_alu instid0(VALU_DEP_1) | instskip(NEXT) | instid1(VALU_DEP_1)
	v_fmac_f32_e64 v2, 0, 0x4f800000
	v_rcp_f32_e32 v2, v2
	s_waitcnt_depctr 0xfff
	v_mul_f32_e32 v2, 0x5f7ffffc, v2
	s_delay_alu instid0(VALU_DEP_1) | instskip(NEXT) | instid1(VALU_DEP_1)
	v_mul_f32_e32 v3, 0x2f800000, v2
	v_trunc_f32_e32 v3, v3
	s_delay_alu instid0(VALU_DEP_1) | instskip(SKIP_1) | instid1(VALU_DEP_2)
	v_fmac_f32_e32 v2, 0xcf800000, v3
	v_cvt_u32_f32_e32 v3, v3
	v_cvt_u32_f32_e32 v2, v2
	s_delay_alu instid0(VALU_DEP_2) | instskip(NEXT) | instid1(VALU_DEP_2)
	v_readfirstlane_b32 s4, v3
	v_readfirstlane_b32 s5, v2
	s_delay_alu instid0(VALU_DEP_2) | instskip(NEXT) | instid1(VALU_DEP_1)
	s_mul_i32 s19, s12, s4
	s_mul_hi_u32 s22, s12, s5
	s_mul_i32 s20, s13, s5
	s_add_i32 s19, s22, s19
	s_mul_i32 s23, s12, s5
	s_add_i32 s19, s19, s20
	s_mul_hi_u32 s22, s5, s23
	s_mul_hi_u32 s66, s4, s23
	s_mul_i32 s20, s4, s23
	s_mul_hi_u32 s23, s5, s19
	s_mul_i32 s5, s5, s19
	s_mul_hi_u32 s68, s4, s19
	s_add_u32 s5, s22, s5
	s_addc_u32 s22, 0, s23
	s_add_u32 s5, s5, s20
	s_mul_i32 s19, s4, s19
	s_addc_u32 s5, s22, s66
	s_addc_u32 s20, s68, 0
	s_add_u32 s5, s5, s19
	s_addc_u32 s19, 0, s20
	v_add_co_u32 v2, s5, v2, s5
	s_delay_alu instid0(VALU_DEP_1) | instskip(SKIP_1) | instid1(VALU_DEP_1)
	s_cmp_lg_u32 s5, 0
	s_addc_u32 s4, s4, s19
	v_readfirstlane_b32 s5, v2
	s_mul_i32 s19, s12, s4
	s_delay_alu instid0(VALU_DEP_1)
	s_mul_hi_u32 s20, s12, s5
	s_mul_i32 s13, s13, s5
	s_add_i32 s19, s20, s19
	s_mul_i32 s12, s12, s5
	s_add_i32 s19, s19, s13
	s_mul_hi_u32 s20, s4, s12
	s_mul_i32 s22, s4, s12
	s_mul_hi_u32 s12, s5, s12
	s_mul_hi_u32 s23, s5, s19
	s_mul_i32 s5, s5, s19
	s_mul_hi_u32 s13, s4, s19
	s_add_u32 s5, s12, s5
	s_addc_u32 s12, 0, s23
	s_add_u32 s5, s5, s22
	s_mul_i32 s19, s4, s19
	s_addc_u32 s5, s12, s20
	s_addc_u32 s12, s13, 0
	s_add_u32 s5, s5, s19
	s_addc_u32 s12, 0, s12
	v_add_co_u32 v2, s5, v2, s5
	s_delay_alu instid0(VALU_DEP_1) | instskip(SKIP_1) | instid1(VALU_DEP_1)
	s_cmp_lg_u32 s5, 0
	s_addc_u32 s4, s4, s12
	v_readfirstlane_b32 s5, v2
	s_mul_i32 s13, s85, s4
	s_mul_hi_u32 s12, s85, s4
	s_mul_hi_u32 s19, s69, s4
	s_mul_i32 s4, s69, s4
	s_mul_hi_u32 s20, s85, s5
	s_mul_hi_u32 s22, s69, s5
	s_mul_i32 s5, s69, s5
	s_add_u32 s13, s20, s13
	s_addc_u32 s12, 0, s12
	s_add_u32 s5, s13, s5
	s_addc_u32 s5, s12, s22
	s_addc_u32 s12, s19, 0
	s_add_u32 s4, s5, s4
	s_addc_u32 s5, 0, s12
	s_mul_hi_u32 s12, s35, s4
	s_mul_i32 s4, s35, s4
	s_mul_i32 s5, s35, s5
	v_sub_co_u32 v2, s4, s85, s4
	s_add_i32 s12, s12, s5
	s_cmp_lg_u32 s4, 0
	s_delay_alu instid0(VALU_DEP_1) | instskip(SKIP_2) | instid1(VALU_DEP_1)
	v_sub_co_u32 v3, s4, v2, s35
	s_subb_u32 s5, s69, s12
	s_cmp_lg_u32 s4, 0
	v_cmp_le_u32_e32 vcc_lo, s35, v3
	v_sub_co_u32 v4, s4, v3, s35
	s_subb_u32 s12, s5, 0
	s_cmp_lg_u32 s4, 0
	v_cndmask_b32_e64 v5, 0, -1, vcc_lo
	s_subb_u32 s4, s12, 0
	s_cmp_eq_u32 s12, 0
	v_mov_b32_e32 v7, s4
	s_cselect_b32 vcc_lo, -1, 0
	s_cmp_eq_u32 s5, 0
	v_cndmask_b32_e32 v5, -1, v5, vcc_lo
	v_cmp_le_u32_e32 vcc_lo, s35, v2
	s_cselect_b32 s4, -1, 0
	v_cndmask_b32_e64 v6, 0, -1, vcc_lo
	s_delay_alu instid0(VALU_DEP_3) | instskip(NEXT) | instid1(VALU_DEP_2)
	v_cmp_ne_u32_e32 vcc_lo, 0, v5
	v_cndmask_b32_e64 v5, -1, v6, s4
	v_cndmask_b32_e32 v6, s12, v7, vcc_lo
	v_cndmask_b32_e32 v4, v3, v4, vcc_lo
	s_delay_alu instid0(VALU_DEP_3) | instskip(NEXT) | instid1(VALU_DEP_3)
	v_cmp_ne_u32_e32 vcc_lo, 0, v5
	v_cndmask_b32_e32 v3, s5, v6, vcc_lo
	s_delay_alu instid0(VALU_DEP_3)
	v_cndmask_b32_e32 v2, v2, v4, vcc_lo
	s_cbranch_execnz .LBB134_172
.LBB134_171:                            ;   in Loop: Header=BB134_33 Depth=1
	v_cvt_f32_u32_e32 v2, s35
	s_sub_i32 s4, 0, s35
	s_delay_alu instid0(VALU_DEP_1) | instskip(SKIP_2) | instid1(VALU_DEP_1)
	v_rcp_iflag_f32_e32 v2, v2
	s_waitcnt_depctr 0xfff
	v_mul_f32_e32 v2, 0x4f7ffffe, v2
	v_cvt_u32_f32_e32 v2, v2
	s_delay_alu instid0(VALU_DEP_1) | instskip(NEXT) | instid1(VALU_DEP_1)
	v_mul_lo_u32 v3, s4, v2
	v_mul_hi_u32 v3, v2, v3
	s_delay_alu instid0(VALU_DEP_1) | instskip(NEXT) | instid1(VALU_DEP_1)
	v_add_nc_u32_e32 v2, v2, v3
	v_mul_hi_u32 v2, s85, v2
	s_delay_alu instid0(VALU_DEP_1) | instskip(NEXT) | instid1(VALU_DEP_1)
	v_mul_lo_u32 v2, v2, s35
	v_sub_nc_u32_e32 v2, s85, v2
	s_delay_alu instid0(VALU_DEP_1) | instskip(SKIP_1) | instid1(VALU_DEP_2)
	v_subrev_nc_u32_e32 v3, s35, v2
	v_cmp_le_u32_e32 vcc_lo, s35, v2
	v_cndmask_b32_e32 v2, v2, v3, vcc_lo
	s_delay_alu instid0(VALU_DEP_1) | instskip(SKIP_1) | instid1(VALU_DEP_2)
	v_subrev_nc_u32_e32 v3, s35, v2
	v_cmp_le_u32_e32 vcc_lo, s35, v2
	v_cndmask_b32_e32 v12, v2, v3, vcc_lo
	s_delay_alu instid0(VALU_DEP_1)
	v_dual_mov_b32 v2, v12 :: v_dual_mov_b32 v3, v13
.LBB134_172:                            ;   in Loop: Header=BB134_33 Depth=1
	s_delay_alu instid0(VALU_DEP_1) | instskip(NEXT) | instid1(VALU_DEP_2)
	v_sub_co_u32 v2, vcc_lo, s85, v2
	v_sub_co_ci_u32_e32 v3, vcc_lo, s69, v3, vcc_lo
	s_mov_b32 s4, 0
	s_mov_b32 s5, exec_lo
                                        ; implicit-def: $vgpr28
	s_delay_alu instid0(VALU_DEP_1)
	v_cmpx_gt_u64_e64 v[2:3], v[0:1]
	s_cbranch_execz .LBB134_181
; %bb.173:                              ;   in Loop: Header=BB134_33 Depth=1
	v_dual_mov_b32 v5, v1 :: v_dual_mov_b32 v4, v0
	s_mov_b32 s12, 0
                                        ; implicit-def: $sgpr13
	s_branch .LBB134_175
.LBB134_174:                            ;   in Loop: Header=BB134_175 Depth=2
	s_or_b32 exec_lo, exec_lo, s4
	s_waitcnt vmcnt(0) lgkmcnt(0)
	s_barrier
	buffer_gl0_inv
	ds_load_b32 v6, v13 offset:3072
	v_add_co_u32 v4, vcc_lo, v4, s35
	v_add_co_ci_u32_e32 v5, vcc_lo, 0, v5, vcc_lo
	s_waitcnt lgkmcnt(0)
	s_barrier
	buffer_gl0_inv
	v_cmp_ge_u64_e32 vcc_lo, v[4:5], v[2:3]
	v_cmp_neq_f16_e64 s4, 0, v6
	s_delay_alu instid0(VALU_DEP_1) | instskip(NEXT) | instid1(SALU_CYCLE_1)
	s_or_b32 s19, vcc_lo, s4
	s_and_b32 s19, exec_lo, s19
	s_delay_alu instid0(SALU_CYCLE_1) | instskip(SKIP_2) | instid1(SALU_CYCLE_1)
	s_or_b32 s12, s19, s12
	s_and_not1_b32 s13, s13, exec_lo
	s_and_b32 s4, s4, exec_lo
	s_or_b32 s13, s13, s4
	s_and_not1_b32 exec_lo, exec_lo, s12
	s_cbranch_execz .LBB134_180
.LBB134_175:                            ;   Parent Loop BB134_33 Depth=1
                                        ; =>  This Inner Loop Header: Depth=2
	s_delay_alu instid0(VALU_DEP_1)
	v_cmp_gt_u64_e32 vcc_lo, s[24:25], v[4:5]
	v_mov_b32_e32 v6, 0
	s_and_saveexec_b32 s19, vcc_lo
	s_cbranch_execz .LBB134_177
; %bb.176:                              ;   in Loop: Header=BB134_175 Depth=2
	v_mul_lo_u32 v8, v5, s50
	v_mul_lo_u32 v9, v4, s51
	v_mad_u64_u32 v[6:7], null, v4, s50, 0
	s_delay_alu instid0(VALU_DEP_1) | instskip(NEXT) | instid1(VALU_DEP_1)
	v_add3_u32 v7, v7, v9, v8
	v_lshlrev_b64 v[6:7], 1, v[6:7]
	s_delay_alu instid0(VALU_DEP_1) | instskip(NEXT) | instid1(VALU_DEP_1)
	v_add_co_u32 v6, s4, s27, v6
	v_add_co_ci_u32_e64 v7, s4, s33, v7, s4
	global_load_u16 v6, v[6:7], off
.LBB134_177:                            ;   in Loop: Header=BB134_175 Depth=2
	s_or_b32 exec_lo, exec_lo, s19
	s_and_saveexec_b32 s4, vcc_lo
	s_cbranch_execz .LBB134_174
; %bb.178:                              ;   in Loop: Header=BB134_175 Depth=2
	s_waitcnt vmcnt(0)
	v_cmp_lt_i16_e32 vcc_lo, -1, v6
	v_dual_cndmask_b32 v8, 0xffff, v27 :: v_dual_and_b32 v7, 0xffff, v6
	v_cmp_o_f16_e32 vcc_lo, v6, v6
	s_delay_alu instid0(VALU_DEP_2) | instskip(NEXT) | instid1(VALU_DEP_1)
	v_xor_b32_e32 v7, v8, v7
	v_cndmask_b32_e32 v7, 0xffff, v7, vcc_lo
	s_delay_alu instid0(VALU_DEP_1) | instskip(NEXT) | instid1(VALU_DEP_1)
	v_and_b32_e32 v7, s103, v7
	v_cmp_eq_u32_e32 vcc_lo, s102, v7
	s_and_b32 exec_lo, exec_lo, vcc_lo
	s_cbranch_execz .LBB134_174
; %bb.179:                              ;   in Loop: Header=BB134_175 Depth=2
	v_perm_b32 v6, v6, s92, 0x5040100
	ds_store_b32 v13, v6 offset:3072
	s_branch .LBB134_174
.LBB134_180:                            ;   in Loop: Header=BB134_33 Depth=1
	s_or_b32 exec_lo, exec_lo, s12
	v_lshrrev_b32_e32 v28, 16, v6
	s_and_b32 s4, s13, exec_lo
.LBB134_181:                            ;   in Loop: Header=BB134_33 Depth=1
	s_or_b32 exec_lo, exec_lo, s5
	s_mov_b32 s19, -1
	s_mov_b32 s13, 0
	s_mov_b32 s12, 0
.LBB134_182:                            ;   in Loop: Header=BB134_33 Depth=1
	s_mov_b32 s5, 0
                                        ; implicit-def: $sgpr66
	s_and_saveexec_b32 s20, s4
	s_cbranch_execz .LBB134_293
; %bb.183:                              ;   in Loop: Header=BB134_33 Depth=1
	s_xor_b32 s4, s21, -1
	s_mov_b32 s66, 1
	s_and_not1_b32 vcc_lo, exec_lo, s4
	s_cbranch_vccnz .LBB134_194
; %bb.184:                              ;   in Loop: Header=BB134_33 Depth=1
	v_cmp_gt_u64_e64 s4, s[64:65], s[10:11]
                                        ; implicit-def: $sgpr66
                                        ; implicit-def: $sgpr5
                                        ; implicit-def: $sgpr21
	s_delay_alu instid0(VALU_DEP_1)
	s_and_b32 vcc_lo, exec_lo, s4
	s_mov_b32 s4, -1
	s_cbranch_vccnz .LBB134_190
; %bb.185:                              ;   in Loop: Header=BB134_33 Depth=1
	ds_load_b64 v[2:3], v13 offset:5120
	s_waitcnt lgkmcnt(0)
	v_cmp_ne_u64_e32 vcc_lo, 0, v[2:3]
	s_cbranch_vccnz .LBB134_189
; %bb.186:                              ;   in Loop: Header=BB134_33 Depth=1
	s_and_saveexec_b32 s4, s3
	s_cbranch_execz .LBB134_188
; %bb.187:                              ;   in Loop: Header=BB134_33 Depth=1
	v_dual_mov_b32 v2, s10 :: v_dual_mov_b32 v3, s11
	ds_store_b64 v13, v[2:3] offset:5128
.LBB134_188:                            ;   in Loop: Header=BB134_33 Depth=1
	s_or_b32 exec_lo, exec_lo, s4
	s_waitcnt lgkmcnt(0)
	s_barrier
	buffer_gl0_inv
.LBB134_189:                            ;   in Loop: Header=BB134_33 Depth=1
	s_lshl_b32 s4, 1, s17
	s_and_b32 s5, s102, s18
	s_or_b32 s21, s103, s16
	s_or_b32 s5, s5, s4
	s_mov_b32 s4, 0
	s_mov_b32 s66, 8
.LBB134_190:                            ;   in Loop: Header=BB134_33 Depth=1
	s_and_not1_b32 vcc_lo, exec_lo, s4
	s_cbranch_vccnz .LBB134_192
; %bb.191:                              ;   in Loop: Header=BB134_33 Depth=1
	s_sub_u32 s64, s64, s10
	s_subb_u32 s65, s65, s11
	s_mov_b32 s4, -1
	s_mov_b32 s66, 0
	s_mov_b32 s5, s102
	;; [unrolled: 1-line block ×3, first 2 shown]
.LBB134_192:                            ;   in Loop: Header=BB134_33 Depth=1
	s_delay_alu instid0(SALU_CYCLE_1)
	s_mov_b32 s103, s21
	s_mov_b32 s102, s5
	s_and_not1_b32 vcc_lo, exec_lo, s4
	s_mov_b32 s5, -1
	s_cbranch_vccz .LBB134_195
.LBB134_193:                            ;   in Loop: Header=BB134_33 Depth=1
                                        ; implicit-def: $sgpr11
                                        ; implicit-def: $sgpr21
                                        ; implicit-def: $sgpr10
	s_branch .LBB134_292
.LBB134_194:                            ;   in Loop: Header=BB134_33 Depth=1
	s_mov_b64 s[64:65], 1
	s_mov_b32 s5, -1
	s_cbranch_execnz .LBB134_193
.LBB134_195:                            ;   in Loop: Header=BB134_33 Depth=1
	s_cmp_eq_u64 s[8:9], 1
	s_cselect_b32 s4, -1, 0
	s_cmp_eq_u64 s[64:65], 1
	s_cselect_b32 s5, -1, 0
	s_delay_alu instid0(SALU_CYCLE_1)
	s_and_b32 s23, s4, s5
	s_mov_b32 s4, -1
	s_and_b32 vcc_lo, exec_lo, s23
	s_cbranch_vccz .LBB134_210
; %bb.196:                              ;   in Loop: Header=BB134_33 Depth=1
	ds_load_b64 v[2:3], v13 offset:5120
	s_waitcnt lgkmcnt(0)
	s_barrier
	buffer_gl0_inv
	v_readfirstlane_b32 s10, v2
	v_readfirstlane_b32 s11, v3
	s_and_saveexec_b32 s4, s0
	s_cbranch_execz .LBB134_198
; %bb.197:                              ;   in Loop: Header=BB134_33 Depth=1
	ds_store_b16 v22, v13
.LBB134_198:                            ;   in Loop: Header=BB134_33 Depth=1
	s_or_b32 exec_lo, exec_lo, s4
	s_lshl_b32 s4, 2, s17
	s_and_b32 s5, s102, s18
	s_or_b32 s103, s103, s16
	s_or_b32 s102, s5, s4
	s_cmp_eq_u64 s[10:11], 0
	s_waitcnt lgkmcnt(0)
	s_barrier
	buffer_gl0_inv
	s_cbranch_scc1 .LBB134_213
; %bb.199:                              ;   in Loop: Header=BB134_33 Depth=1
	s_add_u32 s21, s83, s10
	s_addc_u32 s5, s84, s11
	s_mov_b32 s4, s67
	s_delay_alu instid0(SALU_CYCLE_1)
	s_cmp_lg_u64 s[4:5], 0
	s_cbranch_scc0 .LBB134_258
; %bb.200:                              ;   in Loop: Header=BB134_33 Depth=1
	v_cvt_f32_u32_e32 v2, s35
	s_sub_u32 s66, 0, s35
	s_subb_u32 s68, 0, 0
	s_delay_alu instid0(VALU_DEP_1) | instskip(NEXT) | instid1(VALU_DEP_1)
	v_fmac_f32_e64 v2, 0, 0x4f800000
	v_rcp_f32_e32 v2, v2
	s_waitcnt_depctr 0xfff
	v_mul_f32_e32 v2, 0x5f7ffffc, v2
	s_delay_alu instid0(VALU_DEP_1) | instskip(NEXT) | instid1(VALU_DEP_1)
	v_mul_f32_e32 v3, 0x2f800000, v2
	v_trunc_f32_e32 v3, v3
	s_delay_alu instid0(VALU_DEP_1) | instskip(SKIP_1) | instid1(VALU_DEP_2)
	v_fmac_f32_e32 v2, 0xcf800000, v3
	v_cvt_u32_f32_e32 v3, v3
	v_cvt_u32_f32_e32 v2, v2
	s_delay_alu instid0(VALU_DEP_2) | instskip(NEXT) | instid1(VALU_DEP_2)
	v_readfirstlane_b32 s4, v3
	v_readfirstlane_b32 s22, v2
	s_delay_alu instid0(VALU_DEP_2) | instskip(NEXT) | instid1(VALU_DEP_1)
	s_mul_i32 s72, s66, s4
	s_mul_hi_u32 s74, s66, s22
	s_mul_i32 s73, s68, s22
	s_add_i32 s72, s74, s72
	s_mul_i32 s75, s66, s22
	s_add_i32 s72, s72, s73
	s_mul_hi_u32 s74, s22, s75
	s_mul_hi_u32 s76, s4, s75
	s_mul_i32 s73, s4, s75
	s_mul_hi_u32 s75, s22, s72
	s_mul_i32 s22, s22, s72
	s_mul_hi_u32 s77, s4, s72
	s_add_u32 s22, s74, s22
	s_addc_u32 s74, 0, s75
	s_add_u32 s22, s22, s73
	s_mul_i32 s72, s4, s72
	s_addc_u32 s22, s74, s76
	s_addc_u32 s73, s77, 0
	s_add_u32 s22, s22, s72
	s_addc_u32 s72, 0, s73
	v_add_co_u32 v2, s22, v2, s22
	s_delay_alu instid0(VALU_DEP_1) | instskip(SKIP_1) | instid1(VALU_DEP_1)
	s_cmp_lg_u32 s22, 0
	s_addc_u32 s4, s4, s72
	v_readfirstlane_b32 s22, v2
	s_mul_i32 s72, s66, s4
	s_delay_alu instid0(VALU_DEP_1)
	s_mul_hi_u32 s73, s66, s22
	s_mul_i32 s68, s68, s22
	s_add_i32 s72, s73, s72
	s_mul_i32 s66, s66, s22
	s_add_i32 s72, s72, s68
	s_mul_hi_u32 s73, s4, s66
	s_mul_i32 s74, s4, s66
	s_mul_hi_u32 s66, s22, s66
	s_mul_hi_u32 s75, s22, s72
	s_mul_i32 s22, s22, s72
	s_mul_hi_u32 s68, s4, s72
	s_add_u32 s22, s66, s22
	s_addc_u32 s66, 0, s75
	s_add_u32 s22, s22, s74
	s_mul_i32 s72, s4, s72
	s_addc_u32 s22, s66, s73
	s_addc_u32 s66, s68, 0
	s_add_u32 s22, s22, s72
	s_addc_u32 s66, 0, s66
	v_add_co_u32 v2, s22, v2, s22
	s_delay_alu instid0(VALU_DEP_1) | instskip(SKIP_1) | instid1(VALU_DEP_1)
	s_cmp_lg_u32 s22, 0
	s_addc_u32 s4, s4, s66
	v_readfirstlane_b32 s22, v2
	s_mul_i32 s68, s21, s4
	s_mul_hi_u32 s66, s21, s4
	s_mul_hi_u32 s72, s5, s4
	s_mul_i32 s4, s5, s4
	s_mul_hi_u32 s73, s21, s22
	s_mul_hi_u32 s74, s5, s22
	s_mul_i32 s22, s5, s22
	s_add_u32 s68, s73, s68
	s_addc_u32 s66, 0, s66
	s_add_u32 s22, s68, s22
	s_addc_u32 s22, s66, s74
	s_addc_u32 s66, s72, 0
	s_add_u32 s4, s22, s4
	s_addc_u32 s22, 0, s66
	s_mul_hi_u32 s66, s35, s4
	s_mul_i32 s4, s35, s4
	s_mul_i32 s22, s35, s22
	v_sub_co_u32 v2, s4, s21, s4
	s_add_i32 s66, s66, s22
	s_cmp_lg_u32 s4, 0
	s_delay_alu instid0(VALU_DEP_1) | instskip(SKIP_2) | instid1(VALU_DEP_1)
	v_sub_co_u32 v3, s4, v2, s35
	s_subb_u32 s22, s5, s66
	s_cmp_lg_u32 s4, 0
	v_cmp_le_u32_e32 vcc_lo, s35, v3
	v_sub_co_u32 v4, s4, v3, s35
	s_subb_u32 s66, s22, 0
	s_cmp_lg_u32 s4, 0
	v_cndmask_b32_e64 v5, 0, -1, vcc_lo
	s_subb_u32 s4, s66, 0
	s_cmp_eq_u32 s66, 0
	v_mov_b32_e32 v7, s4
	s_cselect_b32 vcc_lo, -1, 0
	s_cmp_eq_u32 s22, 0
	v_cndmask_b32_e32 v5, -1, v5, vcc_lo
	v_cmp_le_u32_e32 vcc_lo, s35, v2
	s_cselect_b32 s4, -1, 0
	v_cndmask_b32_e64 v6, 0, -1, vcc_lo
	s_delay_alu instid0(VALU_DEP_3) | instskip(NEXT) | instid1(VALU_DEP_2)
	v_cmp_ne_u32_e32 vcc_lo, 0, v5
	v_cndmask_b32_e64 v5, -1, v6, s4
	v_cndmask_b32_e32 v6, s66, v7, vcc_lo
	v_cndmask_b32_e32 v4, v3, v4, vcc_lo
	s_delay_alu instid0(VALU_DEP_3) | instskip(NEXT) | instid1(VALU_DEP_3)
	v_cmp_ne_u32_e32 vcc_lo, 0, v5
	v_cndmask_b32_e32 v3, s22, v6, vcc_lo
	s_delay_alu instid0(VALU_DEP_3)
	v_cndmask_b32_e32 v2, v2, v4, vcc_lo
	s_cbranch_execnz .LBB134_202
.LBB134_201:                            ;   in Loop: Header=BB134_33 Depth=1
	v_cvt_f32_u32_e32 v2, s35
	s_sub_i32 s4, 0, s35
	s_delay_alu instid0(VALU_DEP_1) | instskip(SKIP_2) | instid1(VALU_DEP_1)
	v_rcp_iflag_f32_e32 v2, v2
	s_waitcnt_depctr 0xfff
	v_mul_f32_e32 v2, 0x4f7ffffe, v2
	v_cvt_u32_f32_e32 v2, v2
	s_delay_alu instid0(VALU_DEP_1) | instskip(NEXT) | instid1(VALU_DEP_1)
	v_mul_lo_u32 v3, s4, v2
	v_mul_hi_u32 v3, v2, v3
	s_delay_alu instid0(VALU_DEP_1) | instskip(NEXT) | instid1(VALU_DEP_1)
	v_add_nc_u32_e32 v2, v2, v3
	v_mul_hi_u32 v2, s21, v2
	s_delay_alu instid0(VALU_DEP_1) | instskip(NEXT) | instid1(VALU_DEP_1)
	v_mul_lo_u32 v2, v2, s35
	v_sub_nc_u32_e32 v2, s21, v2
	s_delay_alu instid0(VALU_DEP_1) | instskip(SKIP_1) | instid1(VALU_DEP_2)
	v_subrev_nc_u32_e32 v3, s35, v2
	v_cmp_le_u32_e32 vcc_lo, s35, v2
	v_cndmask_b32_e32 v2, v2, v3, vcc_lo
	s_delay_alu instid0(VALU_DEP_1) | instskip(SKIP_1) | instid1(VALU_DEP_2)
	v_subrev_nc_u32_e32 v3, s35, v2
	v_cmp_le_u32_e32 vcc_lo, s35, v2
	v_cndmask_b32_e32 v12, v2, v3, vcc_lo
	s_delay_alu instid0(VALU_DEP_1)
	v_dual_mov_b32 v2, v12 :: v_dual_mov_b32 v3, v13
.LBB134_202:                            ;   in Loop: Header=BB134_33 Depth=1
	s_delay_alu instid0(VALU_DEP_1) | instskip(NEXT) | instid1(VALU_DEP_2)
	v_sub_co_u32 v2, vcc_lo, s21, v2
	v_sub_co_ci_u32_e32 v3, vcc_lo, s5, v3, vcc_lo
	s_mov_b32 s4, 0
	s_mov_b32 s5, exec_lo
                                        ; implicit-def: $vgpr28
	s_delay_alu instid0(VALU_DEP_1)
	v_cmpx_gt_u64_e64 v[2:3], v[0:1]
	s_cbranch_execz .LBB134_215
; %bb.203:                              ;   in Loop: Header=BB134_33 Depth=1
	v_mov_b32_e32 v6, v21
	v_dual_mov_b32 v5, v1 :: v_dual_mov_b32 v4, v0
	s_mov_b32 s21, 0
                                        ; implicit-def: $sgpr22
	s_set_inst_prefetch_distance 0x1
	s_branch .LBB134_205
	.p2align	6
.LBB134_204:                            ;   in Loop: Header=BB134_205 Depth=2
	s_or_b32 exec_lo, exec_lo, s4
	s_waitcnt lgkmcnt(0)
	s_barrier
	buffer_gl0_inv
	ds_load_b32 v7, v13 offset:3072
	v_add_co_u32 v4, vcc_lo, v4, s35
	v_add_co_ci_u32_e32 v5, vcc_lo, 0, v5, vcc_lo
	v_add_nc_u32_e32 v6, s91, v6
	s_waitcnt lgkmcnt(0)
	s_barrier
	s_delay_alu instid0(VALU_DEP_2) | instskip(SKIP_2) | instid1(VALU_DEP_1)
	v_cmp_ge_u64_e32 vcc_lo, v[4:5], v[2:3]
	buffer_gl0_inv
	v_cmp_neq_f16_e64 s4, 0, v7
	s_or_b32 s66, vcc_lo, s4
	s_delay_alu instid0(SALU_CYCLE_1) | instskip(NEXT) | instid1(SALU_CYCLE_1)
	s_and_b32 s66, exec_lo, s66
	s_or_b32 s21, s66, s21
	s_and_not1_b32 s22, s22, exec_lo
	s_and_b32 s4, s4, exec_lo
	s_delay_alu instid0(SALU_CYCLE_1)
	s_or_b32 s22, s22, s4
	s_and_not1_b32 exec_lo, exec_lo, s21
	s_cbranch_execz .LBB134_214
.LBB134_205:                            ;   Parent Loop BB134_33 Depth=1
                                        ; =>  This Inner Loop Header: Depth=2
	s_delay_alu instid0(VALU_DEP_1)
	v_cmp_gt_u64_e32 vcc_lo, s[10:11], v[4:5]
	v_mov_b32_e32 v7, 0
	s_and_saveexec_b32 s4, vcc_lo
	s_cbranch_execz .LBB134_207
; %bb.206:                              ;   in Loop: Header=BB134_205 Depth=2
	ds_load_u16 v7, v6
.LBB134_207:                            ;   in Loop: Header=BB134_205 Depth=2
	s_or_b32 exec_lo, exec_lo, s4
	s_and_saveexec_b32 s4, vcc_lo
	s_cbranch_execz .LBB134_204
; %bb.208:                              ;   in Loop: Header=BB134_205 Depth=2
	s_waitcnt lgkmcnt(0)
	v_cmp_lt_i16_e32 vcc_lo, -1, v7
	v_and_b32_e32 v8, 0xffff, v7
	v_cndmask_b32_e32 v9, 0xffff, v27, vcc_lo
	v_cmp_o_f16_e32 vcc_lo, v7, v7
	s_delay_alu instid0(VALU_DEP_2) | instskip(NEXT) | instid1(VALU_DEP_1)
	v_xor_b32_e32 v8, v9, v8
	v_cndmask_b32_e32 v8, 0xffff, v8, vcc_lo
	s_delay_alu instid0(VALU_DEP_1) | instskip(NEXT) | instid1(VALU_DEP_1)
	v_and_b32_e32 v8, s103, v8
	v_cmp_eq_u32_e32 vcc_lo, s102, v8
	s_and_b32 exec_lo, exec_lo, vcc_lo
	s_cbranch_execz .LBB134_204
; %bb.209:                              ;   in Loop: Header=BB134_205 Depth=2
	v_perm_b32 v7, v7, s92, 0x5040100
	ds_store_b32 v13, v7 offset:3072
	s_branch .LBB134_204
.LBB134_210:                            ;   in Loop: Header=BB134_33 Depth=1
                                        ; implicit-def: $sgpr10
                                        ; implicit-def: $sgpr21
                                        ; implicit-def: $sgpr11
	s_branch .LBB134_229
.LBB134_211:                            ;   in Loop: Header=BB134_33 Depth=1
                                        ; implicit-def: $vgpr2_vgpr3
	s_branch .LBB134_154
.LBB134_212:                            ;   in Loop: Header=BB134_33 Depth=1
                                        ; implicit-def: $vgpr2_vgpr3
	s_branch .LBB134_171
.LBB134_213:                            ;   in Loop: Header=BB134_33 Depth=1
	s_mov_b32 s10, -1
	s_mov_b32 s4, 0
                                        ; implicit-def: $sgpr11
                                        ; implicit-def: $vgpr28
	s_mov_b32 s21, s10
	s_cbranch_execnz .LBB134_216
	s_branch .LBB134_229
.LBB134_214:                            ;   in Loop: Header=BB134_33 Depth=1
	s_set_inst_prefetch_distance 0x2
	s_or_b32 exec_lo, exec_lo, s21
	v_lshrrev_b32_e32 v28, 16, v7
	s_and_b32 s4, s22, exec_lo
.LBB134_215:                            ;   in Loop: Header=BB134_33 Depth=1
	s_or_b32 exec_lo, exec_lo, s5
	s_mov_b32 s11, -1
	s_mov_b32 s10, 0
	s_delay_alu instid0(SALU_CYCLE_1)
	s_mov_b32 s21, s10
	s_branch .LBB134_229
.LBB134_216:                            ;   in Loop: Header=BB134_33 Depth=1
	s_mov_b32 s68, s67
	s_delay_alu instid0(SALU_CYCLE_1)
	s_cmp_lg_u64 s[68:69], 0
	s_cbranch_scc0 .LBB134_259
; %bb.217:                              ;   in Loop: Header=BB134_33 Depth=1
	v_cvt_f32_u32_e32 v2, s35
	s_sub_u32 s10, 0, s35
	s_subb_u32 s11, 0, 0
	s_delay_alu instid0(VALU_DEP_1) | instskip(NEXT) | instid1(VALU_DEP_1)
	v_fmac_f32_e64 v2, 0, 0x4f800000
	v_rcp_f32_e32 v2, v2
	s_waitcnt_depctr 0xfff
	v_mul_f32_e32 v2, 0x5f7ffffc, v2
	s_delay_alu instid0(VALU_DEP_1) | instskip(NEXT) | instid1(VALU_DEP_1)
	v_mul_f32_e32 v3, 0x2f800000, v2
	v_trunc_f32_e32 v3, v3
	s_delay_alu instid0(VALU_DEP_1) | instskip(SKIP_1) | instid1(VALU_DEP_2)
	v_fmac_f32_e32 v2, 0xcf800000, v3
	v_cvt_u32_f32_e32 v3, v3
	v_cvt_u32_f32_e32 v2, v2
	s_delay_alu instid0(VALU_DEP_2) | instskip(NEXT) | instid1(VALU_DEP_2)
	v_readfirstlane_b32 s4, v3
	v_readfirstlane_b32 s5, v2
	s_delay_alu instid0(VALU_DEP_2) | instskip(NEXT) | instid1(VALU_DEP_1)
	s_mul_i32 s21, s10, s4
	s_mul_hi_u32 s66, s10, s5
	s_mul_i32 s22, s11, s5
	s_add_i32 s21, s66, s21
	s_mul_i32 s68, s10, s5
	s_add_i32 s21, s21, s22
	s_mul_hi_u32 s66, s5, s68
	s_mul_hi_u32 s72, s4, s68
	s_mul_i32 s22, s4, s68
	s_mul_hi_u32 s68, s5, s21
	s_mul_i32 s5, s5, s21
	s_mul_hi_u32 s73, s4, s21
	s_add_u32 s5, s66, s5
	s_addc_u32 s66, 0, s68
	s_add_u32 s5, s5, s22
	s_mul_i32 s21, s4, s21
	s_addc_u32 s5, s66, s72
	s_addc_u32 s22, s73, 0
	s_add_u32 s5, s5, s21
	s_addc_u32 s21, 0, s22
	v_add_co_u32 v2, s5, v2, s5
	s_delay_alu instid0(VALU_DEP_1) | instskip(SKIP_1) | instid1(VALU_DEP_1)
	s_cmp_lg_u32 s5, 0
	s_addc_u32 s4, s4, s21
	v_readfirstlane_b32 s5, v2
	s_mul_i32 s21, s10, s4
	s_delay_alu instid0(VALU_DEP_1)
	s_mul_hi_u32 s22, s10, s5
	s_mul_i32 s11, s11, s5
	s_add_i32 s21, s22, s21
	s_mul_i32 s10, s10, s5
	s_add_i32 s21, s21, s11
	s_mul_hi_u32 s22, s4, s10
	s_mul_i32 s66, s4, s10
	s_mul_hi_u32 s10, s5, s10
	s_mul_hi_u32 s68, s5, s21
	s_mul_i32 s5, s5, s21
	s_mul_hi_u32 s11, s4, s21
	s_add_u32 s5, s10, s5
	s_addc_u32 s10, 0, s68
	s_add_u32 s5, s5, s66
	s_mul_i32 s21, s4, s21
	s_addc_u32 s5, s10, s22
	s_addc_u32 s10, s11, 0
	s_add_u32 s5, s5, s21
	s_addc_u32 s10, 0, s10
	v_add_co_u32 v2, s5, v2, s5
	s_delay_alu instid0(VALU_DEP_1) | instskip(SKIP_1) | instid1(VALU_DEP_1)
	s_cmp_lg_u32 s5, 0
	s_addc_u32 s4, s4, s10
	v_readfirstlane_b32 s5, v2
	s_mul_i32 s11, s85, s4
	s_mul_hi_u32 s10, s85, s4
	s_mul_hi_u32 s21, s69, s4
	s_mul_i32 s4, s69, s4
	s_mul_hi_u32 s22, s85, s5
	s_mul_hi_u32 s66, s69, s5
	s_mul_i32 s5, s69, s5
	s_add_u32 s11, s22, s11
	s_addc_u32 s10, 0, s10
	s_add_u32 s5, s11, s5
	s_addc_u32 s5, s10, s66
	s_addc_u32 s10, s21, 0
	s_add_u32 s4, s5, s4
	s_addc_u32 s5, 0, s10
	s_mul_hi_u32 s10, s35, s4
	s_mul_i32 s4, s35, s4
	s_mul_i32 s5, s35, s5
	v_sub_co_u32 v2, s4, s85, s4
	s_add_i32 s10, s10, s5
	s_cmp_lg_u32 s4, 0
	s_delay_alu instid0(VALU_DEP_1) | instskip(SKIP_2) | instid1(VALU_DEP_1)
	v_sub_co_u32 v3, s4, v2, s35
	s_subb_u32 s5, s69, s10
	s_cmp_lg_u32 s4, 0
	v_cmp_le_u32_e32 vcc_lo, s35, v3
	v_sub_co_u32 v4, s4, v3, s35
	s_subb_u32 s10, s5, 0
	s_cmp_lg_u32 s4, 0
	v_cndmask_b32_e64 v5, 0, -1, vcc_lo
	s_subb_u32 s4, s10, 0
	s_cmp_eq_u32 s10, 0
	v_mov_b32_e32 v7, s4
	s_cselect_b32 vcc_lo, -1, 0
	s_cmp_eq_u32 s5, 0
	v_cndmask_b32_e32 v5, -1, v5, vcc_lo
	v_cmp_le_u32_e32 vcc_lo, s35, v2
	s_cselect_b32 s4, -1, 0
	v_cndmask_b32_e64 v6, 0, -1, vcc_lo
	s_delay_alu instid0(VALU_DEP_3) | instskip(NEXT) | instid1(VALU_DEP_2)
	v_cmp_ne_u32_e32 vcc_lo, 0, v5
	v_cndmask_b32_e64 v5, -1, v6, s4
	v_cndmask_b32_e32 v6, s10, v7, vcc_lo
	v_cndmask_b32_e32 v4, v3, v4, vcc_lo
	s_delay_alu instid0(VALU_DEP_3) | instskip(NEXT) | instid1(VALU_DEP_3)
	v_cmp_ne_u32_e32 vcc_lo, 0, v5
	v_cndmask_b32_e32 v3, s5, v6, vcc_lo
	s_delay_alu instid0(VALU_DEP_3)
	v_cndmask_b32_e32 v2, v2, v4, vcc_lo
	s_cbranch_execnz .LBB134_219
.LBB134_218:                            ;   in Loop: Header=BB134_33 Depth=1
	v_cvt_f32_u32_e32 v2, s35
	s_sub_i32 s4, 0, s35
	s_delay_alu instid0(VALU_DEP_1) | instskip(SKIP_2) | instid1(VALU_DEP_1)
	v_rcp_iflag_f32_e32 v2, v2
	s_waitcnt_depctr 0xfff
	v_mul_f32_e32 v2, 0x4f7ffffe, v2
	v_cvt_u32_f32_e32 v2, v2
	s_delay_alu instid0(VALU_DEP_1) | instskip(NEXT) | instid1(VALU_DEP_1)
	v_mul_lo_u32 v3, s4, v2
	v_mul_hi_u32 v3, v2, v3
	s_delay_alu instid0(VALU_DEP_1) | instskip(NEXT) | instid1(VALU_DEP_1)
	v_add_nc_u32_e32 v2, v2, v3
	v_mul_hi_u32 v2, s85, v2
	s_delay_alu instid0(VALU_DEP_1) | instskip(NEXT) | instid1(VALU_DEP_1)
	v_mul_lo_u32 v2, v2, s35
	v_sub_nc_u32_e32 v2, s85, v2
	s_delay_alu instid0(VALU_DEP_1) | instskip(SKIP_1) | instid1(VALU_DEP_2)
	v_subrev_nc_u32_e32 v3, s35, v2
	v_cmp_le_u32_e32 vcc_lo, s35, v2
	v_cndmask_b32_e32 v2, v2, v3, vcc_lo
	s_delay_alu instid0(VALU_DEP_1) | instskip(SKIP_1) | instid1(VALU_DEP_2)
	v_subrev_nc_u32_e32 v3, s35, v2
	v_cmp_le_u32_e32 vcc_lo, s35, v2
	v_cndmask_b32_e32 v12, v2, v3, vcc_lo
	s_delay_alu instid0(VALU_DEP_1)
	v_dual_mov_b32 v2, v12 :: v_dual_mov_b32 v3, v13
.LBB134_219:                            ;   in Loop: Header=BB134_33 Depth=1
	s_delay_alu instid0(VALU_DEP_1) | instskip(NEXT) | instid1(VALU_DEP_2)
	v_sub_co_u32 v2, vcc_lo, s85, v2
	v_sub_co_ci_u32_e32 v3, vcc_lo, s69, v3, vcc_lo
	s_mov_b32 s4, 0
	s_mov_b32 s5, exec_lo
                                        ; implicit-def: $vgpr28
	s_delay_alu instid0(VALU_DEP_1)
	v_cmpx_gt_u64_e64 v[2:3], v[0:1]
	s_cbranch_execz .LBB134_228
; %bb.220:                              ;   in Loop: Header=BB134_33 Depth=1
	v_dual_mov_b32 v5, v1 :: v_dual_mov_b32 v4, v0
	s_mov_b32 s10, 0
                                        ; implicit-def: $sgpr11
	s_branch .LBB134_222
.LBB134_221:                            ;   in Loop: Header=BB134_222 Depth=2
	s_or_b32 exec_lo, exec_lo, s4
	s_waitcnt vmcnt(0) lgkmcnt(0)
	s_barrier
	buffer_gl0_inv
	ds_load_b32 v6, v13 offset:3072
	v_add_co_u32 v4, vcc_lo, v4, s35
	v_add_co_ci_u32_e32 v5, vcc_lo, 0, v5, vcc_lo
	s_waitcnt lgkmcnt(0)
	s_barrier
	buffer_gl0_inv
	v_cmp_ge_u64_e32 vcc_lo, v[4:5], v[2:3]
	v_cmp_neq_f16_e64 s4, 0, v6
	s_delay_alu instid0(VALU_DEP_1) | instskip(NEXT) | instid1(SALU_CYCLE_1)
	s_or_b32 s21, vcc_lo, s4
	s_and_b32 s21, exec_lo, s21
	s_delay_alu instid0(SALU_CYCLE_1) | instskip(SKIP_2) | instid1(SALU_CYCLE_1)
	s_or_b32 s10, s21, s10
	s_and_not1_b32 s11, s11, exec_lo
	s_and_b32 s4, s4, exec_lo
	s_or_b32 s11, s11, s4
	s_and_not1_b32 exec_lo, exec_lo, s10
	s_cbranch_execz .LBB134_227
.LBB134_222:                            ;   Parent Loop BB134_33 Depth=1
                                        ; =>  This Inner Loop Header: Depth=2
	s_delay_alu instid0(VALU_DEP_1)
	v_cmp_gt_u64_e32 vcc_lo, s[24:25], v[4:5]
	v_mov_b32_e32 v6, 0
	s_and_saveexec_b32 s21, vcc_lo
	s_cbranch_execz .LBB134_224
; %bb.223:                              ;   in Loop: Header=BB134_222 Depth=2
	v_mul_lo_u32 v8, v5, s50
	v_mul_lo_u32 v9, v4, s51
	v_mad_u64_u32 v[6:7], null, v4, s50, 0
	s_delay_alu instid0(VALU_DEP_1) | instskip(NEXT) | instid1(VALU_DEP_1)
	v_add3_u32 v7, v7, v9, v8
	v_lshlrev_b64 v[6:7], 1, v[6:7]
	s_delay_alu instid0(VALU_DEP_1) | instskip(NEXT) | instid1(VALU_DEP_1)
	v_add_co_u32 v6, s4, s27, v6
	v_add_co_ci_u32_e64 v7, s4, s33, v7, s4
	global_load_u16 v6, v[6:7], off
.LBB134_224:                            ;   in Loop: Header=BB134_222 Depth=2
	s_or_b32 exec_lo, exec_lo, s21
	s_and_saveexec_b32 s4, vcc_lo
	s_cbranch_execz .LBB134_221
; %bb.225:                              ;   in Loop: Header=BB134_222 Depth=2
	s_waitcnt vmcnt(0)
	v_cmp_lt_i16_e32 vcc_lo, -1, v6
	v_dual_cndmask_b32 v8, 0xffff, v27 :: v_dual_and_b32 v7, 0xffff, v6
	v_cmp_o_f16_e32 vcc_lo, v6, v6
	s_delay_alu instid0(VALU_DEP_2) | instskip(NEXT) | instid1(VALU_DEP_1)
	v_xor_b32_e32 v7, v8, v7
	v_cndmask_b32_e32 v7, 0xffff, v7, vcc_lo
	s_delay_alu instid0(VALU_DEP_1) | instskip(NEXT) | instid1(VALU_DEP_1)
	v_and_b32_e32 v7, s103, v7
	v_cmp_eq_u32_e32 vcc_lo, s102, v7
	s_and_b32 exec_lo, exec_lo, vcc_lo
	s_cbranch_execz .LBB134_221
; %bb.226:                              ;   in Loop: Header=BB134_222 Depth=2
	v_perm_b32 v6, v6, s92, 0x5040100
	ds_store_b32 v13, v6 offset:3072
	s_branch .LBB134_221
.LBB134_227:                            ;   in Loop: Header=BB134_33 Depth=1
	s_or_b32 exec_lo, exec_lo, s10
	v_lshrrev_b32_e32 v28, 16, v6
	s_and_b32 s4, s11, exec_lo
.LBB134_228:                            ;   in Loop: Header=BB134_33 Depth=1
	s_or_b32 exec_lo, exec_lo, s5
	s_mov_b32 s21, -1
	s_mov_b32 s10, 0
	s_mov_b32 s11, 0
.LBB134_229:                            ;   in Loop: Header=BB134_33 Depth=1
	s_mov_b32 s5, 0
                                        ; implicit-def: $sgpr66
	s_and_saveexec_b32 s22, s4
	s_cbranch_execz .LBB134_291
; %bb.230:                              ;   in Loop: Header=BB134_33 Depth=1
	s_xor_b32 s4, s23, -1
	s_mov_b32 s66, 1
	s_and_not1_b32 vcc_lo, exec_lo, s4
	s_cbranch_vccnz .LBB134_241
; %bb.231:                              ;   in Loop: Header=BB134_33 Depth=1
	v_cmp_gt_u64_e64 s4, s[64:65], s[8:9]
                                        ; implicit-def: $sgpr66
                                        ; implicit-def: $sgpr5
                                        ; implicit-def: $sgpr23
	s_delay_alu instid0(VALU_DEP_1)
	s_and_b32 vcc_lo, exec_lo, s4
	s_mov_b32 s4, -1
	s_cbranch_vccnz .LBB134_237
; %bb.232:                              ;   in Loop: Header=BB134_33 Depth=1
	ds_load_b64 v[2:3], v13 offset:5120
	s_waitcnt lgkmcnt(0)
	v_cmp_ne_u64_e32 vcc_lo, 0, v[2:3]
	s_cbranch_vccnz .LBB134_236
; %bb.233:                              ;   in Loop: Header=BB134_33 Depth=1
	s_and_saveexec_b32 s4, s3
	s_cbranch_execz .LBB134_235
; %bb.234:                              ;   in Loop: Header=BB134_33 Depth=1
	v_dual_mov_b32 v2, s8 :: v_dual_mov_b32 v3, s9
	ds_store_b64 v13, v[2:3] offset:5128
.LBB134_235:                            ;   in Loop: Header=BB134_33 Depth=1
	s_or_b32 exec_lo, exec_lo, s4
	s_waitcnt lgkmcnt(0)
	s_barrier
	buffer_gl0_inv
.LBB134_236:                            ;   in Loop: Header=BB134_33 Depth=1
	s_lshl_b32 s4, 2, s17
	s_and_b32 s5, s102, s18
	s_or_b32 s23, s103, s16
	s_or_b32 s5, s5, s4
	s_mov_b32 s4, 0
	s_mov_b32 s66, 8
.LBB134_237:                            ;   in Loop: Header=BB134_33 Depth=1
	s_and_not1_b32 vcc_lo, exec_lo, s4
	s_cbranch_vccnz .LBB134_239
; %bb.238:                              ;   in Loop: Header=BB134_33 Depth=1
	s_sub_u32 s64, s64, s8
	s_subb_u32 s65, s65, s9
	s_mov_b32 s4, -1
	s_mov_b32 s66, 0
	s_mov_b32 s5, s102
	;; [unrolled: 1-line block ×3, first 2 shown]
.LBB134_239:                            ;   in Loop: Header=BB134_33 Depth=1
	s_delay_alu instid0(SALU_CYCLE_1)
	s_mov_b32 s103, s23
	s_mov_b32 s102, s5
	s_and_not1_b32 vcc_lo, exec_lo, s4
	s_mov_b32 s72, -1
	s_cbranch_vccz .LBB134_242
.LBB134_240:                            ;   in Loop: Header=BB134_33 Depth=1
                                        ; implicit-def: $sgpr8
                                        ; implicit-def: $sgpr18
                                        ; implicit-def: $sgpr9
	s_branch .LBB134_290
.LBB134_241:                            ;   in Loop: Header=BB134_33 Depth=1
	s_mov_b64 s[64:65], 1
	s_mov_b32 s72, -1
	s_cbranch_execnz .LBB134_240
.LBB134_242:                            ;   in Loop: Header=BB134_33 Depth=1
	s_cmp_eq_u64 s[6:7], 1
	s_mov_b32 s23, -1
	s_cselect_b32 s4, -1, 0
	s_cmp_eq_u64 s[64:65], 1
	s_cselect_b32 s5, -1, 0
	s_delay_alu instid0(SALU_CYCLE_1) | instskip(NEXT) | instid1(SALU_CYCLE_1)
	s_and_b32 s17, s4, s5
	s_and_b32 vcc_lo, exec_lo, s17
	s_cbranch_vccz .LBB134_257
; %bb.243:                              ;   in Loop: Header=BB134_33 Depth=1
	ds_load_b64 v[2:3], v13 offset:5120
	s_waitcnt lgkmcnt(0)
	s_barrier
	buffer_gl0_inv
	v_readfirstlane_b32 s8, v2
	v_readfirstlane_b32 s9, v3
	s_and_saveexec_b32 s4, s0
	s_cbranch_execz .LBB134_245
; %bb.244:                              ;   in Loop: Header=BB134_33 Depth=1
	ds_store_b16 v22, v13
.LBB134_245:                            ;   in Loop: Header=BB134_33 Depth=1
	s_or_b32 exec_lo, exec_lo, s4
	s_or_b32 s102, s102, s16
	s_or_b32 s103, s103, s16
	s_cmp_eq_u64 s[8:9], 0
	s_waitcnt lgkmcnt(0)
	s_barrier
	buffer_gl0_inv
	s_cbranch_scc1 .LBB134_260
; %bb.246:                              ;   in Loop: Header=BB134_33 Depth=1
	s_add_u32 s18, s83, s8
	s_addc_u32 s5, s84, s9
	s_mov_b32 s4, s67
	s_delay_alu instid0(SALU_CYCLE_1)
	s_cmp_lg_u64 s[4:5], 0
	s_cbranch_scc0 .LBB134_296
; %bb.247:                              ;   in Loop: Header=BB134_33 Depth=1
	v_cvt_f32_u32_e32 v2, s35
	s_sub_u32 s66, 0, s35
	s_subb_u32 s68, 0, 0
	s_delay_alu instid0(VALU_DEP_1) | instskip(NEXT) | instid1(VALU_DEP_1)
	v_fmac_f32_e64 v2, 0, 0x4f800000
	v_rcp_f32_e32 v2, v2
	s_waitcnt_depctr 0xfff
	v_mul_f32_e32 v2, 0x5f7ffffc, v2
	s_delay_alu instid0(VALU_DEP_1) | instskip(NEXT) | instid1(VALU_DEP_1)
	v_mul_f32_e32 v3, 0x2f800000, v2
	v_trunc_f32_e32 v3, v3
	s_delay_alu instid0(VALU_DEP_1) | instskip(SKIP_1) | instid1(VALU_DEP_2)
	v_fmac_f32_e32 v2, 0xcf800000, v3
	v_cvt_u32_f32_e32 v3, v3
	v_cvt_u32_f32_e32 v2, v2
	s_delay_alu instid0(VALU_DEP_2) | instskip(NEXT) | instid1(VALU_DEP_2)
	v_readfirstlane_b32 s4, v3
	v_readfirstlane_b32 s23, v2
	s_delay_alu instid0(VALU_DEP_2) | instskip(NEXT) | instid1(VALU_DEP_1)
	s_mul_i32 s72, s66, s4
	s_mul_hi_u32 s74, s66, s23
	s_mul_i32 s73, s68, s23
	s_add_i32 s72, s74, s72
	s_mul_i32 s75, s66, s23
	s_add_i32 s72, s72, s73
	s_mul_hi_u32 s74, s23, s75
	s_mul_hi_u32 s76, s4, s75
	s_mul_i32 s73, s4, s75
	s_mul_hi_u32 s75, s23, s72
	s_mul_i32 s23, s23, s72
	s_mul_hi_u32 s77, s4, s72
	s_add_u32 s23, s74, s23
	s_addc_u32 s74, 0, s75
	s_add_u32 s23, s23, s73
	s_mul_i32 s72, s4, s72
	s_addc_u32 s23, s74, s76
	s_addc_u32 s73, s77, 0
	s_add_u32 s23, s23, s72
	s_addc_u32 s72, 0, s73
	v_add_co_u32 v2, s23, v2, s23
	s_delay_alu instid0(VALU_DEP_1) | instskip(SKIP_1) | instid1(VALU_DEP_1)
	s_cmp_lg_u32 s23, 0
	s_addc_u32 s4, s4, s72
	v_readfirstlane_b32 s23, v2
	s_mul_i32 s72, s66, s4
	s_delay_alu instid0(VALU_DEP_1)
	s_mul_hi_u32 s73, s66, s23
	s_mul_i32 s68, s68, s23
	s_add_i32 s72, s73, s72
	s_mul_i32 s66, s66, s23
	s_add_i32 s72, s72, s68
	s_mul_hi_u32 s73, s4, s66
	s_mul_i32 s74, s4, s66
	s_mul_hi_u32 s66, s23, s66
	s_mul_hi_u32 s75, s23, s72
	s_mul_i32 s23, s23, s72
	s_mul_hi_u32 s68, s4, s72
	s_add_u32 s23, s66, s23
	s_addc_u32 s66, 0, s75
	s_add_u32 s23, s23, s74
	s_mul_i32 s72, s4, s72
	s_addc_u32 s23, s66, s73
	s_addc_u32 s66, s68, 0
	s_add_u32 s23, s23, s72
	s_addc_u32 s66, 0, s66
	v_add_co_u32 v2, s23, v2, s23
	s_delay_alu instid0(VALU_DEP_1) | instskip(SKIP_1) | instid1(VALU_DEP_1)
	s_cmp_lg_u32 s23, 0
	s_addc_u32 s4, s4, s66
	v_readfirstlane_b32 s23, v2
	s_mul_i32 s68, s18, s4
	s_mul_hi_u32 s66, s18, s4
	s_mul_hi_u32 s72, s5, s4
	s_mul_i32 s4, s5, s4
	s_mul_hi_u32 s73, s18, s23
	s_mul_hi_u32 s74, s5, s23
	s_mul_i32 s23, s5, s23
	s_add_u32 s68, s73, s68
	s_addc_u32 s66, 0, s66
	s_add_u32 s23, s68, s23
	s_addc_u32 s23, s66, s74
	s_addc_u32 s66, s72, 0
	s_add_u32 s4, s23, s4
	s_addc_u32 s23, 0, s66
	s_mul_hi_u32 s66, s35, s4
	s_mul_i32 s4, s35, s4
	s_mul_i32 s23, s35, s23
	v_sub_co_u32 v2, s4, s18, s4
	s_add_i32 s66, s66, s23
	s_cmp_lg_u32 s4, 0
	s_delay_alu instid0(VALU_DEP_1) | instskip(SKIP_2) | instid1(VALU_DEP_1)
	v_sub_co_u32 v3, s4, v2, s35
	s_subb_u32 s23, s5, s66
	s_cmp_lg_u32 s4, 0
	v_cmp_le_u32_e32 vcc_lo, s35, v3
	v_sub_co_u32 v4, s4, v3, s35
	s_subb_u32 s66, s23, 0
	s_cmp_lg_u32 s4, 0
	v_cndmask_b32_e64 v5, 0, -1, vcc_lo
	s_subb_u32 s4, s66, 0
	s_cmp_eq_u32 s66, 0
	v_mov_b32_e32 v7, s4
	s_cselect_b32 vcc_lo, -1, 0
	s_cmp_eq_u32 s23, 0
	v_cndmask_b32_e32 v5, -1, v5, vcc_lo
	v_cmp_le_u32_e32 vcc_lo, s35, v2
	s_cselect_b32 s4, -1, 0
	v_cndmask_b32_e64 v6, 0, -1, vcc_lo
	s_delay_alu instid0(VALU_DEP_3) | instskip(NEXT) | instid1(VALU_DEP_2)
	v_cmp_ne_u32_e32 vcc_lo, 0, v5
	v_cndmask_b32_e64 v5, -1, v6, s4
	v_cndmask_b32_e32 v6, s66, v7, vcc_lo
	v_cndmask_b32_e32 v4, v3, v4, vcc_lo
	s_delay_alu instid0(VALU_DEP_3) | instskip(NEXT) | instid1(VALU_DEP_3)
	v_cmp_ne_u32_e32 vcc_lo, 0, v5
	v_cndmask_b32_e32 v3, s23, v6, vcc_lo
	s_delay_alu instid0(VALU_DEP_3)
	v_cndmask_b32_e32 v2, v2, v4, vcc_lo
	s_cbranch_execnz .LBB134_249
.LBB134_248:                            ;   in Loop: Header=BB134_33 Depth=1
	v_cvt_f32_u32_e32 v2, s35
	s_sub_i32 s4, 0, s35
	s_delay_alu instid0(VALU_DEP_1) | instskip(SKIP_2) | instid1(VALU_DEP_1)
	v_rcp_iflag_f32_e32 v2, v2
	s_waitcnt_depctr 0xfff
	v_mul_f32_e32 v2, 0x4f7ffffe, v2
	v_cvt_u32_f32_e32 v2, v2
	s_delay_alu instid0(VALU_DEP_1) | instskip(NEXT) | instid1(VALU_DEP_1)
	v_mul_lo_u32 v3, s4, v2
	v_mul_hi_u32 v3, v2, v3
	s_delay_alu instid0(VALU_DEP_1) | instskip(NEXT) | instid1(VALU_DEP_1)
	v_add_nc_u32_e32 v2, v2, v3
	v_mul_hi_u32 v2, s18, v2
	s_delay_alu instid0(VALU_DEP_1) | instskip(NEXT) | instid1(VALU_DEP_1)
	v_mul_lo_u32 v2, v2, s35
	v_sub_nc_u32_e32 v2, s18, v2
	s_delay_alu instid0(VALU_DEP_1) | instskip(SKIP_1) | instid1(VALU_DEP_2)
	v_subrev_nc_u32_e32 v3, s35, v2
	v_cmp_le_u32_e32 vcc_lo, s35, v2
	v_cndmask_b32_e32 v2, v2, v3, vcc_lo
	s_delay_alu instid0(VALU_DEP_1) | instskip(SKIP_1) | instid1(VALU_DEP_2)
	v_subrev_nc_u32_e32 v3, s35, v2
	v_cmp_le_u32_e32 vcc_lo, s35, v2
	v_cndmask_b32_e32 v12, v2, v3, vcc_lo
	s_delay_alu instid0(VALU_DEP_1)
	v_dual_mov_b32 v2, v12 :: v_dual_mov_b32 v3, v13
.LBB134_249:                            ;   in Loop: Header=BB134_33 Depth=1
	s_delay_alu instid0(VALU_DEP_1) | instskip(NEXT) | instid1(VALU_DEP_2)
	v_sub_co_u32 v2, vcc_lo, s18, v2
	v_sub_co_ci_u32_e32 v3, vcc_lo, s5, v3, vcc_lo
	s_mov_b32 s23, 0
	s_mov_b32 s5, exec_lo
                                        ; implicit-def: $vgpr28
	s_delay_alu instid0(VALU_DEP_1)
	v_cmpx_gt_u64_e64 v[2:3], v[0:1]
	s_cbranch_execz .LBB134_262
; %bb.250:                              ;   in Loop: Header=BB134_33 Depth=1
	v_mov_b32_e32 v6, v21
	v_dual_mov_b32 v5, v1 :: v_dual_mov_b32 v4, v0
	s_mov_b32 s18, 0
                                        ; implicit-def: $sgpr23
	s_set_inst_prefetch_distance 0x1
	s_branch .LBB134_252
	.p2align	6
.LBB134_251:                            ;   in Loop: Header=BB134_252 Depth=2
	s_or_b32 exec_lo, exec_lo, s4
	s_waitcnt lgkmcnt(0)
	s_barrier
	buffer_gl0_inv
	ds_load_b32 v7, v13 offset:3072
	v_add_co_u32 v4, vcc_lo, v4, s35
	v_add_co_ci_u32_e32 v5, vcc_lo, 0, v5, vcc_lo
	v_add_nc_u32_e32 v6, s91, v6
	s_waitcnt lgkmcnt(0)
	s_barrier
	s_delay_alu instid0(VALU_DEP_2) | instskip(SKIP_2) | instid1(VALU_DEP_1)
	v_cmp_ge_u64_e32 vcc_lo, v[4:5], v[2:3]
	buffer_gl0_inv
	v_cmp_neq_f16_e64 s4, 0, v7
	s_or_b32 s66, vcc_lo, s4
	s_delay_alu instid0(SALU_CYCLE_1) | instskip(NEXT) | instid1(SALU_CYCLE_1)
	s_and_b32 s66, exec_lo, s66
	s_or_b32 s18, s66, s18
	s_and_not1_b32 s23, s23, exec_lo
	s_and_b32 s4, s4, exec_lo
	s_delay_alu instid0(SALU_CYCLE_1)
	s_or_b32 s23, s23, s4
	s_and_not1_b32 exec_lo, exec_lo, s18
	s_cbranch_execz .LBB134_261
.LBB134_252:                            ;   Parent Loop BB134_33 Depth=1
                                        ; =>  This Inner Loop Header: Depth=2
	s_delay_alu instid0(VALU_DEP_1)
	v_cmp_gt_u64_e32 vcc_lo, s[8:9], v[4:5]
	v_mov_b32_e32 v7, 0
	s_and_saveexec_b32 s4, vcc_lo
	s_cbranch_execz .LBB134_254
; %bb.253:                              ;   in Loop: Header=BB134_252 Depth=2
	ds_load_u16 v7, v6
.LBB134_254:                            ;   in Loop: Header=BB134_252 Depth=2
	s_or_b32 exec_lo, exec_lo, s4
	s_and_saveexec_b32 s4, vcc_lo
	s_cbranch_execz .LBB134_251
; %bb.255:                              ;   in Loop: Header=BB134_252 Depth=2
	s_waitcnt lgkmcnt(0)
	v_cmp_lt_i16_e32 vcc_lo, -1, v7
	v_and_b32_e32 v8, 0xffff, v7
	v_cndmask_b32_e32 v9, 0xffff, v27, vcc_lo
	v_cmp_o_f16_e32 vcc_lo, v7, v7
	s_delay_alu instid0(VALU_DEP_2) | instskip(NEXT) | instid1(VALU_DEP_1)
	v_xor_b32_e32 v8, v9, v8
	v_cndmask_b32_e32 v8, 0xffff, v8, vcc_lo
	s_delay_alu instid0(VALU_DEP_1) | instskip(NEXT) | instid1(VALU_DEP_1)
	v_and_b32_e32 v8, s103, v8
	v_cmp_eq_u32_e32 vcc_lo, s102, v8
	s_and_b32 exec_lo, exec_lo, vcc_lo
	s_cbranch_execz .LBB134_251
; %bb.256:                              ;   in Loop: Header=BB134_252 Depth=2
	v_perm_b32 v7, v7, s92, 0x5040100
	ds_store_b32 v13, v7 offset:3072
	s_branch .LBB134_251
.LBB134_257:                            ;   in Loop: Header=BB134_33 Depth=1
                                        ; implicit-def: $sgpr8
                                        ; implicit-def: $sgpr18
                                        ; implicit-def: $sgpr9
	s_branch .LBB134_276
.LBB134_258:                            ;   in Loop: Header=BB134_33 Depth=1
                                        ; implicit-def: $vgpr2_vgpr3
	s_branch .LBB134_201
.LBB134_259:                            ;   in Loop: Header=BB134_33 Depth=1
                                        ; implicit-def: $vgpr2_vgpr3
	s_branch .LBB134_218
.LBB134_260:                            ;   in Loop: Header=BB134_33 Depth=1
	s_mov_b32 s8, -1
	s_mov_b32 s23, 0
                                        ; implicit-def: $sgpr9
                                        ; implicit-def: $vgpr28
	s_mov_b32 s18, s8
	s_cbranch_execnz .LBB134_263
	s_branch .LBB134_276
.LBB134_261:                            ;   in Loop: Header=BB134_33 Depth=1
	s_set_inst_prefetch_distance 0x2
	s_or_b32 exec_lo, exec_lo, s18
	v_lshrrev_b32_e32 v28, 16, v7
	s_and_b32 s23, s23, exec_lo
.LBB134_262:                            ;   in Loop: Header=BB134_33 Depth=1
	s_or_b32 exec_lo, exec_lo, s5
	s_mov_b32 s9, -1
	s_mov_b32 s8, 0
	s_delay_alu instid0(SALU_CYCLE_1)
	s_mov_b32 s18, s8
	s_branch .LBB134_276
.LBB134_263:                            ;   in Loop: Header=BB134_33 Depth=1
	s_mov_b32 s68, s67
	s_delay_alu instid0(SALU_CYCLE_1)
	s_cmp_lg_u64 s[68:69], 0
	s_cbranch_scc0 .LBB134_297
; %bb.264:                              ;   in Loop: Header=BB134_33 Depth=1
	v_cvt_f32_u32_e32 v2, s35
	s_sub_u32 s8, 0, s35
	s_subb_u32 s9, 0, 0
	s_delay_alu instid0(VALU_DEP_1) | instskip(NEXT) | instid1(VALU_DEP_1)
	v_fmac_f32_e64 v2, 0, 0x4f800000
	v_rcp_f32_e32 v2, v2
	s_waitcnt_depctr 0xfff
	v_mul_f32_e32 v2, 0x5f7ffffc, v2
	s_delay_alu instid0(VALU_DEP_1) | instskip(NEXT) | instid1(VALU_DEP_1)
	v_mul_f32_e32 v3, 0x2f800000, v2
	v_trunc_f32_e32 v3, v3
	s_delay_alu instid0(VALU_DEP_1) | instskip(SKIP_1) | instid1(VALU_DEP_2)
	v_fmac_f32_e32 v2, 0xcf800000, v3
	v_cvt_u32_f32_e32 v3, v3
	v_cvt_u32_f32_e32 v2, v2
	s_delay_alu instid0(VALU_DEP_2) | instskip(NEXT) | instid1(VALU_DEP_2)
	v_readfirstlane_b32 s4, v3
	v_readfirstlane_b32 s5, v2
	s_delay_alu instid0(VALU_DEP_2) | instskip(NEXT) | instid1(VALU_DEP_1)
	s_mul_i32 s18, s8, s4
	s_mul_hi_u32 s66, s8, s5
	s_mul_i32 s23, s9, s5
	s_add_i32 s18, s66, s18
	s_mul_i32 s68, s8, s5
	s_add_i32 s18, s18, s23
	s_mul_hi_u32 s66, s5, s68
	s_mul_hi_u32 s72, s4, s68
	s_mul_i32 s23, s4, s68
	s_mul_hi_u32 s68, s5, s18
	s_mul_i32 s5, s5, s18
	s_mul_hi_u32 s73, s4, s18
	s_add_u32 s5, s66, s5
	s_addc_u32 s66, 0, s68
	s_add_u32 s5, s5, s23
	s_mul_i32 s18, s4, s18
	s_addc_u32 s5, s66, s72
	s_addc_u32 s23, s73, 0
	s_add_u32 s5, s5, s18
	s_addc_u32 s18, 0, s23
	v_add_co_u32 v2, s5, v2, s5
	s_delay_alu instid0(VALU_DEP_1) | instskip(SKIP_1) | instid1(VALU_DEP_1)
	s_cmp_lg_u32 s5, 0
	s_addc_u32 s4, s4, s18
	v_readfirstlane_b32 s5, v2
	s_mul_i32 s18, s8, s4
	s_delay_alu instid0(VALU_DEP_1)
	s_mul_hi_u32 s23, s8, s5
	s_mul_i32 s9, s9, s5
	s_add_i32 s18, s23, s18
	s_mul_i32 s8, s8, s5
	s_add_i32 s18, s18, s9
	s_mul_hi_u32 s23, s4, s8
	s_mul_i32 s66, s4, s8
	s_mul_hi_u32 s8, s5, s8
	s_mul_hi_u32 s68, s5, s18
	s_mul_i32 s5, s5, s18
	s_mul_hi_u32 s9, s4, s18
	s_add_u32 s5, s8, s5
	s_addc_u32 s8, 0, s68
	s_add_u32 s5, s5, s66
	s_mul_i32 s18, s4, s18
	s_addc_u32 s5, s8, s23
	s_addc_u32 s8, s9, 0
	s_add_u32 s5, s5, s18
	s_addc_u32 s8, 0, s8
	v_add_co_u32 v2, s5, v2, s5
	s_delay_alu instid0(VALU_DEP_1) | instskip(SKIP_1) | instid1(VALU_DEP_1)
	s_cmp_lg_u32 s5, 0
	s_addc_u32 s4, s4, s8
	v_readfirstlane_b32 s5, v2
	s_mul_i32 s9, s85, s4
	s_mul_hi_u32 s8, s85, s4
	s_mul_hi_u32 s18, s69, s4
	s_mul_i32 s4, s69, s4
	s_mul_hi_u32 s23, s85, s5
	s_mul_hi_u32 s66, s69, s5
	s_mul_i32 s5, s69, s5
	s_add_u32 s9, s23, s9
	s_addc_u32 s8, 0, s8
	s_add_u32 s5, s9, s5
	s_addc_u32 s5, s8, s66
	s_addc_u32 s8, s18, 0
	s_add_u32 s4, s5, s4
	s_addc_u32 s5, 0, s8
	s_mul_hi_u32 s8, s35, s4
	s_mul_i32 s4, s35, s4
	s_mul_i32 s5, s35, s5
	v_sub_co_u32 v2, s4, s85, s4
	s_add_i32 s8, s8, s5
	s_cmp_lg_u32 s4, 0
	s_delay_alu instid0(VALU_DEP_1) | instskip(SKIP_2) | instid1(VALU_DEP_1)
	v_sub_co_u32 v3, s4, v2, s35
	s_subb_u32 s5, s69, s8
	s_cmp_lg_u32 s4, 0
	v_cmp_le_u32_e32 vcc_lo, s35, v3
	v_sub_co_u32 v4, s4, v3, s35
	s_subb_u32 s8, s5, 0
	s_cmp_lg_u32 s4, 0
	v_cndmask_b32_e64 v5, 0, -1, vcc_lo
	s_subb_u32 s4, s8, 0
	s_cmp_eq_u32 s8, 0
	v_mov_b32_e32 v7, s4
	s_cselect_b32 vcc_lo, -1, 0
	s_cmp_eq_u32 s5, 0
	v_cndmask_b32_e32 v5, -1, v5, vcc_lo
	v_cmp_le_u32_e32 vcc_lo, s35, v2
	s_cselect_b32 s4, -1, 0
	v_cndmask_b32_e64 v6, 0, -1, vcc_lo
	s_delay_alu instid0(VALU_DEP_3) | instskip(NEXT) | instid1(VALU_DEP_2)
	v_cmp_ne_u32_e32 vcc_lo, 0, v5
	v_cndmask_b32_e64 v5, -1, v6, s4
	v_cndmask_b32_e32 v6, s8, v7, vcc_lo
	v_cndmask_b32_e32 v4, v3, v4, vcc_lo
	s_delay_alu instid0(VALU_DEP_3) | instskip(NEXT) | instid1(VALU_DEP_3)
	v_cmp_ne_u32_e32 vcc_lo, 0, v5
	v_cndmask_b32_e32 v3, s5, v6, vcc_lo
	s_delay_alu instid0(VALU_DEP_3)
	v_cndmask_b32_e32 v2, v2, v4, vcc_lo
	s_cbranch_execnz .LBB134_266
.LBB134_265:                            ;   in Loop: Header=BB134_33 Depth=1
	v_cvt_f32_u32_e32 v2, s35
	s_sub_i32 s4, 0, s35
	s_delay_alu instid0(VALU_DEP_1) | instskip(SKIP_2) | instid1(VALU_DEP_1)
	v_rcp_iflag_f32_e32 v2, v2
	s_waitcnt_depctr 0xfff
	v_mul_f32_e32 v2, 0x4f7ffffe, v2
	v_cvt_u32_f32_e32 v2, v2
	s_delay_alu instid0(VALU_DEP_1) | instskip(NEXT) | instid1(VALU_DEP_1)
	v_mul_lo_u32 v3, s4, v2
	v_mul_hi_u32 v3, v2, v3
	s_delay_alu instid0(VALU_DEP_1) | instskip(NEXT) | instid1(VALU_DEP_1)
	v_add_nc_u32_e32 v2, v2, v3
	v_mul_hi_u32 v2, s85, v2
	s_delay_alu instid0(VALU_DEP_1) | instskip(NEXT) | instid1(VALU_DEP_1)
	v_mul_lo_u32 v2, v2, s35
	v_sub_nc_u32_e32 v2, s85, v2
	s_delay_alu instid0(VALU_DEP_1) | instskip(SKIP_1) | instid1(VALU_DEP_2)
	v_subrev_nc_u32_e32 v3, s35, v2
	v_cmp_le_u32_e32 vcc_lo, s35, v2
	v_cndmask_b32_e32 v2, v2, v3, vcc_lo
	s_delay_alu instid0(VALU_DEP_1) | instskip(SKIP_1) | instid1(VALU_DEP_2)
	v_subrev_nc_u32_e32 v3, s35, v2
	v_cmp_le_u32_e32 vcc_lo, s35, v2
	v_cndmask_b32_e32 v12, v2, v3, vcc_lo
	s_delay_alu instid0(VALU_DEP_1)
	v_dual_mov_b32 v2, v12 :: v_dual_mov_b32 v3, v13
.LBB134_266:                            ;   in Loop: Header=BB134_33 Depth=1
	s_delay_alu instid0(VALU_DEP_1) | instskip(NEXT) | instid1(VALU_DEP_2)
	v_sub_co_u32 v2, vcc_lo, s85, v2
	v_sub_co_ci_u32_e32 v3, vcc_lo, s69, v3, vcc_lo
	s_mov_b32 s23, 0
	s_mov_b32 s5, exec_lo
                                        ; implicit-def: $vgpr28
	s_delay_alu instid0(VALU_DEP_1)
	v_cmpx_gt_u64_e64 v[2:3], v[0:1]
	s_cbranch_execz .LBB134_275
; %bb.267:                              ;   in Loop: Header=BB134_33 Depth=1
	v_dual_mov_b32 v5, v1 :: v_dual_mov_b32 v4, v0
	s_mov_b32 s8, 0
                                        ; implicit-def: $sgpr9
	s_branch .LBB134_269
.LBB134_268:                            ;   in Loop: Header=BB134_269 Depth=2
	s_or_b32 exec_lo, exec_lo, s4
	s_waitcnt vmcnt(0) lgkmcnt(0)
	s_barrier
	buffer_gl0_inv
	ds_load_b32 v6, v13 offset:3072
	v_add_co_u32 v4, vcc_lo, v4, s35
	v_add_co_ci_u32_e32 v5, vcc_lo, 0, v5, vcc_lo
	s_waitcnt lgkmcnt(0)
	s_barrier
	buffer_gl0_inv
	v_cmp_ge_u64_e32 vcc_lo, v[4:5], v[2:3]
	v_cmp_neq_f16_e64 s4, 0, v6
	s_delay_alu instid0(VALU_DEP_1) | instskip(NEXT) | instid1(SALU_CYCLE_1)
	s_or_b32 s18, vcc_lo, s4
	s_and_b32 s18, exec_lo, s18
	s_delay_alu instid0(SALU_CYCLE_1) | instskip(SKIP_2) | instid1(SALU_CYCLE_1)
	s_or_b32 s8, s18, s8
	s_and_not1_b32 s9, s9, exec_lo
	s_and_b32 s4, s4, exec_lo
	s_or_b32 s9, s9, s4
	s_and_not1_b32 exec_lo, exec_lo, s8
	s_cbranch_execz .LBB134_274
.LBB134_269:                            ;   Parent Loop BB134_33 Depth=1
                                        ; =>  This Inner Loop Header: Depth=2
	s_delay_alu instid0(VALU_DEP_1)
	v_cmp_gt_u64_e32 vcc_lo, s[24:25], v[4:5]
	v_mov_b32_e32 v6, 0
	s_and_saveexec_b32 s18, vcc_lo
	s_cbranch_execz .LBB134_271
; %bb.270:                              ;   in Loop: Header=BB134_269 Depth=2
	v_mul_lo_u32 v8, v5, s50
	v_mul_lo_u32 v9, v4, s51
	v_mad_u64_u32 v[6:7], null, v4, s50, 0
	s_delay_alu instid0(VALU_DEP_1) | instskip(NEXT) | instid1(VALU_DEP_1)
	v_add3_u32 v7, v7, v9, v8
	v_lshlrev_b64 v[6:7], 1, v[6:7]
	s_delay_alu instid0(VALU_DEP_1) | instskip(NEXT) | instid1(VALU_DEP_1)
	v_add_co_u32 v6, s4, s27, v6
	v_add_co_ci_u32_e64 v7, s4, s33, v7, s4
	global_load_u16 v6, v[6:7], off
.LBB134_271:                            ;   in Loop: Header=BB134_269 Depth=2
	s_or_b32 exec_lo, exec_lo, s18
	s_and_saveexec_b32 s4, vcc_lo
	s_cbranch_execz .LBB134_268
; %bb.272:                              ;   in Loop: Header=BB134_269 Depth=2
	s_waitcnt vmcnt(0)
	v_cmp_lt_i16_e32 vcc_lo, -1, v6
	v_dual_cndmask_b32 v8, 0xffff, v27 :: v_dual_and_b32 v7, 0xffff, v6
	v_cmp_o_f16_e32 vcc_lo, v6, v6
	s_delay_alu instid0(VALU_DEP_2) | instskip(NEXT) | instid1(VALU_DEP_1)
	v_xor_b32_e32 v7, v8, v7
	v_cndmask_b32_e32 v7, 0xffff, v7, vcc_lo
	s_delay_alu instid0(VALU_DEP_1) | instskip(NEXT) | instid1(VALU_DEP_1)
	v_and_b32_e32 v7, s103, v7
	v_cmp_eq_u32_e32 vcc_lo, s102, v7
	s_and_b32 exec_lo, exec_lo, vcc_lo
	s_cbranch_execz .LBB134_268
; %bb.273:                              ;   in Loop: Header=BB134_269 Depth=2
	v_perm_b32 v6, v6, s92, 0x5040100
	ds_store_b32 v13, v6 offset:3072
	s_branch .LBB134_268
.LBB134_274:                            ;   in Loop: Header=BB134_33 Depth=1
	s_or_b32 exec_lo, exec_lo, s8
	v_lshrrev_b32_e32 v28, 16, v6
	s_and_b32 s23, s9, exec_lo
.LBB134_275:                            ;   in Loop: Header=BB134_33 Depth=1
	s_or_b32 exec_lo, exec_lo, s5
	s_mov_b32 s18, -1
	s_mov_b32 s8, 0
	s_mov_b32 s9, 0
.LBB134_276:                            ;   in Loop: Header=BB134_33 Depth=1
	s_mov_b32 s72, 0
                                        ; implicit-def: $sgpr66
                                        ; implicit-def: $sgpr4_sgpr5
	s_and_saveexec_b32 s68, s23
	s_cbranch_execz .LBB134_289
; %bb.277:                              ;   in Loop: Header=BB134_33 Depth=1
	s_xor_b32 s17, s17, -1
	s_mov_b64 s[4:5], 1
	s_and_not1_b32 vcc_lo, exec_lo, s17
	s_mov_b32 s66, 1
	s_cbranch_vccnz .LBB134_288
; %bb.278:                              ;   in Loop: Header=BB134_33 Depth=1
	v_cmp_gt_u64_e64 s4, s[64:65], s[6:7]
	s_delay_alu instid0(VALU_DEP_1)
	s_and_b32 vcc_lo, exec_lo, s4
	s_cbranch_vccnz .LBB134_284
; %bb.279:                              ;   in Loop: Header=BB134_33 Depth=1
	ds_load_b64 v[2:3], v13 offset:5120
	s_waitcnt lgkmcnt(0)
	v_cmp_ne_u64_e32 vcc_lo, 0, v[2:3]
	s_cbranch_vccnz .LBB134_283
; %bb.280:                              ;   in Loop: Header=BB134_33 Depth=1
	s_and_saveexec_b32 s4, s3
	s_cbranch_execz .LBB134_282
; %bb.281:                              ;   in Loop: Header=BB134_33 Depth=1
	v_dual_mov_b32 v2, s6 :: v_dual_mov_b32 v3, s7
	ds_store_b64 v13, v[2:3] offset:5128
.LBB134_282:                            ;   in Loop: Header=BB134_33 Depth=1
	s_or_b32 exec_lo, exec_lo, s4
	s_waitcnt lgkmcnt(0)
	s_barrier
	buffer_gl0_inv
.LBB134_283:                            ;   in Loop: Header=BB134_33 Depth=1
	s_or_b32 s17, s102, s16
	s_or_b32 s16, s103, s16
	s_mov_b32 s4, 0
	s_mov_b32 s66, 8
	s_branch .LBB134_285
.LBB134_284:                            ;   in Loop: Header=BB134_33 Depth=1
	s_mov_b32 s4, -1
                                        ; implicit-def: $sgpr66
                                        ; implicit-def: $sgpr17
                                        ; implicit-def: $sgpr16
.LBB134_285:                            ;   in Loop: Header=BB134_33 Depth=1
	s_delay_alu instid0(SALU_CYCLE_1)
	s_and_not1_b32 vcc_lo, exec_lo, s4
	s_cbranch_vccnz .LBB134_287
; %bb.286:                              ;   in Loop: Header=BB134_33 Depth=1
	s_sub_u32 s64, s64, s6
	s_subb_u32 s65, s65, s7
	s_mov_b32 s66, 8
	s_mov_b32 s17, s102
	;; [unrolled: 1-line block ×3, first 2 shown]
.LBB134_287:                            ;   in Loop: Header=BB134_33 Depth=1
	s_mov_b64 s[4:5], s[64:65]
	s_mov_b32 s102, s17
	s_mov_b32 s103, s16
.LBB134_288:                            ;   in Loop: Header=BB134_33 Depth=1
	s_mov_b32 s72, exec_lo
.LBB134_289:                            ;   in Loop: Header=BB134_33 Depth=1
	s_or_b32 exec_lo, exec_lo, s68
	s_mov_b64 s[64:65], s[4:5]
.LBB134_290:                            ;   in Loop: Header=BB134_33 Depth=1
	s_and_not1_b32 s4, s10, exec_lo
	s_and_b32 s5, s8, exec_lo
	s_and_not1_b32 s6, s11, exec_lo
	s_or_b32 s10, s4, s5
	s_and_not1_b32 s4, s21, exec_lo
	s_and_b32 s5, s18, exec_lo
	s_and_b32 s7, s9, exec_lo
	s_or_b32 s21, s4, s5
	s_or_b32 s11, s6, s7
	s_and_b32 s5, s72, exec_lo
.LBB134_291:                            ;   in Loop: Header=BB134_33 Depth=1
	s_or_b32 exec_lo, exec_lo, s22
.LBB134_292:                            ;   in Loop: Header=BB134_33 Depth=1
	s_delay_alu instid0(SALU_CYCLE_1)
	s_and_not1_b32 s4, s13, exec_lo
	s_and_b32 s6, s10, exec_lo
	s_and_not1_b32 s7, s12, exec_lo
	s_or_b32 s13, s4, s6
	s_and_not1_b32 s4, s19, exec_lo
	s_and_b32 s6, s21, exec_lo
	s_and_b32 s8, s11, exec_lo
	s_or_b32 s19, s4, s6
	s_or_b32 s12, s7, s8
	s_and_b32 s5, s5, exec_lo
.LBB134_293:                            ;   in Loop: Header=BB134_33 Depth=1
	s_or_b32 exec_lo, exec_lo, s20
	s_and_saveexec_b32 s4, s5
	s_delay_alu instid0(SALU_CYCLE_1)
	s_xor_b32 s4, exec_lo, s4
	s_cbranch_execz .LBB134_31
.LBB134_294:                            ;   in Loop: Header=BB134_33 Depth=1
	s_and_b32 s5, s66, -9
	s_delay_alu instid0(SALU_CYCLE_1)
	s_cmp_eq_u32 s5, 0
	s_cbranch_scc1 .LBB134_29
; %bb.295:                              ;   in Loop: Header=BB134_33 Depth=1
	s_mov_b32 s5, -1
	s_mov_b32 s6, -1
                                        ; implicit-def: $sgpr103
                                        ; implicit-def: $sgpr64_sgpr65
                                        ; implicit-def: $sgpr97
                                        ; implicit-def: $sgpr100
	s_branch .LBB134_30
.LBB134_296:                            ;   in Loop: Header=BB134_33 Depth=1
                                        ; implicit-def: $vgpr2_vgpr3
	s_branch .LBB134_248
.LBB134_297:                            ;   in Loop: Header=BB134_33 Depth=1
                                        ; implicit-def: $vgpr2_vgpr3
	s_branch .LBB134_265
.LBB134_298:
	s_or_b32 exec_lo, exec_lo, s93
	s_xor_b32 s3, s96, -1
	s_xor_b32 s1, s94, -1
	;; [unrolled: 1-line block ×3, first 2 shown]
	s_mov_b32 s0, 0
	s_and_saveexec_b32 s5, s1
	s_delay_alu instid0(SALU_CYCLE_1)
	s_xor_b32 s1, exec_lo, s5
	s_cbranch_execz .LBB134_312
; %bb.299:
	s_and_saveexec_b32 s0, s3
	s_delay_alu instid0(SALU_CYCLE_1)
	s_xor_b32 s3, exec_lo, s0
	s_cbranch_execz .LBB134_310
; %bb.300:
	s_and_saveexec_b32 s0, s4
	s_delay_alu instid0(SALU_CYCLE_1)
	s_xor_b32 s0, exec_lo, s0
; %bb.301:
	v_and_b32_e32 v3, 0x8000, v2
	v_mov_b32_e32 v4, 0xffff
	s_delay_alu instid0(VALU_DEP_2) | instskip(NEXT) | instid1(VALU_DEP_2)
	v_cmp_eq_u32_e32 vcc_lo, 0, v3
	v_cndmask_b32_e32 v3, 0x8000, v4, vcc_lo
	s_delay_alu instid0(VALU_DEP_1)
	v_xor_b32_e32 v28, v3, v2
; %bb.302:
	s_or_b32 exec_lo, exec_lo, s0
	s_mul_i32 s0, s52, s37
	s_mul_hi_u32 s4, s52, s36
	s_mul_i32 s5, s52, s36
	s_add_i32 s4, s4, s0
	s_sub_u32 s0, s54, s5
	s_subb_u32 s4, s55, s4
	s_mul_i32 s5, s0, s47
	s_mul_hi_u32 s6, s0, s46
	s_mul_i32 s4, s4, s46
	s_add_i32 s5, s6, s5
	s_mul_i32 s6, s52, s45
	s_mul_hi_u32 s7, s52, s44
	s_add_i32 s5, s5, s4
	s_mul_i32 s4, s0, s46
	s_add_i32 s7, s7, s6
	s_mul_i32 s0, s54, s39
	s_mul_hi_u32 s6, s54, s38
	s_mul_i32 s8, s54, s38
	s_add_i32 s0, s6, s0
	s_sub_u32 s8, s34, s8
	s_subb_u32 s0, 0, s0
	s_mul_i32 s9, s8, s61
	s_mul_hi_u32 s10, s8, s60
	s_mul_i32 s6, s52, s44
	s_add_i32 s9, s10, s9
	s_mul_i32 s0, s0, s60
	s_lshl_b64 s[6:7], s[6:7], 1
	s_add_i32 s9, s9, s0
	s_add_u32 s0, s62, s6
	s_addc_u32 s6, s63, s7
	s_lshl_b64 s[4:5], s[4:5], 1
	s_mul_i32 s8, s8, s60
	s_add_u32 s0, s0, s4
	s_addc_u32 s6, s6, s5
	s_lshl_b64 s[4:5], s[8:9], 1
	v_mov_b32_e32 v2, 0
	s_add_u32 s4, s0, s4
	s_addc_u32 s5, s6, s5
	global_store_b16 v2, v28, s[4:5]
	s_and_saveexec_b32 s4, s2
	s_cbranch_execz .LBB134_309
; %bb.303:
	v_cmp_u_f16_e32 vcc_lo, v28, v28
	s_mov_b32 s2, 0
                                        ; implicit-def: $sgpr5
                                        ; implicit-def: $sgpr8
                                        ; implicit-def: $sgpr7
	s_xor_b32 s6, vcc_lo, -1
	s_set_inst_prefetch_distance 0x1
	s_branch .LBB134_305
	.p2align	6
.LBB134_304:                            ;   in Loop: Header=BB134_305 Depth=1
	s_or_b32 exec_lo, exec_lo, s0
	s_delay_alu instid0(SALU_CYCLE_1) | instskip(NEXT) | instid1(SALU_CYCLE_1)
	s_and_b32 s0, exec_lo, s8
	s_or_b32 s2, s0, s2
	s_and_not1_b32 s0, s5, exec_lo
	s_and_b32 s5, s7, exec_lo
	s_delay_alu instid0(SALU_CYCLE_1)
	s_or_b32 s5, s0, s5
	s_and_not1_b32 exec_lo, exec_lo, s2
	s_cbranch_execz .LBB134_307
.LBB134_305:                            ; =>This Inner Loop Header: Depth=1
	v_dual_mov_b32 v3, v1 :: v_dual_mov_b32 v2, v0
	s_or_b32 s7, s7, exec_lo
	s_or_b32 s8, s8, exec_lo
	s_delay_alu instid0(VALU_DEP_1) | instskip(NEXT) | instid1(VALU_DEP_2)
	v_mul_lo_u32 v4, v3, s50
	v_mul_lo_u32 v5, v2, s51
	v_mad_u64_u32 v[0:1], null, v2, s50, 0
	s_delay_alu instid0(VALU_DEP_1) | instskip(NEXT) | instid1(VALU_DEP_1)
	v_add3_u32 v1, v1, v5, v4
	v_lshlrev_b64 v[0:1], 1, v[0:1]
	s_delay_alu instid0(VALU_DEP_1) | instskip(NEXT) | instid1(VALU_DEP_2)
	v_add_co_u32 v0, vcc_lo, s27, v0
	v_add_co_ci_u32_e32 v1, vcc_lo, s33, v1, vcc_lo
	global_load_u16 v0, v[0:1], off
	s_waitcnt vmcnt(0)
	v_cmp_o_f16_e32 vcc_lo, v0, v0
	v_cmp_neq_f16_e64 s0, v0, v28
                                        ; implicit-def: $vgpr0_vgpr1
	s_or_b32 s9, s6, vcc_lo
	s_delay_alu instid0(VALU_DEP_1) | instid1(SALU_CYCLE_1)
	s_and_b32 s9, s0, s9
	s_delay_alu instid0(SALU_CYCLE_1)
	s_and_saveexec_b32 s0, s9
	s_cbranch_execz .LBB134_304
; %bb.306:                              ;   in Loop: Header=BB134_305 Depth=1
	v_add_co_u32 v0, vcc_lo, v2, s35
	v_add_co_ci_u32_e32 v1, vcc_lo, 0, v3, vcc_lo
	s_and_not1_b32 s8, s8, exec_lo
	s_and_not1_b32 s7, s7, exec_lo
	s_delay_alu instid0(VALU_DEP_1) | instskip(SKIP_1) | instid1(SALU_CYCLE_1)
	v_cmp_le_u64_e32 vcc_lo, s[24:25], v[0:1]
	s_and_b32 s9, vcc_lo, exec_lo
	s_or_b32 s8, s8, s9
	s_branch .LBB134_304
.LBB134_307:
	s_set_inst_prefetch_distance 0x2
	s_or_b32 exec_lo, exec_lo, s2
	s_and_saveexec_b32 s0, s5
	s_delay_alu instid0(SALU_CYCLE_1)
	s_xor_b32 s0, exec_lo, s0
	s_cbranch_execz .LBB134_309
; %bb.308:
	s_mul_i32 s0, s26, s29
	s_mul_hi_u32 s2, s26, s28
	s_mul_i32 s5, s26, s28
	s_add_i32 s2, s2, s0
	s_sub_u32 s0, s48, s5
	s_subb_u32 s2, s49, s2
	s_mul_i32 s5, s0, s43
	s_mul_hi_u32 s6, s0, s42
	s_mul_i32 s2, s2, s42
	s_add_i32 s5, s6, s5
	s_mul_i32 s6, s0, s42
	s_add_i32 s7, s5, s2
	s_mul_i32 s2, s26, s41
	s_mul_hi_u32 s5, s26, s40
	s_mul_i32 s0, s48, s31
	s_add_i32 s9, s5, s2
	s_mul_hi_u32 s2, s48, s30
	s_mul_i32 s5, s48, s30
	s_add_i32 s2, s2, s0
	s_sub_u32 s0, s34, s5
	s_subb_u32 s2, 0, s2
	s_mul_i32 s5, s0, s57
	s_mul_hi_u32 s10, s0, s56
	s_mul_i32 s8, s26, s40
	s_add_i32 s5, s10, s5
	s_mul_i32 s2, s2, s56
	s_lshl_b64 s[8:9], s[8:9], 3
	s_add_i32 s11, s5, s2
	s_add_u32 s2, s58, s8
	s_addc_u32 s5, s59, s9
	s_lshl_b64 s[6:7], s[6:7], 3
	s_mul_i32 s10, s0, s56
	s_add_u32 s0, s2, s6
	s_addc_u32 s2, s5, s7
	s_lshl_b64 s[6:7], s[10:11], 3
	v_mov_b32_e32 v0, 0
	s_add_u32 s6, s0, s6
	s_addc_u32 s7, s2, s7
	global_store_b64 v0, v[2:3], s[6:7]
.LBB134_309:
	s_or_b32 exec_lo, exec_lo, s4
.LBB134_310:
	s_or_saveexec_b32 s0, s3
	s_mov_b32 s2, 0
	s_xor_b32 exec_lo, exec_lo, s0
	s_cbranch_execnz .LBB134_318
.LBB134_311:
	s_or_b32 exec_lo, exec_lo, s0
	s_delay_alu instid0(SALU_CYCLE_1)
	s_and_b32 s0, s2, exec_lo
.LBB134_312:
	s_and_not1_saveexec_b32 s1, s1
	s_cbranch_execnz .LBB134_316
; %bb.313:
	s_or_b32 exec_lo, exec_lo, s1
	s_and_saveexec_b32 s1, s0
.LBB134_314:
	; divergent unreachable
.LBB134_315:
	s_nop 0
	s_sendmsg sendmsg(MSG_DEALLOC_VGPRS)
	s_endpgm
.LBB134_316:
	s_cbranch_execnz .LBB134_320
; %bb.317:
	s_or_b32 s0, s0, exec_lo
	s_or_b32 exec_lo, exec_lo, s1
	s_and_saveexec_b32 s1, s0
	s_cbranch_execnz .LBB134_314
	s_branch .LBB134_315
.LBB134_318:
	s_cbranch_execnz .LBB134_322
; %bb.319:
	s_mov_b32 s2, exec_lo
	s_branch .LBB134_311
.LBB134_320:
	s_trap 2
	s_sendmsg_rtn_b32 s0, sendmsg(MSG_RTN_GET_DOORBELL)
	s_mov_b32 ttmp2, m0
	s_waitcnt lgkmcnt(0)
	s_and_b32 s0, s0, 0x3ff
	s_delay_alu instid0(SALU_CYCLE_1) | instskip(NEXT) | instid1(SALU_CYCLE_1)
	s_bitset1_b32 s0, 10
	s_mov_b32 m0, s0
	s_sendmsg sendmsg(MSG_INTERRUPT)
	s_mov_b32 m0, ttmp2
.LBB134_321:                            ; =>This Inner Loop Header: Depth=1
	s_sethalt 5
	s_branch .LBB134_321
.LBB134_322:
	s_trap 2
	s_sendmsg_rtn_b32 s0, sendmsg(MSG_RTN_GET_DOORBELL)
	s_mov_b32 ttmp2, m0
	s_waitcnt lgkmcnt(0)
	s_and_b32 s0, s0, 0x3ff
	s_delay_alu instid0(SALU_CYCLE_1) | instskip(NEXT) | instid1(SALU_CYCLE_1)
	s_bitset1_b32 s0, 10
	s_mov_b32 m0, s0
	s_sendmsg sendmsg(MSG_INTERRUPT)
	s_mov_b32 m0, ttmp2
.LBB134_323:                            ; =>This Inner Loop Header: Depth=1
	s_sethalt 5
	s_branch .LBB134_323
	.section	.rodata,"a",@progbits
	.p2align	6, 0x0
	.amdhsa_kernel _ZN2at6native12_GLOBAL__N_112gatherMedianIN3c104HalfEmLi3EEEvNS_4cuda6detail10TensorInfoIT_T0_EENS7_IlS9_EENS7_IKS8_S9_EES9_S9_S9_b
		.amdhsa_group_segment_fixed_size 5152
		.amdhsa_private_segment_fixed_size 0
		.amdhsa_kernarg_size 1536
		.amdhsa_user_sgpr_count 13
		.amdhsa_user_sgpr_dispatch_ptr 0
		.amdhsa_user_sgpr_queue_ptr 0
		.amdhsa_user_sgpr_kernarg_segment_ptr 1
		.amdhsa_user_sgpr_dispatch_id 0
		.amdhsa_user_sgpr_private_segment_size 0
		.amdhsa_wavefront_size32 1
		.amdhsa_uses_dynamic_stack 0
		.amdhsa_enable_private_segment 0
		.amdhsa_system_sgpr_workgroup_id_x 1
		.amdhsa_system_sgpr_workgroup_id_y 1
		.amdhsa_system_sgpr_workgroup_id_z 1
		.amdhsa_system_sgpr_workgroup_info 0
		.amdhsa_system_vgpr_workitem_id 0
		.amdhsa_next_free_vgpr 33
		.amdhsa_next_free_sgpr 105
		.amdhsa_reserve_vcc 1
		.amdhsa_float_round_mode_32 0
		.amdhsa_float_round_mode_16_64 0
		.amdhsa_float_denorm_mode_32 3
		.amdhsa_float_denorm_mode_16_64 3
		.amdhsa_dx10_clamp 1
		.amdhsa_ieee_mode 1
		.amdhsa_fp16_overflow 0
		.amdhsa_workgroup_processor_mode 1
		.amdhsa_memory_ordered 1
		.amdhsa_forward_progress 0
		.amdhsa_shared_vgpr_count 0
		.amdhsa_exception_fp_ieee_invalid_op 0
		.amdhsa_exception_fp_denorm_src 0
		.amdhsa_exception_fp_ieee_div_zero 0
		.amdhsa_exception_fp_ieee_overflow 0
		.amdhsa_exception_fp_ieee_underflow 0
		.amdhsa_exception_fp_ieee_inexact 0
		.amdhsa_exception_int_div_zero 0
	.end_amdhsa_kernel
	.section	.text._ZN2at6native12_GLOBAL__N_112gatherMedianIN3c104HalfEmLi3EEEvNS_4cuda6detail10TensorInfoIT_T0_EENS7_IlS9_EENS7_IKS8_S9_EES9_S9_S9_b,"axG",@progbits,_ZN2at6native12_GLOBAL__N_112gatherMedianIN3c104HalfEmLi3EEEvNS_4cuda6detail10TensorInfoIT_T0_EENS7_IlS9_EENS7_IKS8_S9_EES9_S9_S9_b,comdat
.Lfunc_end134:
	.size	_ZN2at6native12_GLOBAL__N_112gatherMedianIN3c104HalfEmLi3EEEvNS_4cuda6detail10TensorInfoIT_T0_EENS7_IlS9_EENS7_IKS8_S9_EES9_S9_S9_b, .Lfunc_end134-_ZN2at6native12_GLOBAL__N_112gatherMedianIN3c104HalfEmLi3EEEvNS_4cuda6detail10TensorInfoIT_T0_EENS7_IlS9_EENS7_IKS8_S9_EES9_S9_S9_b
                                        ; -- End function
	.section	.AMDGPU.csdata,"",@progbits
; Kernel info:
; codeLenInByte = 18792
; NumSgprs: 107
; NumVgprs: 33
; ScratchSize: 0
; MemoryBound: 0
; FloatMode: 240
; IeeeMode: 1
; LDSByteSize: 5152 bytes/workgroup (compile time only)
; SGPRBlocks: 13
; VGPRBlocks: 4
; NumSGPRsForWavesPerEU: 107
; NumVGPRsForWavesPerEU: 33
; Occupancy: 16
; WaveLimiterHint : 1
; COMPUTE_PGM_RSRC2:SCRATCH_EN: 0
; COMPUTE_PGM_RSRC2:USER_SGPR: 13
; COMPUTE_PGM_RSRC2:TRAP_HANDLER: 0
; COMPUTE_PGM_RSRC2:TGID_X_EN: 1
; COMPUTE_PGM_RSRC2:TGID_Y_EN: 1
; COMPUTE_PGM_RSRC2:TGID_Z_EN: 1
; COMPUTE_PGM_RSRC2:TIDIG_COMP_CNT: 0
	.section	.text._ZN2at6native12_GLOBAL__N_112gatherMedianIN3c104HalfEmLin1EEEvNS_4cuda6detail10TensorInfoIT_T0_EENS7_IlS9_EENS7_IKS8_S9_EES9_S9_S9_b,"axG",@progbits,_ZN2at6native12_GLOBAL__N_112gatherMedianIN3c104HalfEmLin1EEEvNS_4cuda6detail10TensorInfoIT_T0_EENS7_IlS9_EENS7_IKS8_S9_EES9_S9_S9_b,comdat
	.globl	_ZN2at6native12_GLOBAL__N_112gatherMedianIN3c104HalfEmLin1EEEvNS_4cuda6detail10TensorInfoIT_T0_EENS7_IlS9_EENS7_IKS8_S9_EES9_S9_S9_b ; -- Begin function _ZN2at6native12_GLOBAL__N_112gatherMedianIN3c104HalfEmLin1EEEvNS_4cuda6detail10TensorInfoIT_T0_EENS7_IlS9_EENS7_IKS8_S9_EES9_S9_S9_b
	.p2align	8
	.type	_ZN2at6native12_GLOBAL__N_112gatherMedianIN3c104HalfEmLin1EEEvNS_4cuda6detail10TensorInfoIT_T0_EENS7_IlS9_EENS7_IKS8_S9_EES9_S9_S9_b,@function
_ZN2at6native12_GLOBAL__N_112gatherMedianIN3c104HalfEmLin1EEEvNS_4cuda6detail10TensorInfoIT_T0_EENS7_IlS9_EENS7_IKS8_S9_EES9_S9_S9_b: ; @_ZN2at6native12_GLOBAL__N_112gatherMedianIN3c104HalfEmLin1EEEvNS_4cuda6detail10TensorInfoIT_T0_EENS7_IlS9_EENS7_IKS8_S9_EES9_S9_S9_b
; %bb.0:
	s_clause 0x1
	s_load_b64 s[6:7], s[0:1], 0x500
	s_load_b128 s[24:27], s[0:1], 0x4e0
	s_add_u32 s8, s0, 0x500
	s_addc_u32 s9, s1, 0
	s_mov_b32 s3, 0
	s_waitcnt lgkmcnt(0)
	s_mul_i32 s2, s7, s15
	s_delay_alu instid0(SALU_CYCLE_1) | instskip(NEXT) | instid1(SALU_CYCLE_1)
	s_add_i32 s2, s2, s14
	s_mul_i32 s2, s2, s6
	s_delay_alu instid0(SALU_CYCLE_1) | instskip(NEXT) | instid1(SALU_CYCLE_1)
	s_add_i32 s2, s2, s13
	v_cmp_ge_u64_e64 s4, s[2:3], s[26:27]
	s_delay_alu instid0(VALU_DEP_1)
	s_and_b32 vcc_lo, exec_lo, s4
	s_cbranch_vccnz .LBB135_328
; %bb.1:
	s_clause 0x1
	s_load_b32 s5, s[0:1], 0x198
	s_load_b64 s[28:29], s[0:1], 0x4f0
	s_mov_b64 s[26:27], 0
	s_mov_b64 s[34:35], s[2:3]
	s_waitcnt lgkmcnt(0)
	s_cmp_lt_i32 s5, 2
	s_cbranch_scc1 .LBB135_9
; %bb.2:
	s_mov_b32 s4, 0
	s_add_i32 s10, s5, -1
	s_mov_b32 s11, s4
	s_add_i32 s7, s5, 1
	s_lshl_b64 s[10:11], s[10:11], 3
	s_mov_b64 s[14:15], s[2:3]
	s_add_u32 s5, s10, s0
	s_addc_u32 s11, s11, s1
	s_add_u32 s10, s5, 8
	s_addc_u32 s11, s11, 0
.LBB135_3:                              ; =>This Inner Loop Header: Depth=1
	s_load_b64 s[16:17], s[10:11], 0x0
                                        ; implicit-def: $sgpr34_sgpr35
	s_waitcnt lgkmcnt(0)
	s_or_b64 s[18:19], s[14:15], s[16:17]
	s_delay_alu instid0(SALU_CYCLE_1) | instskip(NEXT) | instid1(SALU_CYCLE_1)
	s_mov_b32 s5, s19
	s_cmp_lg_u64 s[4:5], 0
	s_mov_b32 s5, -1
	s_cbranch_scc0 .LBB135_5
; %bb.4:                                ;   in Loop: Header=BB135_3 Depth=1
	v_cvt_f32_u32_e32 v1, s16
	v_cvt_f32_u32_e32 v2, s17
	s_sub_u32 s18, 0, s16
	s_subb_u32 s19, 0, s17
	s_waitcnt_depctr 0xfff
	v_fmac_f32_e32 v1, 0x4f800000, v2
	s_delay_alu instid0(VALU_DEP_1) | instskip(SKIP_2) | instid1(VALU_DEP_1)
	v_rcp_f32_e32 v1, v1
	s_waitcnt_depctr 0xfff
	v_mul_f32_e32 v1, 0x5f7ffffc, v1
	v_mul_f32_e32 v2, 0x2f800000, v1
	s_delay_alu instid0(VALU_DEP_1) | instskip(NEXT) | instid1(VALU_DEP_1)
	v_trunc_f32_e32 v2, v2
	v_fmac_f32_e32 v1, 0xcf800000, v2
	v_cvt_u32_f32_e32 v2, v2
	s_delay_alu instid0(VALU_DEP_2) | instskip(NEXT) | instid1(VALU_DEP_2)
	v_cvt_u32_f32_e32 v1, v1
	v_readfirstlane_b32 s5, v2
	s_delay_alu instid0(VALU_DEP_2) | instskip(NEXT) | instid1(VALU_DEP_2)
	v_readfirstlane_b32 s12, v1
	s_mul_i32 s20, s18, s5
	s_delay_alu instid0(VALU_DEP_1)
	s_mul_hi_u32 s22, s18, s12
	s_mul_i32 s21, s19, s12
	s_add_i32 s20, s22, s20
	s_mul_i32 s23, s18, s12
	s_add_i32 s20, s20, s21
	s_mul_hi_u32 s22, s12, s23
	s_mul_hi_u32 s30, s5, s23
	s_mul_i32 s21, s5, s23
	s_mul_hi_u32 s23, s12, s20
	s_mul_i32 s12, s12, s20
	s_mul_hi_u32 s31, s5, s20
	s_add_u32 s12, s22, s12
	s_addc_u32 s22, 0, s23
	s_add_u32 s12, s12, s21
	s_mul_i32 s20, s5, s20
	s_addc_u32 s12, s22, s30
	s_addc_u32 s21, s31, 0
	s_add_u32 s12, s12, s20
	s_addc_u32 s20, 0, s21
	v_add_co_u32 v1, s12, v1, s12
	s_delay_alu instid0(VALU_DEP_1) | instskip(SKIP_1) | instid1(VALU_DEP_1)
	s_cmp_lg_u32 s12, 0
	s_addc_u32 s5, s5, s20
	v_readfirstlane_b32 s12, v1
	s_mul_i32 s20, s18, s5
	s_delay_alu instid0(VALU_DEP_1)
	s_mul_hi_u32 s21, s18, s12
	s_mul_i32 s19, s19, s12
	s_add_i32 s20, s21, s20
	s_mul_i32 s18, s18, s12
	s_add_i32 s20, s20, s19
	s_mul_hi_u32 s21, s5, s18
	s_mul_i32 s22, s5, s18
	s_mul_hi_u32 s18, s12, s18
	s_mul_hi_u32 s23, s12, s20
	s_mul_i32 s12, s12, s20
	s_mul_hi_u32 s19, s5, s20
	s_add_u32 s12, s18, s12
	s_addc_u32 s18, 0, s23
	s_add_u32 s12, s12, s22
	s_mul_i32 s20, s5, s20
	s_addc_u32 s12, s18, s21
	s_addc_u32 s18, s19, 0
	s_add_u32 s12, s12, s20
	s_addc_u32 s18, 0, s18
	v_add_co_u32 v1, s12, v1, s12
	s_delay_alu instid0(VALU_DEP_1) | instskip(SKIP_1) | instid1(VALU_DEP_1)
	s_cmp_lg_u32 s12, 0
	s_addc_u32 s5, s5, s18
	v_readfirstlane_b32 s12, v1
	s_mul_i32 s19, s14, s5
	s_mul_hi_u32 s18, s14, s5
	s_mul_hi_u32 s20, s15, s5
	s_mul_i32 s5, s15, s5
	s_mul_hi_u32 s21, s14, s12
	s_mul_hi_u32 s22, s15, s12
	s_mul_i32 s12, s15, s12
	s_add_u32 s19, s21, s19
	s_addc_u32 s18, 0, s18
	s_add_u32 s12, s19, s12
	s_addc_u32 s12, s18, s22
	s_addc_u32 s18, s20, 0
	s_add_u32 s12, s12, s5
	s_addc_u32 s18, 0, s18
	s_mul_hi_u32 s5, s16, s12
	s_mul_i32 s20, s16, s18
	s_mul_i32 s21, s16, s12
	s_add_i32 s5, s5, s20
	v_sub_co_u32 v1, s20, s14, s21
	s_mul_i32 s19, s17, s12
	s_delay_alu instid0(SALU_CYCLE_1) | instskip(NEXT) | instid1(VALU_DEP_1)
	s_add_i32 s5, s5, s19
	v_sub_co_u32 v2, s21, v1, s16
	s_sub_i32 s19, s15, s5
	s_cmp_lg_u32 s20, 0
	s_subb_u32 s19, s19, s17
	s_cmp_lg_u32 s21, 0
	v_readfirstlane_b32 s21, v2
	s_subb_u32 s19, s19, 0
	s_delay_alu instid0(SALU_CYCLE_1) | instskip(SKIP_1) | instid1(VALU_DEP_1)
	s_cmp_ge_u32 s19, s17
	s_cselect_b32 s22, -1, 0
	s_cmp_ge_u32 s21, s16
	s_cselect_b32 s21, -1, 0
	s_cmp_eq_u32 s19, s17
	s_cselect_b32 s19, s21, s22
	s_add_u32 s21, s12, 1
	s_addc_u32 s22, s18, 0
	s_add_u32 s23, s12, 2
	s_addc_u32 s30, s18, 0
	s_cmp_lg_u32 s19, 0
	s_cselect_b32 s19, s23, s21
	s_cselect_b32 s21, s30, s22
	s_cmp_lg_u32 s20, 0
	v_readfirstlane_b32 s20, v1
	s_subb_u32 s5, s15, s5
	s_delay_alu instid0(SALU_CYCLE_1) | instskip(SKIP_1) | instid1(VALU_DEP_1)
	s_cmp_ge_u32 s5, s17
	s_cselect_b32 s22, -1, 0
	s_cmp_ge_u32 s20, s16
	s_cselect_b32 s20, -1, 0
	s_cmp_eq_u32 s5, s17
	s_cselect_b32 s5, s20, s22
	s_delay_alu instid0(SALU_CYCLE_1)
	s_cmp_lg_u32 s5, 0
	s_mov_b32 s5, 0
	s_cselect_b32 s35, s21, s18
	s_cselect_b32 s34, s19, s12
.LBB135_5:                              ;   in Loop: Header=BB135_3 Depth=1
	s_and_not1_b32 vcc_lo, exec_lo, s5
	s_cbranch_vccnz .LBB135_7
; %bb.6:                                ;   in Loop: Header=BB135_3 Depth=1
	v_cvt_f32_u32_e32 v1, s16
	s_sub_i32 s12, 0, s16
	s_mov_b32 s35, s4
	s_waitcnt_depctr 0xfff
	v_rcp_iflag_f32_e32 v1, v1
	s_waitcnt_depctr 0xfff
	v_mul_f32_e32 v1, 0x4f7ffffe, v1
	s_delay_alu instid0(VALU_DEP_1) | instskip(NEXT) | instid1(VALU_DEP_1)
	v_cvt_u32_f32_e32 v1, v1
	v_readfirstlane_b32 s5, v1
	s_delay_alu instid0(VALU_DEP_1) | instskip(NEXT) | instid1(SALU_CYCLE_1)
	s_mul_i32 s12, s12, s5
	s_mul_hi_u32 s12, s5, s12
	s_delay_alu instid0(SALU_CYCLE_1) | instskip(NEXT) | instid1(SALU_CYCLE_1)
	s_add_i32 s5, s5, s12
	s_mul_hi_u32 s5, s14, s5
	s_delay_alu instid0(SALU_CYCLE_1) | instskip(SKIP_2) | instid1(SALU_CYCLE_1)
	s_mul_i32 s12, s5, s16
	s_add_i32 s18, s5, 1
	s_sub_i32 s12, s14, s12
	s_sub_i32 s19, s12, s16
	s_cmp_ge_u32 s12, s16
	s_cselect_b32 s5, s18, s5
	s_cselect_b32 s12, s19, s12
	s_add_i32 s18, s5, 1
	s_cmp_ge_u32 s12, s16
	s_cselect_b32 s34, s18, s5
.LBB135_7:                              ;   in Loop: Header=BB135_3 Depth=1
	s_load_b64 s[18:19], s[10:11], 0xc8
	s_mul_i32 s5, s34, s17
	s_mul_hi_u32 s12, s34, s16
	s_mul_i32 s17, s35, s16
	s_add_i32 s5, s12, s5
	s_mul_i32 s12, s34, s16
	s_add_i32 s5, s5, s17
	s_sub_u32 s12, s14, s12
	s_subb_u32 s5, s15, s5
	s_waitcnt lgkmcnt(0)
	s_mul_i32 s5, s18, s5
	s_mul_hi_u32 s14, s18, s12
	s_mul_i32 s15, s19, s12
	s_add_i32 s5, s14, s5
	s_mul_i32 s12, s18, s12
	s_add_i32 s5, s5, s15
	s_add_u32 s26, s12, s26
	s_addc_u32 s27, s5, s27
	s_add_i32 s7, s7, -1
	s_add_u32 s10, s10, -8
	s_addc_u32 s11, s11, -1
	s_cmp_gt_u32 s7, 2
	s_cbranch_scc0 .LBB135_9
; %bb.8:                                ;   in Loop: Header=BB135_3 Depth=1
	s_mov_b64 s[14:15], s[34:35]
	s_branch .LBB135_3
.LBB135_9:
	s_clause 0x1
	s_load_b32 s7, s[0:1], 0x338
	s_load_b64 s[36:37], s[0:1], 0xd0
	s_add_u32 s4, s0, 0x1a0
	s_addc_u32 s5, s1, 0
	s_mov_b64 s[30:31], 0
	s_mov_b64 s[38:39], s[2:3]
	s_waitcnt lgkmcnt(0)
	s_cmp_lt_i32 s7, 2
	s_cbranch_scc1 .LBB135_17
; %bb.10:
	s_mov_b32 s10, 0
	s_add_i32 s14, s7, -1
	s_mov_b32 s15, s10
	s_add_i32 s7, s7, 1
	s_lshl_b64 s[14:15], s[14:15], 3
	s_mov_b64 s[16:17], s[2:3]
	s_add_u32 s11, s14, s4
	s_addc_u32 s12, s15, s5
	s_add_u32 s14, s11, 8
	s_addc_u32 s15, s12, 0
.LBB135_11:                             ; =>This Inner Loop Header: Depth=1
	s_load_b64 s[18:19], s[14:15], 0x0
                                        ; implicit-def: $sgpr38_sgpr39
	s_waitcnt lgkmcnt(0)
	s_or_b64 s[20:21], s[16:17], s[18:19]
	s_delay_alu instid0(SALU_CYCLE_1) | instskip(NEXT) | instid1(SALU_CYCLE_1)
	s_mov_b32 s11, s21
	s_cmp_lg_u64 s[10:11], 0
	s_mov_b32 s11, -1
	s_cbranch_scc0 .LBB135_13
; %bb.12:                               ;   in Loop: Header=BB135_11 Depth=1
	v_cvt_f32_u32_e32 v1, s18
	v_cvt_f32_u32_e32 v2, s19
	s_sub_u32 s20, 0, s18
	s_subb_u32 s21, 0, s19
	s_waitcnt_depctr 0xfff
	v_fmac_f32_e32 v1, 0x4f800000, v2
	s_delay_alu instid0(VALU_DEP_1) | instskip(SKIP_2) | instid1(VALU_DEP_1)
	v_rcp_f32_e32 v1, v1
	s_waitcnt_depctr 0xfff
	v_mul_f32_e32 v1, 0x5f7ffffc, v1
	v_mul_f32_e32 v2, 0x2f800000, v1
	s_delay_alu instid0(VALU_DEP_1) | instskip(NEXT) | instid1(VALU_DEP_1)
	v_trunc_f32_e32 v2, v2
	v_fmac_f32_e32 v1, 0xcf800000, v2
	v_cvt_u32_f32_e32 v2, v2
	s_delay_alu instid0(VALU_DEP_2) | instskip(NEXT) | instid1(VALU_DEP_2)
	v_cvt_u32_f32_e32 v1, v1
	v_readfirstlane_b32 s11, v2
	s_delay_alu instid0(VALU_DEP_2) | instskip(NEXT) | instid1(VALU_DEP_2)
	v_readfirstlane_b32 s12, v1
	s_mul_i32 s22, s20, s11
	s_delay_alu instid0(VALU_DEP_1)
	s_mul_hi_u32 s33, s20, s12
	s_mul_i32 s23, s21, s12
	s_add_i32 s22, s33, s22
	s_mul_i32 s38, s20, s12
	s_add_i32 s22, s22, s23
	s_mul_hi_u32 s33, s12, s38
	s_mul_hi_u32 s39, s11, s38
	s_mul_i32 s23, s11, s38
	s_mul_hi_u32 s38, s12, s22
	s_mul_i32 s12, s12, s22
	s_mul_hi_u32 s40, s11, s22
	s_add_u32 s12, s33, s12
	s_addc_u32 s33, 0, s38
	s_add_u32 s12, s12, s23
	s_mul_i32 s22, s11, s22
	s_addc_u32 s12, s33, s39
	s_addc_u32 s23, s40, 0
	s_add_u32 s12, s12, s22
	s_addc_u32 s22, 0, s23
	v_add_co_u32 v1, s12, v1, s12
	s_delay_alu instid0(VALU_DEP_1) | instskip(SKIP_1) | instid1(VALU_DEP_1)
	s_cmp_lg_u32 s12, 0
	s_addc_u32 s11, s11, s22
	v_readfirstlane_b32 s12, v1
	s_mul_i32 s22, s20, s11
	s_delay_alu instid0(VALU_DEP_1)
	s_mul_hi_u32 s23, s20, s12
	s_mul_i32 s21, s21, s12
	s_add_i32 s22, s23, s22
	s_mul_i32 s20, s20, s12
	s_add_i32 s22, s22, s21
	s_mul_hi_u32 s23, s11, s20
	s_mul_i32 s33, s11, s20
	s_mul_hi_u32 s20, s12, s20
	s_mul_hi_u32 s38, s12, s22
	s_mul_i32 s12, s12, s22
	s_mul_hi_u32 s21, s11, s22
	s_add_u32 s12, s20, s12
	s_addc_u32 s20, 0, s38
	s_add_u32 s12, s12, s33
	s_mul_i32 s22, s11, s22
	s_addc_u32 s12, s20, s23
	s_addc_u32 s20, s21, 0
	s_add_u32 s12, s12, s22
	s_addc_u32 s20, 0, s20
	v_add_co_u32 v1, s12, v1, s12
	s_delay_alu instid0(VALU_DEP_1) | instskip(SKIP_1) | instid1(VALU_DEP_1)
	s_cmp_lg_u32 s12, 0
	s_addc_u32 s11, s11, s20
	v_readfirstlane_b32 s12, v1
	s_mul_i32 s21, s16, s11
	s_mul_hi_u32 s20, s16, s11
	s_mul_hi_u32 s22, s17, s11
	s_mul_i32 s11, s17, s11
	s_mul_hi_u32 s23, s16, s12
	s_mul_hi_u32 s33, s17, s12
	s_mul_i32 s12, s17, s12
	s_add_u32 s21, s23, s21
	s_addc_u32 s20, 0, s20
	s_add_u32 s12, s21, s12
	s_addc_u32 s12, s20, s33
	s_addc_u32 s20, s22, 0
	s_add_u32 s12, s12, s11
	s_addc_u32 s20, 0, s20
	s_mul_hi_u32 s11, s18, s12
	s_mul_i32 s22, s18, s20
	s_mul_i32 s23, s18, s12
	s_add_i32 s11, s11, s22
	v_sub_co_u32 v1, s22, s16, s23
	s_mul_i32 s21, s19, s12
	s_delay_alu instid0(SALU_CYCLE_1) | instskip(NEXT) | instid1(VALU_DEP_1)
	s_add_i32 s11, s11, s21
	v_sub_co_u32 v2, s23, v1, s18
	s_sub_i32 s21, s17, s11
	s_cmp_lg_u32 s22, 0
	s_subb_u32 s21, s21, s19
	s_cmp_lg_u32 s23, 0
	v_readfirstlane_b32 s23, v2
	s_subb_u32 s21, s21, 0
	s_delay_alu instid0(SALU_CYCLE_1) | instskip(SKIP_1) | instid1(VALU_DEP_1)
	s_cmp_ge_u32 s21, s19
	s_cselect_b32 s33, -1, 0
	s_cmp_ge_u32 s23, s18
	s_cselect_b32 s23, -1, 0
	s_cmp_eq_u32 s21, s19
	s_cselect_b32 s21, s23, s33
	s_add_u32 s23, s12, 1
	s_addc_u32 s33, s20, 0
	s_add_u32 s38, s12, 2
	s_addc_u32 s39, s20, 0
	s_cmp_lg_u32 s21, 0
	s_cselect_b32 s21, s38, s23
	s_cselect_b32 s23, s39, s33
	s_cmp_lg_u32 s22, 0
	v_readfirstlane_b32 s22, v1
	s_subb_u32 s11, s17, s11
	s_delay_alu instid0(SALU_CYCLE_1) | instskip(SKIP_1) | instid1(VALU_DEP_1)
	s_cmp_ge_u32 s11, s19
	s_cselect_b32 s33, -1, 0
	s_cmp_ge_u32 s22, s18
	s_cselect_b32 s22, -1, 0
	s_cmp_eq_u32 s11, s19
	s_cselect_b32 s11, s22, s33
	s_delay_alu instid0(SALU_CYCLE_1)
	s_cmp_lg_u32 s11, 0
	s_mov_b32 s11, 0
	s_cselect_b32 s39, s23, s20
	s_cselect_b32 s38, s21, s12
.LBB135_13:                             ;   in Loop: Header=BB135_11 Depth=1
	s_and_not1_b32 vcc_lo, exec_lo, s11
	s_cbranch_vccnz .LBB135_15
; %bb.14:                               ;   in Loop: Header=BB135_11 Depth=1
	v_cvt_f32_u32_e32 v1, s18
	s_sub_i32 s12, 0, s18
	s_mov_b32 s39, s10
	s_waitcnt_depctr 0xfff
	v_rcp_iflag_f32_e32 v1, v1
	s_waitcnt_depctr 0xfff
	v_mul_f32_e32 v1, 0x4f7ffffe, v1
	s_delay_alu instid0(VALU_DEP_1) | instskip(NEXT) | instid1(VALU_DEP_1)
	v_cvt_u32_f32_e32 v1, v1
	v_readfirstlane_b32 s11, v1
	s_delay_alu instid0(VALU_DEP_1) | instskip(NEXT) | instid1(SALU_CYCLE_1)
	s_mul_i32 s12, s12, s11
	s_mul_hi_u32 s12, s11, s12
	s_delay_alu instid0(SALU_CYCLE_1) | instskip(NEXT) | instid1(SALU_CYCLE_1)
	s_add_i32 s11, s11, s12
	s_mul_hi_u32 s11, s16, s11
	s_delay_alu instid0(SALU_CYCLE_1) | instskip(SKIP_2) | instid1(SALU_CYCLE_1)
	s_mul_i32 s12, s11, s18
	s_add_i32 s20, s11, 1
	s_sub_i32 s12, s16, s12
	s_sub_i32 s21, s12, s18
	s_cmp_ge_u32 s12, s18
	s_cselect_b32 s11, s20, s11
	s_cselect_b32 s12, s21, s12
	s_add_i32 s20, s11, 1
	s_cmp_ge_u32 s12, s18
	s_cselect_b32 s38, s20, s11
.LBB135_15:                             ;   in Loop: Header=BB135_11 Depth=1
	s_load_b64 s[20:21], s[14:15], 0xc8
	s_mul_i32 s11, s38, s19
	s_mul_hi_u32 s12, s38, s18
	s_mul_i32 s19, s39, s18
	s_add_i32 s11, s12, s11
	s_mul_i32 s12, s38, s18
	s_add_i32 s11, s11, s19
	s_sub_u32 s12, s16, s12
	s_subb_u32 s11, s17, s11
	s_waitcnt lgkmcnt(0)
	s_mul_i32 s11, s20, s11
	s_mul_hi_u32 s16, s20, s12
	s_mul_i32 s17, s21, s12
	s_add_i32 s11, s16, s11
	s_mul_i32 s12, s20, s12
	s_add_i32 s11, s11, s17
	s_add_u32 s30, s12, s30
	s_addc_u32 s31, s11, s31
	s_add_i32 s7, s7, -1
	s_add_u32 s14, s14, -8
	s_addc_u32 s15, s15, -1
	s_cmp_gt_u32 s7, 2
	s_cbranch_scc0 .LBB135_17
; %bb.16:                               ;   in Loop: Header=BB135_11 Depth=1
	s_mov_b64 s[16:17], s[38:39]
	s_branch .LBB135_11
.LBB135_17:
	s_clause 0x1
	s_load_b32 s7, s[0:1], 0x4d8
	s_load_b64 s[40:41], s[4:5], 0xd0
	s_add_u32 s11, s0, 0x340
	s_addc_u32 s12, s1, 0
	s_mov_b64 s[4:5], 0
	s_waitcnt lgkmcnt(0)
	s_cmp_lt_i32 s7, 2
	s_cbranch_scc1 .LBB135_25
; %bb.18:
	s_mov_b32 s10, 0
	s_add_i32 s4, s7, -1
	s_mov_b32 s5, s10
	s_add_i32 s7, s7, 1
	s_lshl_b64 s[4:5], s[4:5], 3
	s_delay_alu instid0(SALU_CYCLE_1)
	s_add_u32 s4, s4, s11
	s_addc_u32 s5, s5, s12
	s_add_u32 s14, s4, 8
	s_addc_u32 s15, s5, 0
	s_mov_b64 s[4:5], 0
.LBB135_19:                             ; =>This Inner Loop Header: Depth=1
	s_load_b64 s[16:17], s[14:15], 0x0
	s_waitcnt lgkmcnt(0)
	s_or_b64 s[18:19], s[2:3], s[16:17]
	s_delay_alu instid0(SALU_CYCLE_1) | instskip(NEXT) | instid1(SALU_CYCLE_1)
	s_mov_b32 s11, s19
                                        ; implicit-def: $sgpr18_sgpr19
	s_cmp_lg_u64 s[10:11], 0
	s_mov_b32 s11, -1
	s_cbranch_scc0 .LBB135_21
; %bb.20:                               ;   in Loop: Header=BB135_19 Depth=1
	v_cvt_f32_u32_e32 v1, s16
	v_cvt_f32_u32_e32 v2, s17
	s_sub_u32 s18, 0, s16
	s_subb_u32 s19, 0, s17
	s_waitcnt_depctr 0xfff
	v_fmac_f32_e32 v1, 0x4f800000, v2
	s_delay_alu instid0(VALU_DEP_1) | instskip(SKIP_2) | instid1(VALU_DEP_1)
	v_rcp_f32_e32 v1, v1
	s_waitcnt_depctr 0xfff
	v_mul_f32_e32 v1, 0x5f7ffffc, v1
	v_mul_f32_e32 v2, 0x2f800000, v1
	s_delay_alu instid0(VALU_DEP_1) | instskip(NEXT) | instid1(VALU_DEP_1)
	v_trunc_f32_e32 v2, v2
	v_fmac_f32_e32 v1, 0xcf800000, v2
	v_cvt_u32_f32_e32 v2, v2
	s_delay_alu instid0(VALU_DEP_2) | instskip(NEXT) | instid1(VALU_DEP_2)
	v_cvt_u32_f32_e32 v1, v1
	v_readfirstlane_b32 s11, v2
	s_delay_alu instid0(VALU_DEP_2) | instskip(NEXT) | instid1(VALU_DEP_2)
	v_readfirstlane_b32 s12, v1
	s_mul_i32 s20, s18, s11
	s_delay_alu instid0(VALU_DEP_1)
	s_mul_hi_u32 s22, s18, s12
	s_mul_i32 s21, s19, s12
	s_add_i32 s20, s22, s20
	s_mul_i32 s23, s18, s12
	s_add_i32 s20, s20, s21
	s_mul_hi_u32 s22, s12, s23
	s_mul_hi_u32 s33, s11, s23
	s_mul_i32 s21, s11, s23
	s_mul_hi_u32 s23, s12, s20
	s_mul_i32 s12, s12, s20
	s_mul_hi_u32 s42, s11, s20
	s_add_u32 s12, s22, s12
	s_addc_u32 s22, 0, s23
	s_add_u32 s12, s12, s21
	s_mul_i32 s20, s11, s20
	s_addc_u32 s12, s22, s33
	s_addc_u32 s21, s42, 0
	s_add_u32 s12, s12, s20
	s_addc_u32 s20, 0, s21
	v_add_co_u32 v1, s12, v1, s12
	s_delay_alu instid0(VALU_DEP_1) | instskip(SKIP_1) | instid1(VALU_DEP_1)
	s_cmp_lg_u32 s12, 0
	s_addc_u32 s11, s11, s20
	v_readfirstlane_b32 s12, v1
	s_mul_i32 s20, s18, s11
	s_delay_alu instid0(VALU_DEP_1)
	s_mul_hi_u32 s21, s18, s12
	s_mul_i32 s19, s19, s12
	s_add_i32 s20, s21, s20
	s_mul_i32 s18, s18, s12
	s_add_i32 s20, s20, s19
	s_mul_hi_u32 s21, s11, s18
	s_mul_i32 s22, s11, s18
	s_mul_hi_u32 s18, s12, s18
	s_mul_hi_u32 s23, s12, s20
	s_mul_i32 s12, s12, s20
	s_mul_hi_u32 s19, s11, s20
	s_add_u32 s12, s18, s12
	s_addc_u32 s18, 0, s23
	s_add_u32 s12, s12, s22
	s_mul_i32 s20, s11, s20
	s_addc_u32 s12, s18, s21
	s_addc_u32 s18, s19, 0
	s_add_u32 s12, s12, s20
	s_addc_u32 s18, 0, s18
	v_add_co_u32 v1, s12, v1, s12
	s_delay_alu instid0(VALU_DEP_1) | instskip(SKIP_1) | instid1(VALU_DEP_1)
	s_cmp_lg_u32 s12, 0
	s_addc_u32 s11, s11, s18
	v_readfirstlane_b32 s12, v1
	s_mul_i32 s19, s2, s11
	s_mul_hi_u32 s18, s2, s11
	s_mul_hi_u32 s20, s3, s11
	s_mul_i32 s11, s3, s11
	s_mul_hi_u32 s21, s2, s12
	s_mul_hi_u32 s22, s3, s12
	s_mul_i32 s12, s3, s12
	s_add_u32 s19, s21, s19
	s_addc_u32 s18, 0, s18
	s_add_u32 s12, s19, s12
	s_addc_u32 s12, s18, s22
	s_addc_u32 s18, s20, 0
	s_add_u32 s12, s12, s11
	s_addc_u32 s18, 0, s18
	s_mul_hi_u32 s11, s16, s12
	s_mul_i32 s20, s16, s18
	s_mul_i32 s21, s16, s12
	s_add_i32 s11, s11, s20
	v_sub_co_u32 v1, s20, s2, s21
	s_mul_i32 s19, s17, s12
	s_delay_alu instid0(SALU_CYCLE_1) | instskip(NEXT) | instid1(VALU_DEP_1)
	s_add_i32 s11, s11, s19
	v_sub_co_u32 v2, s21, v1, s16
	s_sub_i32 s19, s3, s11
	s_cmp_lg_u32 s20, 0
	s_subb_u32 s19, s19, s17
	s_cmp_lg_u32 s21, 0
	v_readfirstlane_b32 s21, v2
	s_subb_u32 s19, s19, 0
	s_delay_alu instid0(SALU_CYCLE_1) | instskip(SKIP_1) | instid1(VALU_DEP_1)
	s_cmp_ge_u32 s19, s17
	s_cselect_b32 s22, -1, 0
	s_cmp_ge_u32 s21, s16
	s_cselect_b32 s21, -1, 0
	s_cmp_eq_u32 s19, s17
	s_cselect_b32 s19, s21, s22
	s_add_u32 s21, s12, 1
	s_addc_u32 s22, s18, 0
	s_add_u32 s23, s12, 2
	s_addc_u32 s33, s18, 0
	s_cmp_lg_u32 s19, 0
	s_cselect_b32 s21, s23, s21
	s_cselect_b32 s19, s33, s22
	s_cmp_lg_u32 s20, 0
	v_readfirstlane_b32 s20, v1
	s_subb_u32 s11, s3, s11
	s_delay_alu instid0(SALU_CYCLE_1) | instskip(SKIP_1) | instid1(VALU_DEP_1)
	s_cmp_ge_u32 s11, s17
	s_cselect_b32 s22, -1, 0
	s_cmp_ge_u32 s20, s16
	s_cselect_b32 s20, -1, 0
	s_cmp_eq_u32 s11, s17
	s_cselect_b32 s11, s20, s22
	s_delay_alu instid0(SALU_CYCLE_1)
	s_cmp_lg_u32 s11, 0
	s_mov_b32 s11, 0
	s_cselect_b32 s19, s19, s18
	s_cselect_b32 s18, s21, s12
.LBB135_21:                             ;   in Loop: Header=BB135_19 Depth=1
	s_and_not1_b32 vcc_lo, exec_lo, s11
	s_cbranch_vccnz .LBB135_23
; %bb.22:                               ;   in Loop: Header=BB135_19 Depth=1
	v_cvt_f32_u32_e32 v1, s16
	s_sub_i32 s12, 0, s16
	s_waitcnt_depctr 0xfff
	v_rcp_iflag_f32_e32 v1, v1
	s_waitcnt_depctr 0xfff
	v_mul_f32_e32 v1, 0x4f7ffffe, v1
	s_delay_alu instid0(VALU_DEP_1) | instskip(NEXT) | instid1(VALU_DEP_1)
	v_cvt_u32_f32_e32 v1, v1
	v_readfirstlane_b32 s11, v1
	s_delay_alu instid0(VALU_DEP_1) | instskip(NEXT) | instid1(SALU_CYCLE_1)
	s_mul_i32 s12, s12, s11
	s_mul_hi_u32 s12, s11, s12
	s_delay_alu instid0(SALU_CYCLE_1) | instskip(NEXT) | instid1(SALU_CYCLE_1)
	s_add_i32 s11, s11, s12
	s_mul_hi_u32 s11, s2, s11
	s_delay_alu instid0(SALU_CYCLE_1) | instskip(SKIP_2) | instid1(SALU_CYCLE_1)
	s_mul_i32 s12, s11, s16
	s_add_i32 s18, s11, 1
	s_sub_i32 s12, s2, s12
	s_sub_i32 s19, s12, s16
	s_cmp_ge_u32 s12, s16
	s_cselect_b32 s11, s18, s11
	s_cselect_b32 s12, s19, s12
	s_add_i32 s18, s11, 1
	s_cmp_ge_u32 s12, s16
	s_mov_b32 s19, s10
	s_cselect_b32 s18, s18, s11
.LBB135_23:                             ;   in Loop: Header=BB135_19 Depth=1
	s_load_b64 s[20:21], s[14:15], 0xc8
	s_mul_i32 s11, s18, s17
	s_mul_hi_u32 s12, s18, s16
	s_mul_i32 s17, s19, s16
	s_add_i32 s11, s12, s11
	s_mul_i32 s12, s18, s16
	s_add_i32 s11, s11, s17
	s_sub_u32 s2, s2, s12
	s_subb_u32 s3, s3, s11
	s_waitcnt lgkmcnt(0)
	s_mul_i32 s3, s20, s3
	s_mul_hi_u32 s11, s20, s2
	s_mul_i32 s12, s21, s2
	s_add_i32 s3, s11, s3
	s_mul_i32 s2, s20, s2
	s_add_i32 s3, s3, s12
	s_add_u32 s4, s2, s4
	s_addc_u32 s5, s3, s5
	s_add_i32 s7, s7, -1
	s_add_u32 s14, s14, -8
	s_addc_u32 s15, s15, -1
	s_cmp_gt_u32 s7, 2
	s_cbranch_scc0 .LBB135_26
; %bb.24:                               ;   in Loop: Header=BB135_19 Depth=1
	s_mov_b64 s[2:3], s[18:19]
	s_branch .LBB135_19
.LBB135_25:
	s_mov_b64 s[18:19], s[2:3]
.LBB135_26:
	s_clause 0x3
	s_load_b64 s[14:15], s[0:1], 0x410
	s_load_b64 s[44:45], s[0:1], 0x0
	;; [unrolled: 1-line block ×4, first 2 shown]
	v_dual_mov_b32 v1, 0 :: v_dual_mov_b32 v2, 0
	v_mov_b32_e32 v3, 0
	s_delay_alu instid0(VALU_DEP_2)
	v_cmp_gt_u64_e64 s2, s[24:25], v[0:1]
	s_waitcnt lgkmcnt(0)
	s_mul_i32 s3, s14, s19
	s_mul_hi_u32 s7, s14, s18
	s_mul_i32 s12, s15, s18
	s_add_i32 s3, s7, s3
	s_mul_i32 s14, s14, s18
	s_add_i32 s15, s3, s12
	s_and_saveexec_b32 s7, s2
	s_cbranch_execz .LBB135_30
; %bb.27:
	v_mad_u64_u32 v[4:5], null, s28, v0, 0
	s_load_b32 s3, s[8:9], 0xc
	s_lshl_b64 s[18:19], s[4:5], 1
	s_lshl_b64 s[16:17], s[14:15], 1
	s_delay_alu instid0(VALU_DEP_1) | instskip(NEXT) | instid1(VALU_DEP_1)
	v_mov_b32_e32 v2, v5
	v_mad_u64_u32 v[5:6], null, s29, v0, v[2:3]
	v_dual_mov_b32 v2, 0 :: v_dual_mov_b32 v7, v1
	v_dual_mov_b32 v3, 0 :: v_dual_mov_b32 v6, v0
	s_delay_alu instid0(VALU_DEP_3)
	v_lshlrev_b64 v[4:5], 1, v[4:5]
	s_waitcnt lgkmcnt(0)
	s_and_b32 s12, s3, 0xffff
	s_add_u32 s3, s10, s18
	s_addc_u32 s18, s11, s19
	s_add_u32 s3, s3, s16
	s_addc_u32 s16, s18, s17
	v_add_co_u32 v4, vcc_lo, s3, v4
	s_mul_i32 s19, s29, s12
	s_mul_hi_u32 s20, s28, s12
	v_add_co_ci_u32_e32 v5, vcc_lo, s16, v5, vcc_lo
	s_add_i32 s17, s20, s19
	s_mul_i32 s16, s28, s12
	s_mov_b32 s18, 0
	s_lshl_b64 s[16:17], s[16:17], 1
	.p2align	6
.LBB135_28:                             ; =>This Inner Loop Header: Depth=1
	global_load_u16 v8, v[4:5], off
	v_add_co_u32 v6, vcc_lo, v6, s12
	v_add_co_ci_u32_e32 v7, vcc_lo, 0, v7, vcc_lo
	v_add_co_u32 v4, vcc_lo, v4, s16
	v_add_co_ci_u32_e32 v5, vcc_lo, s17, v5, vcc_lo
	s_waitcnt vmcnt(0)
	v_cmp_u_f16_e32 vcc_lo, v8, v8
	v_cndmask_b32_e64 v8, 0, 1, vcc_lo
	v_cmp_le_u64_e32 vcc_lo, s[24:25], v[6:7]
	s_delay_alu instid0(VALU_DEP_2) | instskip(NEXT) | instid1(VALU_DEP_1)
	v_add_co_u32 v2, s3, v2, v8
	v_add_co_ci_u32_e64 v3, s3, 0, v3, s3
	s_or_b32 s18, vcc_lo, s18
	s_delay_alu instid0(SALU_CYCLE_1)
	s_and_not1_b32 exec_lo, exec_lo, s18
	s_cbranch_execnz .LBB135_28
; %bb.29:
	s_or_b32 exec_lo, exec_lo, s18
.LBB135_30:
	s_delay_alu instid0(SALU_CYCLE_1) | instskip(SKIP_1) | instid1(VALU_DEP_1)
	s_or_b32 exec_lo, exec_lo, s7
	v_cmp_eq_u32_e64 s3, 0, v0
	s_and_saveexec_b32 s7, s3
	s_cbranch_execz .LBB135_32
; %bb.31:
	v_mov_b32_e32 v4, 0
	s_delay_alu instid0(VALU_DEP_1)
	v_mov_b32_e32 v5, v4
	ds_store_b64 v4, v[4:5] offset:5136
.LBB135_32:
	s_or_b32 exec_lo, exec_lo, s7
	s_mov_b64 s[16:17], 0
	s_mov_b32 s7, exec_lo
	s_waitcnt lgkmcnt(0)
	s_barrier
	buffer_gl0_inv
	v_cmpx_ne_u64_e32 0, v[2:3]
	s_cbranch_execz .LBB135_37
; %bb.33:
	s_mov_b32 s12, exec_lo
.LBB135_34:                             ; =>This Inner Loop Header: Depth=1
	s_delay_alu instid0(SALU_CYCLE_1) | instskip(NEXT) | instid1(SALU_CYCLE_1)
	s_ctz_i32_b32 s18, s12
	v_readlane_b32 s19, v2, s18
	v_readlane_b32 s20, v3, s18
	s_delay_alu instid0(VALU_DEP_2) | instskip(NEXT) | instid1(VALU_DEP_1)
	s_add_u32 s16, s16, s19
	s_addc_u32 s17, s17, s20
	s_lshl_b32 s18, 1, s18
	s_delay_alu instid0(SALU_CYCLE_1) | instskip(NEXT) | instid1(SALU_CYCLE_1)
	s_and_not1_b32 s12, s12, s18
	s_cmp_lg_u32 s12, 0
	s_cbranch_scc1 .LBB135_34
; %bb.35:
	v_mbcnt_lo_u32_b32 v2, exec_lo, 0
	s_mov_b32 s12, exec_lo
	s_delay_alu instid0(VALU_DEP_1)
	v_cmpx_eq_u32_e32 0, v2
	s_xor_b32 s12, exec_lo, s12
	s_cbranch_execz .LBB135_37
; %bb.36:
	v_mov_b32_e32 v2, s16
	v_dual_mov_b32 v4, 0 :: v_dual_mov_b32 v3, s17
	ds_add_u64 v4, v[2:3] offset:5136
.LBB135_37:
	s_or_b32 exec_lo, exec_lo, s7
	v_mov_b32_e32 v2, 0
	s_waitcnt lgkmcnt(0)
	s_barrier
	buffer_gl0_inv
	s_load_b32 s7, s[0:1], 0x4f8
	ds_load_b64 v[2:3], v2 offset:5136
	s_mov_b64 s[50:51], s[24:25]
	s_waitcnt lgkmcnt(0)
	s_bitcmp1_b32 s7, 0
	v_readfirstlane_b32 s0, v2
	v_readfirstlane_b32 s1, v3
	s_cselect_b32 s7, -1, 0
	s_delay_alu instid0(VALU_DEP_1) | instskip(NEXT) | instid1(VALU_DEP_1)
	v_cmp_lt_i64_e64 s12, s[0:1], 1
	s_or_b32 s7, s7, s12
	s_delay_alu instid0(SALU_CYCLE_1)
	s_and_not1_b32 vcc_lo, exec_lo, s7
	s_cbranch_vccnz .LBB135_39
; %bb.38:
	s_not_b64 s[0:1], s[0:1]
	s_delay_alu instid0(SALU_CYCLE_1) | instskip(SKIP_1) | instid1(SALU_CYCLE_1)
	s_add_u32 s0, s0, s24
	s_addc_u32 s1, s1, s25
	s_lshr_b64 s[0:1], s[0:1], 1
	s_delay_alu instid0(SALU_CYCLE_1)
	s_add_u32 s50, s0, 1
	s_addc_u32 s51, s1, 0
.LBB135_39:
	s_and_saveexec_b32 s0, s3
	s_cbranch_execz .LBB135_41
; %bb.40:
	v_dual_mov_b32 v2, 0 :: v_dual_mov_b32 v5, s25
	s_delay_alu instid0(VALU_DEP_1)
	v_dual_mov_b32 v4, s24 :: v_dual_mov_b32 v3, v2
	ds_store_b32 v2, v2 offset:5144
	ds_store_b128 v2, v[2:5] offset:5120
.LBB135_41:
	s_or_b32 exec_lo, exec_lo, s0
	s_lshl_b64 s[48:49], s[4:5], 1
	s_waitcnt lgkmcnt(0)
	s_barrier
	buffer_gl0_inv
	s_load_b32 s5, s[8:9], 0xc
	v_dual_mov_b32 v15, 0 :: v_dual_lshlrev_b32 v12, 2, v0
	v_lshlrev_b32_e32 v42, 3, v0
	v_mbcnt_lo_u32_b32 v38, -1, 0
	v_mad_u64_u32 v[2:3], null, v0, s28, 0
	s_delay_alu instid0(VALU_DEP_4)
	v_mov_b32_e32 v13, v15
	s_lshl_b64 s[14:15], s[14:15], 1
	v_or_b32_e32 v11, 6, v42
	v_or_b32_e32 v14, 4, v42
	v_cmp_gt_u32_e32 vcc_lo, 32, v0
	s_add_u32 s16, s10, s14
	v_cmp_gt_i32_e64 s4, 4, v38
	v_lshrrev_b32_e32 v6, 3, v0
	v_or_b32_e32 v24, 2, v42
	s_addc_u32 s17, s11, s15
	s_add_u32 s75, s16, s48
	v_mad_u64_u32 v[18:19], null, s28, v11, s[16:17]
	v_mad_u64_u32 v[20:21], null, s28, v14, s[16:17]
	s_addc_u32 s76, s17, s49
	s_waitcnt lgkmcnt(0)
	s_and_b32 s33, s5, 0xffff
	v_mad_u64_u32 v[4:5], null, v0, s29, v[3:4]
	s_and_b32 s77, vcc_lo, s4
	s_bfe_u32 s4, s5, 0xb0005
	v_mad_u64_u32 v[22:23], null, s28, v24, s[16:17]
	v_and_b32_e32 v41, 0x7c, v6
	v_lshlrev_b64 v[6:7], v38, -1
	s_add_u32 s78, s33, -1
	s_addc_u32 s79, 0, -1
	s_add_u32 s80, s78, s24
	s_addc_u32 s55, s79, s25
	s_delay_alu instid0(VALU_DEP_3)
	v_mov_b32_e32 v8, v23
	s_cmp_lt_u32 s13, s6
	v_lshlrev_b32_e32 v39, 1, v0
	v_not_b32_e32 v43, v6
	v_dual_mov_b32 v6, v19 :: v_dual_mov_b32 v7, v21
	v_mov_b32_e32 v46, 0
	s_cselect_b32 s6, 12, 18
	v_dual_mov_b32 v3, v4 :: v_dual_add_nc_u32 v40, 0xc00, v39
	s_add_u32 s56, s8, s6
	s_addc_u32 s57, s9, 0
	s_add_i32 s6, s4, -1
	s_bfe_u32 s81, s33, 0x30005
	v_mad_u64_u32 v[9:10], null, s29, v11, v[6:7]
	s_cmp_gt_u32 s6, 6
	v_lshlrev_b64 v[4:5], 1, v[2:3]
	s_cselect_b32 s82, -1, 0
	s_and_b32 s83, s4, 0x7f8
	s_cmp_lg_u32 s81, 0
	v_lshlrev_b64 v[2:3], 3, v[2:3]
	s_cselect_b32 s85, -1, 0
	s_add_u32 s4, s14, s48
	v_mad_u64_u32 v[10:11], null, s29, v14, v[7:8]
	v_cmp_gt_u16_e64 s84, s5, 31
	s_addc_u32 s5, s15, s49
	v_add_co_u32 v16, vcc_lo, s75, v4
	v_mad_u64_u32 v[6:7], null, s29, v24, v[8:9]
	s_add_u32 s58, s10, s4
	s_addc_u32 s59, s11, s5
	s_lshl_b64 s[60:61], s[28:29], 1
	s_lshl_b64 s[62:63], s[28:29], 3
	s_lshl_b32 s86, s33, 1
	v_add_co_ci_u32_e32 v17, vcc_lo, s76, v5, vcc_lo
	s_add_u32 s4, s10, s48
	v_add_co_u32 v24, vcc_lo, s16, v2
	s_addc_u32 s5, s11, s49
	s_add_u32 s6, s4, s14
	v_add_co_ci_u32_e32 v25, vcc_lo, s17, v3, vcc_lo
	v_mov_b32_e32 v21, v10
	s_addc_u32 s8, s5, s15
	v_add_co_u32 v10, vcc_lo, s6, v4
	v_cmp_lt_u64_e64 s74, 0x600, s[24:25]
	s_mul_i32 s4, s29, s33
	s_mul_hi_u32 s7, s28, s33
	v_cmp_gt_u32_e64 s0, 2, v0
	v_cmp_eq_u32_e64 s1, 0, v38
	v_mov_b32_e32 v19, v9
	v_mov_b32_e32 v23, v6
	v_lshl_or_b32 v44, v38, 3, 0xc00
	v_add_co_ci_u32_e32 v11, vcc_lo, s8, v5, vcc_lo
	v_mov_b32_e32 v45, 0x8000
	s_add_i32 s5, s7, s4
	s_mul_i32 s4, s28, s33
	s_mov_b32 s53, 0
	s_lshl_b64 s[46:47], s[4:5], 1
	s_mov_b32 s92, 14
	s_movk_i32 s87, 0x3c00
	s_mov_b32 s88, 0
	s_mov_b32 s95, 0
	;; [unrolled: 1-line block ×4, first 2 shown]
                                        ; implicit-def: $sgpr89
                                        ; implicit-def: $sgpr91
                                        ; implicit-def: $sgpr90
                                        ; implicit-def: $sgpr94
                                        ; implicit-def: $sgpr96
                                        ; implicit-def: $sgpr93
	s_branch .LBB135_46
.LBB135_42:                             ;   in Loop: Header=BB135_46 Depth=1
	s_xor_b32 s95, s95, 1
	s_add_i32 s7, s92, -2
	s_cmp_eq_u32 s92, 0
	s_mov_b32 s5, 0
	s_cselect_b32 s6, -1, 0
	s_mov_b32 s92, s7
.LBB135_43:                             ;   in Loop: Header=BB135_46 Depth=1
	s_and_not1_b32 s7, s13, exec_lo
	s_and_b32 s5, s5, exec_lo
	s_and_not1_b32 s19, s19, exec_lo
	s_or_b32 s13, s7, s5
	s_and_not1_b32 s12, s12, exec_lo
	s_or_not1_b32 s15, s6, exec_lo
.LBB135_44:                             ;   in Loop: Header=BB135_46 Depth=1
	s_or_b32 exec_lo, exec_lo, s4
	s_delay_alu instid0(SALU_CYCLE_1)
	s_and_not1_b32 s4, s93, exec_lo
	s_and_b32 s5, s13, exec_lo
	s_and_not1_b32 s6, s94, exec_lo
	s_or_b32 s93, s4, s5
	s_and_not1_b32 s4, s96, exec_lo
	s_and_b32 s5, s19, exec_lo
	s_and_b32 s7, s12, exec_lo
	s_or_b32 s96, s4, s5
	s_or_b32 s94, s6, s7
	s_or_not1_b32 s19, s15, exec_lo
.LBB135_45:                             ;   in Loop: Header=BB135_46 Depth=1
	s_or_b32 exec_lo, exec_lo, s14
	s_delay_alu instid0(SALU_CYCLE_1)
	s_and_b32 s4, exec_lo, s19
	v_mov_b32_e32 v2, s97
	s_or_b32 s88, s4, s88
	s_and_not1_b32 s4, s90, exec_lo
	s_and_b32 s5, s93, exec_lo
	s_and_not1_b32 s6, s89, exec_lo
	s_or_b32 s90, s4, s5
	s_and_not1_b32 s4, s91, exec_lo
	s_and_b32 s5, s96, exec_lo
	s_and_b32 s7, s94, exec_lo
	s_or_b32 s91, s4, s5
	s_or_b32 s89, s6, s7
	s_and_not1_b32 exec_lo, exec_lo, s88
	s_cbranch_execz .LBB135_311
.LBB135_46:                             ; =>This Loop Header: Depth=1
                                        ;     Child Loop BB135_51 Depth 2
                                        ;     Child Loop BB135_69 Depth 2
	;; [unrolled: 1-line block ×16, first 2 shown]
	ds_load_b128 v[2:5], v15 offset:5120
	s_waitcnt lgkmcnt(0)
	v_readfirstlane_b32 s65, v3
	v_readfirstlane_b32 s64, v2
	s_delay_alu instid0(VALU_DEP_1)
	s_cmp_lg_u64 s[64:65], 0
	s_cbranch_scc1 .LBB135_76
; %bb.47:                               ;   in Loop: Header=BB135_46 Depth=1
	s_and_b32 vcc_lo, exec_lo, s74
	s_cbranch_vccz .LBB135_59
; %bb.48:                               ;   in Loop: Header=BB135_46 Depth=1
	v_cmp_gt_u64_e32 vcc_lo, 0x601, v[4:5]
	s_mov_b32 s6, 0
	s_mov_b32 s4, 0
	s_cbranch_vccz .LBB135_60
; %bb.49:                               ;   in Loop: Header=BB135_46 Depth=1
	global_load_u16 v6, v15, s[56:57]
	global_load_u16 v7, v[16:17], off
	s_mov_b32 s8, 0
	s_waitcnt vmcnt(1)
	v_readfirstlane_b32 s4, v6
	v_and_b32_e32 v6, 0xffff, v6
	s_delay_alu instid0(VALU_DEP_2) | instskip(NEXT) | instid1(SALU_CYCLE_1)
	s_and_b32 s4, 0xffff, s4
	v_add_nc_u32_e32 v8, s4, v0
	s_mul_i32 s5, s61, s4
	s_mul_hi_u32 s7, s60, s4
	s_mul_i32 s9, s60, s4
	s_add_i32 s7, s7, s5
	v_mad_u64_u32 v[2:3], null, s60, v8, s[58:59]
	s_delay_alu instid0(VALU_DEP_1) | instskip(NEXT) | instid1(VALU_DEP_1)
	v_mad_u64_u32 v[4:5], null, s61, v8, v[3:4]
	v_mov_b32_e32 v3, v4
	v_dual_mov_b32 v5, v1 :: v_dual_mov_b32 v4, v0
	s_branch .LBB135_51
.LBB135_50:                             ;   in Loop: Header=BB135_51 Depth=2
	s_or_b32 exec_lo, exec_lo, s5
	v_add_co_u32 v2, vcc_lo, v2, s9
	v_add_co_ci_u32_e32 v3, vcc_lo, s7, v3, vcc_lo
	v_mov_b32_e32 v7, v8
	s_and_not1_b32 exec_lo, exec_lo, s8
	s_cbranch_execz .LBB135_61
.LBB135_51:                             ;   Parent Loop BB135_46 Depth=1
                                        ; =>  This Inner Loop Header: Depth=2
	s_delay_alu instid0(VALU_DEP_1) | instskip(NEXT) | instid1(VALU_DEP_2)
	v_add_co_u32 v4, vcc_lo, v4, v6
	v_add_co_ci_u32_e32 v5, vcc_lo, 0, v5, vcc_lo
	s_waitcnt lgkmcnt(0)
	v_dual_mov_b32 v9, 0 :: v_dual_mov_b32 v8, 0
	s_mov_b32 s5, exec_lo
	s_delay_alu instid0(VALU_DEP_2)
	v_cmp_le_u64_e32 vcc_lo, s[24:25], v[4:5]
	v_cmpx_gt_u64_e64 s[24:25], v[4:5]
	s_cbranch_execz .LBB135_53
; %bb.52:                               ;   in Loop: Header=BB135_51 Depth=2
	global_load_u16 v8, v[2:3], off
.LBB135_53:                             ;   in Loop: Header=BB135_51 Depth=2
	s_or_b32 exec_lo, exec_lo, s5
	s_waitcnt vmcnt(0)
	v_cmp_lt_i16_e64 s4, -1, v7
	v_and_b32_e32 v14, 0xffff, v7
	s_delay_alu instid0(VALU_DEP_2) | instskip(SKIP_1) | instid1(VALU_DEP_2)
	v_cndmask_b32_e64 v26, 0xffff, v45, s4
	v_cmp_o_f16_e64 s4, v7, v7
	v_xor_b32_e32 v14, v26, v14
	s_delay_alu instid0(VALU_DEP_1) | instskip(NEXT) | instid1(VALU_DEP_1)
	v_cndmask_b32_e64 v14, 0xffff, v14, s4
	v_and_b32_e32 v14, s98, v14
	s_delay_alu instid0(VALU_DEP_1) | instskip(NEXT) | instid1(VALU_DEP_1)
	v_cmp_eq_u32_e64 s4, s97, v14
	s_cmp_lg_u32 s4, 0
	s_cselect_b32 s5, -1, 0
	s_delay_alu instid0(SALU_CYCLE_1) | instskip(NEXT) | instid1(SALU_CYCLE_1)
	s_and_b32 s5, s1, s5
	s_and_saveexec_b32 s10, s5
	s_cbranch_execz .LBB135_57
; %bb.54:                               ;   in Loop: Header=BB135_51 Depth=2
	s_mov_b32 s13, exec_lo
	s_bcnt1_i32_b32 s11, s4
	v_mbcnt_lo_u32_b32 v9, s13, 0
	s_mov_b32 s12, exec_lo
                                        ; implicit-def: $vgpr14
	s_delay_alu instid0(VALU_DEP_1)
	v_cmpx_eq_u32_e32 0, v9
	s_cbranch_execz .LBB135_56
; %bb.55:                               ;   in Loop: Header=BB135_51 Depth=2
	s_bcnt1_i32_b32 s5, s13
	s_delay_alu instid0(SALU_CYCLE_1) | instskip(NEXT) | instid1(SALU_CYCLE_1)
	s_mul_i32 s5, s11, s5
	v_mov_b32_e32 v14, s5
	ds_add_rtn_u32 v14, v15, v14 offset:5144
.LBB135_56:                             ;   in Loop: Header=BB135_51 Depth=2
	s_or_b32 exec_lo, exec_lo, s12
	s_waitcnt lgkmcnt(0)
	v_readfirstlane_b32 s5, v14
	s_delay_alu instid0(VALU_DEP_1)
	v_mad_u32_u24 v9, s11, v9, s5
.LBB135_57:                             ;   in Loop: Header=BB135_51 Depth=2
	s_or_b32 exec_lo, exec_lo, s10
	ds_bpermute_b32 v9, v15, v9
	s_and_b32 s5, exec_lo, vcc_lo
	s_delay_alu instid0(SALU_CYCLE_1)
	s_or_b32 s8, s5, s8
	s_and_saveexec_b32 s5, s4
	s_cbranch_execz .LBB135_50
; %bb.58:                               ;   in Loop: Header=BB135_51 Depth=2
	v_and_b32_e32 v14, s4, v43
	s_delay_alu instid0(VALU_DEP_1) | instskip(NEXT) | instid1(VALU_DEP_1)
	v_bcnt_u32_b32 v14, v14, 0
	v_lshlrev_b32_e32 v14, 1, v14
	s_waitcnt lgkmcnt(0)
	s_delay_alu instid0(VALU_DEP_1)
	v_lshl_add_u32 v9, v9, 1, v14
	ds_store_b16 v9, v7
	s_branch .LBB135_50
.LBB135_59:                             ;   in Loop: Header=BB135_46 Depth=1
	s_mov_b32 s4, 0
                                        ; implicit-def: $sgpr64_sgpr65
	s_cbranch_execnz .LBB135_64
	s_branch .LBB135_74
.LBB135_60:                             ;   in Loop: Header=BB135_46 Depth=1
	s_mov_b64 s[64:65], 0
	s_and_b32 vcc_lo, exec_lo, s6
	s_cbranch_vccnz .LBB135_64
	s_branch .LBB135_74
.LBB135_61:                             ;   in Loop: Header=BB135_46 Depth=1
	s_or_b32 exec_lo, exec_lo, s8
	s_waitcnt lgkmcnt(0)
	s_barrier
	buffer_gl0_inv
	s_and_saveexec_b32 s4, s3
	s_cbranch_execz .LBB135_63
; %bb.62:                               ;   in Loop: Header=BB135_46 Depth=1
	ds_load_b32 v2, v15 offset:5144
	s_waitcnt lgkmcnt(0)
	v_ashrrev_i32_e32 v3, 31, v2
	ds_store_b64 v15, v[2:3] offset:5120
.LBB135_63:                             ;   in Loop: Header=BB135_46 Depth=1
	s_or_b32 exec_lo, exec_lo, s4
	s_waitcnt lgkmcnt(0)
	s_mov_b32 s4, -1
	s_barrier
	s_mov_b64 s[64:65], 0
	s_and_b32 vcc_lo, exec_lo, s6
	s_cbranch_vccz .LBB135_74
.LBB135_64:                             ;   in Loop: Header=BB135_46 Depth=1
	v_mov_b32_e32 v6, 0
	s_and_saveexec_b32 s4, s2
	s_cbranch_execz .LBB135_66
; %bb.65:                               ;   in Loop: Header=BB135_46 Depth=1
	global_load_u16 v6, v[16:17], off
.LBB135_66:                             ;   in Loop: Header=BB135_46 Depth=1
	s_or_b32 exec_lo, exec_lo, s4
	s_and_saveexec_b32 s5, s2
	s_cbranch_execz .LBB135_71
; %bb.67:                               ;   in Loop: Header=BB135_46 Depth=1
	global_load_u16 v8, v15, s[56:57]
	s_mov_b32 s9, 0
	s_waitcnt vmcnt(0)
	v_readfirstlane_b32 s4, v8
	v_and_b32_e32 v8, 0xffff, v8
	s_delay_alu instid0(VALU_DEP_2) | instskip(NEXT) | instid1(SALU_CYCLE_1)
	s_and_b32 s4, 0xffff, s4
	v_add_nc_u32_e32 v7, s4, v0
	s_mul_i32 s7, s61, s4
	s_mul_hi_u32 s8, s60, s4
	s_lshl_b32 s6, s4, 1
	s_add_i32 s7, s8, s7
	v_mad_u64_u32 v[2:3], null, s60, v7, s[58:59]
	s_mul_i32 s8, s60, s4
	s_delay_alu instid0(VALU_DEP_1) | instskip(SKIP_1) | instid1(VALU_DEP_2)
	v_mad_u64_u32 v[4:5], null, s61, v7, v[3:4]
	v_mov_b32_e32 v7, v39
	v_mov_b32_e32 v3, v4
	v_dual_mov_b32 v5, v1 :: v_dual_mov_b32 v4, v0
	s_branch .LBB135_69
	.p2align	6
.LBB135_68:                             ;   in Loop: Header=BB135_69 Depth=2
	s_or_b32 exec_lo, exec_lo, s10
	s_delay_alu instid0(SALU_CYCLE_1)
	s_and_b32 s4, exec_lo, vcc_lo
	v_add_co_u32 v2, vcc_lo, v2, s8
	ds_store_b16 v7, v6
	s_waitcnt vmcnt(0)
	v_dual_mov_b32 v6, v9 :: v_dual_add_nc_u32 v7, s6, v7
	v_add_co_ci_u32_e32 v3, vcc_lo, s7, v3, vcc_lo
	s_or_b32 s9, s4, s9
	s_delay_alu instid0(SALU_CYCLE_1)
	s_and_not1_b32 exec_lo, exec_lo, s9
	s_cbranch_execz .LBB135_71
.LBB135_69:                             ;   Parent Loop BB135_46 Depth=1
                                        ; =>  This Inner Loop Header: Depth=2
	s_delay_alu instid0(VALU_DEP_1) | instskip(NEXT) | instid1(VALU_DEP_2)
	v_add_co_u32 v4, vcc_lo, v4, v8
	v_add_co_ci_u32_e32 v5, vcc_lo, 0, v5, vcc_lo
	v_mov_b32_e32 v9, 0
	s_mov_b32 s10, exec_lo
	s_delay_alu instid0(VALU_DEP_2)
	v_cmp_le_u64_e32 vcc_lo, s[24:25], v[4:5]
	v_cmpx_gt_u64_e64 s[24:25], v[4:5]
	s_cbranch_execz .LBB135_68
; %bb.70:                               ;   in Loop: Header=BB135_69 Depth=2
	global_load_u16 v9, v[2:3], off
	s_branch .LBB135_68
.LBB135_71:                             ;   in Loop: Header=BB135_46 Depth=1
	s_or_b32 exec_lo, exec_lo, s5
	s_waitcnt vmcnt(0) lgkmcnt(0)
	s_barrier
	buffer_gl0_inv
	s_and_saveexec_b32 s4, s3
	s_cbranch_execz .LBB135_73
; %bb.72:                               ;   in Loop: Header=BB135_46 Depth=1
	v_dual_mov_b32 v2, s24 :: v_dual_mov_b32 v3, s25
	ds_store_b64 v15, v[2:3] offset:5120
.LBB135_73:                             ;   in Loop: Header=BB135_46 Depth=1
	s_or_b32 exec_lo, exec_lo, s4
	s_mov_b32 s4, -1
	s_waitcnt lgkmcnt(0)
	s_barrier
                                        ; implicit-def: $sgpr64_sgpr65
.LBB135_74:                             ;   in Loop: Header=BB135_46 Depth=1
	s_and_b32 vcc_lo, exec_lo, s4
	s_cbranch_vccz .LBB135_76
; %bb.75:                               ;   in Loop: Header=BB135_46 Depth=1
	buffer_gl0_inv
	ds_load_b64 v[2:3], v15 offset:5120
	s_waitcnt lgkmcnt(0)
	v_readfirstlane_b32 s64, v2
.LBB135_76:                             ;   in Loop: Header=BB135_46 Depth=1
	s_delay_alu instid0(VALU_DEP_1)
	s_cmp_lt_i32 s64, 1
	s_cbranch_scc0 .LBB135_91
; %bb.77:                               ;   in Loop: Header=BB135_46 Depth=1
	global_load_u16 v2, v15, s[56:57]
	s_mov_b32 s5, s25
	s_waitcnt vmcnt(0)
	v_readfirstlane_b32 s4, v2
	s_delay_alu instid0(VALU_DEP_1)
	s_and_b32 s52, s4, 0xffff
	s_mov_b32 s4, s53
	s_lshl_b32 s54, s52, 2
	s_cmp_lg_u64 s[4:5], 0
	s_cbranch_scc0 .LBB135_111
; %bb.78:                               ;   in Loop: Header=BB135_46 Depth=1
	v_cvt_f32_u32_e32 v2, s54
	s_sub_u32 s6, 0, s54
	s_subb_u32 s7, 0, 0
	s_delay_alu instid0(VALU_DEP_1) | instskip(NEXT) | instid1(VALU_DEP_1)
	v_fmac_f32_e64 v2, 0, 0x4f800000
	v_rcp_f32_e32 v2, v2
	s_waitcnt_depctr 0xfff
	v_mul_f32_e32 v2, 0x5f7ffffc, v2
	s_delay_alu instid0(VALU_DEP_1) | instskip(NEXT) | instid1(VALU_DEP_1)
	v_mul_f32_e32 v3, 0x2f800000, v2
	v_trunc_f32_e32 v3, v3
	s_delay_alu instid0(VALU_DEP_1) | instskip(SKIP_1) | instid1(VALU_DEP_2)
	v_fmac_f32_e32 v2, 0xcf800000, v3
	v_cvt_u32_f32_e32 v3, v3
	v_cvt_u32_f32_e32 v2, v2
	s_delay_alu instid0(VALU_DEP_2) | instskip(NEXT) | instid1(VALU_DEP_2)
	v_readfirstlane_b32 s4, v3
	v_readfirstlane_b32 s5, v2
	s_delay_alu instid0(VALU_DEP_2) | instskip(NEXT) | instid1(VALU_DEP_1)
	s_mul_i32 s8, s6, s4
	s_mul_hi_u32 s10, s6, s5
	s_mul_i32 s9, s7, s5
	s_add_i32 s8, s10, s8
	s_mul_i32 s11, s6, s5
	s_add_i32 s8, s8, s9
	s_mul_hi_u32 s10, s5, s11
	s_mul_hi_u32 s12, s4, s11
	s_mul_i32 s9, s4, s11
	s_mul_hi_u32 s11, s5, s8
	s_mul_i32 s5, s5, s8
	s_mul_hi_u32 s13, s4, s8
	s_add_u32 s5, s10, s5
	s_addc_u32 s10, 0, s11
	s_add_u32 s5, s5, s9
	s_mul_i32 s8, s4, s8
	s_addc_u32 s5, s10, s12
	s_addc_u32 s9, s13, 0
	s_add_u32 s5, s5, s8
	s_addc_u32 s8, 0, s9
	v_add_co_u32 v2, s5, v2, s5
	s_delay_alu instid0(VALU_DEP_1) | instskip(SKIP_1) | instid1(VALU_DEP_1)
	s_cmp_lg_u32 s5, 0
	s_addc_u32 s4, s4, s8
	v_readfirstlane_b32 s5, v2
	s_mul_i32 s8, s6, s4
	s_delay_alu instid0(VALU_DEP_1)
	s_mul_hi_u32 s9, s6, s5
	s_mul_i32 s7, s7, s5
	s_add_i32 s8, s9, s8
	s_mul_i32 s6, s6, s5
	s_add_i32 s8, s8, s7
	s_mul_hi_u32 s9, s4, s6
	s_mul_i32 s10, s4, s6
	s_mul_hi_u32 s6, s5, s6
	s_mul_hi_u32 s11, s5, s8
	s_mul_i32 s5, s5, s8
	s_mul_hi_u32 s7, s4, s8
	s_add_u32 s5, s6, s5
	s_addc_u32 s6, 0, s11
	s_add_u32 s5, s5, s10
	s_mul_i32 s8, s4, s8
	s_addc_u32 s5, s6, s9
	s_addc_u32 s6, s7, 0
	s_add_u32 s5, s5, s8
	s_addc_u32 s6, 0, s6
	v_add_co_u32 v2, s5, v2, s5
	s_delay_alu instid0(VALU_DEP_1) | instskip(SKIP_1) | instid1(VALU_DEP_1)
	s_cmp_lg_u32 s5, 0
	s_addc_u32 s4, s4, s6
	v_readfirstlane_b32 s5, v2
	s_mul_i32 s7, s24, s4
	s_mul_hi_u32 s6, s24, s4
	s_mul_hi_u32 s8, s25, s4
	s_mul_i32 s4, s25, s4
	s_mul_hi_u32 s9, s24, s5
	s_mul_hi_u32 s10, s25, s5
	s_mul_i32 s5, s25, s5
	s_add_u32 s7, s9, s7
	s_addc_u32 s6, 0, s6
	s_add_u32 s5, s7, s5
	s_addc_u32 s5, s6, s10
	s_addc_u32 s6, s8, 0
	s_add_u32 s4, s5, s4
	s_addc_u32 s5, 0, s6
	s_mul_hi_u32 s6, s54, s4
	s_mul_i32 s4, s54, s4
	s_mul_i32 s5, s54, s5
	v_sub_co_u32 v2, s4, s24, s4
	s_add_i32 s6, s6, s5
	s_cmp_lg_u32 s4, 0
	s_delay_alu instid0(VALU_DEP_1) | instskip(SKIP_2) | instid1(VALU_DEP_1)
	v_sub_co_u32 v3, s4, v2, s54
	s_subb_u32 s5, s25, s6
	s_cmp_lg_u32 s4, 0
	v_cmp_le_u32_e32 vcc_lo, s54, v3
	v_sub_co_u32 v4, s4, v3, s54
	s_subb_u32 s6, s5, 0
	s_cmp_lg_u32 s4, 0
	v_cndmask_b32_e64 v5, 0, -1, vcc_lo
	s_subb_u32 s4, s6, 0
	s_cmp_eq_u32 s6, 0
	v_mov_b32_e32 v7, s4
	s_cselect_b32 vcc_lo, -1, 0
	s_cmp_eq_u32 s5, 0
	v_cndmask_b32_e32 v5, -1, v5, vcc_lo
	v_cmp_le_u32_e32 vcc_lo, s54, v2
	s_cselect_b32 s4, -1, 0
	v_cndmask_b32_e64 v6, 0, -1, vcc_lo
	s_delay_alu instid0(VALU_DEP_3) | instskip(NEXT) | instid1(VALU_DEP_2)
	v_cmp_ne_u32_e32 vcc_lo, 0, v5
	v_cndmask_b32_e64 v5, -1, v6, s4
	v_cndmask_b32_e32 v6, s6, v7, vcc_lo
	v_cndmask_b32_e32 v4, v3, v4, vcc_lo
	s_delay_alu instid0(VALU_DEP_3) | instskip(NEXT) | instid1(VALU_DEP_3)
	v_cmp_ne_u32_e32 vcc_lo, 0, v5
	v_cndmask_b32_e32 v3, s5, v6, vcc_lo
	s_delay_alu instid0(VALU_DEP_3)
	v_cndmask_b32_e32 v2, v2, v4, vcc_lo
	s_cbranch_execnz .LBB135_80
.LBB135_79:                             ;   in Loop: Header=BB135_46 Depth=1
	v_cvt_f32_u32_e32 v2, s54
	s_sub_i32 s4, 0, s54
	s_delay_alu instid0(VALU_DEP_1) | instskip(SKIP_2) | instid1(VALU_DEP_1)
	v_rcp_iflag_f32_e32 v2, v2
	s_waitcnt_depctr 0xfff
	v_mul_f32_e32 v2, 0x4f7ffffe, v2
	v_cvt_u32_f32_e32 v2, v2
	s_delay_alu instid0(VALU_DEP_1) | instskip(NEXT) | instid1(VALU_DEP_1)
	v_mul_lo_u32 v3, s4, v2
	v_mul_hi_u32 v3, v2, v3
	s_delay_alu instid0(VALU_DEP_1) | instskip(NEXT) | instid1(VALU_DEP_1)
	v_add_nc_u32_e32 v2, v2, v3
	v_mul_hi_u32 v2, s24, v2
	s_delay_alu instid0(VALU_DEP_1) | instskip(NEXT) | instid1(VALU_DEP_1)
	v_mul_lo_u32 v2, v2, s54
	v_sub_nc_u32_e32 v2, s24, v2
	s_delay_alu instid0(VALU_DEP_1) | instskip(SKIP_1) | instid1(VALU_DEP_2)
	v_subrev_nc_u32_e32 v3, s54, v2
	v_cmp_le_u32_e32 vcc_lo, s54, v2
	v_cndmask_b32_e32 v2, v2, v3, vcc_lo
	s_delay_alu instid0(VALU_DEP_1) | instskip(SKIP_1) | instid1(VALU_DEP_2)
	v_subrev_nc_u32_e32 v3, s54, v2
	v_cmp_le_u32_e32 vcc_lo, s54, v2
	v_cndmask_b32_e32 v14, v2, v3, vcc_lo
	s_delay_alu instid0(VALU_DEP_1)
	v_dual_mov_b32 v2, v14 :: v_dual_mov_b32 v3, v15
.LBB135_80:                             ;   in Loop: Header=BB135_46 Depth=1
	s_delay_alu instid0(VALU_DEP_1) | instskip(NEXT) | instid1(VALU_DEP_2)
	v_sub_co_u32 v26, vcc_lo, s24, v2
	v_sub_co_ci_u32_e32 v27, vcc_lo, s25, v3, vcc_lo
	v_mov_b32_e32 v2, 0
	v_mov_b32_e32 v3, 0
	s_mov_b64 s[66:67], 0
	s_mov_b32 s65, exec_lo
	s_delay_alu instid0(VALU_DEP_1)
	v_dual_mov_b32 v5, v3 :: v_dual_mov_b32 v4, v2
	v_dual_mov_b32 v7, v3 :: v_dual_mov_b32 v6, v2
	;; [unrolled: 1-line block ×3, first 2 shown]
	v_cmpx_gt_u64_e64 v[26:27], v[12:13]
	s_cbranch_execz .LBB135_84
; %bb.81:                               ;   in Loop: Header=BB135_46 Depth=1
	v_dual_mov_b32 v29, v25 :: v_dual_mov_b32 v28, v24
	v_dual_mov_b32 v31, v23 :: v_dual_mov_b32 v30, v22
	;; [unrolled: 1-line block ×5, first 2 shown]
	s_mul_i32 s4, s63, s52
	s_mul_hi_u32 s5, s62, s52
	s_and_b32 s99, s92, 0xfe
	s_add_i32 s100, s5, s4
	s_mul_i32 s101, s62, s52
	s_mov_b32 s102, 0
	s_mov_b64 s[68:69], 0
	s_mov_b64 s[70:71], 0
	;; [unrolled: 1-line block ×3, first 2 shown]
.LBB135_82:                             ;   Parent Loop BB135_46 Depth=1
                                        ; =>  This Inner Loop Header: Depth=2
	v_add_co_u32 v2, vcc_lo, v28, s48
	v_add_co_ci_u32_e32 v3, vcc_lo, s49, v29, vcc_lo
	v_add_co_u32 v4, vcc_lo, v30, s48
	v_add_co_ci_u32_e32 v5, vcc_lo, s49, v31, vcc_lo
	;; [unrolled: 2-line block ×4, first 2 shown]
	global_load_u16 v2, v[2:3], off
	global_load_u16 v3, v[4:5], off
	;; [unrolled: 1-line block ×4, first 2 shown]
	v_add_co_u32 v36, vcc_lo, v36, s54
	v_add_co_ci_u32_e32 v37, vcc_lo, 0, v37, vcc_lo
	v_add_co_u32 v34, vcc_lo, v34, s101
	v_add_co_ci_u32_e32 v35, vcc_lo, s100, v35, vcc_lo
	;; [unrolled: 2-line block ×5, first 2 shown]
	v_cmp_ge_u64_e32 vcc_lo, v[36:37], v[26:27]
	s_waitcnt vmcnt(3)
	v_cmp_lt_i16_e64 s4, -1, v2
	v_and_b32_e32 v6, 0xffff, v2
	s_waitcnt vmcnt(2)
	v_and_b32_e32 v8, 0xffff, v3
	s_waitcnt vmcnt(1)
	v_and_b32_e32 v14, 0xffff, v4
	v_cmp_o_f16_e64 s7, v2, v2
	v_cndmask_b32_e64 v7, 0xffff, v45, s4
	v_cmp_lt_i16_e64 s4, -1, v3
	s_waitcnt vmcnt(0)
	v_and_b32_e32 v48, 0xffff, v5
	v_cmp_o_f16_e64 s5, v4, v4
	v_cmp_o_f16_e64 s6, v5, v5
	v_xor_b32_e32 v6, v7, v6
	v_cndmask_b32_e64 v9, 0xffff, v45, s4
	v_cmp_lt_i16_e64 s4, -1, v4
	s_delay_alu instid0(VALU_DEP_3) | instskip(NEXT) | instid1(VALU_DEP_3)
	v_cndmask_b32_e64 v2, 0xffff, v6, s7
	v_xor_b32_e32 v7, v9, v8
	s_delay_alu instid0(VALU_DEP_3) | instskip(SKIP_1) | instid1(VALU_DEP_4)
	v_cndmask_b32_e64 v47, 0xffff, v45, s4
	v_cmp_lt_i16_e64 s4, -1, v5
	v_and_b32_e32 v6, s98, v2
	v_bfe_u32 v2, v2, s99, 2
	s_delay_alu instid0(VALU_DEP_3) | instskip(SKIP_2) | instid1(VALU_DEP_4)
	v_cndmask_b32_e64 v49, 0xffff, v45, s4
	v_cmp_o_f16_e64 s4, v3, v3
	v_xor_b32_e32 v3, v47, v14
	v_cmp_eq_u32_e64 s8, 0, v2
	v_cmp_eq_u32_e64 s12, 1, v2
	v_xor_b32_e32 v4, v49, v48
	v_cndmask_b32_e64 v5, 0xffff, v7, s4
	v_cndmask_b32_e64 v3, 0xffff, v3, s5
	v_cmp_eq_u32_e64 s4, s97, v6
	v_cmp_eq_u32_e64 s16, 2, v2
	v_cndmask_b32_e64 v4, 0xffff, v4, s6
	v_and_b32_e32 v7, s98, v5
	v_bfe_u32 v5, v5, s99, 2
	v_and_b32_e32 v8, s98, v3
	v_bfe_u32 v3, v3, s99, 2
	;; [unrolled: 2-line block ×3, first 2 shown]
	v_cmp_eq_u32_e64 s5, s97, v7
	v_cmp_eq_u32_e64 s9, 0, v5
	;; [unrolled: 1-line block ×4, first 2 shown]
	s_and_b32 s8, s4, s8
	v_cmp_eq_u32_e64 s7, s97, v9
	v_cmp_eq_u32_e64 s11, 0, v4
	v_cmp_eq_u32_e64 s20, 3, v2
	v_cndmask_b32_e64 v2, 0, 1, s8
	s_and_b32 s8, s5, s9
	v_cmp_eq_u32_e64 s14, 1, v3
	v_cmp_eq_u32_e64 s18, 2, v3
	v_cmp_eq_u32_e64 s22, 3, v3
	v_cndmask_b32_e64 v3, 0, 1, s8
	s_and_b32 s8, s6, s10
	v_cmp_eq_u32_e64 s15, 1, v4
	v_cmp_eq_u32_e64 s19, 2, v4
	v_cmp_eq_u32_e64 s23, 3, v4
	v_cndmask_b32_e64 v4, 0, 1, s8
	s_and_b32 s8, s7, s11
	v_cmp_eq_u32_e64 s13, 1, v5
	v_cmp_eq_u32_e64 s17, 2, v5
	v_cmp_eq_u32_e64 s21, 3, v5
	v_cndmask_b32_e64 v5, 0, 1, s8
	v_cmp_ne_u32_e64 s8, 0, v2
	v_cmp_ne_u32_e64 s9, 0, v3
	;; [unrolled: 1-line block ×3, first 2 shown]
	s_delay_alu instid0(VALU_DEP_4) | instskip(NEXT) | instid1(VALU_DEP_4)
	v_cmp_ne_u32_e64 s11, 0, v5
	s_bcnt1_i32_b32 s8, s8
	s_delay_alu instid0(VALU_DEP_3) | instskip(NEXT) | instid1(VALU_DEP_2)
	s_bcnt1_i32_b32 s9, s9
	s_bcnt1_i32_b32 s10, s10
	s_add_i32 s8, s9, s8
	s_bcnt1_i32_b32 s11, s11
	s_add_i32 s8, s8, s10
	s_delay_alu instid0(SALU_CYCLE_1) | instskip(NEXT) | instid1(SALU_CYCLE_1)
	s_add_i32 s8, s8, s11
	s_add_u32 s72, s72, s8
	s_addc_u32 s73, s73, 0
	s_and_b32 s8, s4, s12
	s_delay_alu instid0(SALU_CYCLE_1) | instskip(SKIP_1) | instid1(SALU_CYCLE_1)
	v_cndmask_b32_e64 v2, 0, 1, s8
	s_and_b32 s8, s5, s13
	v_cndmask_b32_e64 v3, 0, 1, s8
	s_and_b32 s8, s6, s14
	s_delay_alu instid0(SALU_CYCLE_1) | instskip(SKIP_1) | instid1(VALU_DEP_2)
	v_cndmask_b32_e64 v4, 0, 1, s8
	s_and_b32 s8, s7, s15
	v_cmp_ne_u32_e64 s9, 0, v3
	v_cndmask_b32_e64 v5, 0, 1, s8
	v_cmp_ne_u32_e64 s8, 0, v2
	v_cmp_ne_u32_e64 s10, 0, v4
	s_delay_alu instid0(VALU_DEP_4) | instskip(NEXT) | instid1(VALU_DEP_3)
	s_bcnt1_i32_b32 s9, s9
	v_cmp_ne_u32_e64 s11, 0, v5
	s_delay_alu instid0(VALU_DEP_3) | instskip(NEXT) | instid1(VALU_DEP_2)
	s_bcnt1_i32_b32 s8, s8
	s_bcnt1_i32_b32 s10, s10
	s_add_i32 s8, s9, s8
	s_delay_alu instid0(VALU_DEP_1) | instskip(SKIP_1) | instid1(SALU_CYCLE_1)
	s_bcnt1_i32_b32 s11, s11
	s_add_i32 s8, s8, s10
	s_add_i32 s8, s8, s11
	s_delay_alu instid0(SALU_CYCLE_1) | instskip(SKIP_2) | instid1(SALU_CYCLE_1)
	s_add_u32 s70, s70, s8
	s_addc_u32 s71, s71, 0
	s_and_b32 s8, s4, s16
	v_cndmask_b32_e64 v2, 0, 1, s8
	s_and_b32 s8, s5, s17
	s_delay_alu instid0(SALU_CYCLE_1) | instskip(SKIP_1) | instid1(SALU_CYCLE_1)
	v_cndmask_b32_e64 v3, 0, 1, s8
	s_and_b32 s8, s6, s18
	v_cndmask_b32_e64 v4, 0, 1, s8
	s_and_b32 s8, s7, s19
	s_delay_alu instid0(VALU_DEP_2) | instskip(SKIP_3) | instid1(VALU_DEP_4)
	v_cmp_ne_u32_e64 s9, 0, v3
	v_cndmask_b32_e64 v5, 0, 1, s8
	v_cmp_ne_u32_e64 s8, 0, v2
	v_cmp_ne_u32_e64 s10, 0, v4
	s_bcnt1_i32_b32 s9, s9
	s_delay_alu instid0(VALU_DEP_3) | instskip(NEXT) | instid1(VALU_DEP_3)
	v_cmp_ne_u32_e64 s11, 0, v5
	s_bcnt1_i32_b32 s8, s8
	s_delay_alu instid0(VALU_DEP_2) | instskip(SKIP_1) | instid1(VALU_DEP_1)
	s_bcnt1_i32_b32 s10, s10
	s_add_i32 s8, s9, s8
	s_bcnt1_i32_b32 s11, s11
	s_add_i32 s8, s8, s10
	s_delay_alu instid0(SALU_CYCLE_1) | instskip(NEXT) | instid1(SALU_CYCLE_1)
	s_add_i32 s8, s8, s11
	s_add_u32 s68, s68, s8
	s_addc_u32 s69, s69, 0
	s_and_b32 s4, s4, s20
	v_mov_b32_e32 v6, s68
	v_cndmask_b32_e64 v2, 0, 1, s4
	s_and_b32 s4, s5, s21
	v_mov_b32_e32 v7, s69
	v_cndmask_b32_e64 v3, 0, 1, s4
	s_and_b32 s4, s6, s22
	s_delay_alu instid0(SALU_CYCLE_1) | instskip(SKIP_1) | instid1(VALU_DEP_2)
	v_cndmask_b32_e64 v4, 0, 1, s4
	s_and_b32 s4, s7, s23
	v_cmp_ne_u32_e64 s5, 0, v3
	v_cndmask_b32_e64 v5, 0, 1, s4
	v_cmp_ne_u32_e64 s4, 0, v2
	v_cmp_ne_u32_e64 s6, 0, v4
	v_mov_b32_e32 v2, s72
	s_bcnt1_i32_b32 s5, s5
	v_cmp_ne_u32_e64 s7, 0, v5
	v_mov_b32_e32 v4, s70
	s_bcnt1_i32_b32 s4, s4
	s_bcnt1_i32_b32 s6, s6
	s_add_i32 s4, s5, s4
	s_bcnt1_i32_b32 s5, s7
	s_add_i32 s4, s4, s6
	v_mov_b32_e32 v3, s73
	s_add_i32 s4, s4, s5
	v_mov_b32_e32 v5, s71
	s_add_u32 s66, s66, s4
	s_addc_u32 s67, s67, 0
	s_delay_alu instid0(SALU_CYCLE_1) | instskip(SKIP_1) | instid1(SALU_CYCLE_1)
	v_dual_mov_b32 v8, s66 :: v_dual_mov_b32 v9, s67
	s_or_b32 s102, vcc_lo, s102
	s_and_not1_b32 exec_lo, exec_lo, s102
	s_cbranch_execnz .LBB135_82
; %bb.83:                               ;   in Loop: Header=BB135_46 Depth=1
	s_or_b32 exec_lo, exec_lo, s102
.LBB135_84:                             ;   in Loop: Header=BB135_46 Depth=1
	s_delay_alu instid0(SALU_CYCLE_1) | instskip(SKIP_3) | instid1(VALU_DEP_2)
	s_or_b32 exec_lo, exec_lo, s65
	v_add_co_u32 v26, vcc_lo, v26, v0
	v_add_co_ci_u32_e32 v27, vcc_lo, 0, v27, vcc_lo
	v_mov_b32_e32 v28, 0
	v_cmp_gt_u64_e32 vcc_lo, s[24:25], v[26:27]
	s_and_saveexec_b32 s5, vcc_lo
	s_cbranch_execz .LBB135_86
; %bb.85:                               ;   in Loop: Header=BB135_46 Depth=1
	v_mul_lo_u32 v14, v27, s28
	v_mul_lo_u32 v30, v26, s29
	v_mad_u64_u32 v[28:29], null, v26, s28, 0
	s_delay_alu instid0(VALU_DEP_1) | instskip(NEXT) | instid1(VALU_DEP_1)
	v_add3_u32 v29, v29, v30, v14
	v_lshlrev_b64 v[28:29], 1, v[28:29]
	s_delay_alu instid0(VALU_DEP_1) | instskip(NEXT) | instid1(VALU_DEP_1)
	v_add_co_u32 v28, s4, s75, v28
	v_add_co_ci_u32_e64 v29, s4, s76, v29, s4
	global_load_u16 v28, v[28:29], off
.LBB135_86:                             ;   in Loop: Header=BB135_46 Depth=1
	s_or_b32 exec_lo, exec_lo, s5
	s_and_saveexec_b32 s8, vcc_lo
	s_cbranch_execz .LBB135_93
; %bb.87:                               ;   in Loop: Header=BB135_46 Depth=1
	s_and_b32 s10, s92, 0xfe
	s_mov_b32 s9, 0
	s_branch .LBB135_89
.LBB135_88:                             ;   in Loop: Header=BB135_89 Depth=2
	s_or_b32 exec_lo, exec_lo, s5
	s_waitcnt vmcnt(0)
	v_cmp_lt_i16_e64 s4, -1, v28
	v_and_b32_e32 v29, 0xffff, v28
	s_and_b32 s5, exec_lo, vcc_lo
	s_delay_alu instid0(SALU_CYCLE_1) | instskip(NEXT) | instid1(VALU_DEP_2)
	s_or_b32 s9, s5, s9
	v_cndmask_b32_e64 v30, 0xffff, v45, s4
	v_cmp_o_f16_e64 s4, v28, v28
	s_delay_alu instid0(VALU_DEP_2) | instskip(NEXT) | instid1(VALU_DEP_1)
	v_xor_b32_e32 v29, v30, v29
	v_cndmask_b32_e64 v28, 0xffff, v29, s4
	s_delay_alu instid0(VALU_DEP_1) | instskip(SKIP_1) | instid1(VALU_DEP_2)
	v_and_b32_e32 v29, s98, v28
	v_bfe_u32 v28, v28, s10, 2
	v_cmp_eq_u32_e32 vcc_lo, s97, v29
	s_delay_alu instid0(VALU_DEP_2) | instskip(SKIP_3) | instid1(VALU_DEP_4)
	v_cmp_eq_u32_e64 s4, 0, v28
	v_cmp_eq_u32_e64 s5, 1, v28
	;; [unrolled: 1-line block ×4, first 2 shown]
	s_and_b32 s4, vcc_lo, s4
	s_delay_alu instid0(SALU_CYCLE_1) | instskip(SKIP_1) | instid1(SALU_CYCLE_1)
	v_cndmask_b32_e64 v28, 0, 1, s4
	s_and_b32 s4, vcc_lo, s5
	v_cndmask_b32_e64 v29, 0, 1, s4
	s_and_b32 s4, vcc_lo, s6
	s_delay_alu instid0(SALU_CYCLE_1)
	v_cndmask_b32_e64 v30, 0, 1, s4
	s_and_b32 s4, vcc_lo, s7
	v_cmp_ne_u32_e32 vcc_lo, 0, v28
	v_mov_b32_e32 v28, v14
	v_cndmask_b32_e64 v31, 0, 1, s4
	v_cmp_ne_u32_e64 s4, 0, v29
	v_cmp_ne_u32_e64 s5, 0, v30
	s_bcnt1_i32_b32 s7, vcc_lo
	s_delay_alu instid0(SALU_CYCLE_1) | instskip(NEXT) | instid1(VALU_DEP_3)
	v_add_co_u32 v2, vcc_lo, v2, s7
	s_bcnt1_i32_b32 s4, s4
	v_cmp_ne_u32_e64 s6, 0, v31
	v_add_co_ci_u32_e32 v3, vcc_lo, 0, v3, vcc_lo
	v_add_co_u32 v4, vcc_lo, v4, s4
	s_bcnt1_i32_b32 s5, s5
	v_add_co_ci_u32_e32 v5, vcc_lo, 0, v5, vcc_lo
	v_add_co_u32 v6, vcc_lo, v6, s5
	s_bcnt1_i32_b32 s4, s6
	v_add_co_ci_u32_e32 v7, vcc_lo, 0, v7, vcc_lo
	v_add_co_u32 v8, vcc_lo, v8, s4
	v_add_co_ci_u32_e32 v9, vcc_lo, 0, v9, vcc_lo
	s_and_not1_b32 exec_lo, exec_lo, s9
	s_cbranch_execz .LBB135_92
.LBB135_89:                             ;   Parent Loop BB135_46 Depth=1
                                        ; =>  This Inner Loop Header: Depth=2
	v_add_co_u32 v26, vcc_lo, v26, s52
	v_add_co_ci_u32_e32 v27, vcc_lo, 0, v27, vcc_lo
	v_mov_b32_e32 v14, 0
	s_mov_b32 s5, exec_lo
	s_delay_alu instid0(VALU_DEP_2)
	v_cmp_le_u64_e32 vcc_lo, s[24:25], v[26:27]
	v_cmpx_gt_u64_e64 s[24:25], v[26:27]
	s_cbranch_execz .LBB135_88
; %bb.90:                               ;   in Loop: Header=BB135_89 Depth=2
	v_mul_lo_u32 v14, v27, s28
	v_mul_lo_u32 v31, v26, s29
	v_mad_u64_u32 v[29:30], null, v26, s28, 0
	s_delay_alu instid0(VALU_DEP_1) | instskip(NEXT) | instid1(VALU_DEP_1)
	v_add3_u32 v30, v30, v31, v14
	v_lshlrev_b64 v[29:30], 1, v[29:30]
	s_delay_alu instid0(VALU_DEP_1) | instskip(NEXT) | instid1(VALU_DEP_1)
	v_add_co_u32 v29, s4, s75, v29
	v_add_co_ci_u32_e64 v30, s4, s76, v30, s4
	global_load_u16 v14, v[29:30], off
	s_branch .LBB135_88
.LBB135_91:                             ;   in Loop: Header=BB135_46 Depth=1
                                        ; implicit-def: $vgpr8_vgpr9
                                        ; implicit-def: $vgpr4_vgpr5
	s_cbranch_execnz .LBB135_94
	s_branch .LBB135_103
.LBB135_92:                             ;   in Loop: Header=BB135_46 Depth=1
	s_or_b32 exec_lo, exec_lo, s9
.LBB135_93:                             ;   in Loop: Header=BB135_46 Depth=1
	s_delay_alu instid0(SALU_CYCLE_1)
	s_or_b32 exec_lo, exec_lo, s8
	s_branch .LBB135_103
.LBB135_94:                             ;   in Loop: Header=BB135_46 Depth=1
	global_load_u16 v8, v15, s[56:57]
	s_mov_b64 s[66:67], 0
	s_mov_b32 s65, exec_lo
	s_waitcnt vmcnt(0)
	v_readfirstlane_b32 s4, v8
	v_and_b32_e32 v28, 0xffff, v8
	s_delay_alu instid0(VALU_DEP_2) | instskip(NEXT) | instid1(SALU_CYCLE_1)
	s_and_b32 s4, 0xffff, s4
	s_lshl_b32 s54, s4, 2
	s_delay_alu instid0(SALU_CYCLE_1) | instskip(SKIP_1) | instid1(VALU_DEP_1)
	v_cvt_f32_u32_e32 v2, s54
	s_sub_i32 s5, 0, s54
	v_rcp_iflag_f32_e32 v2, v2
	s_waitcnt_depctr 0xfff
	v_mul_f32_e32 v2, 0x4f7ffffe, v2
	s_delay_alu instid0(VALU_DEP_1) | instskip(NEXT) | instid1(VALU_DEP_1)
	v_cvt_u32_f32_e32 v2, v2
	v_readfirstlane_b32 s4, v2
	v_mov_b32_e32 v2, 0
	v_mov_b32_e32 v3, 0
	s_delay_alu instid0(VALU_DEP_3) | instskip(NEXT) | instid1(VALU_DEP_1)
	s_mul_i32 s5, s5, s4
	v_dual_mov_b32 v5, v3 :: v_dual_mov_b32 v4, v2
	s_mul_hi_u32 s5, s4, s5
	v_dual_mov_b32 v7, v3 :: v_dual_mov_b32 v6, v2
	s_add_i32 s4, s4, s5
	v_dual_mov_b32 v9, v3 :: v_dual_mov_b32 v8, v2
	s_mul_hi_u32 s4, s64, s4
	s_delay_alu instid0(SALU_CYCLE_1) | instskip(NEXT) | instid1(SALU_CYCLE_1)
	s_mul_i32 s4, s4, s54
	s_sub_i32 s4, s64, s4
	s_delay_alu instid0(SALU_CYCLE_1) | instskip(SKIP_2) | instid1(SALU_CYCLE_1)
	s_sub_i32 s5, s4, s54
	s_cmp_ge_u32 s4, s54
	s_cselect_b32 s4, s5, s4
	s_sub_i32 s5, s4, s54
	s_cmp_ge_u32 s4, s54
	s_cselect_b32 s4, s5, s4
	s_delay_alu instid0(SALU_CYCLE_1) | instskip(NEXT) | instid1(SALU_CYCLE_1)
	s_sub_i32 s52, s64, s4
	v_cmpx_gt_u32_e64 s52, v12
	s_cbranch_execz .LBB135_98
; %bb.95:                               ;   in Loop: Header=BB135_46 Depth=1
	v_dual_mov_b32 v29, v42 :: v_dual_lshlrev_b32 v14, 3, v28
	v_dual_mov_b32 v27, v13 :: v_dual_mov_b32 v26, v12
	s_and_b32 s99, s92, 0xfe
	s_mov_b32 s100, 0
	s_mov_b64 s[68:69], 0
	s_mov_b64 s[70:71], 0
	s_mov_b64 s[72:73], 0
.LBB135_96:                             ;   Parent Loop BB135_46 Depth=1
                                        ; =>  This Inner Loop Header: Depth=2
	ds_load_b64 v[2:3], v29
	v_add_co_u32 v26, vcc_lo, v26, s54
	v_add_co_ci_u32_e32 v27, vcc_lo, 0, v27, vcc_lo
	s_delay_alu instid0(VALU_DEP_1)
	v_cmp_le_u64_e32 vcc_lo, s[52:53], v[26:27]
	s_waitcnt lgkmcnt(0)
	v_cmp_lt_i16_e64 s4, -1, v2
	v_lshrrev_b32_e32 v4, 16, v2
	v_lshrrev_b32_e32 v9, 16, v3
	v_and_b32_e32 v5, 0xffff, v2
	v_and_b32_e32 v7, 0xffff, v3
	v_cndmask_b32_e64 v6, 0xffff, v45, s4
	v_cmp_lt_i16_e64 s4, -1, v3
	v_cmp_lt_i16_e64 s5, -1, v9
	s_delay_alu instid0(VALU_DEP_3) | instskip(NEXT) | instid1(VALU_DEP_3)
	v_xor_b32_e32 v5, v6, v5
	v_cndmask_b32_e64 v8, 0xffff, v45, s4
	v_cmp_lt_i16_e64 s4, -1, v4
	s_delay_alu instid0(VALU_DEP_2) | instskip(NEXT) | instid1(VALU_DEP_2)
	v_xor_b32_e32 v7, v8, v7
	v_cndmask_b32_e64 v6, 0xffff, v45, s4
	v_cmp_o_f16_e64 s4, v3, v3
	v_cndmask_b32_e64 v3, 0xffff, v45, s5
	v_cmp_o_f16_e64 s5, v2, v2
	s_delay_alu instid0(VALU_DEP_2) | instskip(NEXT) | instid1(VALU_DEP_2)
	v_xor_b32_e32 v3, v3, v9
	v_cndmask_b32_e64 v2, 0xffff, v5, s5
	v_xor_b32_e32 v5, v6, v4
	v_cmp_o_f16_e64 s5, v4, v4
	v_cndmask_b32_e64 v6, 0xffff, v7, s4
	v_cmp_o_f16_e64 s4, v9, v9
	s_delay_alu instid0(VALU_DEP_3) | instskip(SKIP_1) | instid1(VALU_DEP_3)
	v_cndmask_b32_e64 v4, 0xffff, v5, s5
	v_and_b32_e32 v5, s98, v2
	v_cndmask_b32_e64 v3, 0xffff, v3, s4
	v_and_b32_e32 v7, s98, v6
	v_bfe_u32 v2, v2, s99, 2
	v_bfe_u32 v6, v6, s99, 2
	v_cmp_eq_u32_e64 s4, s97, v5
	v_and_b32_e32 v5, s98, v4
	v_bfe_u32 v4, v4, s99, 2
	v_cmp_eq_u32_e64 s5, s97, v7
	v_and_b32_e32 v7, s98, v3
	v_bfe_u32 v3, v3, s99, 2
	v_cmp_eq_u32_e64 s6, 0, v2
	v_cmp_eq_u32_e64 s14, s97, v5
	;; [unrolled: 1-line block ×6, first 2 shown]
	s_and_b32 s6, s4, s6
	s_and_b32 s16, s14, s16
	v_cmp_eq_u32_e64 s8, 1, v2
	v_cmp_eq_u32_e64 s10, 2, v2
	;; [unrolled: 1-line block ×3, first 2 shown]
	v_cndmask_b32_e64 v2, 0, 1, s6
	s_and_b32 s6, s5, s7
	v_cmp_eq_u32_e64 s7, 1, v3
	v_cmp_eq_u32_e64 s19, 2, v3
	v_cmp_eq_u32_e64 s21, 3, v3
	v_cndmask_b32_e64 v3, 0, 1, s16
	v_cndmask_b32_e64 v5, 0, 1, s6
	s_and_b32 s16, s15, s17
	v_cmp_eq_u32_e64 s6, 1, v4
	v_cmp_eq_u32_e64 s18, 2, v4
	;; [unrolled: 1-line block ×3, first 2 shown]
	v_cndmask_b32_e64 v4, 0, 1, s16
	v_cmp_ne_u32_e64 s16, 0, v2
	v_cmp_ne_u32_e64 s22, 0, v3
	;; [unrolled: 1-line block ×3, first 2 shown]
	v_cmp_eq_u32_e64 s9, 1, v6
	v_cmp_ne_u32_e64 s23, 0, v4
	s_bcnt1_i32_b32 s16, s16
	s_bcnt1_i32_b32 s22, s22
	;; [unrolled: 1-line block ×3, first 2 shown]
	s_add_i32 s16, s22, s16
	s_bcnt1_i32_b32 s23, s23
	s_add_i32 s16, s16, s17
	v_cmp_eq_u32_e64 s11, 2, v6
	s_add_i32 s16, s16, s23
	v_cmp_eq_u32_e64 s13, 3, v6
	s_add_u32 s72, s72, s16
	s_addc_u32 s73, s73, 0
	s_and_b32 s8, s4, s8
	s_and_b32 s6, s14, s6
	v_cndmask_b32_e64 v2, 0, 1, s8
	v_cndmask_b32_e64 v3, 0, 1, s6
	s_and_b32 s6, s5, s9
	v_add_nc_u32_e32 v29, v29, v14
	v_cndmask_b32_e64 v4, 0, 1, s6
	s_and_b32 s6, s15, s7
	v_cmp_ne_u32_e64 s7, 0, v3
	v_cndmask_b32_e64 v5, 0, 1, s6
	v_cmp_ne_u32_e64 s6, 0, v2
	v_cmp_ne_u32_e64 s8, 0, v4
	s_delay_alu instid0(VALU_DEP_4) | instskip(NEXT) | instid1(VALU_DEP_3)
	s_bcnt1_i32_b32 s7, s7
	v_cmp_ne_u32_e64 s9, 0, v5
	s_delay_alu instid0(VALU_DEP_3) | instskip(NEXT) | instid1(VALU_DEP_2)
	s_bcnt1_i32_b32 s6, s6
	s_bcnt1_i32_b32 s8, s8
	s_add_i32 s6, s7, s6
	s_delay_alu instid0(VALU_DEP_1) | instskip(SKIP_1) | instid1(SALU_CYCLE_1)
	s_bcnt1_i32_b32 s9, s9
	s_add_i32 s6, s6, s8
	s_add_i32 s6, s6, s9
	s_delay_alu instid0(SALU_CYCLE_1) | instskip(SKIP_2) | instid1(SALU_CYCLE_1)
	s_add_u32 s70, s70, s6
	s_addc_u32 s71, s71, 0
	s_and_b32 s6, s4, s10
	v_cndmask_b32_e64 v2, 0, 1, s6
	s_and_b32 s6, s14, s18
	s_delay_alu instid0(SALU_CYCLE_1) | instskip(SKIP_1) | instid1(SALU_CYCLE_1)
	v_cndmask_b32_e64 v3, 0, 1, s6
	s_and_b32 s6, s5, s11
	v_cndmask_b32_e64 v4, 0, 1, s6
	s_and_b32 s6, s15, s19
	s_delay_alu instid0(VALU_DEP_2) | instskip(SKIP_3) | instid1(VALU_DEP_4)
	v_cmp_ne_u32_e64 s7, 0, v3
	v_cndmask_b32_e64 v5, 0, 1, s6
	v_cmp_ne_u32_e64 s6, 0, v2
	v_cmp_ne_u32_e64 s8, 0, v4
	s_bcnt1_i32_b32 s7, s7
	s_delay_alu instid0(VALU_DEP_3) | instskip(NEXT) | instid1(VALU_DEP_3)
	v_cmp_ne_u32_e64 s9, 0, v5
	s_bcnt1_i32_b32 s6, s6
	s_delay_alu instid0(VALU_DEP_2) | instskip(SKIP_1) | instid1(VALU_DEP_1)
	s_bcnt1_i32_b32 s8, s8
	s_add_i32 s6, s7, s6
	s_bcnt1_i32_b32 s9, s9
	s_add_i32 s6, s6, s8
	s_delay_alu instid0(SALU_CYCLE_1) | instskip(NEXT) | instid1(SALU_CYCLE_1)
	s_add_i32 s6, s6, s9
	s_add_u32 s68, s68, s6
	s_addc_u32 s69, s69, 0
	s_and_b32 s4, s4, s12
	v_mov_b32_e32 v6, s68
	v_cndmask_b32_e64 v2, 0, 1, s4
	s_and_b32 s4, s14, s20
	v_mov_b32_e32 v7, s69
	v_cndmask_b32_e64 v3, 0, 1, s4
	s_and_b32 s4, s5, s13
	s_delay_alu instid0(SALU_CYCLE_1) | instskip(SKIP_1) | instid1(VALU_DEP_2)
	v_cndmask_b32_e64 v4, 0, 1, s4
	s_and_b32 s4, s15, s21
	v_cmp_ne_u32_e64 s5, 0, v3
	v_cndmask_b32_e64 v5, 0, 1, s4
	v_cmp_ne_u32_e64 s4, 0, v2
	v_mov_b32_e32 v2, s72
	v_cmp_ne_u32_e64 s6, 0, v4
	s_bcnt1_i32_b32 s5, s5
	v_cmp_ne_u32_e64 s7, 0, v5
	s_bcnt1_i32_b32 s4, s4
	v_mov_b32_e32 v4, s70
	s_bcnt1_i32_b32 s6, s6
	s_add_i32 s4, s5, s4
	s_bcnt1_i32_b32 s5, s7
	s_add_i32 s4, s4, s6
	v_mov_b32_e32 v3, s73
	s_add_i32 s4, s4, s5
	v_mov_b32_e32 v5, s71
	s_add_u32 s66, s66, s4
	s_addc_u32 s67, s67, 0
	s_delay_alu instid0(SALU_CYCLE_1) | instskip(SKIP_1) | instid1(SALU_CYCLE_1)
	v_dual_mov_b32 v8, s66 :: v_dual_mov_b32 v9, s67
	s_or_b32 s100, vcc_lo, s100
	s_and_not1_b32 exec_lo, exec_lo, s100
	s_cbranch_execnz .LBB135_96
; %bb.97:                               ;   in Loop: Header=BB135_46 Depth=1
	s_or_b32 exec_lo, exec_lo, s100
.LBB135_98:                             ;   in Loop: Header=BB135_46 Depth=1
	s_delay_alu instid0(SALU_CYCLE_1) | instskip(SKIP_2) | instid1(VALU_DEP_1)
	s_or_b32 exec_lo, exec_lo, s65
	v_add_nc_u32_e32 v14, s52, v0
	s_mov_b32 s9, exec_lo
	v_cmpx_gt_u32_e64 s64, v14
	s_cbranch_execz .LBB135_102
; %bb.99:                               ;   in Loop: Header=BB135_46 Depth=1
	v_dual_mov_b32 v27, v15 :: v_dual_lshlrev_b32 v30, 1, v28
	v_dual_mov_b32 v26, v14 :: v_dual_lshlrev_b32 v29, 1, v14
	s_mov_b32 s11, 0
	s_and_b32 s10, s64, 0x7fffffff
	s_and_b32 s13, s92, 0xfe
	s_mov_b32 s12, s11
.LBB135_100:                            ;   Parent Loop BB135_46 Depth=1
                                        ; =>  This Inner Loop Header: Depth=2
	ds_load_u16 v14, v29
	v_add_co_u32 v26, vcc_lo, v26, v28
	v_add_co_ci_u32_e32 v27, vcc_lo, 0, v27, vcc_lo
	v_add_nc_u32_e32 v29, v29, v30
	s_delay_alu instid0(VALU_DEP_2) | instskip(SKIP_3) | instid1(VALU_DEP_2)
	v_cmp_le_u64_e32 vcc_lo, s[10:11], v[26:27]
	s_waitcnt lgkmcnt(0)
	v_cmp_lt_i16_e64 s4, -1, v14
	v_and_b32_e32 v31, 0xffff, v14
	v_cndmask_b32_e64 v32, 0xffff, v45, s4
	v_cmp_o_f16_e64 s4, v14, v14
	s_delay_alu instid0(VALU_DEP_2) | instskip(NEXT) | instid1(VALU_DEP_1)
	v_xor_b32_e32 v31, v32, v31
	v_cndmask_b32_e64 v14, 0xffff, v31, s4
	s_delay_alu instid0(VALU_DEP_1) | instskip(SKIP_1) | instid1(VALU_DEP_2)
	v_and_b32_e32 v31, s98, v14
	v_bfe_u32 v14, v14, s13, 2
	v_cmp_eq_u32_e64 s4, s97, v31
	s_delay_alu instid0(VALU_DEP_2) | instskip(SKIP_3) | instid1(VALU_DEP_4)
	v_cmp_eq_u32_e64 s5, 0, v14
	v_cmp_eq_u32_e64 s6, 1, v14
	;; [unrolled: 1-line block ×4, first 2 shown]
	s_and_b32 s5, s4, s5
	s_delay_alu instid0(SALU_CYCLE_1) | instskip(SKIP_1) | instid1(SALU_CYCLE_1)
	v_cndmask_b32_e64 v14, 0, 1, s5
	s_and_b32 s5, s4, s6
	v_cndmask_b32_e64 v31, 0, 1, s5
	s_and_b32 s5, s4, s7
	s_and_b32 s4, s4, s8
	v_cndmask_b32_e64 v32, 0, 1, s5
	v_cndmask_b32_e64 v33, 0, 1, s4
	v_cmp_ne_u32_e64 s4, 0, v14
	v_cmp_ne_u32_e64 s5, 0, v31
	s_delay_alu instid0(VALU_DEP_4) | instskip(NEXT) | instid1(VALU_DEP_4)
	v_cmp_ne_u32_e64 s6, 0, v32
	v_cmp_ne_u32_e64 s7, 0, v33
	s_delay_alu instid0(VALU_DEP_4) | instskip(NEXT) | instid1(VALU_DEP_3)
	s_bcnt1_i32_b32 s4, s4
	s_bcnt1_i32_b32 s5, s5
	v_add_co_u32 v2, s4, v2, s4
	s_delay_alu instid0(VALU_DEP_1)
	v_add_co_ci_u32_e64 v3, s4, 0, v3, s4
	v_add_co_u32 v4, s4, v4, s5
	s_bcnt1_i32_b32 s6, s6
	v_add_co_ci_u32_e64 v5, s4, 0, v5, s4
	v_add_co_u32 v6, s4, v6, s6
	s_bcnt1_i32_b32 s7, s7
	v_add_co_ci_u32_e64 v7, s4, 0, v7, s4
	v_add_co_u32 v8, s4, v8, s7
	s_delay_alu instid0(VALU_DEP_1) | instskip(SKIP_1) | instid1(SALU_CYCLE_1)
	v_add_co_ci_u32_e64 v9, s4, 0, v9, s4
	s_or_b32 s12, vcc_lo, s12
	s_and_not1_b32 exec_lo, exec_lo, s12
	s_cbranch_execnz .LBB135_100
; %bb.101:                              ;   in Loop: Header=BB135_46 Depth=1
	s_or_b32 exec_lo, exec_lo, s12
.LBB135_102:                            ;   in Loop: Header=BB135_46 Depth=1
	s_delay_alu instid0(SALU_CYCLE_1)
	s_or_b32 exec_lo, exec_lo, s9
.LBB135_103:                            ;   in Loop: Header=BB135_46 Depth=1
	s_lshl_b32 s4, s95, 7
	s_and_saveexec_b32 s5, s1
	s_cbranch_execz .LBB135_105
; %bb.104:                              ;   in Loop: Header=BB135_46 Depth=1
	v_or_b32_e32 v14, s4, v41
	s_delay_alu instid0(VALU_DEP_1)
	v_lshlrev_b32_e32 v14, 3, v14
	ds_store_b128 v14, v[2:5] offset:3072
	ds_store_b128 v14, v[6:9] offset:3088
.LBB135_105:                            ;   in Loop: Header=BB135_46 Depth=1
	s_or_b32 exec_lo, exec_lo, s5
	s_waitcnt vmcnt(0) lgkmcnt(0)
	s_barrier
	buffer_gl0_inv
	s_and_saveexec_b32 s5, s77
	s_cbranch_execz .LBB135_116
; %bb.106:                              ;   in Loop: Header=BB135_46 Depth=1
	v_mov_b32_e32 v2, 0
	v_mov_b32_e32 v3, 0
	s_and_not1_b32 vcc_lo, exec_lo, s84
	s_cbranch_vccnz .LBB135_115
; %bb.107:                              ;   in Loop: Header=BB135_46 Depth=1
	v_mov_b32_e32 v2, 0
	v_mov_b32_e32 v3, 0
	s_and_not1_b32 vcc_lo, exec_lo, s82
	s_cbranch_vccnz .LBB135_112
; %bb.108:                              ;   in Loop: Header=BB135_46 Depth=1
	v_lshl_add_u32 v4, s95, 10, v44
	s_mov_b32 s6, 0
	s_set_inst_prefetch_distance 0x1
	.p2align	6
.LBB135_109:                            ;   Parent Loop BB135_46 Depth=1
                                        ; =>  This Inner Loop Header: Depth=2
	ds_load_2addr_b64 v[5:8], v4 offset1:4
	ds_load_2addr_b64 v[26:29], v4 offset0:8 offset1:12
	ds_load_2addr_b64 v[30:33], v4 offset0:16 offset1:20
	s_add_i32 s6, s6, 8
	s_delay_alu instid0(SALU_CYCLE_1) | instskip(SKIP_3) | instid1(VALU_DEP_2)
	s_cmp_eq_u32 s83, s6
	s_waitcnt lgkmcnt(2)
	v_add_co_u32 v2, vcc_lo, v5, v2
	v_add_co_ci_u32_e32 v3, vcc_lo, v6, v3, vcc_lo
	v_add_co_u32 v2, vcc_lo, v7, v2
	s_delay_alu instid0(VALU_DEP_2)
	v_add_co_ci_u32_e32 v3, vcc_lo, v8, v3, vcc_lo
	ds_load_2addr_b64 v[5:8], v4 offset0:24 offset1:28
	s_waitcnt lgkmcnt(2)
	v_add_co_u32 v2, vcc_lo, v26, v2
	v_add_co_ci_u32_e32 v3, vcc_lo, v27, v3, vcc_lo
	v_add_nc_u32_e32 v4, 0x100, v4
	s_delay_alu instid0(VALU_DEP_3) | instskip(NEXT) | instid1(VALU_DEP_3)
	v_add_co_u32 v2, vcc_lo, v28, v2
	v_add_co_ci_u32_e32 v3, vcc_lo, v29, v3, vcc_lo
	s_waitcnt lgkmcnt(1)
	s_delay_alu instid0(VALU_DEP_2) | instskip(NEXT) | instid1(VALU_DEP_2)
	v_add_co_u32 v2, vcc_lo, v30, v2
	v_add_co_ci_u32_e32 v3, vcc_lo, v31, v3, vcc_lo
	s_delay_alu instid0(VALU_DEP_2) | instskip(NEXT) | instid1(VALU_DEP_2)
	v_add_co_u32 v2, vcc_lo, v32, v2
	v_add_co_ci_u32_e32 v3, vcc_lo, v33, v3, vcc_lo
	s_waitcnt lgkmcnt(0)
	s_delay_alu instid0(VALU_DEP_2) | instskip(NEXT) | instid1(VALU_DEP_2)
	v_add_co_u32 v2, vcc_lo, v5, v2
	v_add_co_ci_u32_e32 v3, vcc_lo, v6, v3, vcc_lo
	s_delay_alu instid0(VALU_DEP_2) | instskip(NEXT) | instid1(VALU_DEP_2)
	v_add_co_u32 v2, vcc_lo, v7, v2
	v_add_co_ci_u32_e32 v3, vcc_lo, v8, v3, vcc_lo
	s_cbranch_scc0 .LBB135_109
; %bb.110:                              ;   in Loop: Header=BB135_46 Depth=1
	s_set_inst_prefetch_distance 0x2
	s_mov_b32 s6, s83
	s_and_not1_b32 vcc_lo, exec_lo, s85
	s_cbranch_vccz .LBB135_113
	s_branch .LBB135_115
.LBB135_111:                            ;   in Loop: Header=BB135_46 Depth=1
                                        ; implicit-def: $vgpr2_vgpr3
	s_branch .LBB135_79
.LBB135_112:                            ;   in Loop: Header=BB135_46 Depth=1
	s_mov_b32 s6, 0
	s_and_not1_b32 vcc_lo, exec_lo, s85
	s_cbranch_vccnz .LBB135_115
.LBB135_113:                            ;   in Loop: Header=BB135_46 Depth=1
	s_lshl_b32 s7, s95, 10
	s_lshl_b32 s6, s6, 5
	s_delay_alu instid0(SALU_CYCLE_1)
	v_add3_u32 v4, s7, s6, v44
	s_mov_b32 s6, s81
.LBB135_114:                            ;   Parent Loop BB135_46 Depth=1
                                        ; =>  This Inner Loop Header: Depth=2
	ds_load_b64 v[5:6], v4
	v_add_nc_u32_e32 v4, 32, v4
	s_add_i32 s6, s6, -1
	s_delay_alu instid0(SALU_CYCLE_1)
	s_cmp_lg_u32 s6, 0
	s_waitcnt lgkmcnt(0)
	v_add_co_u32 v2, vcc_lo, v5, v2
	v_add_co_ci_u32_e32 v3, vcc_lo, v6, v3, vcc_lo
	s_cbranch_scc1 .LBB135_114
.LBB135_115:                            ;   in Loop: Header=BB135_46 Depth=1
	v_add_lshl_u32 v4, s4, v38, 3
	ds_store_b64 v4, v[2:3] offset:3072
.LBB135_116:                            ;   in Loop: Header=BB135_46 Depth=1
	s_or_b32 exec_lo, exec_lo, s5
	s_lshl_b32 s4, s4, 3
	s_waitcnt lgkmcnt(0)
	v_mov_b32_e32 v6, s4
	s_barrier
	buffer_gl0_inv
	s_and_b32 s17, s92, 0xfe
	s_mov_b32 s19, -1
	ds_load_b128 v[2:5], v6 offset:3072
	ds_load_b128 v[6:9], v6 offset:3088
	s_lshl_b32 s16, 3, s17
	s_delay_alu instid0(SALU_CYCLE_1)
	s_not_b32 s18, s16
	s_waitcnt lgkmcnt(1)
	v_readfirstlane_b32 s13, v3
	v_readfirstlane_b32 s12, v2
	;; [unrolled: 1-line block ×4, first 2 shown]
	s_waitcnt lgkmcnt(0)
	v_readfirstlane_b32 s8, v6
	v_readfirstlane_b32 s9, v7
	s_cmp_eq_u64 s[12:13], 1
	v_readfirstlane_b32 s6, v8
	s_cselect_b32 s4, -1, 0
	s_cmp_eq_u64 s[50:51], 1
	v_readfirstlane_b32 s7, v9
	s_cselect_b32 s5, -1, 0
	s_delay_alu instid0(SALU_CYCLE_1) | instskip(NEXT) | instid1(SALU_CYCLE_1)
	s_and_b32 s20, s4, s5
	s_and_b32 vcc_lo, exec_lo, s20
	s_cbranch_vccz .LBB135_131
; %bb.117:                              ;   in Loop: Header=BB135_46 Depth=1
	ds_load_b64 v[2:3], v15 offset:5120
	s_waitcnt lgkmcnt(0)
	s_barrier
	buffer_gl0_inv
	v_readfirstlane_b32 s14, v2
	v_readfirstlane_b32 s15, v3
	s_and_saveexec_b32 s4, s0
	s_cbranch_execz .LBB135_119
; %bb.118:                              ;   in Loop: Header=BB135_46 Depth=1
	ds_store_b16 v40, v15
.LBB135_119:                            ;   in Loop: Header=BB135_46 Depth=1
	s_or_b32 exec_lo, exec_lo, s4
	s_and_b32 s97, s97, s18
	s_or_b32 s98, s98, s16
	s_cmp_eq_u64 s[14:15], 0
	s_waitcnt lgkmcnt(0)
	s_barrier
	buffer_gl0_inv
	s_cbranch_scc1 .LBB135_132
; %bb.120:                              ;   in Loop: Header=BB135_46 Depth=1
	s_add_u32 s21, s78, s14
	s_addc_u32 s5, s79, s15
	s_mov_b32 s4, s53
	s_delay_alu instid0(SALU_CYCLE_1)
	s_cmp_lg_u64 s[4:5], 0
	s_cbranch_scc0 .LBB135_177
; %bb.121:                              ;   in Loop: Header=BB135_46 Depth=1
	v_cvt_f32_u32_e32 v2, s33
	s_sub_u32 s23, 0, s33
	s_subb_u32 s52, 0, 0
	s_delay_alu instid0(VALU_DEP_1) | instskip(NEXT) | instid1(VALU_DEP_1)
	v_fmac_f32_e64 v2, 0, 0x4f800000
	v_rcp_f32_e32 v2, v2
	s_waitcnt_depctr 0xfff
	v_mul_f32_e32 v2, 0x5f7ffffc, v2
	s_delay_alu instid0(VALU_DEP_1) | instskip(NEXT) | instid1(VALU_DEP_1)
	v_mul_f32_e32 v3, 0x2f800000, v2
	v_trunc_f32_e32 v3, v3
	s_delay_alu instid0(VALU_DEP_1) | instskip(SKIP_1) | instid1(VALU_DEP_2)
	v_fmac_f32_e32 v2, 0xcf800000, v3
	v_cvt_u32_f32_e32 v3, v3
	v_cvt_u32_f32_e32 v2, v2
	s_delay_alu instid0(VALU_DEP_2) | instskip(NEXT) | instid1(VALU_DEP_2)
	v_readfirstlane_b32 s4, v3
	v_readfirstlane_b32 s22, v2
	s_delay_alu instid0(VALU_DEP_2) | instskip(NEXT) | instid1(VALU_DEP_1)
	s_mul_i32 s54, s23, s4
	s_mul_hi_u32 s65, s23, s22
	s_mul_i32 s64, s52, s22
	s_add_i32 s54, s65, s54
	s_mul_i32 s66, s23, s22
	s_add_i32 s54, s54, s64
	s_mul_hi_u32 s65, s22, s66
	s_mul_hi_u32 s67, s4, s66
	s_mul_i32 s64, s4, s66
	s_mul_hi_u32 s66, s22, s54
	s_mul_i32 s22, s22, s54
	s_mul_hi_u32 s68, s4, s54
	s_add_u32 s22, s65, s22
	s_addc_u32 s65, 0, s66
	s_add_u32 s22, s22, s64
	s_mul_i32 s54, s4, s54
	s_addc_u32 s22, s65, s67
	s_addc_u32 s64, s68, 0
	s_add_u32 s22, s22, s54
	s_addc_u32 s54, 0, s64
	v_add_co_u32 v2, s22, v2, s22
	s_delay_alu instid0(VALU_DEP_1) | instskip(SKIP_1) | instid1(VALU_DEP_1)
	s_cmp_lg_u32 s22, 0
	s_addc_u32 s4, s4, s54
	v_readfirstlane_b32 s22, v2
	s_mul_i32 s54, s23, s4
	s_delay_alu instid0(VALU_DEP_1)
	s_mul_hi_u32 s64, s23, s22
	s_mul_i32 s52, s52, s22
	s_add_i32 s54, s64, s54
	s_mul_i32 s23, s23, s22
	s_add_i32 s54, s54, s52
	s_mul_hi_u32 s64, s4, s23
	s_mul_i32 s65, s4, s23
	s_mul_hi_u32 s23, s22, s23
	s_mul_hi_u32 s66, s22, s54
	s_mul_i32 s22, s22, s54
	s_mul_hi_u32 s52, s4, s54
	s_add_u32 s22, s23, s22
	s_addc_u32 s23, 0, s66
	s_add_u32 s22, s22, s65
	s_mul_i32 s54, s4, s54
	s_addc_u32 s22, s23, s64
	s_addc_u32 s23, s52, 0
	s_add_u32 s22, s22, s54
	s_addc_u32 s23, 0, s23
	v_add_co_u32 v2, s22, v2, s22
	s_delay_alu instid0(VALU_DEP_1) | instskip(SKIP_1) | instid1(VALU_DEP_1)
	s_cmp_lg_u32 s22, 0
	s_addc_u32 s4, s4, s23
	v_readfirstlane_b32 s22, v2
	s_mul_i32 s52, s21, s4
	s_mul_hi_u32 s23, s21, s4
	s_mul_hi_u32 s54, s5, s4
	s_mul_i32 s4, s5, s4
	s_mul_hi_u32 s64, s21, s22
	s_mul_hi_u32 s65, s5, s22
	s_mul_i32 s22, s5, s22
	s_add_u32 s52, s64, s52
	s_addc_u32 s23, 0, s23
	s_add_u32 s22, s52, s22
	s_addc_u32 s22, s23, s65
	s_addc_u32 s23, s54, 0
	s_add_u32 s4, s22, s4
	s_addc_u32 s22, 0, s23
	s_mul_hi_u32 s23, s33, s4
	s_mul_i32 s4, s33, s4
	s_mul_i32 s22, s33, s22
	v_sub_co_u32 v2, s4, s21, s4
	s_add_i32 s23, s23, s22
	s_cmp_lg_u32 s4, 0
	s_delay_alu instid0(VALU_DEP_1) | instskip(SKIP_2) | instid1(VALU_DEP_1)
	v_sub_co_u32 v3, s4, v2, s33
	s_subb_u32 s22, s5, s23
	s_cmp_lg_u32 s4, 0
	v_cmp_le_u32_e32 vcc_lo, s33, v3
	v_sub_co_u32 v4, s4, v3, s33
	s_subb_u32 s23, s22, 0
	s_cmp_lg_u32 s4, 0
	v_cndmask_b32_e64 v5, 0, -1, vcc_lo
	s_subb_u32 s4, s23, 0
	s_cmp_eq_u32 s23, 0
	v_mov_b32_e32 v7, s4
	s_cselect_b32 vcc_lo, -1, 0
	s_cmp_eq_u32 s22, 0
	v_cndmask_b32_e32 v5, -1, v5, vcc_lo
	v_cmp_le_u32_e32 vcc_lo, s33, v2
	s_cselect_b32 s4, -1, 0
	v_cndmask_b32_e64 v6, 0, -1, vcc_lo
	s_delay_alu instid0(VALU_DEP_3) | instskip(NEXT) | instid1(VALU_DEP_2)
	v_cmp_ne_u32_e32 vcc_lo, 0, v5
	v_cndmask_b32_e64 v5, -1, v6, s4
	v_cndmask_b32_e32 v6, s23, v7, vcc_lo
	v_cndmask_b32_e32 v4, v3, v4, vcc_lo
	s_delay_alu instid0(VALU_DEP_3) | instskip(NEXT) | instid1(VALU_DEP_3)
	v_cmp_ne_u32_e32 vcc_lo, 0, v5
	v_cndmask_b32_e32 v3, s22, v6, vcc_lo
	s_delay_alu instid0(VALU_DEP_3)
	v_cndmask_b32_e32 v2, v2, v4, vcc_lo
	s_cbranch_execnz .LBB135_123
.LBB135_122:                            ;   in Loop: Header=BB135_46 Depth=1
	v_cvt_f32_u32_e32 v2, s33
	s_sub_i32 s4, 0, s33
	s_delay_alu instid0(VALU_DEP_1) | instskip(SKIP_2) | instid1(VALU_DEP_1)
	v_rcp_iflag_f32_e32 v2, v2
	s_waitcnt_depctr 0xfff
	v_mul_f32_e32 v2, 0x4f7ffffe, v2
	v_cvt_u32_f32_e32 v2, v2
	s_delay_alu instid0(VALU_DEP_1) | instskip(NEXT) | instid1(VALU_DEP_1)
	v_mul_lo_u32 v3, s4, v2
	v_mul_hi_u32 v3, v2, v3
	s_delay_alu instid0(VALU_DEP_1) | instskip(NEXT) | instid1(VALU_DEP_1)
	v_add_nc_u32_e32 v2, v2, v3
	v_mul_hi_u32 v2, s21, v2
	s_delay_alu instid0(VALU_DEP_1) | instskip(NEXT) | instid1(VALU_DEP_1)
	v_mul_lo_u32 v2, v2, s33
	v_sub_nc_u32_e32 v2, s21, v2
	s_delay_alu instid0(VALU_DEP_1) | instskip(SKIP_1) | instid1(VALU_DEP_2)
	v_subrev_nc_u32_e32 v3, s33, v2
	v_cmp_le_u32_e32 vcc_lo, s33, v2
	v_cndmask_b32_e32 v2, v2, v3, vcc_lo
	s_delay_alu instid0(VALU_DEP_1) | instskip(SKIP_1) | instid1(VALU_DEP_2)
	v_subrev_nc_u32_e32 v3, s33, v2
	v_cmp_le_u32_e32 vcc_lo, s33, v2
	v_cndmask_b32_e32 v14, v2, v3, vcc_lo
	s_delay_alu instid0(VALU_DEP_1)
	v_dual_mov_b32 v2, v14 :: v_dual_mov_b32 v3, v15
.LBB135_123:                            ;   in Loop: Header=BB135_46 Depth=1
	s_delay_alu instid0(VALU_DEP_1) | instskip(NEXT) | instid1(VALU_DEP_2)
	v_sub_co_u32 v2, vcc_lo, s21, v2
	v_sub_co_ci_u32_e32 v3, vcc_lo, s5, v3, vcc_lo
	s_mov_b32 s4, 0
	s_mov_b32 s5, exec_lo
                                        ; implicit-def: $vgpr46
	s_delay_alu instid0(VALU_DEP_1)
	v_cmpx_gt_u64_e64 v[2:3], v[0:1]
	s_cbranch_execz .LBB135_134
; %bb.124:                              ;   in Loop: Header=BB135_46 Depth=1
	v_dual_mov_b32 v6, v39 :: v_dual_mov_b32 v5, v1
	v_mov_b32_e32 v4, v0
	s_mov_b32 s21, 0
                                        ; implicit-def: $sgpr22
	s_set_inst_prefetch_distance 0x1
	s_branch .LBB135_126
	.p2align	6
.LBB135_125:                            ;   in Loop: Header=BB135_126 Depth=2
	s_or_b32 exec_lo, exec_lo, s4
	s_waitcnt lgkmcnt(0)
	s_barrier
	buffer_gl0_inv
	ds_load_b32 v7, v15 offset:3072
	v_add_co_u32 v4, vcc_lo, v4, s33
	v_add_co_ci_u32_e32 v5, vcc_lo, 0, v5, vcc_lo
	v_add_nc_u32_e32 v6, s86, v6
	s_waitcnt lgkmcnt(0)
	s_barrier
	s_delay_alu instid0(VALU_DEP_2) | instskip(SKIP_2) | instid1(VALU_DEP_1)
	v_cmp_ge_u64_e32 vcc_lo, v[4:5], v[2:3]
	buffer_gl0_inv
	v_cmp_neq_f16_e64 s4, 0, v7
	s_or_b32 s23, vcc_lo, s4
	s_delay_alu instid0(SALU_CYCLE_1) | instskip(NEXT) | instid1(SALU_CYCLE_1)
	s_and_b32 s23, exec_lo, s23
	s_or_b32 s21, s23, s21
	s_and_not1_b32 s22, s22, exec_lo
	s_and_b32 s4, s4, exec_lo
	s_delay_alu instid0(SALU_CYCLE_1)
	s_or_b32 s22, s22, s4
	s_and_not1_b32 exec_lo, exec_lo, s21
	s_cbranch_execz .LBB135_133
.LBB135_126:                            ;   Parent Loop BB135_46 Depth=1
                                        ; =>  This Inner Loop Header: Depth=2
	s_delay_alu instid0(VALU_DEP_1)
	v_cmp_gt_u64_e32 vcc_lo, s[14:15], v[4:5]
	v_mov_b32_e32 v7, 0
	s_and_saveexec_b32 s4, vcc_lo
	s_cbranch_execz .LBB135_128
; %bb.127:                              ;   in Loop: Header=BB135_126 Depth=2
	ds_load_u16 v7, v6
.LBB135_128:                            ;   in Loop: Header=BB135_126 Depth=2
	s_or_b32 exec_lo, exec_lo, s4
	s_and_saveexec_b32 s4, vcc_lo
	s_cbranch_execz .LBB135_125
; %bb.129:                              ;   in Loop: Header=BB135_126 Depth=2
	s_waitcnt lgkmcnt(0)
	v_cmp_lt_i16_e32 vcc_lo, -1, v7
	v_dual_cndmask_b32 v9, 0xffff, v45 :: v_dual_and_b32 v8, 0xffff, v7
	v_cmp_o_f16_e32 vcc_lo, v7, v7
	s_delay_alu instid0(VALU_DEP_2) | instskip(NEXT) | instid1(VALU_DEP_1)
	v_xor_b32_e32 v8, v9, v8
	v_cndmask_b32_e32 v8, 0xffff, v8, vcc_lo
	s_delay_alu instid0(VALU_DEP_1) | instskip(NEXT) | instid1(VALU_DEP_1)
	v_and_b32_e32 v8, s98, v8
	v_cmp_eq_u32_e32 vcc_lo, s97, v8
	s_and_b32 exec_lo, exec_lo, vcc_lo
	s_cbranch_execz .LBB135_125
; %bb.130:                              ;   in Loop: Header=BB135_126 Depth=2
	v_perm_b32 v7, v7, s87, 0x5040100
	ds_store_b32 v15, v7 offset:3072
	s_branch .LBB135_125
.LBB135_131:                            ;   in Loop: Header=BB135_46 Depth=1
	s_mov_b32 s4, -1
                                        ; implicit-def: $sgpr5
                                        ; implicit-def: $sgpr15
                                        ; implicit-def: $sgpr14
	s_branch .LBB135_148
.LBB135_132:                            ;   in Loop: Header=BB135_46 Depth=1
	s_mov_b32 s5, -1
	s_mov_b32 s4, 0
                                        ; implicit-def: $sgpr14
                                        ; implicit-def: $vgpr46
	s_mov_b32 s15, s5
	s_cbranch_execnz .LBB135_135
	s_branch .LBB135_148
.LBB135_133:                            ;   in Loop: Header=BB135_46 Depth=1
	s_set_inst_prefetch_distance 0x2
	s_or_b32 exec_lo, exec_lo, s21
	v_lshrrev_b32_e32 v46, 16, v7
	s_and_b32 s4, s22, exec_lo
.LBB135_134:                            ;   in Loop: Header=BB135_46 Depth=1
	s_or_b32 exec_lo, exec_lo, s5
	s_mov_b32 s14, -1
	s_mov_b32 s5, 0
	s_delay_alu instid0(SALU_CYCLE_1)
	s_mov_b32 s15, s5
	s_branch .LBB135_148
.LBB135_135:                            ;   in Loop: Header=BB135_46 Depth=1
	s_mov_b32 s54, s53
	s_delay_alu instid0(SALU_CYCLE_1)
	s_cmp_lg_u64 s[54:55], 0
	s_cbranch_scc0 .LBB135_178
; %bb.136:                              ;   in Loop: Header=BB135_46 Depth=1
	v_cvt_f32_u32_e32 v2, s33
	s_sub_u32 s14, 0, s33
	s_subb_u32 s15, 0, 0
	s_delay_alu instid0(VALU_DEP_1) | instskip(NEXT) | instid1(VALU_DEP_1)
	v_fmac_f32_e64 v2, 0, 0x4f800000
	v_rcp_f32_e32 v2, v2
	s_waitcnt_depctr 0xfff
	v_mul_f32_e32 v2, 0x5f7ffffc, v2
	s_delay_alu instid0(VALU_DEP_1) | instskip(NEXT) | instid1(VALU_DEP_1)
	v_mul_f32_e32 v3, 0x2f800000, v2
	v_trunc_f32_e32 v3, v3
	s_delay_alu instid0(VALU_DEP_1) | instskip(SKIP_1) | instid1(VALU_DEP_2)
	v_fmac_f32_e32 v2, 0xcf800000, v3
	v_cvt_u32_f32_e32 v3, v3
	v_cvt_u32_f32_e32 v2, v2
	s_delay_alu instid0(VALU_DEP_2) | instskip(NEXT) | instid1(VALU_DEP_2)
	v_readfirstlane_b32 s4, v3
	v_readfirstlane_b32 s5, v2
	s_delay_alu instid0(VALU_DEP_2) | instskip(NEXT) | instid1(VALU_DEP_1)
	s_mul_i32 s21, s14, s4
	s_mul_hi_u32 s23, s14, s5
	s_mul_i32 s22, s15, s5
	s_add_i32 s21, s23, s21
	s_mul_i32 s52, s14, s5
	s_add_i32 s21, s21, s22
	s_mul_hi_u32 s23, s5, s52
	s_mul_hi_u32 s54, s4, s52
	s_mul_i32 s22, s4, s52
	s_mul_hi_u32 s52, s5, s21
	s_mul_i32 s5, s5, s21
	s_mul_hi_u32 s64, s4, s21
	s_add_u32 s5, s23, s5
	s_addc_u32 s23, 0, s52
	s_add_u32 s5, s5, s22
	s_mul_i32 s21, s4, s21
	s_addc_u32 s5, s23, s54
	s_addc_u32 s22, s64, 0
	s_add_u32 s5, s5, s21
	s_addc_u32 s21, 0, s22
	v_add_co_u32 v2, s5, v2, s5
	s_delay_alu instid0(VALU_DEP_1) | instskip(SKIP_1) | instid1(VALU_DEP_1)
	s_cmp_lg_u32 s5, 0
	s_addc_u32 s4, s4, s21
	v_readfirstlane_b32 s5, v2
	s_mul_i32 s21, s14, s4
	s_delay_alu instid0(VALU_DEP_1)
	s_mul_hi_u32 s22, s14, s5
	s_mul_i32 s15, s15, s5
	s_add_i32 s21, s22, s21
	s_mul_i32 s14, s14, s5
	s_add_i32 s21, s21, s15
	s_mul_hi_u32 s22, s4, s14
	s_mul_i32 s23, s4, s14
	s_mul_hi_u32 s14, s5, s14
	s_mul_hi_u32 s52, s5, s21
	s_mul_i32 s5, s5, s21
	s_mul_hi_u32 s15, s4, s21
	s_add_u32 s5, s14, s5
	s_addc_u32 s14, 0, s52
	s_add_u32 s5, s5, s23
	s_mul_i32 s21, s4, s21
	s_addc_u32 s5, s14, s22
	s_addc_u32 s14, s15, 0
	s_add_u32 s5, s5, s21
	s_addc_u32 s14, 0, s14
	v_add_co_u32 v2, s5, v2, s5
	s_delay_alu instid0(VALU_DEP_1) | instskip(SKIP_1) | instid1(VALU_DEP_1)
	s_cmp_lg_u32 s5, 0
	s_addc_u32 s4, s4, s14
	v_readfirstlane_b32 s5, v2
	s_mul_i32 s15, s80, s4
	s_mul_hi_u32 s14, s80, s4
	s_mul_hi_u32 s21, s55, s4
	s_mul_i32 s4, s55, s4
	s_mul_hi_u32 s22, s80, s5
	s_mul_hi_u32 s23, s55, s5
	s_mul_i32 s5, s55, s5
	s_add_u32 s15, s22, s15
	s_addc_u32 s14, 0, s14
	s_add_u32 s5, s15, s5
	s_addc_u32 s5, s14, s23
	s_addc_u32 s14, s21, 0
	s_add_u32 s4, s5, s4
	s_addc_u32 s5, 0, s14
	s_mul_hi_u32 s14, s33, s4
	s_mul_i32 s4, s33, s4
	s_mul_i32 s5, s33, s5
	v_sub_co_u32 v2, s4, s80, s4
	s_add_i32 s14, s14, s5
	s_cmp_lg_u32 s4, 0
	s_delay_alu instid0(VALU_DEP_1) | instskip(SKIP_2) | instid1(VALU_DEP_1)
	v_sub_co_u32 v3, s4, v2, s33
	s_subb_u32 s5, s55, s14
	s_cmp_lg_u32 s4, 0
	v_cmp_le_u32_e32 vcc_lo, s33, v3
	v_sub_co_u32 v4, s4, v3, s33
	s_subb_u32 s14, s5, 0
	s_cmp_lg_u32 s4, 0
	v_cndmask_b32_e64 v5, 0, -1, vcc_lo
	s_subb_u32 s4, s14, 0
	s_cmp_eq_u32 s14, 0
	v_mov_b32_e32 v7, s4
	s_cselect_b32 vcc_lo, -1, 0
	s_cmp_eq_u32 s5, 0
	v_cndmask_b32_e32 v5, -1, v5, vcc_lo
	v_cmp_le_u32_e32 vcc_lo, s33, v2
	s_cselect_b32 s4, -1, 0
	v_cndmask_b32_e64 v6, 0, -1, vcc_lo
	s_delay_alu instid0(VALU_DEP_3) | instskip(NEXT) | instid1(VALU_DEP_2)
	v_cmp_ne_u32_e32 vcc_lo, 0, v5
	v_cndmask_b32_e64 v5, -1, v6, s4
	v_cndmask_b32_e32 v6, s14, v7, vcc_lo
	v_cndmask_b32_e32 v4, v3, v4, vcc_lo
	s_delay_alu instid0(VALU_DEP_3) | instskip(NEXT) | instid1(VALU_DEP_3)
	v_cmp_ne_u32_e32 vcc_lo, 0, v5
	v_cndmask_b32_e32 v3, s5, v6, vcc_lo
	s_delay_alu instid0(VALU_DEP_3)
	v_cndmask_b32_e32 v2, v2, v4, vcc_lo
	s_cbranch_execnz .LBB135_138
.LBB135_137:                            ;   in Loop: Header=BB135_46 Depth=1
	v_cvt_f32_u32_e32 v2, s33
	s_sub_i32 s4, 0, s33
	s_delay_alu instid0(VALU_DEP_1) | instskip(SKIP_2) | instid1(VALU_DEP_1)
	v_rcp_iflag_f32_e32 v2, v2
	s_waitcnt_depctr 0xfff
	v_mul_f32_e32 v2, 0x4f7ffffe, v2
	v_cvt_u32_f32_e32 v2, v2
	s_delay_alu instid0(VALU_DEP_1) | instskip(NEXT) | instid1(VALU_DEP_1)
	v_mul_lo_u32 v3, s4, v2
	v_mul_hi_u32 v3, v2, v3
	s_delay_alu instid0(VALU_DEP_1) | instskip(NEXT) | instid1(VALU_DEP_1)
	v_add_nc_u32_e32 v2, v2, v3
	v_mul_hi_u32 v2, s80, v2
	s_delay_alu instid0(VALU_DEP_1) | instskip(NEXT) | instid1(VALU_DEP_1)
	v_mul_lo_u32 v2, v2, s33
	v_sub_nc_u32_e32 v2, s80, v2
	s_delay_alu instid0(VALU_DEP_1) | instskip(SKIP_1) | instid1(VALU_DEP_2)
	v_subrev_nc_u32_e32 v3, s33, v2
	v_cmp_le_u32_e32 vcc_lo, s33, v2
	v_cndmask_b32_e32 v2, v2, v3, vcc_lo
	s_delay_alu instid0(VALU_DEP_1) | instskip(SKIP_1) | instid1(VALU_DEP_2)
	v_subrev_nc_u32_e32 v3, s33, v2
	v_cmp_le_u32_e32 vcc_lo, s33, v2
	v_cndmask_b32_e32 v14, v2, v3, vcc_lo
	s_delay_alu instid0(VALU_DEP_1)
	v_dual_mov_b32 v2, v14 :: v_dual_mov_b32 v3, v15
.LBB135_138:                            ;   in Loop: Header=BB135_46 Depth=1
	s_delay_alu instid0(VALU_DEP_1) | instskip(NEXT) | instid1(VALU_DEP_2)
	v_sub_co_u32 v2, vcc_lo, s80, v2
	v_sub_co_ci_u32_e32 v3, vcc_lo, s55, v3, vcc_lo
	s_mov_b32 s4, 0
	s_mov_b32 s5, exec_lo
                                        ; implicit-def: $vgpr46
	s_delay_alu instid0(VALU_DEP_1)
	v_cmpx_gt_u64_e64 v[2:3], v[0:1]
	s_cbranch_execz .LBB135_147
; %bb.139:                              ;   in Loop: Header=BB135_46 Depth=1
	v_dual_mov_b32 v4, v10 :: v_dual_mov_b32 v5, v11
	v_dual_mov_b32 v7, v1 :: v_dual_mov_b32 v6, v0
	s_mov_b32 s14, 0
                                        ; implicit-def: $sgpr15
	s_branch .LBB135_141
.LBB135_140:                            ;   in Loop: Header=BB135_141 Depth=2
	s_or_b32 exec_lo, exec_lo, s4
	s_waitcnt vmcnt(0) lgkmcnt(0)
	s_barrier
	buffer_gl0_inv
	ds_load_b32 v8, v15 offset:3072
	v_add_co_u32 v6, vcc_lo, v6, s33
	v_add_co_ci_u32_e32 v7, vcc_lo, 0, v7, vcc_lo
	s_waitcnt lgkmcnt(0)
	s_barrier
	buffer_gl0_inv
	v_cmp_ge_u64_e32 vcc_lo, v[6:7], v[2:3]
	v_cmp_neq_f16_e64 s4, 0, v8
	s_delay_alu instid0(VALU_DEP_1)
	s_or_b32 s21, vcc_lo, s4
	v_add_co_u32 v4, vcc_lo, v4, s46
	s_and_b32 s21, exec_lo, s21
	v_add_co_ci_u32_e32 v5, vcc_lo, s47, v5, vcc_lo
	s_or_b32 s14, s21, s14
	s_and_not1_b32 s15, s15, exec_lo
	s_and_b32 s4, s4, exec_lo
	s_delay_alu instid0(SALU_CYCLE_1)
	s_or_b32 s15, s15, s4
	s_and_not1_b32 exec_lo, exec_lo, s14
	s_cbranch_execz .LBB135_146
.LBB135_141:                            ;   Parent Loop BB135_46 Depth=1
                                        ; =>  This Inner Loop Header: Depth=2
	s_delay_alu instid0(VALU_DEP_1)
	v_cmp_gt_u64_e32 vcc_lo, s[24:25], v[6:7]
	v_mov_b32_e32 v8, 0
	s_and_saveexec_b32 s4, vcc_lo
	s_cbranch_execz .LBB135_143
; %bb.142:                              ;   in Loop: Header=BB135_141 Depth=2
	global_load_u16 v8, v[4:5], off
.LBB135_143:                            ;   in Loop: Header=BB135_141 Depth=2
	s_or_b32 exec_lo, exec_lo, s4
	s_and_saveexec_b32 s4, vcc_lo
	s_cbranch_execz .LBB135_140
; %bb.144:                              ;   in Loop: Header=BB135_141 Depth=2
	s_waitcnt vmcnt(0)
	v_cmp_lt_i16_e32 vcc_lo, -1, v8
	v_dual_cndmask_b32 v14, 0xffff, v45 :: v_dual_and_b32 v9, 0xffff, v8
	v_cmp_o_f16_e32 vcc_lo, v8, v8
	s_delay_alu instid0(VALU_DEP_2) | instskip(NEXT) | instid1(VALU_DEP_1)
	v_xor_b32_e32 v9, v14, v9
	v_cndmask_b32_e32 v9, 0xffff, v9, vcc_lo
	s_delay_alu instid0(VALU_DEP_1) | instskip(NEXT) | instid1(VALU_DEP_1)
	v_and_b32_e32 v9, s98, v9
	v_cmp_eq_u32_e32 vcc_lo, s97, v9
	s_and_b32 exec_lo, exec_lo, vcc_lo
	s_cbranch_execz .LBB135_140
; %bb.145:                              ;   in Loop: Header=BB135_141 Depth=2
	v_perm_b32 v8, v8, s87, 0x5040100
	ds_store_b32 v15, v8 offset:3072
	s_branch .LBB135_140
.LBB135_146:                            ;   in Loop: Header=BB135_46 Depth=1
	s_or_b32 exec_lo, exec_lo, s14
	v_lshrrev_b32_e32 v46, 16, v8
	s_and_b32 s4, s15, exec_lo
.LBB135_147:                            ;   in Loop: Header=BB135_46 Depth=1
	s_or_b32 exec_lo, exec_lo, s5
	s_mov_b32 s15, -1
	s_mov_b32 s5, 0
	s_mov_b32 s14, 0
.LBB135_148:                            ;   in Loop: Header=BB135_46 Depth=1
	s_and_not1_b32 s21, s93, exec_lo
	s_and_b32 s5, s5, exec_lo
	s_and_b32 s15, s15, exec_lo
	s_or_b32 s93, s21, s5
	s_and_not1_b32 s5, s96, exec_lo
	s_and_not1_b32 s21, s94, exec_lo
	s_and_b32 s14, s14, exec_lo
	s_or_b32 s96, s5, s15
	s_or_b32 s94, s21, s14
	s_and_saveexec_b32 s14, s4
	s_cbranch_execz .LBB135_45
; %bb.149:                              ;   in Loop: Header=BB135_46 Depth=1
	s_xor_b32 s4, s20, -1
	s_mov_b32 s52, 1
	s_and_not1_b32 vcc_lo, exec_lo, s4
	s_cbranch_vccnz .LBB135_160
; %bb.150:                              ;   in Loop: Header=BB135_46 Depth=1
	v_cmp_gt_u64_e64 s4, s[50:51], s[12:13]
                                        ; implicit-def: $sgpr52
                                        ; implicit-def: $sgpr5
                                        ; implicit-def: $sgpr15
	s_delay_alu instid0(VALU_DEP_1)
	s_and_b32 vcc_lo, exec_lo, s4
	s_mov_b32 s4, -1
	s_cbranch_vccnz .LBB135_156
; %bb.151:                              ;   in Loop: Header=BB135_46 Depth=1
	ds_load_b64 v[2:3], v15 offset:5120
	s_waitcnt lgkmcnt(0)
	v_cmp_ne_u64_e32 vcc_lo, 0, v[2:3]
	s_cbranch_vccnz .LBB135_155
; %bb.152:                              ;   in Loop: Header=BB135_46 Depth=1
	s_and_saveexec_b32 s4, s3
	s_cbranch_execz .LBB135_154
; %bb.153:                              ;   in Loop: Header=BB135_46 Depth=1
	v_dual_mov_b32 v2, s12 :: v_dual_mov_b32 v3, s13
	ds_store_b64 v15, v[2:3] offset:5128
.LBB135_154:                            ;   in Loop: Header=BB135_46 Depth=1
	s_or_b32 exec_lo, exec_lo, s4
	s_waitcnt lgkmcnt(0)
	s_barrier
	buffer_gl0_inv
.LBB135_155:                            ;   in Loop: Header=BB135_46 Depth=1
	s_and_b32 s5, s97, s18
	s_or_b32 s15, s98, s16
	s_mov_b32 s4, 0
	s_mov_b32 s52, 8
.LBB135_156:                            ;   in Loop: Header=BB135_46 Depth=1
	s_and_not1_b32 vcc_lo, exec_lo, s4
	s_cbranch_vccnz .LBB135_158
; %bb.157:                              ;   in Loop: Header=BB135_46 Depth=1
	s_sub_u32 s50, s50, s12
	s_subb_u32 s51, s51, s13
	s_mov_b32 s4, -1
	s_mov_b32 s52, 0
	s_mov_b32 s5, s97
	;; [unrolled: 1-line block ×3, first 2 shown]
.LBB135_158:                            ;   in Loop: Header=BB135_46 Depth=1
	s_delay_alu instid0(SALU_CYCLE_1)
	s_mov_b32 s98, s15
	s_mov_b32 s97, s5
	s_and_b32 vcc_lo, exec_lo, s4
	s_mov_b32 s15, -1
	s_cbranch_vccnz .LBB135_161
.LBB135_159:                            ;   in Loop: Header=BB135_46 Depth=1
	s_mov_b32 s5, -1
                                        ; implicit-def: $sgpr12
                                        ; implicit-def: $sgpr19
                                        ; implicit-def: $sgpr13
	s_delay_alu instid0(SALU_CYCLE_1) | instskip(NEXT) | instid1(SALU_CYCLE_1)
	s_and_saveexec_b32 s4, s5
	s_xor_b32 s4, exec_lo, s4
	s_cbranch_execz .LBB135_44
	s_branch .LBB135_307
.LBB135_160:                            ;   in Loop: Header=BB135_46 Depth=1
	s_mov_b64 s[50:51], 1
	s_mov_b32 s15, -1
	s_branch .LBB135_159
.LBB135_161:                            ;   in Loop: Header=BB135_46 Depth=1
	s_cmp_eq_u64 s[10:11], 1
	s_cselect_b32 s4, -1, 0
	s_cmp_eq_u64 s[50:51], 1
	s_cselect_b32 s5, -1, 0
	s_delay_alu instid0(SALU_CYCLE_1)
	s_and_b32 s21, s4, s5
	s_mov_b32 s4, -1
	s_and_b32 vcc_lo, exec_lo, s21
	s_cbranch_vccz .LBB135_176
; %bb.162:                              ;   in Loop: Header=BB135_46 Depth=1
	ds_load_b64 v[2:3], v15 offset:5120
	s_waitcnt lgkmcnt(0)
	s_barrier
	buffer_gl0_inv
	v_readfirstlane_b32 s12, v2
	v_readfirstlane_b32 s13, v3
	s_and_saveexec_b32 s4, s0
	s_cbranch_execz .LBB135_164
; %bb.163:                              ;   in Loop: Header=BB135_46 Depth=1
	ds_store_b16 v40, v15
.LBB135_164:                            ;   in Loop: Header=BB135_46 Depth=1
	s_or_b32 exec_lo, exec_lo, s4
	s_lshl_b32 s4, 1, s17
	s_and_b32 s5, s97, s18
	s_or_b32 s98, s98, s16
	s_or_b32 s97, s5, s4
	s_cmp_eq_u64 s[12:13], 0
	s_waitcnt lgkmcnt(0)
	s_barrier
	buffer_gl0_inv
	s_cbranch_scc1 .LBB135_179
; %bb.165:                              ;   in Loop: Header=BB135_46 Depth=1
	s_add_u32 s19, s78, s12
	s_addc_u32 s5, s79, s13
	s_mov_b32 s4, s53
	s_delay_alu instid0(SALU_CYCLE_1)
	s_cmp_lg_u64 s[4:5], 0
	s_cbranch_scc0 .LBB135_224
; %bb.166:                              ;   in Loop: Header=BB135_46 Depth=1
	v_cvt_f32_u32_e32 v2, s33
	s_sub_u32 s22, 0, s33
	s_subb_u32 s23, 0, 0
	s_delay_alu instid0(VALU_DEP_1) | instskip(NEXT) | instid1(VALU_DEP_1)
	v_fmac_f32_e64 v2, 0, 0x4f800000
	v_rcp_f32_e32 v2, v2
	s_waitcnt_depctr 0xfff
	v_mul_f32_e32 v2, 0x5f7ffffc, v2
	s_delay_alu instid0(VALU_DEP_1) | instskip(NEXT) | instid1(VALU_DEP_1)
	v_mul_f32_e32 v3, 0x2f800000, v2
	v_trunc_f32_e32 v3, v3
	s_delay_alu instid0(VALU_DEP_1) | instskip(SKIP_1) | instid1(VALU_DEP_2)
	v_fmac_f32_e32 v2, 0xcf800000, v3
	v_cvt_u32_f32_e32 v3, v3
	v_cvt_u32_f32_e32 v2, v2
	s_delay_alu instid0(VALU_DEP_2) | instskip(NEXT) | instid1(VALU_DEP_2)
	v_readfirstlane_b32 s4, v3
	v_readfirstlane_b32 s20, v2
	s_delay_alu instid0(VALU_DEP_2) | instskip(NEXT) | instid1(VALU_DEP_1)
	s_mul_i32 s52, s22, s4
	s_mul_hi_u32 s64, s22, s20
	s_mul_i32 s54, s23, s20
	s_add_i32 s52, s64, s52
	s_mul_i32 s65, s22, s20
	s_add_i32 s52, s52, s54
	s_mul_hi_u32 s64, s20, s65
	s_mul_hi_u32 s66, s4, s65
	s_mul_i32 s54, s4, s65
	s_mul_hi_u32 s65, s20, s52
	s_mul_i32 s20, s20, s52
	s_mul_hi_u32 s67, s4, s52
	s_add_u32 s20, s64, s20
	s_addc_u32 s64, 0, s65
	s_add_u32 s20, s20, s54
	s_mul_i32 s52, s4, s52
	s_addc_u32 s20, s64, s66
	s_addc_u32 s54, s67, 0
	s_add_u32 s20, s20, s52
	s_addc_u32 s52, 0, s54
	v_add_co_u32 v2, s20, v2, s20
	s_delay_alu instid0(VALU_DEP_1) | instskip(SKIP_1) | instid1(VALU_DEP_1)
	s_cmp_lg_u32 s20, 0
	s_addc_u32 s4, s4, s52
	v_readfirstlane_b32 s20, v2
	s_mul_i32 s52, s22, s4
	s_delay_alu instid0(VALU_DEP_1)
	s_mul_hi_u32 s54, s22, s20
	s_mul_i32 s23, s23, s20
	s_add_i32 s52, s54, s52
	s_mul_i32 s22, s22, s20
	s_add_i32 s52, s52, s23
	s_mul_hi_u32 s54, s4, s22
	s_mul_i32 s64, s4, s22
	s_mul_hi_u32 s22, s20, s22
	s_mul_hi_u32 s65, s20, s52
	s_mul_i32 s20, s20, s52
	s_mul_hi_u32 s23, s4, s52
	s_add_u32 s20, s22, s20
	s_addc_u32 s22, 0, s65
	s_add_u32 s20, s20, s64
	s_mul_i32 s52, s4, s52
	s_addc_u32 s20, s22, s54
	s_addc_u32 s22, s23, 0
	s_add_u32 s20, s20, s52
	s_addc_u32 s22, 0, s22
	v_add_co_u32 v2, s20, v2, s20
	s_delay_alu instid0(VALU_DEP_1) | instskip(SKIP_1) | instid1(VALU_DEP_1)
	s_cmp_lg_u32 s20, 0
	s_addc_u32 s4, s4, s22
	v_readfirstlane_b32 s20, v2
	s_mul_i32 s23, s19, s4
	s_mul_hi_u32 s22, s19, s4
	s_mul_hi_u32 s52, s5, s4
	s_mul_i32 s4, s5, s4
	s_mul_hi_u32 s54, s19, s20
	s_mul_hi_u32 s64, s5, s20
	s_mul_i32 s20, s5, s20
	s_add_u32 s23, s54, s23
	s_addc_u32 s22, 0, s22
	s_add_u32 s20, s23, s20
	s_addc_u32 s20, s22, s64
	s_addc_u32 s22, s52, 0
	s_add_u32 s4, s20, s4
	s_addc_u32 s20, 0, s22
	s_mul_hi_u32 s22, s33, s4
	s_mul_i32 s4, s33, s4
	s_mul_i32 s20, s33, s20
	v_sub_co_u32 v2, s4, s19, s4
	s_add_i32 s22, s22, s20
	s_cmp_lg_u32 s4, 0
	s_delay_alu instid0(VALU_DEP_1) | instskip(SKIP_2) | instid1(VALU_DEP_1)
	v_sub_co_u32 v3, s4, v2, s33
	s_subb_u32 s20, s5, s22
	s_cmp_lg_u32 s4, 0
	v_cmp_le_u32_e32 vcc_lo, s33, v3
	v_sub_co_u32 v4, s4, v3, s33
	s_subb_u32 s22, s20, 0
	s_cmp_lg_u32 s4, 0
	v_cndmask_b32_e64 v5, 0, -1, vcc_lo
	s_subb_u32 s4, s22, 0
	s_cmp_eq_u32 s22, 0
	v_mov_b32_e32 v7, s4
	s_cselect_b32 vcc_lo, -1, 0
	s_cmp_eq_u32 s20, 0
	v_cndmask_b32_e32 v5, -1, v5, vcc_lo
	v_cmp_le_u32_e32 vcc_lo, s33, v2
	s_cselect_b32 s4, -1, 0
	v_cndmask_b32_e64 v6, 0, -1, vcc_lo
	s_delay_alu instid0(VALU_DEP_3) | instskip(NEXT) | instid1(VALU_DEP_2)
	v_cmp_ne_u32_e32 vcc_lo, 0, v5
	v_cndmask_b32_e64 v5, -1, v6, s4
	v_cndmask_b32_e32 v6, s22, v7, vcc_lo
	v_cndmask_b32_e32 v4, v3, v4, vcc_lo
	s_delay_alu instid0(VALU_DEP_3) | instskip(NEXT) | instid1(VALU_DEP_3)
	v_cmp_ne_u32_e32 vcc_lo, 0, v5
	v_cndmask_b32_e32 v3, s20, v6, vcc_lo
	s_delay_alu instid0(VALU_DEP_3)
	v_cndmask_b32_e32 v2, v2, v4, vcc_lo
	s_cbranch_execnz .LBB135_168
.LBB135_167:                            ;   in Loop: Header=BB135_46 Depth=1
	v_cvt_f32_u32_e32 v2, s33
	s_sub_i32 s4, 0, s33
	s_delay_alu instid0(VALU_DEP_1) | instskip(SKIP_2) | instid1(VALU_DEP_1)
	v_rcp_iflag_f32_e32 v2, v2
	s_waitcnt_depctr 0xfff
	v_mul_f32_e32 v2, 0x4f7ffffe, v2
	v_cvt_u32_f32_e32 v2, v2
	s_delay_alu instid0(VALU_DEP_1) | instskip(NEXT) | instid1(VALU_DEP_1)
	v_mul_lo_u32 v3, s4, v2
	v_mul_hi_u32 v3, v2, v3
	s_delay_alu instid0(VALU_DEP_1) | instskip(NEXT) | instid1(VALU_DEP_1)
	v_add_nc_u32_e32 v2, v2, v3
	v_mul_hi_u32 v2, s19, v2
	s_delay_alu instid0(VALU_DEP_1) | instskip(NEXT) | instid1(VALU_DEP_1)
	v_mul_lo_u32 v2, v2, s33
	v_sub_nc_u32_e32 v2, s19, v2
	s_delay_alu instid0(VALU_DEP_1) | instskip(SKIP_1) | instid1(VALU_DEP_2)
	v_subrev_nc_u32_e32 v3, s33, v2
	v_cmp_le_u32_e32 vcc_lo, s33, v2
	v_cndmask_b32_e32 v2, v2, v3, vcc_lo
	s_delay_alu instid0(VALU_DEP_1) | instskip(SKIP_1) | instid1(VALU_DEP_2)
	v_subrev_nc_u32_e32 v3, s33, v2
	v_cmp_le_u32_e32 vcc_lo, s33, v2
	v_cndmask_b32_e32 v14, v2, v3, vcc_lo
	s_delay_alu instid0(VALU_DEP_1)
	v_dual_mov_b32 v2, v14 :: v_dual_mov_b32 v3, v15
.LBB135_168:                            ;   in Loop: Header=BB135_46 Depth=1
	s_delay_alu instid0(VALU_DEP_1) | instskip(NEXT) | instid1(VALU_DEP_2)
	v_sub_co_u32 v2, vcc_lo, s19, v2
	v_sub_co_ci_u32_e32 v3, vcc_lo, s5, v3, vcc_lo
	s_mov_b32 s4, 0
	s_mov_b32 s5, exec_lo
                                        ; implicit-def: $vgpr46
	s_delay_alu instid0(VALU_DEP_1)
	v_cmpx_gt_u64_e64 v[2:3], v[0:1]
	s_cbranch_execz .LBB135_181
; %bb.169:                              ;   in Loop: Header=BB135_46 Depth=1
	v_dual_mov_b32 v6, v39 :: v_dual_mov_b32 v5, v1
	v_mov_b32_e32 v4, v0
	s_mov_b32 s19, 0
                                        ; implicit-def: $sgpr20
	s_set_inst_prefetch_distance 0x1
	s_branch .LBB135_171
	.p2align	6
.LBB135_170:                            ;   in Loop: Header=BB135_171 Depth=2
	s_or_b32 exec_lo, exec_lo, s4
	s_waitcnt lgkmcnt(0)
	s_barrier
	buffer_gl0_inv
	ds_load_b32 v7, v15 offset:3072
	v_add_co_u32 v4, vcc_lo, v4, s33
	v_add_co_ci_u32_e32 v5, vcc_lo, 0, v5, vcc_lo
	v_add_nc_u32_e32 v6, s86, v6
	s_waitcnt lgkmcnt(0)
	s_barrier
	s_delay_alu instid0(VALU_DEP_2) | instskip(SKIP_2) | instid1(VALU_DEP_1)
	v_cmp_ge_u64_e32 vcc_lo, v[4:5], v[2:3]
	buffer_gl0_inv
	v_cmp_neq_f16_e64 s4, 0, v7
	s_or_b32 s22, vcc_lo, s4
	s_delay_alu instid0(SALU_CYCLE_1) | instskip(NEXT) | instid1(SALU_CYCLE_1)
	s_and_b32 s22, exec_lo, s22
	s_or_b32 s19, s22, s19
	s_and_not1_b32 s20, s20, exec_lo
	s_and_b32 s4, s4, exec_lo
	s_delay_alu instid0(SALU_CYCLE_1)
	s_or_b32 s20, s20, s4
	s_and_not1_b32 exec_lo, exec_lo, s19
	s_cbranch_execz .LBB135_180
.LBB135_171:                            ;   Parent Loop BB135_46 Depth=1
                                        ; =>  This Inner Loop Header: Depth=2
	s_delay_alu instid0(VALU_DEP_1)
	v_cmp_gt_u64_e32 vcc_lo, s[12:13], v[4:5]
	v_mov_b32_e32 v7, 0
	s_and_saveexec_b32 s4, vcc_lo
	s_cbranch_execz .LBB135_173
; %bb.172:                              ;   in Loop: Header=BB135_171 Depth=2
	ds_load_u16 v7, v6
.LBB135_173:                            ;   in Loop: Header=BB135_171 Depth=2
	s_or_b32 exec_lo, exec_lo, s4
	s_and_saveexec_b32 s4, vcc_lo
	s_cbranch_execz .LBB135_170
; %bb.174:                              ;   in Loop: Header=BB135_171 Depth=2
	s_waitcnt lgkmcnt(0)
	v_cmp_lt_i16_e32 vcc_lo, -1, v7
	v_dual_cndmask_b32 v9, 0xffff, v45 :: v_dual_and_b32 v8, 0xffff, v7
	v_cmp_o_f16_e32 vcc_lo, v7, v7
	s_delay_alu instid0(VALU_DEP_2) | instskip(NEXT) | instid1(VALU_DEP_1)
	v_xor_b32_e32 v8, v9, v8
	v_cndmask_b32_e32 v8, 0xffff, v8, vcc_lo
	s_delay_alu instid0(VALU_DEP_1) | instskip(NEXT) | instid1(VALU_DEP_1)
	v_and_b32_e32 v8, s98, v8
	v_cmp_eq_u32_e32 vcc_lo, s97, v8
	s_and_b32 exec_lo, exec_lo, vcc_lo
	s_cbranch_execz .LBB135_170
; %bb.175:                              ;   in Loop: Header=BB135_171 Depth=2
	v_perm_b32 v7, v7, s87, 0x5040100
	ds_store_b32 v15, v7 offset:3072
	s_branch .LBB135_170
.LBB135_176:                            ;   in Loop: Header=BB135_46 Depth=1
                                        ; implicit-def: $sgpr13
                                        ; implicit-def: $sgpr19
                                        ; implicit-def: $sgpr12
	s_branch .LBB135_195
.LBB135_177:                            ;   in Loop: Header=BB135_46 Depth=1
                                        ; implicit-def: $vgpr2_vgpr3
	s_branch .LBB135_122
.LBB135_178:                            ;   in Loop: Header=BB135_46 Depth=1
                                        ; implicit-def: $vgpr2_vgpr3
	s_branch .LBB135_137
.LBB135_179:                            ;   in Loop: Header=BB135_46 Depth=1
	s_mov_b32 s13, -1
	s_mov_b32 s4, 0
                                        ; implicit-def: $sgpr12
                                        ; implicit-def: $vgpr46
	s_mov_b32 s19, s13
	s_cbranch_execnz .LBB135_182
	s_branch .LBB135_195
.LBB135_180:                            ;   in Loop: Header=BB135_46 Depth=1
	s_set_inst_prefetch_distance 0x2
	s_or_b32 exec_lo, exec_lo, s19
	v_lshrrev_b32_e32 v46, 16, v7
	s_and_b32 s4, s20, exec_lo
.LBB135_181:                            ;   in Loop: Header=BB135_46 Depth=1
	s_or_b32 exec_lo, exec_lo, s5
	s_mov_b32 s12, -1
	s_mov_b32 s13, 0
	s_delay_alu instid0(SALU_CYCLE_1)
	s_mov_b32 s19, s13
	s_branch .LBB135_195
.LBB135_182:                            ;   in Loop: Header=BB135_46 Depth=1
	s_mov_b32 s54, s53
	s_delay_alu instid0(SALU_CYCLE_1)
	s_cmp_lg_u64 s[54:55], 0
	s_cbranch_scc0 .LBB135_225
; %bb.183:                              ;   in Loop: Header=BB135_46 Depth=1
	v_cvt_f32_u32_e32 v2, s33
	s_sub_u32 s12, 0, s33
	s_subb_u32 s13, 0, 0
	s_delay_alu instid0(VALU_DEP_1) | instskip(NEXT) | instid1(VALU_DEP_1)
	v_fmac_f32_e64 v2, 0, 0x4f800000
	v_rcp_f32_e32 v2, v2
	s_waitcnt_depctr 0xfff
	v_mul_f32_e32 v2, 0x5f7ffffc, v2
	s_delay_alu instid0(VALU_DEP_1) | instskip(NEXT) | instid1(VALU_DEP_1)
	v_mul_f32_e32 v3, 0x2f800000, v2
	v_trunc_f32_e32 v3, v3
	s_delay_alu instid0(VALU_DEP_1) | instskip(SKIP_1) | instid1(VALU_DEP_2)
	v_fmac_f32_e32 v2, 0xcf800000, v3
	v_cvt_u32_f32_e32 v3, v3
	v_cvt_u32_f32_e32 v2, v2
	s_delay_alu instid0(VALU_DEP_2) | instskip(NEXT) | instid1(VALU_DEP_2)
	v_readfirstlane_b32 s4, v3
	v_readfirstlane_b32 s5, v2
	s_delay_alu instid0(VALU_DEP_2) | instskip(NEXT) | instid1(VALU_DEP_1)
	s_mul_i32 s19, s12, s4
	s_mul_hi_u32 s22, s12, s5
	s_mul_i32 s20, s13, s5
	s_add_i32 s19, s22, s19
	s_mul_i32 s23, s12, s5
	s_add_i32 s19, s19, s20
	s_mul_hi_u32 s22, s5, s23
	s_mul_hi_u32 s52, s4, s23
	s_mul_i32 s20, s4, s23
	s_mul_hi_u32 s23, s5, s19
	s_mul_i32 s5, s5, s19
	s_mul_hi_u32 s54, s4, s19
	s_add_u32 s5, s22, s5
	s_addc_u32 s22, 0, s23
	s_add_u32 s5, s5, s20
	s_mul_i32 s19, s4, s19
	s_addc_u32 s5, s22, s52
	s_addc_u32 s20, s54, 0
	s_add_u32 s5, s5, s19
	s_addc_u32 s19, 0, s20
	v_add_co_u32 v2, s5, v2, s5
	s_delay_alu instid0(VALU_DEP_1) | instskip(SKIP_1) | instid1(VALU_DEP_1)
	s_cmp_lg_u32 s5, 0
	s_addc_u32 s4, s4, s19
	v_readfirstlane_b32 s5, v2
	s_mul_i32 s19, s12, s4
	s_delay_alu instid0(VALU_DEP_1)
	s_mul_hi_u32 s20, s12, s5
	s_mul_i32 s13, s13, s5
	s_add_i32 s19, s20, s19
	s_mul_i32 s12, s12, s5
	s_add_i32 s19, s19, s13
	s_mul_hi_u32 s20, s4, s12
	s_mul_i32 s22, s4, s12
	s_mul_hi_u32 s12, s5, s12
	s_mul_hi_u32 s23, s5, s19
	s_mul_i32 s5, s5, s19
	s_mul_hi_u32 s13, s4, s19
	s_add_u32 s5, s12, s5
	s_addc_u32 s12, 0, s23
	s_add_u32 s5, s5, s22
	s_mul_i32 s19, s4, s19
	s_addc_u32 s5, s12, s20
	s_addc_u32 s12, s13, 0
	s_add_u32 s5, s5, s19
	s_addc_u32 s12, 0, s12
	v_add_co_u32 v2, s5, v2, s5
	s_delay_alu instid0(VALU_DEP_1) | instskip(SKIP_1) | instid1(VALU_DEP_1)
	s_cmp_lg_u32 s5, 0
	s_addc_u32 s4, s4, s12
	v_readfirstlane_b32 s5, v2
	s_mul_i32 s13, s80, s4
	s_mul_hi_u32 s12, s80, s4
	s_mul_hi_u32 s19, s55, s4
	s_mul_i32 s4, s55, s4
	s_mul_hi_u32 s20, s80, s5
	s_mul_hi_u32 s22, s55, s5
	s_mul_i32 s5, s55, s5
	s_add_u32 s13, s20, s13
	s_addc_u32 s12, 0, s12
	s_add_u32 s5, s13, s5
	s_addc_u32 s5, s12, s22
	s_addc_u32 s12, s19, 0
	s_add_u32 s4, s5, s4
	s_addc_u32 s5, 0, s12
	s_mul_hi_u32 s12, s33, s4
	s_mul_i32 s4, s33, s4
	s_mul_i32 s5, s33, s5
	v_sub_co_u32 v2, s4, s80, s4
	s_add_i32 s12, s12, s5
	s_cmp_lg_u32 s4, 0
	s_delay_alu instid0(VALU_DEP_1) | instskip(SKIP_2) | instid1(VALU_DEP_1)
	v_sub_co_u32 v3, s4, v2, s33
	s_subb_u32 s5, s55, s12
	s_cmp_lg_u32 s4, 0
	v_cmp_le_u32_e32 vcc_lo, s33, v3
	v_sub_co_u32 v4, s4, v3, s33
	s_subb_u32 s12, s5, 0
	s_cmp_lg_u32 s4, 0
	v_cndmask_b32_e64 v5, 0, -1, vcc_lo
	s_subb_u32 s4, s12, 0
	s_cmp_eq_u32 s12, 0
	v_mov_b32_e32 v7, s4
	s_cselect_b32 vcc_lo, -1, 0
	s_cmp_eq_u32 s5, 0
	v_cndmask_b32_e32 v5, -1, v5, vcc_lo
	v_cmp_le_u32_e32 vcc_lo, s33, v2
	s_cselect_b32 s4, -1, 0
	v_cndmask_b32_e64 v6, 0, -1, vcc_lo
	s_delay_alu instid0(VALU_DEP_3) | instskip(NEXT) | instid1(VALU_DEP_2)
	v_cmp_ne_u32_e32 vcc_lo, 0, v5
	v_cndmask_b32_e64 v5, -1, v6, s4
	v_cndmask_b32_e32 v6, s12, v7, vcc_lo
	v_cndmask_b32_e32 v4, v3, v4, vcc_lo
	s_delay_alu instid0(VALU_DEP_3) | instskip(NEXT) | instid1(VALU_DEP_3)
	v_cmp_ne_u32_e32 vcc_lo, 0, v5
	v_cndmask_b32_e32 v3, s5, v6, vcc_lo
	s_delay_alu instid0(VALU_DEP_3)
	v_cndmask_b32_e32 v2, v2, v4, vcc_lo
	s_cbranch_execnz .LBB135_185
.LBB135_184:                            ;   in Loop: Header=BB135_46 Depth=1
	v_cvt_f32_u32_e32 v2, s33
	s_sub_i32 s4, 0, s33
	s_delay_alu instid0(VALU_DEP_1) | instskip(SKIP_2) | instid1(VALU_DEP_1)
	v_rcp_iflag_f32_e32 v2, v2
	s_waitcnt_depctr 0xfff
	v_mul_f32_e32 v2, 0x4f7ffffe, v2
	v_cvt_u32_f32_e32 v2, v2
	s_delay_alu instid0(VALU_DEP_1) | instskip(NEXT) | instid1(VALU_DEP_1)
	v_mul_lo_u32 v3, s4, v2
	v_mul_hi_u32 v3, v2, v3
	s_delay_alu instid0(VALU_DEP_1) | instskip(NEXT) | instid1(VALU_DEP_1)
	v_add_nc_u32_e32 v2, v2, v3
	v_mul_hi_u32 v2, s80, v2
	s_delay_alu instid0(VALU_DEP_1) | instskip(NEXT) | instid1(VALU_DEP_1)
	v_mul_lo_u32 v2, v2, s33
	v_sub_nc_u32_e32 v2, s80, v2
	s_delay_alu instid0(VALU_DEP_1) | instskip(SKIP_1) | instid1(VALU_DEP_2)
	v_subrev_nc_u32_e32 v3, s33, v2
	v_cmp_le_u32_e32 vcc_lo, s33, v2
	v_cndmask_b32_e32 v2, v2, v3, vcc_lo
	s_delay_alu instid0(VALU_DEP_1) | instskip(SKIP_1) | instid1(VALU_DEP_2)
	v_subrev_nc_u32_e32 v3, s33, v2
	v_cmp_le_u32_e32 vcc_lo, s33, v2
	v_cndmask_b32_e32 v14, v2, v3, vcc_lo
	s_delay_alu instid0(VALU_DEP_1)
	v_dual_mov_b32 v2, v14 :: v_dual_mov_b32 v3, v15
.LBB135_185:                            ;   in Loop: Header=BB135_46 Depth=1
	s_delay_alu instid0(VALU_DEP_1) | instskip(NEXT) | instid1(VALU_DEP_2)
	v_sub_co_u32 v2, vcc_lo, s80, v2
	v_sub_co_ci_u32_e32 v3, vcc_lo, s55, v3, vcc_lo
	s_mov_b32 s4, 0
	s_mov_b32 s5, exec_lo
                                        ; implicit-def: $vgpr46
	s_delay_alu instid0(VALU_DEP_1)
	v_cmpx_gt_u64_e64 v[2:3], v[0:1]
	s_cbranch_execz .LBB135_194
; %bb.186:                              ;   in Loop: Header=BB135_46 Depth=1
	v_dual_mov_b32 v4, v10 :: v_dual_mov_b32 v5, v11
	v_dual_mov_b32 v7, v1 :: v_dual_mov_b32 v6, v0
	s_mov_b32 s12, 0
                                        ; implicit-def: $sgpr13
	s_branch .LBB135_188
.LBB135_187:                            ;   in Loop: Header=BB135_188 Depth=2
	s_or_b32 exec_lo, exec_lo, s4
	s_waitcnt vmcnt(0) lgkmcnt(0)
	s_barrier
	buffer_gl0_inv
	ds_load_b32 v8, v15 offset:3072
	v_add_co_u32 v6, vcc_lo, v6, s33
	v_add_co_ci_u32_e32 v7, vcc_lo, 0, v7, vcc_lo
	s_waitcnt lgkmcnt(0)
	s_barrier
	buffer_gl0_inv
	v_cmp_ge_u64_e32 vcc_lo, v[6:7], v[2:3]
	v_cmp_neq_f16_e64 s4, 0, v8
	s_delay_alu instid0(VALU_DEP_1)
	s_or_b32 s19, vcc_lo, s4
	v_add_co_u32 v4, vcc_lo, v4, s46
	s_and_b32 s19, exec_lo, s19
	v_add_co_ci_u32_e32 v5, vcc_lo, s47, v5, vcc_lo
	s_or_b32 s12, s19, s12
	s_and_not1_b32 s13, s13, exec_lo
	s_and_b32 s4, s4, exec_lo
	s_delay_alu instid0(SALU_CYCLE_1)
	s_or_b32 s13, s13, s4
	s_and_not1_b32 exec_lo, exec_lo, s12
	s_cbranch_execz .LBB135_193
.LBB135_188:                            ;   Parent Loop BB135_46 Depth=1
                                        ; =>  This Inner Loop Header: Depth=2
	s_delay_alu instid0(VALU_DEP_1)
	v_cmp_gt_u64_e32 vcc_lo, s[24:25], v[6:7]
	v_mov_b32_e32 v8, 0
	s_and_saveexec_b32 s4, vcc_lo
	s_cbranch_execz .LBB135_190
; %bb.189:                              ;   in Loop: Header=BB135_188 Depth=2
	global_load_u16 v8, v[4:5], off
.LBB135_190:                            ;   in Loop: Header=BB135_188 Depth=2
	s_or_b32 exec_lo, exec_lo, s4
	s_and_saveexec_b32 s4, vcc_lo
	s_cbranch_execz .LBB135_187
; %bb.191:                              ;   in Loop: Header=BB135_188 Depth=2
	s_waitcnt vmcnt(0)
	v_cmp_lt_i16_e32 vcc_lo, -1, v8
	v_dual_cndmask_b32 v14, 0xffff, v45 :: v_dual_and_b32 v9, 0xffff, v8
	v_cmp_o_f16_e32 vcc_lo, v8, v8
	s_delay_alu instid0(VALU_DEP_2) | instskip(NEXT) | instid1(VALU_DEP_1)
	v_xor_b32_e32 v9, v14, v9
	v_cndmask_b32_e32 v9, 0xffff, v9, vcc_lo
	s_delay_alu instid0(VALU_DEP_1) | instskip(NEXT) | instid1(VALU_DEP_1)
	v_and_b32_e32 v9, s98, v9
	v_cmp_eq_u32_e32 vcc_lo, s97, v9
	s_and_b32 exec_lo, exec_lo, vcc_lo
	s_cbranch_execz .LBB135_187
; %bb.192:                              ;   in Loop: Header=BB135_188 Depth=2
	v_perm_b32 v8, v8, s87, 0x5040100
	ds_store_b32 v15, v8 offset:3072
	s_branch .LBB135_187
.LBB135_193:                            ;   in Loop: Header=BB135_46 Depth=1
	s_or_b32 exec_lo, exec_lo, s12
	v_lshrrev_b32_e32 v46, 16, v8
	s_and_b32 s4, s13, exec_lo
.LBB135_194:                            ;   in Loop: Header=BB135_46 Depth=1
	s_or_b32 exec_lo, exec_lo, s5
	s_mov_b32 s19, -1
	s_mov_b32 s13, 0
	s_mov_b32 s12, 0
.LBB135_195:                            ;   in Loop: Header=BB135_46 Depth=1
	s_mov_b32 s5, 0
                                        ; implicit-def: $sgpr52
	s_and_saveexec_b32 s20, s4
	s_cbranch_execz .LBB135_306
; %bb.196:                              ;   in Loop: Header=BB135_46 Depth=1
	s_xor_b32 s4, s21, -1
	s_mov_b32 s52, 1
	s_and_not1_b32 vcc_lo, exec_lo, s4
	s_cbranch_vccnz .LBB135_207
; %bb.197:                              ;   in Loop: Header=BB135_46 Depth=1
	v_cmp_gt_u64_e64 s4, s[50:51], s[10:11]
                                        ; implicit-def: $sgpr52
                                        ; implicit-def: $sgpr5
                                        ; implicit-def: $sgpr21
	s_delay_alu instid0(VALU_DEP_1)
	s_and_b32 vcc_lo, exec_lo, s4
	s_mov_b32 s4, -1
	s_cbranch_vccnz .LBB135_203
; %bb.198:                              ;   in Loop: Header=BB135_46 Depth=1
	ds_load_b64 v[2:3], v15 offset:5120
	s_waitcnt lgkmcnt(0)
	v_cmp_ne_u64_e32 vcc_lo, 0, v[2:3]
	s_cbranch_vccnz .LBB135_202
; %bb.199:                              ;   in Loop: Header=BB135_46 Depth=1
	s_and_saveexec_b32 s4, s3
	s_cbranch_execz .LBB135_201
; %bb.200:                              ;   in Loop: Header=BB135_46 Depth=1
	v_dual_mov_b32 v2, s10 :: v_dual_mov_b32 v3, s11
	ds_store_b64 v15, v[2:3] offset:5128
.LBB135_201:                            ;   in Loop: Header=BB135_46 Depth=1
	s_or_b32 exec_lo, exec_lo, s4
	s_waitcnt lgkmcnt(0)
	s_barrier
	buffer_gl0_inv
.LBB135_202:                            ;   in Loop: Header=BB135_46 Depth=1
	s_lshl_b32 s4, 1, s17
	s_and_b32 s5, s97, s18
	s_or_b32 s21, s98, s16
	s_or_b32 s5, s5, s4
	s_mov_b32 s4, 0
	s_mov_b32 s52, 8
.LBB135_203:                            ;   in Loop: Header=BB135_46 Depth=1
	s_and_not1_b32 vcc_lo, exec_lo, s4
	s_cbranch_vccnz .LBB135_205
; %bb.204:                              ;   in Loop: Header=BB135_46 Depth=1
	s_sub_u32 s50, s50, s10
	s_subb_u32 s51, s51, s11
	s_mov_b32 s4, -1
	s_mov_b32 s52, 0
	s_mov_b32 s5, s97
	;; [unrolled: 1-line block ×3, first 2 shown]
.LBB135_205:                            ;   in Loop: Header=BB135_46 Depth=1
	s_delay_alu instid0(SALU_CYCLE_1)
	s_mov_b32 s98, s21
	s_mov_b32 s97, s5
	s_and_not1_b32 vcc_lo, exec_lo, s4
	s_mov_b32 s5, -1
	s_cbranch_vccz .LBB135_208
.LBB135_206:                            ;   in Loop: Header=BB135_46 Depth=1
                                        ; implicit-def: $sgpr11
                                        ; implicit-def: $sgpr21
                                        ; implicit-def: $sgpr10
	s_branch .LBB135_305
.LBB135_207:                            ;   in Loop: Header=BB135_46 Depth=1
	s_mov_b64 s[50:51], 1
	s_mov_b32 s5, -1
	s_cbranch_execnz .LBB135_206
.LBB135_208:                            ;   in Loop: Header=BB135_46 Depth=1
	s_cmp_eq_u64 s[8:9], 1
	s_cselect_b32 s4, -1, 0
	s_cmp_eq_u64 s[50:51], 1
	s_cselect_b32 s5, -1, 0
	s_delay_alu instid0(SALU_CYCLE_1)
	s_and_b32 s23, s4, s5
	s_mov_b32 s4, -1
	s_and_b32 vcc_lo, exec_lo, s23
	s_cbranch_vccz .LBB135_223
; %bb.209:                              ;   in Loop: Header=BB135_46 Depth=1
	ds_load_b64 v[2:3], v15 offset:5120
	s_waitcnt lgkmcnt(0)
	s_barrier
	buffer_gl0_inv
	v_readfirstlane_b32 s10, v2
	v_readfirstlane_b32 s11, v3
	s_and_saveexec_b32 s4, s0
	s_cbranch_execz .LBB135_211
; %bb.210:                              ;   in Loop: Header=BB135_46 Depth=1
	ds_store_b16 v40, v15
.LBB135_211:                            ;   in Loop: Header=BB135_46 Depth=1
	s_or_b32 exec_lo, exec_lo, s4
	s_lshl_b32 s4, 2, s17
	s_and_b32 s5, s97, s18
	s_or_b32 s98, s98, s16
	s_or_b32 s97, s5, s4
	s_cmp_eq_u64 s[10:11], 0
	s_waitcnt lgkmcnt(0)
	s_barrier
	buffer_gl0_inv
	s_cbranch_scc1 .LBB135_226
; %bb.212:                              ;   in Loop: Header=BB135_46 Depth=1
	s_add_u32 s21, s78, s10
	s_addc_u32 s5, s79, s11
	s_mov_b32 s4, s53
	s_delay_alu instid0(SALU_CYCLE_1)
	s_cmp_lg_u64 s[4:5], 0
	s_cbranch_scc0 .LBB135_271
; %bb.213:                              ;   in Loop: Header=BB135_46 Depth=1
	v_cvt_f32_u32_e32 v2, s33
	s_sub_u32 s52, 0, s33
	s_subb_u32 s54, 0, 0
	s_delay_alu instid0(VALU_DEP_1) | instskip(NEXT) | instid1(VALU_DEP_1)
	v_fmac_f32_e64 v2, 0, 0x4f800000
	v_rcp_f32_e32 v2, v2
	s_waitcnt_depctr 0xfff
	v_mul_f32_e32 v2, 0x5f7ffffc, v2
	s_delay_alu instid0(VALU_DEP_1) | instskip(NEXT) | instid1(VALU_DEP_1)
	v_mul_f32_e32 v3, 0x2f800000, v2
	v_trunc_f32_e32 v3, v3
	s_delay_alu instid0(VALU_DEP_1) | instskip(SKIP_1) | instid1(VALU_DEP_2)
	v_fmac_f32_e32 v2, 0xcf800000, v3
	v_cvt_u32_f32_e32 v3, v3
	v_cvt_u32_f32_e32 v2, v2
	s_delay_alu instid0(VALU_DEP_2) | instskip(NEXT) | instid1(VALU_DEP_2)
	v_readfirstlane_b32 s4, v3
	v_readfirstlane_b32 s22, v2
	s_delay_alu instid0(VALU_DEP_2) | instskip(NEXT) | instid1(VALU_DEP_1)
	s_mul_i32 s64, s52, s4
	s_mul_hi_u32 s66, s52, s22
	s_mul_i32 s65, s54, s22
	s_add_i32 s64, s66, s64
	s_mul_i32 s67, s52, s22
	s_add_i32 s64, s64, s65
	s_mul_hi_u32 s66, s22, s67
	s_mul_hi_u32 s68, s4, s67
	s_mul_i32 s65, s4, s67
	s_mul_hi_u32 s67, s22, s64
	s_mul_i32 s22, s22, s64
	s_mul_hi_u32 s69, s4, s64
	s_add_u32 s22, s66, s22
	s_addc_u32 s66, 0, s67
	s_add_u32 s22, s22, s65
	s_mul_i32 s64, s4, s64
	s_addc_u32 s22, s66, s68
	s_addc_u32 s65, s69, 0
	s_add_u32 s22, s22, s64
	s_addc_u32 s64, 0, s65
	v_add_co_u32 v2, s22, v2, s22
	s_delay_alu instid0(VALU_DEP_1) | instskip(SKIP_1) | instid1(VALU_DEP_1)
	s_cmp_lg_u32 s22, 0
	s_addc_u32 s4, s4, s64
	v_readfirstlane_b32 s22, v2
	s_mul_i32 s64, s52, s4
	s_delay_alu instid0(VALU_DEP_1)
	s_mul_hi_u32 s65, s52, s22
	s_mul_i32 s54, s54, s22
	s_add_i32 s64, s65, s64
	s_mul_i32 s52, s52, s22
	s_add_i32 s64, s64, s54
	s_mul_hi_u32 s65, s4, s52
	s_mul_i32 s66, s4, s52
	s_mul_hi_u32 s52, s22, s52
	s_mul_hi_u32 s67, s22, s64
	s_mul_i32 s22, s22, s64
	s_mul_hi_u32 s54, s4, s64
	s_add_u32 s22, s52, s22
	s_addc_u32 s52, 0, s67
	s_add_u32 s22, s22, s66
	s_mul_i32 s64, s4, s64
	s_addc_u32 s22, s52, s65
	s_addc_u32 s52, s54, 0
	s_add_u32 s22, s22, s64
	s_addc_u32 s52, 0, s52
	v_add_co_u32 v2, s22, v2, s22
	s_delay_alu instid0(VALU_DEP_1) | instskip(SKIP_1) | instid1(VALU_DEP_1)
	s_cmp_lg_u32 s22, 0
	s_addc_u32 s4, s4, s52
	v_readfirstlane_b32 s22, v2
	s_mul_i32 s54, s21, s4
	s_mul_hi_u32 s52, s21, s4
	s_mul_hi_u32 s64, s5, s4
	s_mul_i32 s4, s5, s4
	s_mul_hi_u32 s65, s21, s22
	s_mul_hi_u32 s66, s5, s22
	s_mul_i32 s22, s5, s22
	s_add_u32 s54, s65, s54
	s_addc_u32 s52, 0, s52
	s_add_u32 s22, s54, s22
	s_addc_u32 s22, s52, s66
	s_addc_u32 s52, s64, 0
	s_add_u32 s4, s22, s4
	s_addc_u32 s22, 0, s52
	s_mul_hi_u32 s52, s33, s4
	s_mul_i32 s4, s33, s4
	s_mul_i32 s22, s33, s22
	v_sub_co_u32 v2, s4, s21, s4
	s_add_i32 s52, s52, s22
	s_cmp_lg_u32 s4, 0
	s_delay_alu instid0(VALU_DEP_1) | instskip(SKIP_2) | instid1(VALU_DEP_1)
	v_sub_co_u32 v3, s4, v2, s33
	s_subb_u32 s22, s5, s52
	s_cmp_lg_u32 s4, 0
	v_cmp_le_u32_e32 vcc_lo, s33, v3
	v_sub_co_u32 v4, s4, v3, s33
	s_subb_u32 s52, s22, 0
	s_cmp_lg_u32 s4, 0
	v_cndmask_b32_e64 v5, 0, -1, vcc_lo
	s_subb_u32 s4, s52, 0
	s_cmp_eq_u32 s52, 0
	v_mov_b32_e32 v7, s4
	s_cselect_b32 vcc_lo, -1, 0
	s_cmp_eq_u32 s22, 0
	v_cndmask_b32_e32 v5, -1, v5, vcc_lo
	v_cmp_le_u32_e32 vcc_lo, s33, v2
	s_cselect_b32 s4, -1, 0
	v_cndmask_b32_e64 v6, 0, -1, vcc_lo
	s_delay_alu instid0(VALU_DEP_3) | instskip(NEXT) | instid1(VALU_DEP_2)
	v_cmp_ne_u32_e32 vcc_lo, 0, v5
	v_cndmask_b32_e64 v5, -1, v6, s4
	v_cndmask_b32_e32 v6, s52, v7, vcc_lo
	v_cndmask_b32_e32 v4, v3, v4, vcc_lo
	s_delay_alu instid0(VALU_DEP_3) | instskip(NEXT) | instid1(VALU_DEP_3)
	v_cmp_ne_u32_e32 vcc_lo, 0, v5
	v_cndmask_b32_e32 v3, s22, v6, vcc_lo
	s_delay_alu instid0(VALU_DEP_3)
	v_cndmask_b32_e32 v2, v2, v4, vcc_lo
	s_cbranch_execnz .LBB135_215
.LBB135_214:                            ;   in Loop: Header=BB135_46 Depth=1
	v_cvt_f32_u32_e32 v2, s33
	s_sub_i32 s4, 0, s33
	s_delay_alu instid0(VALU_DEP_1) | instskip(SKIP_2) | instid1(VALU_DEP_1)
	v_rcp_iflag_f32_e32 v2, v2
	s_waitcnt_depctr 0xfff
	v_mul_f32_e32 v2, 0x4f7ffffe, v2
	v_cvt_u32_f32_e32 v2, v2
	s_delay_alu instid0(VALU_DEP_1) | instskip(NEXT) | instid1(VALU_DEP_1)
	v_mul_lo_u32 v3, s4, v2
	v_mul_hi_u32 v3, v2, v3
	s_delay_alu instid0(VALU_DEP_1) | instskip(NEXT) | instid1(VALU_DEP_1)
	v_add_nc_u32_e32 v2, v2, v3
	v_mul_hi_u32 v2, s21, v2
	s_delay_alu instid0(VALU_DEP_1) | instskip(NEXT) | instid1(VALU_DEP_1)
	v_mul_lo_u32 v2, v2, s33
	v_sub_nc_u32_e32 v2, s21, v2
	s_delay_alu instid0(VALU_DEP_1) | instskip(SKIP_1) | instid1(VALU_DEP_2)
	v_subrev_nc_u32_e32 v3, s33, v2
	v_cmp_le_u32_e32 vcc_lo, s33, v2
	v_cndmask_b32_e32 v2, v2, v3, vcc_lo
	s_delay_alu instid0(VALU_DEP_1) | instskip(SKIP_1) | instid1(VALU_DEP_2)
	v_subrev_nc_u32_e32 v3, s33, v2
	v_cmp_le_u32_e32 vcc_lo, s33, v2
	v_cndmask_b32_e32 v14, v2, v3, vcc_lo
	s_delay_alu instid0(VALU_DEP_1)
	v_dual_mov_b32 v2, v14 :: v_dual_mov_b32 v3, v15
.LBB135_215:                            ;   in Loop: Header=BB135_46 Depth=1
	s_delay_alu instid0(VALU_DEP_1) | instskip(NEXT) | instid1(VALU_DEP_2)
	v_sub_co_u32 v2, vcc_lo, s21, v2
	v_sub_co_ci_u32_e32 v3, vcc_lo, s5, v3, vcc_lo
	s_mov_b32 s4, 0
	s_mov_b32 s5, exec_lo
                                        ; implicit-def: $vgpr46
	s_delay_alu instid0(VALU_DEP_1)
	v_cmpx_gt_u64_e64 v[2:3], v[0:1]
	s_cbranch_execz .LBB135_228
; %bb.216:                              ;   in Loop: Header=BB135_46 Depth=1
	v_dual_mov_b32 v6, v39 :: v_dual_mov_b32 v5, v1
	v_mov_b32_e32 v4, v0
	s_mov_b32 s21, 0
                                        ; implicit-def: $sgpr22
	s_set_inst_prefetch_distance 0x1
	s_branch .LBB135_218
	.p2align	6
.LBB135_217:                            ;   in Loop: Header=BB135_218 Depth=2
	s_or_b32 exec_lo, exec_lo, s4
	s_waitcnt lgkmcnt(0)
	s_barrier
	buffer_gl0_inv
	ds_load_b32 v7, v15 offset:3072
	v_add_co_u32 v4, vcc_lo, v4, s33
	v_add_co_ci_u32_e32 v5, vcc_lo, 0, v5, vcc_lo
	v_add_nc_u32_e32 v6, s86, v6
	s_waitcnt lgkmcnt(0)
	s_barrier
	s_delay_alu instid0(VALU_DEP_2) | instskip(SKIP_2) | instid1(VALU_DEP_1)
	v_cmp_ge_u64_e32 vcc_lo, v[4:5], v[2:3]
	buffer_gl0_inv
	v_cmp_neq_f16_e64 s4, 0, v7
	s_or_b32 s52, vcc_lo, s4
	s_delay_alu instid0(SALU_CYCLE_1) | instskip(NEXT) | instid1(SALU_CYCLE_1)
	s_and_b32 s52, exec_lo, s52
	s_or_b32 s21, s52, s21
	s_and_not1_b32 s22, s22, exec_lo
	s_and_b32 s4, s4, exec_lo
	s_delay_alu instid0(SALU_CYCLE_1)
	s_or_b32 s22, s22, s4
	s_and_not1_b32 exec_lo, exec_lo, s21
	s_cbranch_execz .LBB135_227
.LBB135_218:                            ;   Parent Loop BB135_46 Depth=1
                                        ; =>  This Inner Loop Header: Depth=2
	s_delay_alu instid0(VALU_DEP_1)
	v_cmp_gt_u64_e32 vcc_lo, s[10:11], v[4:5]
	v_mov_b32_e32 v7, 0
	s_and_saveexec_b32 s4, vcc_lo
	s_cbranch_execz .LBB135_220
; %bb.219:                              ;   in Loop: Header=BB135_218 Depth=2
	ds_load_u16 v7, v6
.LBB135_220:                            ;   in Loop: Header=BB135_218 Depth=2
	s_or_b32 exec_lo, exec_lo, s4
	s_and_saveexec_b32 s4, vcc_lo
	s_cbranch_execz .LBB135_217
; %bb.221:                              ;   in Loop: Header=BB135_218 Depth=2
	s_waitcnt lgkmcnt(0)
	v_cmp_lt_i16_e32 vcc_lo, -1, v7
	v_dual_cndmask_b32 v9, 0xffff, v45 :: v_dual_and_b32 v8, 0xffff, v7
	v_cmp_o_f16_e32 vcc_lo, v7, v7
	s_delay_alu instid0(VALU_DEP_2) | instskip(NEXT) | instid1(VALU_DEP_1)
	v_xor_b32_e32 v8, v9, v8
	v_cndmask_b32_e32 v8, 0xffff, v8, vcc_lo
	s_delay_alu instid0(VALU_DEP_1) | instskip(NEXT) | instid1(VALU_DEP_1)
	v_and_b32_e32 v8, s98, v8
	v_cmp_eq_u32_e32 vcc_lo, s97, v8
	s_and_b32 exec_lo, exec_lo, vcc_lo
	s_cbranch_execz .LBB135_217
; %bb.222:                              ;   in Loop: Header=BB135_218 Depth=2
	v_perm_b32 v7, v7, s87, 0x5040100
	ds_store_b32 v15, v7 offset:3072
	s_branch .LBB135_217
.LBB135_223:                            ;   in Loop: Header=BB135_46 Depth=1
                                        ; implicit-def: $sgpr10
                                        ; implicit-def: $sgpr21
                                        ; implicit-def: $sgpr11
	s_branch .LBB135_242
.LBB135_224:                            ;   in Loop: Header=BB135_46 Depth=1
                                        ; implicit-def: $vgpr2_vgpr3
	s_branch .LBB135_167
.LBB135_225:                            ;   in Loop: Header=BB135_46 Depth=1
                                        ; implicit-def: $vgpr2_vgpr3
	s_branch .LBB135_184
.LBB135_226:                            ;   in Loop: Header=BB135_46 Depth=1
	s_mov_b32 s10, -1
	s_mov_b32 s4, 0
                                        ; implicit-def: $sgpr11
                                        ; implicit-def: $vgpr46
	s_mov_b32 s21, s10
	s_cbranch_execnz .LBB135_229
	s_branch .LBB135_242
.LBB135_227:                            ;   in Loop: Header=BB135_46 Depth=1
	s_set_inst_prefetch_distance 0x2
	s_or_b32 exec_lo, exec_lo, s21
	v_lshrrev_b32_e32 v46, 16, v7
	s_and_b32 s4, s22, exec_lo
.LBB135_228:                            ;   in Loop: Header=BB135_46 Depth=1
	s_or_b32 exec_lo, exec_lo, s5
	s_mov_b32 s11, -1
	s_mov_b32 s10, 0
	s_delay_alu instid0(SALU_CYCLE_1)
	s_mov_b32 s21, s10
	s_branch .LBB135_242
.LBB135_229:                            ;   in Loop: Header=BB135_46 Depth=1
	s_mov_b32 s54, s53
	s_delay_alu instid0(SALU_CYCLE_1)
	s_cmp_lg_u64 s[54:55], 0
	s_cbranch_scc0 .LBB135_272
; %bb.230:                              ;   in Loop: Header=BB135_46 Depth=1
	v_cvt_f32_u32_e32 v2, s33
	s_sub_u32 s10, 0, s33
	s_subb_u32 s11, 0, 0
	s_delay_alu instid0(VALU_DEP_1) | instskip(NEXT) | instid1(VALU_DEP_1)
	v_fmac_f32_e64 v2, 0, 0x4f800000
	v_rcp_f32_e32 v2, v2
	s_waitcnt_depctr 0xfff
	v_mul_f32_e32 v2, 0x5f7ffffc, v2
	s_delay_alu instid0(VALU_DEP_1) | instskip(NEXT) | instid1(VALU_DEP_1)
	v_mul_f32_e32 v3, 0x2f800000, v2
	v_trunc_f32_e32 v3, v3
	s_delay_alu instid0(VALU_DEP_1) | instskip(SKIP_1) | instid1(VALU_DEP_2)
	v_fmac_f32_e32 v2, 0xcf800000, v3
	v_cvt_u32_f32_e32 v3, v3
	v_cvt_u32_f32_e32 v2, v2
	s_delay_alu instid0(VALU_DEP_2) | instskip(NEXT) | instid1(VALU_DEP_2)
	v_readfirstlane_b32 s4, v3
	v_readfirstlane_b32 s5, v2
	s_delay_alu instid0(VALU_DEP_2) | instskip(NEXT) | instid1(VALU_DEP_1)
	s_mul_i32 s21, s10, s4
	s_mul_hi_u32 s52, s10, s5
	s_mul_i32 s22, s11, s5
	s_add_i32 s21, s52, s21
	s_mul_i32 s54, s10, s5
	s_add_i32 s21, s21, s22
	s_mul_hi_u32 s52, s5, s54
	s_mul_hi_u32 s64, s4, s54
	s_mul_i32 s22, s4, s54
	s_mul_hi_u32 s54, s5, s21
	s_mul_i32 s5, s5, s21
	s_mul_hi_u32 s65, s4, s21
	s_add_u32 s5, s52, s5
	s_addc_u32 s52, 0, s54
	s_add_u32 s5, s5, s22
	s_mul_i32 s21, s4, s21
	s_addc_u32 s5, s52, s64
	s_addc_u32 s22, s65, 0
	s_add_u32 s5, s5, s21
	s_addc_u32 s21, 0, s22
	v_add_co_u32 v2, s5, v2, s5
	s_delay_alu instid0(VALU_DEP_1) | instskip(SKIP_1) | instid1(VALU_DEP_1)
	s_cmp_lg_u32 s5, 0
	s_addc_u32 s4, s4, s21
	v_readfirstlane_b32 s5, v2
	s_mul_i32 s21, s10, s4
	s_delay_alu instid0(VALU_DEP_1)
	s_mul_hi_u32 s22, s10, s5
	s_mul_i32 s11, s11, s5
	s_add_i32 s21, s22, s21
	s_mul_i32 s10, s10, s5
	s_add_i32 s21, s21, s11
	s_mul_hi_u32 s22, s4, s10
	s_mul_i32 s52, s4, s10
	s_mul_hi_u32 s10, s5, s10
	s_mul_hi_u32 s54, s5, s21
	s_mul_i32 s5, s5, s21
	s_mul_hi_u32 s11, s4, s21
	s_add_u32 s5, s10, s5
	s_addc_u32 s10, 0, s54
	s_add_u32 s5, s5, s52
	s_mul_i32 s21, s4, s21
	s_addc_u32 s5, s10, s22
	s_addc_u32 s10, s11, 0
	s_add_u32 s5, s5, s21
	s_addc_u32 s10, 0, s10
	v_add_co_u32 v2, s5, v2, s5
	s_delay_alu instid0(VALU_DEP_1) | instskip(SKIP_1) | instid1(VALU_DEP_1)
	s_cmp_lg_u32 s5, 0
	s_addc_u32 s4, s4, s10
	v_readfirstlane_b32 s5, v2
	s_mul_i32 s11, s80, s4
	s_mul_hi_u32 s10, s80, s4
	s_mul_hi_u32 s21, s55, s4
	s_mul_i32 s4, s55, s4
	s_mul_hi_u32 s22, s80, s5
	s_mul_hi_u32 s52, s55, s5
	s_mul_i32 s5, s55, s5
	s_add_u32 s11, s22, s11
	s_addc_u32 s10, 0, s10
	s_add_u32 s5, s11, s5
	s_addc_u32 s5, s10, s52
	s_addc_u32 s10, s21, 0
	s_add_u32 s4, s5, s4
	s_addc_u32 s5, 0, s10
	s_mul_hi_u32 s10, s33, s4
	s_mul_i32 s4, s33, s4
	s_mul_i32 s5, s33, s5
	v_sub_co_u32 v2, s4, s80, s4
	s_add_i32 s10, s10, s5
	s_cmp_lg_u32 s4, 0
	s_delay_alu instid0(VALU_DEP_1) | instskip(SKIP_2) | instid1(VALU_DEP_1)
	v_sub_co_u32 v3, s4, v2, s33
	s_subb_u32 s5, s55, s10
	s_cmp_lg_u32 s4, 0
	v_cmp_le_u32_e32 vcc_lo, s33, v3
	v_sub_co_u32 v4, s4, v3, s33
	s_subb_u32 s10, s5, 0
	s_cmp_lg_u32 s4, 0
	v_cndmask_b32_e64 v5, 0, -1, vcc_lo
	s_subb_u32 s4, s10, 0
	s_cmp_eq_u32 s10, 0
	v_mov_b32_e32 v7, s4
	s_cselect_b32 vcc_lo, -1, 0
	s_cmp_eq_u32 s5, 0
	v_cndmask_b32_e32 v5, -1, v5, vcc_lo
	v_cmp_le_u32_e32 vcc_lo, s33, v2
	s_cselect_b32 s4, -1, 0
	v_cndmask_b32_e64 v6, 0, -1, vcc_lo
	s_delay_alu instid0(VALU_DEP_3) | instskip(NEXT) | instid1(VALU_DEP_2)
	v_cmp_ne_u32_e32 vcc_lo, 0, v5
	v_cndmask_b32_e64 v5, -1, v6, s4
	v_cndmask_b32_e32 v6, s10, v7, vcc_lo
	v_cndmask_b32_e32 v4, v3, v4, vcc_lo
	s_delay_alu instid0(VALU_DEP_3) | instskip(NEXT) | instid1(VALU_DEP_3)
	v_cmp_ne_u32_e32 vcc_lo, 0, v5
	v_cndmask_b32_e32 v3, s5, v6, vcc_lo
	s_delay_alu instid0(VALU_DEP_3)
	v_cndmask_b32_e32 v2, v2, v4, vcc_lo
	s_cbranch_execnz .LBB135_232
.LBB135_231:                            ;   in Loop: Header=BB135_46 Depth=1
	v_cvt_f32_u32_e32 v2, s33
	s_sub_i32 s4, 0, s33
	s_delay_alu instid0(VALU_DEP_1) | instskip(SKIP_2) | instid1(VALU_DEP_1)
	v_rcp_iflag_f32_e32 v2, v2
	s_waitcnt_depctr 0xfff
	v_mul_f32_e32 v2, 0x4f7ffffe, v2
	v_cvt_u32_f32_e32 v2, v2
	s_delay_alu instid0(VALU_DEP_1) | instskip(NEXT) | instid1(VALU_DEP_1)
	v_mul_lo_u32 v3, s4, v2
	v_mul_hi_u32 v3, v2, v3
	s_delay_alu instid0(VALU_DEP_1) | instskip(NEXT) | instid1(VALU_DEP_1)
	v_add_nc_u32_e32 v2, v2, v3
	v_mul_hi_u32 v2, s80, v2
	s_delay_alu instid0(VALU_DEP_1) | instskip(NEXT) | instid1(VALU_DEP_1)
	v_mul_lo_u32 v2, v2, s33
	v_sub_nc_u32_e32 v2, s80, v2
	s_delay_alu instid0(VALU_DEP_1) | instskip(SKIP_1) | instid1(VALU_DEP_2)
	v_subrev_nc_u32_e32 v3, s33, v2
	v_cmp_le_u32_e32 vcc_lo, s33, v2
	v_cndmask_b32_e32 v2, v2, v3, vcc_lo
	s_delay_alu instid0(VALU_DEP_1) | instskip(SKIP_1) | instid1(VALU_DEP_2)
	v_subrev_nc_u32_e32 v3, s33, v2
	v_cmp_le_u32_e32 vcc_lo, s33, v2
	v_cndmask_b32_e32 v14, v2, v3, vcc_lo
	s_delay_alu instid0(VALU_DEP_1)
	v_dual_mov_b32 v2, v14 :: v_dual_mov_b32 v3, v15
.LBB135_232:                            ;   in Loop: Header=BB135_46 Depth=1
	s_delay_alu instid0(VALU_DEP_1) | instskip(NEXT) | instid1(VALU_DEP_2)
	v_sub_co_u32 v2, vcc_lo, s80, v2
	v_sub_co_ci_u32_e32 v3, vcc_lo, s55, v3, vcc_lo
	s_mov_b32 s4, 0
	s_mov_b32 s5, exec_lo
                                        ; implicit-def: $vgpr46
	s_delay_alu instid0(VALU_DEP_1)
	v_cmpx_gt_u64_e64 v[2:3], v[0:1]
	s_cbranch_execz .LBB135_241
; %bb.233:                              ;   in Loop: Header=BB135_46 Depth=1
	v_dual_mov_b32 v4, v10 :: v_dual_mov_b32 v5, v11
	v_dual_mov_b32 v7, v1 :: v_dual_mov_b32 v6, v0
	s_mov_b32 s10, 0
                                        ; implicit-def: $sgpr11
	s_branch .LBB135_235
.LBB135_234:                            ;   in Loop: Header=BB135_235 Depth=2
	s_or_b32 exec_lo, exec_lo, s4
	s_waitcnt vmcnt(0) lgkmcnt(0)
	s_barrier
	buffer_gl0_inv
	ds_load_b32 v8, v15 offset:3072
	v_add_co_u32 v6, vcc_lo, v6, s33
	v_add_co_ci_u32_e32 v7, vcc_lo, 0, v7, vcc_lo
	s_waitcnt lgkmcnt(0)
	s_barrier
	buffer_gl0_inv
	v_cmp_ge_u64_e32 vcc_lo, v[6:7], v[2:3]
	v_cmp_neq_f16_e64 s4, 0, v8
	s_delay_alu instid0(VALU_DEP_1)
	s_or_b32 s21, vcc_lo, s4
	v_add_co_u32 v4, vcc_lo, v4, s46
	s_and_b32 s21, exec_lo, s21
	v_add_co_ci_u32_e32 v5, vcc_lo, s47, v5, vcc_lo
	s_or_b32 s10, s21, s10
	s_and_not1_b32 s11, s11, exec_lo
	s_and_b32 s4, s4, exec_lo
	s_delay_alu instid0(SALU_CYCLE_1)
	s_or_b32 s11, s11, s4
	s_and_not1_b32 exec_lo, exec_lo, s10
	s_cbranch_execz .LBB135_240
.LBB135_235:                            ;   Parent Loop BB135_46 Depth=1
                                        ; =>  This Inner Loop Header: Depth=2
	s_delay_alu instid0(VALU_DEP_1)
	v_cmp_gt_u64_e32 vcc_lo, s[24:25], v[6:7]
	v_mov_b32_e32 v8, 0
	s_and_saveexec_b32 s4, vcc_lo
	s_cbranch_execz .LBB135_237
; %bb.236:                              ;   in Loop: Header=BB135_235 Depth=2
	global_load_u16 v8, v[4:5], off
.LBB135_237:                            ;   in Loop: Header=BB135_235 Depth=2
	s_or_b32 exec_lo, exec_lo, s4
	s_and_saveexec_b32 s4, vcc_lo
	s_cbranch_execz .LBB135_234
; %bb.238:                              ;   in Loop: Header=BB135_235 Depth=2
	s_waitcnt vmcnt(0)
	v_cmp_lt_i16_e32 vcc_lo, -1, v8
	v_dual_cndmask_b32 v14, 0xffff, v45 :: v_dual_and_b32 v9, 0xffff, v8
	v_cmp_o_f16_e32 vcc_lo, v8, v8
	s_delay_alu instid0(VALU_DEP_2) | instskip(NEXT) | instid1(VALU_DEP_1)
	v_xor_b32_e32 v9, v14, v9
	v_cndmask_b32_e32 v9, 0xffff, v9, vcc_lo
	s_delay_alu instid0(VALU_DEP_1) | instskip(NEXT) | instid1(VALU_DEP_1)
	v_and_b32_e32 v9, s98, v9
	v_cmp_eq_u32_e32 vcc_lo, s97, v9
	s_and_b32 exec_lo, exec_lo, vcc_lo
	s_cbranch_execz .LBB135_234
; %bb.239:                              ;   in Loop: Header=BB135_235 Depth=2
	v_perm_b32 v8, v8, s87, 0x5040100
	ds_store_b32 v15, v8 offset:3072
	s_branch .LBB135_234
.LBB135_240:                            ;   in Loop: Header=BB135_46 Depth=1
	s_or_b32 exec_lo, exec_lo, s10
	v_lshrrev_b32_e32 v46, 16, v8
	s_and_b32 s4, s11, exec_lo
.LBB135_241:                            ;   in Loop: Header=BB135_46 Depth=1
	s_or_b32 exec_lo, exec_lo, s5
	s_mov_b32 s21, -1
	s_mov_b32 s10, 0
	s_mov_b32 s11, 0
.LBB135_242:                            ;   in Loop: Header=BB135_46 Depth=1
	s_mov_b32 s5, 0
                                        ; implicit-def: $sgpr52
	s_and_saveexec_b32 s22, s4
	s_cbranch_execz .LBB135_304
; %bb.243:                              ;   in Loop: Header=BB135_46 Depth=1
	s_xor_b32 s4, s23, -1
	s_mov_b32 s52, 1
	s_and_not1_b32 vcc_lo, exec_lo, s4
	s_cbranch_vccnz .LBB135_254
; %bb.244:                              ;   in Loop: Header=BB135_46 Depth=1
	v_cmp_gt_u64_e64 s4, s[50:51], s[8:9]
                                        ; implicit-def: $sgpr52
                                        ; implicit-def: $sgpr5
                                        ; implicit-def: $sgpr23
	s_delay_alu instid0(VALU_DEP_1)
	s_and_b32 vcc_lo, exec_lo, s4
	s_mov_b32 s4, -1
	s_cbranch_vccnz .LBB135_250
; %bb.245:                              ;   in Loop: Header=BB135_46 Depth=1
	ds_load_b64 v[2:3], v15 offset:5120
	s_waitcnt lgkmcnt(0)
	v_cmp_ne_u64_e32 vcc_lo, 0, v[2:3]
	s_cbranch_vccnz .LBB135_249
; %bb.246:                              ;   in Loop: Header=BB135_46 Depth=1
	s_and_saveexec_b32 s4, s3
	s_cbranch_execz .LBB135_248
; %bb.247:                              ;   in Loop: Header=BB135_46 Depth=1
	v_dual_mov_b32 v2, s8 :: v_dual_mov_b32 v3, s9
	ds_store_b64 v15, v[2:3] offset:5128
.LBB135_248:                            ;   in Loop: Header=BB135_46 Depth=1
	s_or_b32 exec_lo, exec_lo, s4
	s_waitcnt lgkmcnt(0)
	s_barrier
	buffer_gl0_inv
.LBB135_249:                            ;   in Loop: Header=BB135_46 Depth=1
	s_lshl_b32 s4, 2, s17
	s_and_b32 s5, s97, s18
	s_or_b32 s23, s98, s16
	s_or_b32 s5, s5, s4
	s_mov_b32 s4, 0
	s_mov_b32 s52, 8
.LBB135_250:                            ;   in Loop: Header=BB135_46 Depth=1
	s_and_not1_b32 vcc_lo, exec_lo, s4
	s_cbranch_vccnz .LBB135_252
; %bb.251:                              ;   in Loop: Header=BB135_46 Depth=1
	s_sub_u32 s50, s50, s8
	s_subb_u32 s51, s51, s9
	s_mov_b32 s4, -1
	s_mov_b32 s52, 0
	s_mov_b32 s5, s97
	;; [unrolled: 1-line block ×3, first 2 shown]
.LBB135_252:                            ;   in Loop: Header=BB135_46 Depth=1
	s_delay_alu instid0(SALU_CYCLE_1)
	s_mov_b32 s98, s23
	s_mov_b32 s97, s5
	s_and_not1_b32 vcc_lo, exec_lo, s4
	s_mov_b32 s64, -1
	s_cbranch_vccz .LBB135_255
.LBB135_253:                            ;   in Loop: Header=BB135_46 Depth=1
                                        ; implicit-def: $sgpr8
                                        ; implicit-def: $sgpr18
                                        ; implicit-def: $sgpr9
	s_branch .LBB135_303
.LBB135_254:                            ;   in Loop: Header=BB135_46 Depth=1
	s_mov_b64 s[50:51], 1
	s_mov_b32 s64, -1
	s_cbranch_execnz .LBB135_253
.LBB135_255:                            ;   in Loop: Header=BB135_46 Depth=1
	s_cmp_eq_u64 s[6:7], 1
	s_mov_b32 s23, -1
	s_cselect_b32 s4, -1, 0
	s_cmp_eq_u64 s[50:51], 1
	s_cselect_b32 s5, -1, 0
	s_delay_alu instid0(SALU_CYCLE_1) | instskip(NEXT) | instid1(SALU_CYCLE_1)
	s_and_b32 s17, s4, s5
	s_and_b32 vcc_lo, exec_lo, s17
	s_cbranch_vccz .LBB135_270
; %bb.256:                              ;   in Loop: Header=BB135_46 Depth=1
	ds_load_b64 v[2:3], v15 offset:5120
	s_waitcnt lgkmcnt(0)
	s_barrier
	buffer_gl0_inv
	v_readfirstlane_b32 s8, v2
	v_readfirstlane_b32 s9, v3
	s_and_saveexec_b32 s4, s0
	s_cbranch_execz .LBB135_258
; %bb.257:                              ;   in Loop: Header=BB135_46 Depth=1
	ds_store_b16 v40, v15
.LBB135_258:                            ;   in Loop: Header=BB135_46 Depth=1
	s_or_b32 exec_lo, exec_lo, s4
	s_or_b32 s97, s97, s16
	s_or_b32 s98, s98, s16
	s_cmp_eq_u64 s[8:9], 0
	s_waitcnt lgkmcnt(0)
	s_barrier
	buffer_gl0_inv
	s_cbranch_scc1 .LBB135_273
; %bb.259:                              ;   in Loop: Header=BB135_46 Depth=1
	s_add_u32 s18, s78, s8
	s_addc_u32 s5, s79, s9
	s_mov_b32 s4, s53
	s_delay_alu instid0(SALU_CYCLE_1)
	s_cmp_lg_u64 s[4:5], 0
	s_cbranch_scc0 .LBB135_309
; %bb.260:                              ;   in Loop: Header=BB135_46 Depth=1
	v_cvt_f32_u32_e32 v2, s33
	s_sub_u32 s52, 0, s33
	s_subb_u32 s54, 0, 0
	s_delay_alu instid0(VALU_DEP_1) | instskip(NEXT) | instid1(VALU_DEP_1)
	v_fmac_f32_e64 v2, 0, 0x4f800000
	v_rcp_f32_e32 v2, v2
	s_waitcnt_depctr 0xfff
	v_mul_f32_e32 v2, 0x5f7ffffc, v2
	s_delay_alu instid0(VALU_DEP_1) | instskip(NEXT) | instid1(VALU_DEP_1)
	v_mul_f32_e32 v3, 0x2f800000, v2
	v_trunc_f32_e32 v3, v3
	s_delay_alu instid0(VALU_DEP_1) | instskip(SKIP_1) | instid1(VALU_DEP_2)
	v_fmac_f32_e32 v2, 0xcf800000, v3
	v_cvt_u32_f32_e32 v3, v3
	v_cvt_u32_f32_e32 v2, v2
	s_delay_alu instid0(VALU_DEP_2) | instskip(NEXT) | instid1(VALU_DEP_2)
	v_readfirstlane_b32 s4, v3
	v_readfirstlane_b32 s23, v2
	s_delay_alu instid0(VALU_DEP_2) | instskip(NEXT) | instid1(VALU_DEP_1)
	s_mul_i32 s64, s52, s4
	s_mul_hi_u32 s66, s52, s23
	s_mul_i32 s65, s54, s23
	s_add_i32 s64, s66, s64
	s_mul_i32 s67, s52, s23
	s_add_i32 s64, s64, s65
	s_mul_hi_u32 s66, s23, s67
	s_mul_hi_u32 s68, s4, s67
	s_mul_i32 s65, s4, s67
	s_mul_hi_u32 s67, s23, s64
	s_mul_i32 s23, s23, s64
	s_mul_hi_u32 s69, s4, s64
	s_add_u32 s23, s66, s23
	s_addc_u32 s66, 0, s67
	s_add_u32 s23, s23, s65
	s_mul_i32 s64, s4, s64
	s_addc_u32 s23, s66, s68
	s_addc_u32 s65, s69, 0
	s_add_u32 s23, s23, s64
	s_addc_u32 s64, 0, s65
	v_add_co_u32 v2, s23, v2, s23
	s_delay_alu instid0(VALU_DEP_1) | instskip(SKIP_1) | instid1(VALU_DEP_1)
	s_cmp_lg_u32 s23, 0
	s_addc_u32 s4, s4, s64
	v_readfirstlane_b32 s23, v2
	s_mul_i32 s64, s52, s4
	s_delay_alu instid0(VALU_DEP_1)
	s_mul_hi_u32 s65, s52, s23
	s_mul_i32 s54, s54, s23
	s_add_i32 s64, s65, s64
	s_mul_i32 s52, s52, s23
	s_add_i32 s64, s64, s54
	s_mul_hi_u32 s65, s4, s52
	s_mul_i32 s66, s4, s52
	s_mul_hi_u32 s52, s23, s52
	s_mul_hi_u32 s67, s23, s64
	s_mul_i32 s23, s23, s64
	s_mul_hi_u32 s54, s4, s64
	s_add_u32 s23, s52, s23
	s_addc_u32 s52, 0, s67
	s_add_u32 s23, s23, s66
	s_mul_i32 s64, s4, s64
	s_addc_u32 s23, s52, s65
	s_addc_u32 s52, s54, 0
	s_add_u32 s23, s23, s64
	s_addc_u32 s52, 0, s52
	v_add_co_u32 v2, s23, v2, s23
	s_delay_alu instid0(VALU_DEP_1) | instskip(SKIP_1) | instid1(VALU_DEP_1)
	s_cmp_lg_u32 s23, 0
	s_addc_u32 s4, s4, s52
	v_readfirstlane_b32 s23, v2
	s_mul_i32 s54, s18, s4
	s_mul_hi_u32 s52, s18, s4
	s_mul_hi_u32 s64, s5, s4
	s_mul_i32 s4, s5, s4
	s_mul_hi_u32 s65, s18, s23
	s_mul_hi_u32 s66, s5, s23
	s_mul_i32 s23, s5, s23
	s_add_u32 s54, s65, s54
	s_addc_u32 s52, 0, s52
	s_add_u32 s23, s54, s23
	s_addc_u32 s23, s52, s66
	s_addc_u32 s52, s64, 0
	s_add_u32 s4, s23, s4
	s_addc_u32 s23, 0, s52
	s_mul_hi_u32 s52, s33, s4
	s_mul_i32 s4, s33, s4
	s_mul_i32 s23, s33, s23
	v_sub_co_u32 v2, s4, s18, s4
	s_add_i32 s52, s52, s23
	s_cmp_lg_u32 s4, 0
	s_delay_alu instid0(VALU_DEP_1) | instskip(SKIP_2) | instid1(VALU_DEP_1)
	v_sub_co_u32 v3, s4, v2, s33
	s_subb_u32 s23, s5, s52
	s_cmp_lg_u32 s4, 0
	v_cmp_le_u32_e32 vcc_lo, s33, v3
	v_sub_co_u32 v4, s4, v3, s33
	s_subb_u32 s52, s23, 0
	s_cmp_lg_u32 s4, 0
	v_cndmask_b32_e64 v5, 0, -1, vcc_lo
	s_subb_u32 s4, s52, 0
	s_cmp_eq_u32 s52, 0
	v_mov_b32_e32 v7, s4
	s_cselect_b32 vcc_lo, -1, 0
	s_cmp_eq_u32 s23, 0
	v_cndmask_b32_e32 v5, -1, v5, vcc_lo
	v_cmp_le_u32_e32 vcc_lo, s33, v2
	s_cselect_b32 s4, -1, 0
	v_cndmask_b32_e64 v6, 0, -1, vcc_lo
	s_delay_alu instid0(VALU_DEP_3) | instskip(NEXT) | instid1(VALU_DEP_2)
	v_cmp_ne_u32_e32 vcc_lo, 0, v5
	v_cndmask_b32_e64 v5, -1, v6, s4
	v_cndmask_b32_e32 v6, s52, v7, vcc_lo
	v_cndmask_b32_e32 v4, v3, v4, vcc_lo
	s_delay_alu instid0(VALU_DEP_3) | instskip(NEXT) | instid1(VALU_DEP_3)
	v_cmp_ne_u32_e32 vcc_lo, 0, v5
	v_cndmask_b32_e32 v3, s23, v6, vcc_lo
	s_delay_alu instid0(VALU_DEP_3)
	v_cndmask_b32_e32 v2, v2, v4, vcc_lo
	s_cbranch_execnz .LBB135_262
.LBB135_261:                            ;   in Loop: Header=BB135_46 Depth=1
	v_cvt_f32_u32_e32 v2, s33
	s_sub_i32 s4, 0, s33
	s_delay_alu instid0(VALU_DEP_1) | instskip(SKIP_2) | instid1(VALU_DEP_1)
	v_rcp_iflag_f32_e32 v2, v2
	s_waitcnt_depctr 0xfff
	v_mul_f32_e32 v2, 0x4f7ffffe, v2
	v_cvt_u32_f32_e32 v2, v2
	s_delay_alu instid0(VALU_DEP_1) | instskip(NEXT) | instid1(VALU_DEP_1)
	v_mul_lo_u32 v3, s4, v2
	v_mul_hi_u32 v3, v2, v3
	s_delay_alu instid0(VALU_DEP_1) | instskip(NEXT) | instid1(VALU_DEP_1)
	v_add_nc_u32_e32 v2, v2, v3
	v_mul_hi_u32 v2, s18, v2
	s_delay_alu instid0(VALU_DEP_1) | instskip(NEXT) | instid1(VALU_DEP_1)
	v_mul_lo_u32 v2, v2, s33
	v_sub_nc_u32_e32 v2, s18, v2
	s_delay_alu instid0(VALU_DEP_1) | instskip(SKIP_1) | instid1(VALU_DEP_2)
	v_subrev_nc_u32_e32 v3, s33, v2
	v_cmp_le_u32_e32 vcc_lo, s33, v2
	v_cndmask_b32_e32 v2, v2, v3, vcc_lo
	s_delay_alu instid0(VALU_DEP_1) | instskip(SKIP_1) | instid1(VALU_DEP_2)
	v_subrev_nc_u32_e32 v3, s33, v2
	v_cmp_le_u32_e32 vcc_lo, s33, v2
	v_cndmask_b32_e32 v14, v2, v3, vcc_lo
	s_delay_alu instid0(VALU_DEP_1)
	v_dual_mov_b32 v2, v14 :: v_dual_mov_b32 v3, v15
.LBB135_262:                            ;   in Loop: Header=BB135_46 Depth=1
	s_delay_alu instid0(VALU_DEP_1) | instskip(NEXT) | instid1(VALU_DEP_2)
	v_sub_co_u32 v2, vcc_lo, s18, v2
	v_sub_co_ci_u32_e32 v3, vcc_lo, s5, v3, vcc_lo
	s_mov_b32 s23, 0
	s_mov_b32 s5, exec_lo
                                        ; implicit-def: $vgpr46
	s_delay_alu instid0(VALU_DEP_1)
	v_cmpx_gt_u64_e64 v[2:3], v[0:1]
	s_cbranch_execz .LBB135_275
; %bb.263:                              ;   in Loop: Header=BB135_46 Depth=1
	v_dual_mov_b32 v6, v39 :: v_dual_mov_b32 v5, v1
	v_mov_b32_e32 v4, v0
	s_mov_b32 s18, 0
                                        ; implicit-def: $sgpr23
	s_set_inst_prefetch_distance 0x1
	s_branch .LBB135_265
	.p2align	6
.LBB135_264:                            ;   in Loop: Header=BB135_265 Depth=2
	s_or_b32 exec_lo, exec_lo, s4
	s_waitcnt lgkmcnt(0)
	s_barrier
	buffer_gl0_inv
	ds_load_b32 v7, v15 offset:3072
	v_add_co_u32 v4, vcc_lo, v4, s33
	v_add_co_ci_u32_e32 v5, vcc_lo, 0, v5, vcc_lo
	v_add_nc_u32_e32 v6, s86, v6
	s_waitcnt lgkmcnt(0)
	s_barrier
	s_delay_alu instid0(VALU_DEP_2) | instskip(SKIP_2) | instid1(VALU_DEP_1)
	v_cmp_ge_u64_e32 vcc_lo, v[4:5], v[2:3]
	buffer_gl0_inv
	v_cmp_neq_f16_e64 s4, 0, v7
	s_or_b32 s52, vcc_lo, s4
	s_delay_alu instid0(SALU_CYCLE_1) | instskip(NEXT) | instid1(SALU_CYCLE_1)
	s_and_b32 s52, exec_lo, s52
	s_or_b32 s18, s52, s18
	s_and_not1_b32 s23, s23, exec_lo
	s_and_b32 s4, s4, exec_lo
	s_delay_alu instid0(SALU_CYCLE_1)
	s_or_b32 s23, s23, s4
	s_and_not1_b32 exec_lo, exec_lo, s18
	s_cbranch_execz .LBB135_274
.LBB135_265:                            ;   Parent Loop BB135_46 Depth=1
                                        ; =>  This Inner Loop Header: Depth=2
	s_delay_alu instid0(VALU_DEP_1)
	v_cmp_gt_u64_e32 vcc_lo, s[8:9], v[4:5]
	v_mov_b32_e32 v7, 0
	s_and_saveexec_b32 s4, vcc_lo
	s_cbranch_execz .LBB135_267
; %bb.266:                              ;   in Loop: Header=BB135_265 Depth=2
	ds_load_u16 v7, v6
.LBB135_267:                            ;   in Loop: Header=BB135_265 Depth=2
	s_or_b32 exec_lo, exec_lo, s4
	s_and_saveexec_b32 s4, vcc_lo
	s_cbranch_execz .LBB135_264
; %bb.268:                              ;   in Loop: Header=BB135_265 Depth=2
	s_waitcnt lgkmcnt(0)
	v_cmp_lt_i16_e32 vcc_lo, -1, v7
	v_dual_cndmask_b32 v9, 0xffff, v45 :: v_dual_and_b32 v8, 0xffff, v7
	v_cmp_o_f16_e32 vcc_lo, v7, v7
	s_delay_alu instid0(VALU_DEP_2) | instskip(NEXT) | instid1(VALU_DEP_1)
	v_xor_b32_e32 v8, v9, v8
	v_cndmask_b32_e32 v8, 0xffff, v8, vcc_lo
	s_delay_alu instid0(VALU_DEP_1) | instskip(NEXT) | instid1(VALU_DEP_1)
	v_and_b32_e32 v8, s98, v8
	v_cmp_eq_u32_e32 vcc_lo, s97, v8
	s_and_b32 exec_lo, exec_lo, vcc_lo
	s_cbranch_execz .LBB135_264
; %bb.269:                              ;   in Loop: Header=BB135_265 Depth=2
	v_perm_b32 v7, v7, s87, 0x5040100
	ds_store_b32 v15, v7 offset:3072
	s_branch .LBB135_264
.LBB135_270:                            ;   in Loop: Header=BB135_46 Depth=1
                                        ; implicit-def: $sgpr8
                                        ; implicit-def: $sgpr18
                                        ; implicit-def: $sgpr9
	s_branch .LBB135_289
.LBB135_271:                            ;   in Loop: Header=BB135_46 Depth=1
                                        ; implicit-def: $vgpr2_vgpr3
	s_branch .LBB135_214
.LBB135_272:                            ;   in Loop: Header=BB135_46 Depth=1
                                        ; implicit-def: $vgpr2_vgpr3
	s_branch .LBB135_231
.LBB135_273:                            ;   in Loop: Header=BB135_46 Depth=1
	s_mov_b32 s8, -1
	s_mov_b32 s23, 0
                                        ; implicit-def: $sgpr9
                                        ; implicit-def: $vgpr46
	s_mov_b32 s18, s8
	s_cbranch_execnz .LBB135_276
	s_branch .LBB135_289
.LBB135_274:                            ;   in Loop: Header=BB135_46 Depth=1
	s_set_inst_prefetch_distance 0x2
	s_or_b32 exec_lo, exec_lo, s18
	v_lshrrev_b32_e32 v46, 16, v7
	s_and_b32 s23, s23, exec_lo
.LBB135_275:                            ;   in Loop: Header=BB135_46 Depth=1
	s_or_b32 exec_lo, exec_lo, s5
	s_mov_b32 s9, -1
	s_mov_b32 s8, 0
	s_delay_alu instid0(SALU_CYCLE_1)
	s_mov_b32 s18, s8
	s_branch .LBB135_289
.LBB135_276:                            ;   in Loop: Header=BB135_46 Depth=1
	s_mov_b32 s54, s53
	s_delay_alu instid0(SALU_CYCLE_1)
	s_cmp_lg_u64 s[54:55], 0
	s_cbranch_scc0 .LBB135_310
; %bb.277:                              ;   in Loop: Header=BB135_46 Depth=1
	v_cvt_f32_u32_e32 v2, s33
	s_sub_u32 s8, 0, s33
	s_subb_u32 s9, 0, 0
	s_delay_alu instid0(VALU_DEP_1) | instskip(NEXT) | instid1(VALU_DEP_1)
	v_fmac_f32_e64 v2, 0, 0x4f800000
	v_rcp_f32_e32 v2, v2
	s_waitcnt_depctr 0xfff
	v_mul_f32_e32 v2, 0x5f7ffffc, v2
	s_delay_alu instid0(VALU_DEP_1) | instskip(NEXT) | instid1(VALU_DEP_1)
	v_mul_f32_e32 v3, 0x2f800000, v2
	v_trunc_f32_e32 v3, v3
	s_delay_alu instid0(VALU_DEP_1) | instskip(SKIP_1) | instid1(VALU_DEP_2)
	v_fmac_f32_e32 v2, 0xcf800000, v3
	v_cvt_u32_f32_e32 v3, v3
	v_cvt_u32_f32_e32 v2, v2
	s_delay_alu instid0(VALU_DEP_2) | instskip(NEXT) | instid1(VALU_DEP_2)
	v_readfirstlane_b32 s4, v3
	v_readfirstlane_b32 s5, v2
	s_delay_alu instid0(VALU_DEP_2) | instskip(NEXT) | instid1(VALU_DEP_1)
	s_mul_i32 s18, s8, s4
	s_mul_hi_u32 s52, s8, s5
	s_mul_i32 s23, s9, s5
	s_add_i32 s18, s52, s18
	s_mul_i32 s54, s8, s5
	s_add_i32 s18, s18, s23
	s_mul_hi_u32 s52, s5, s54
	s_mul_hi_u32 s64, s4, s54
	s_mul_i32 s23, s4, s54
	s_mul_hi_u32 s54, s5, s18
	s_mul_i32 s5, s5, s18
	s_mul_hi_u32 s65, s4, s18
	s_add_u32 s5, s52, s5
	s_addc_u32 s52, 0, s54
	s_add_u32 s5, s5, s23
	s_mul_i32 s18, s4, s18
	s_addc_u32 s5, s52, s64
	s_addc_u32 s23, s65, 0
	s_add_u32 s5, s5, s18
	s_addc_u32 s18, 0, s23
	v_add_co_u32 v2, s5, v2, s5
	s_delay_alu instid0(VALU_DEP_1) | instskip(SKIP_1) | instid1(VALU_DEP_1)
	s_cmp_lg_u32 s5, 0
	s_addc_u32 s4, s4, s18
	v_readfirstlane_b32 s5, v2
	s_mul_i32 s18, s8, s4
	s_delay_alu instid0(VALU_DEP_1)
	s_mul_hi_u32 s23, s8, s5
	s_mul_i32 s9, s9, s5
	s_add_i32 s18, s23, s18
	s_mul_i32 s8, s8, s5
	s_add_i32 s18, s18, s9
	s_mul_hi_u32 s23, s4, s8
	s_mul_i32 s52, s4, s8
	s_mul_hi_u32 s8, s5, s8
	s_mul_hi_u32 s54, s5, s18
	s_mul_i32 s5, s5, s18
	s_mul_hi_u32 s9, s4, s18
	s_add_u32 s5, s8, s5
	s_addc_u32 s8, 0, s54
	s_add_u32 s5, s5, s52
	s_mul_i32 s18, s4, s18
	s_addc_u32 s5, s8, s23
	s_addc_u32 s8, s9, 0
	s_add_u32 s5, s5, s18
	s_addc_u32 s8, 0, s8
	v_add_co_u32 v2, s5, v2, s5
	s_delay_alu instid0(VALU_DEP_1) | instskip(SKIP_1) | instid1(VALU_DEP_1)
	s_cmp_lg_u32 s5, 0
	s_addc_u32 s4, s4, s8
	v_readfirstlane_b32 s5, v2
	s_mul_i32 s9, s80, s4
	s_mul_hi_u32 s8, s80, s4
	s_mul_hi_u32 s18, s55, s4
	s_mul_i32 s4, s55, s4
	s_mul_hi_u32 s23, s80, s5
	s_mul_hi_u32 s52, s55, s5
	s_mul_i32 s5, s55, s5
	s_add_u32 s9, s23, s9
	s_addc_u32 s8, 0, s8
	s_add_u32 s5, s9, s5
	s_addc_u32 s5, s8, s52
	s_addc_u32 s8, s18, 0
	s_add_u32 s4, s5, s4
	s_addc_u32 s5, 0, s8
	s_mul_hi_u32 s8, s33, s4
	s_mul_i32 s4, s33, s4
	s_mul_i32 s5, s33, s5
	v_sub_co_u32 v2, s4, s80, s4
	s_add_i32 s8, s8, s5
	s_cmp_lg_u32 s4, 0
	s_delay_alu instid0(VALU_DEP_1) | instskip(SKIP_2) | instid1(VALU_DEP_1)
	v_sub_co_u32 v3, s4, v2, s33
	s_subb_u32 s5, s55, s8
	s_cmp_lg_u32 s4, 0
	v_cmp_le_u32_e32 vcc_lo, s33, v3
	v_sub_co_u32 v4, s4, v3, s33
	s_subb_u32 s8, s5, 0
	s_cmp_lg_u32 s4, 0
	v_cndmask_b32_e64 v5, 0, -1, vcc_lo
	s_subb_u32 s4, s8, 0
	s_cmp_eq_u32 s8, 0
	v_mov_b32_e32 v7, s4
	s_cselect_b32 vcc_lo, -1, 0
	s_cmp_eq_u32 s5, 0
	v_cndmask_b32_e32 v5, -1, v5, vcc_lo
	v_cmp_le_u32_e32 vcc_lo, s33, v2
	s_cselect_b32 s4, -1, 0
	v_cndmask_b32_e64 v6, 0, -1, vcc_lo
	s_delay_alu instid0(VALU_DEP_3) | instskip(NEXT) | instid1(VALU_DEP_2)
	v_cmp_ne_u32_e32 vcc_lo, 0, v5
	v_cndmask_b32_e64 v5, -1, v6, s4
	v_cndmask_b32_e32 v6, s8, v7, vcc_lo
	v_cndmask_b32_e32 v4, v3, v4, vcc_lo
	s_delay_alu instid0(VALU_DEP_3) | instskip(NEXT) | instid1(VALU_DEP_3)
	v_cmp_ne_u32_e32 vcc_lo, 0, v5
	v_cndmask_b32_e32 v3, s5, v6, vcc_lo
	s_delay_alu instid0(VALU_DEP_3)
	v_cndmask_b32_e32 v2, v2, v4, vcc_lo
	s_cbranch_execnz .LBB135_279
.LBB135_278:                            ;   in Loop: Header=BB135_46 Depth=1
	v_cvt_f32_u32_e32 v2, s33
	s_sub_i32 s4, 0, s33
	s_delay_alu instid0(VALU_DEP_1) | instskip(SKIP_2) | instid1(VALU_DEP_1)
	v_rcp_iflag_f32_e32 v2, v2
	s_waitcnt_depctr 0xfff
	v_mul_f32_e32 v2, 0x4f7ffffe, v2
	v_cvt_u32_f32_e32 v2, v2
	s_delay_alu instid0(VALU_DEP_1) | instskip(NEXT) | instid1(VALU_DEP_1)
	v_mul_lo_u32 v3, s4, v2
	v_mul_hi_u32 v3, v2, v3
	s_delay_alu instid0(VALU_DEP_1) | instskip(NEXT) | instid1(VALU_DEP_1)
	v_add_nc_u32_e32 v2, v2, v3
	v_mul_hi_u32 v2, s80, v2
	s_delay_alu instid0(VALU_DEP_1) | instskip(NEXT) | instid1(VALU_DEP_1)
	v_mul_lo_u32 v2, v2, s33
	v_sub_nc_u32_e32 v2, s80, v2
	s_delay_alu instid0(VALU_DEP_1) | instskip(SKIP_1) | instid1(VALU_DEP_2)
	v_subrev_nc_u32_e32 v3, s33, v2
	v_cmp_le_u32_e32 vcc_lo, s33, v2
	v_cndmask_b32_e32 v2, v2, v3, vcc_lo
	s_delay_alu instid0(VALU_DEP_1) | instskip(SKIP_1) | instid1(VALU_DEP_2)
	v_subrev_nc_u32_e32 v3, s33, v2
	v_cmp_le_u32_e32 vcc_lo, s33, v2
	v_cndmask_b32_e32 v14, v2, v3, vcc_lo
	s_delay_alu instid0(VALU_DEP_1)
	v_dual_mov_b32 v2, v14 :: v_dual_mov_b32 v3, v15
.LBB135_279:                            ;   in Loop: Header=BB135_46 Depth=1
	s_delay_alu instid0(VALU_DEP_1) | instskip(NEXT) | instid1(VALU_DEP_2)
	v_sub_co_u32 v2, vcc_lo, s80, v2
	v_sub_co_ci_u32_e32 v3, vcc_lo, s55, v3, vcc_lo
	s_mov_b32 s23, 0
	s_mov_b32 s5, exec_lo
                                        ; implicit-def: $vgpr46
	s_delay_alu instid0(VALU_DEP_1)
	v_cmpx_gt_u64_e64 v[2:3], v[0:1]
	s_cbranch_execz .LBB135_288
; %bb.280:                              ;   in Loop: Header=BB135_46 Depth=1
	v_dual_mov_b32 v4, v10 :: v_dual_mov_b32 v5, v11
	v_dual_mov_b32 v7, v1 :: v_dual_mov_b32 v6, v0
	s_mov_b32 s8, 0
                                        ; implicit-def: $sgpr9
	s_branch .LBB135_282
.LBB135_281:                            ;   in Loop: Header=BB135_282 Depth=2
	s_or_b32 exec_lo, exec_lo, s4
	s_waitcnt vmcnt(0) lgkmcnt(0)
	s_barrier
	buffer_gl0_inv
	ds_load_b32 v8, v15 offset:3072
	v_add_co_u32 v6, vcc_lo, v6, s33
	v_add_co_ci_u32_e32 v7, vcc_lo, 0, v7, vcc_lo
	s_waitcnt lgkmcnt(0)
	s_barrier
	buffer_gl0_inv
	v_cmp_ge_u64_e32 vcc_lo, v[6:7], v[2:3]
	v_cmp_neq_f16_e64 s4, 0, v8
	s_delay_alu instid0(VALU_DEP_1)
	s_or_b32 s18, vcc_lo, s4
	v_add_co_u32 v4, vcc_lo, v4, s46
	s_and_b32 s18, exec_lo, s18
	v_add_co_ci_u32_e32 v5, vcc_lo, s47, v5, vcc_lo
	s_or_b32 s8, s18, s8
	s_and_not1_b32 s9, s9, exec_lo
	s_and_b32 s4, s4, exec_lo
	s_delay_alu instid0(SALU_CYCLE_1)
	s_or_b32 s9, s9, s4
	s_and_not1_b32 exec_lo, exec_lo, s8
	s_cbranch_execz .LBB135_287
.LBB135_282:                            ;   Parent Loop BB135_46 Depth=1
                                        ; =>  This Inner Loop Header: Depth=2
	s_delay_alu instid0(VALU_DEP_1)
	v_cmp_gt_u64_e32 vcc_lo, s[24:25], v[6:7]
	v_mov_b32_e32 v8, 0
	s_and_saveexec_b32 s4, vcc_lo
	s_cbranch_execz .LBB135_284
; %bb.283:                              ;   in Loop: Header=BB135_282 Depth=2
	global_load_u16 v8, v[4:5], off
.LBB135_284:                            ;   in Loop: Header=BB135_282 Depth=2
	s_or_b32 exec_lo, exec_lo, s4
	s_and_saveexec_b32 s4, vcc_lo
	s_cbranch_execz .LBB135_281
; %bb.285:                              ;   in Loop: Header=BB135_282 Depth=2
	s_waitcnt vmcnt(0)
	v_cmp_lt_i16_e32 vcc_lo, -1, v8
	v_dual_cndmask_b32 v14, 0xffff, v45 :: v_dual_and_b32 v9, 0xffff, v8
	v_cmp_o_f16_e32 vcc_lo, v8, v8
	s_delay_alu instid0(VALU_DEP_2) | instskip(NEXT) | instid1(VALU_DEP_1)
	v_xor_b32_e32 v9, v14, v9
	v_cndmask_b32_e32 v9, 0xffff, v9, vcc_lo
	s_delay_alu instid0(VALU_DEP_1) | instskip(NEXT) | instid1(VALU_DEP_1)
	v_and_b32_e32 v9, s98, v9
	v_cmp_eq_u32_e32 vcc_lo, s97, v9
	s_and_b32 exec_lo, exec_lo, vcc_lo
	s_cbranch_execz .LBB135_281
; %bb.286:                              ;   in Loop: Header=BB135_282 Depth=2
	v_perm_b32 v8, v8, s87, 0x5040100
	ds_store_b32 v15, v8 offset:3072
	s_branch .LBB135_281
.LBB135_287:                            ;   in Loop: Header=BB135_46 Depth=1
	s_or_b32 exec_lo, exec_lo, s8
	v_lshrrev_b32_e32 v46, 16, v8
	s_and_b32 s23, s9, exec_lo
.LBB135_288:                            ;   in Loop: Header=BB135_46 Depth=1
	s_or_b32 exec_lo, exec_lo, s5
	s_mov_b32 s18, -1
	s_mov_b32 s8, 0
	s_mov_b32 s9, 0
.LBB135_289:                            ;   in Loop: Header=BB135_46 Depth=1
	s_mov_b32 s64, 0
                                        ; implicit-def: $sgpr52
                                        ; implicit-def: $sgpr4_sgpr5
	s_and_saveexec_b32 s54, s23
	s_cbranch_execz .LBB135_302
; %bb.290:                              ;   in Loop: Header=BB135_46 Depth=1
	s_xor_b32 s17, s17, -1
	s_mov_b64 s[4:5], 1
	s_and_not1_b32 vcc_lo, exec_lo, s17
	s_mov_b32 s52, 1
	s_cbranch_vccnz .LBB135_301
; %bb.291:                              ;   in Loop: Header=BB135_46 Depth=1
	v_cmp_gt_u64_e64 s4, s[50:51], s[6:7]
	s_delay_alu instid0(VALU_DEP_1)
	s_and_b32 vcc_lo, exec_lo, s4
	s_cbranch_vccnz .LBB135_297
; %bb.292:                              ;   in Loop: Header=BB135_46 Depth=1
	ds_load_b64 v[2:3], v15 offset:5120
	s_waitcnt lgkmcnt(0)
	v_cmp_ne_u64_e32 vcc_lo, 0, v[2:3]
	s_cbranch_vccnz .LBB135_296
; %bb.293:                              ;   in Loop: Header=BB135_46 Depth=1
	s_and_saveexec_b32 s4, s3
	s_cbranch_execz .LBB135_295
; %bb.294:                              ;   in Loop: Header=BB135_46 Depth=1
	v_dual_mov_b32 v2, s6 :: v_dual_mov_b32 v3, s7
	ds_store_b64 v15, v[2:3] offset:5128
.LBB135_295:                            ;   in Loop: Header=BB135_46 Depth=1
	s_or_b32 exec_lo, exec_lo, s4
	s_waitcnt lgkmcnt(0)
	s_barrier
	buffer_gl0_inv
.LBB135_296:                            ;   in Loop: Header=BB135_46 Depth=1
	s_or_b32 s17, s97, s16
	s_or_b32 s16, s98, s16
	s_mov_b32 s4, 0
	s_mov_b32 s52, 8
	s_branch .LBB135_298
.LBB135_297:                            ;   in Loop: Header=BB135_46 Depth=1
	s_mov_b32 s4, -1
                                        ; implicit-def: $sgpr52
                                        ; implicit-def: $sgpr17
                                        ; implicit-def: $sgpr16
.LBB135_298:                            ;   in Loop: Header=BB135_46 Depth=1
	s_delay_alu instid0(SALU_CYCLE_1)
	s_and_not1_b32 vcc_lo, exec_lo, s4
	s_cbranch_vccnz .LBB135_300
; %bb.299:                              ;   in Loop: Header=BB135_46 Depth=1
	s_sub_u32 s50, s50, s6
	s_subb_u32 s51, s51, s7
	s_mov_b32 s52, 8
	s_mov_b32 s17, s97
	;; [unrolled: 1-line block ×3, first 2 shown]
.LBB135_300:                            ;   in Loop: Header=BB135_46 Depth=1
	s_mov_b64 s[4:5], s[50:51]
	s_mov_b32 s97, s17
	s_mov_b32 s98, s16
.LBB135_301:                            ;   in Loop: Header=BB135_46 Depth=1
	s_mov_b32 s64, exec_lo
.LBB135_302:                            ;   in Loop: Header=BB135_46 Depth=1
	s_or_b32 exec_lo, exec_lo, s54
	s_mov_b64 s[50:51], s[4:5]
.LBB135_303:                            ;   in Loop: Header=BB135_46 Depth=1
	s_and_not1_b32 s4, s10, exec_lo
	s_and_b32 s5, s8, exec_lo
	s_and_not1_b32 s6, s11, exec_lo
	s_or_b32 s10, s4, s5
	s_and_not1_b32 s4, s21, exec_lo
	s_and_b32 s5, s18, exec_lo
	s_and_b32 s7, s9, exec_lo
	s_or_b32 s21, s4, s5
	s_or_b32 s11, s6, s7
	s_and_b32 s5, s64, exec_lo
.LBB135_304:                            ;   in Loop: Header=BB135_46 Depth=1
	s_or_b32 exec_lo, exec_lo, s22
.LBB135_305:                            ;   in Loop: Header=BB135_46 Depth=1
	s_delay_alu instid0(SALU_CYCLE_1)
	s_and_not1_b32 s4, s13, exec_lo
	s_and_b32 s6, s10, exec_lo
	s_and_not1_b32 s7, s12, exec_lo
	s_or_b32 s13, s4, s6
	s_and_not1_b32 s4, s19, exec_lo
	s_and_b32 s6, s21, exec_lo
	s_and_b32 s8, s11, exec_lo
	s_or_b32 s19, s4, s6
	s_or_b32 s12, s7, s8
	s_and_b32 s5, s5, exec_lo
.LBB135_306:                            ;   in Loop: Header=BB135_46 Depth=1
	s_or_b32 exec_lo, exec_lo, s20
	s_and_saveexec_b32 s4, s5
	s_delay_alu instid0(SALU_CYCLE_1)
	s_xor_b32 s4, exec_lo, s4
	s_cbranch_execz .LBB135_44
.LBB135_307:                            ;   in Loop: Header=BB135_46 Depth=1
	s_and_b32 s5, s52, -9
	s_delay_alu instid0(SALU_CYCLE_1)
	s_cmp_eq_u32 s5, 0
	s_cbranch_scc1 .LBB135_42
; %bb.308:                              ;   in Loop: Header=BB135_46 Depth=1
	s_mov_b32 s5, -1
	s_mov_b32 s6, -1
                                        ; implicit-def: $sgpr98
                                        ; implicit-def: $sgpr50_sgpr51
                                        ; implicit-def: $sgpr92
                                        ; implicit-def: $sgpr95
	s_branch .LBB135_43
.LBB135_309:                            ;   in Loop: Header=BB135_46 Depth=1
                                        ; implicit-def: $vgpr2_vgpr3
	s_branch .LBB135_261
.LBB135_310:                            ;   in Loop: Header=BB135_46 Depth=1
                                        ; implicit-def: $vgpr2_vgpr3
	s_branch .LBB135_278
.LBB135_311:
	s_or_b32 exec_lo, exec_lo, s88
	s_xor_b32 s3, s91, -1
	s_xor_b32 s1, s89, -1
	;; [unrolled: 1-line block ×3, first 2 shown]
	s_mov_b32 s0, 0
	s_and_saveexec_b32 s5, s1
	s_delay_alu instid0(SALU_CYCLE_1)
	s_xor_b32 s1, exec_lo, s5
	s_cbranch_execz .LBB135_325
; %bb.312:
	s_and_saveexec_b32 s0, s3
	s_delay_alu instid0(SALU_CYCLE_1)
	s_xor_b32 s3, exec_lo, s0
	s_cbranch_execz .LBB135_323
; %bb.313:
	s_and_saveexec_b32 s0, s4
	s_delay_alu instid0(SALU_CYCLE_1)
	s_xor_b32 s0, exec_lo, s0
; %bb.314:
	v_and_b32_e32 v3, 0x8000, v2
	v_mov_b32_e32 v4, 0xffff
	s_delay_alu instid0(VALU_DEP_2) | instskip(NEXT) | instid1(VALU_DEP_2)
	v_cmp_eq_u32_e32 vcc_lo, 0, v3
	v_cndmask_b32_e32 v3, 0x8000, v4, vcc_lo
	s_delay_alu instid0(VALU_DEP_1)
	v_xor_b32_e32 v46, v3, v2
; %bb.315:
	s_or_b32 exec_lo, exec_lo, s0
	s_mul_i32 s0, s36, s35
	s_mul_hi_u32 s4, s36, s34
	s_mul_i32 s5, s37, s34
	s_add_i32 s0, s4, s0
	s_mul_i32 s4, s36, s34
	s_add_i32 s5, s0, s5
	v_mov_b32_e32 v2, 0
	s_lshl_b64 s[4:5], s[4:5], 1
	s_delay_alu instid0(SALU_CYCLE_1) | instskip(SKIP_2) | instid1(SALU_CYCLE_1)
	s_add_u32 s0, s44, s4
	s_addc_u32 s6, s45, s5
	s_lshl_b64 s[4:5], s[26:27], 1
	s_add_u32 s4, s0, s4
	s_addc_u32 s5, s6, s5
	global_store_b16 v2, v46, s[4:5]
	s_and_saveexec_b32 s4, s2
	s_cbranch_execz .LBB135_322
; %bb.316:
	v_cmp_u_f16_e32 vcc_lo, v46, v46
	s_mov_b32 s2, 0
                                        ; implicit-def: $sgpr5
                                        ; implicit-def: $sgpr8
                                        ; implicit-def: $sgpr7
	s_xor_b32 s6, vcc_lo, -1
	s_set_inst_prefetch_distance 0x1
	s_branch .LBB135_318
	.p2align	6
.LBB135_317:                            ;   in Loop: Header=BB135_318 Depth=1
	s_or_b32 exec_lo, exec_lo, s9
	s_delay_alu instid0(SALU_CYCLE_1) | instskip(NEXT) | instid1(SALU_CYCLE_1)
	s_and_b32 s0, exec_lo, s8
	s_or_b32 s2, s0, s2
	s_and_not1_b32 s0, s5, exec_lo
	s_and_b32 s5, s7, exec_lo
	s_delay_alu instid0(SALU_CYCLE_1)
	s_or_b32 s5, s0, s5
	s_and_not1_b32 exec_lo, exec_lo, s2
	s_cbranch_execz .LBB135_320
.LBB135_318:                            ; =>This Inner Loop Header: Depth=1
	global_load_u16 v2, v[10:11], off
	s_or_b32 s7, s7, exec_lo
	s_or_b32 s8, s8, exec_lo
	s_waitcnt vmcnt(0)
	v_cmp_o_f16_e32 vcc_lo, v2, v2
	v_cmp_neq_f16_e64 s0, v2, v46
	v_dual_mov_b32 v3, v1 :: v_dual_mov_b32 v2, v0
                                        ; implicit-def: $vgpr0_vgpr1
	s_or_b32 s9, s6, vcc_lo
	s_delay_alu instid0(VALU_DEP_2) | instid1(SALU_CYCLE_1)
	s_and_b32 s0, s0, s9
	s_delay_alu instid0(SALU_CYCLE_1)
	s_and_saveexec_b32 s9, s0
	s_cbranch_execz .LBB135_317
; %bb.319:                              ;   in Loop: Header=BB135_318 Depth=1
	v_add_co_u32 v0, vcc_lo, v2, s33
	v_add_co_ci_u32_e32 v1, vcc_lo, 0, v3, vcc_lo
	v_add_co_u32 v10, s0, v10, s46
	s_delay_alu instid0(VALU_DEP_1) | instskip(NEXT) | instid1(VALU_DEP_3)
	v_add_co_ci_u32_e64 v11, s0, s47, v11, s0
	v_cmp_le_u64_e32 vcc_lo, s[24:25], v[0:1]
	s_and_not1_b32 s0, s8, exec_lo
	s_and_not1_b32 s7, s7, exec_lo
	s_and_b32 s8, vcc_lo, exec_lo
	s_delay_alu instid0(SALU_CYCLE_1)
	s_or_b32 s8, s0, s8
	s_branch .LBB135_317
.LBB135_320:
	s_set_inst_prefetch_distance 0x2
	s_or_b32 exec_lo, exec_lo, s2
	s_and_saveexec_b32 s0, s5
	s_delay_alu instid0(SALU_CYCLE_1)
	s_xor_b32 s0, exec_lo, s0
	s_cbranch_execz .LBB135_322
; %bb.321:
	s_mul_i32 s0, s40, s39
	s_mul_hi_u32 s2, s40, s38
	s_mul_i32 s6, s40, s38
	s_add_i32 s0, s2, s0
	s_mul_i32 s2, s41, s38
	v_mov_b32_e32 v0, 0
	s_add_i32 s7, s0, s2
	s_delay_alu instid0(SALU_CYCLE_1) | instskip(NEXT) | instid1(SALU_CYCLE_1)
	s_lshl_b64 s[6:7], s[6:7], 3
	s_add_u32 s0, s42, s6
	s_addc_u32 s2, s43, s7
	s_lshl_b64 s[6:7], s[30:31], 3
	s_delay_alu instid0(SALU_CYCLE_1)
	s_add_u32 s6, s0, s6
	s_addc_u32 s7, s2, s7
	global_store_b64 v0, v[2:3], s[6:7]
.LBB135_322:
	s_or_b32 exec_lo, exec_lo, s4
.LBB135_323:
	s_or_saveexec_b32 s0, s3
	s_mov_b32 s2, 0
	s_xor_b32 exec_lo, exec_lo, s0
	s_cbranch_execnz .LBB135_331
.LBB135_324:
	s_or_b32 exec_lo, exec_lo, s0
	s_delay_alu instid0(SALU_CYCLE_1)
	s_and_b32 s0, s2, exec_lo
.LBB135_325:
	s_and_not1_saveexec_b32 s1, s1
	s_cbranch_execnz .LBB135_329
; %bb.326:
	s_or_b32 exec_lo, exec_lo, s1
	s_and_saveexec_b32 s1, s0
.LBB135_327:
	; divergent unreachable
.LBB135_328:
	s_nop 0
	s_sendmsg sendmsg(MSG_DEALLOC_VGPRS)
	s_endpgm
.LBB135_329:
	s_cbranch_execnz .LBB135_333
; %bb.330:
	s_or_b32 s0, s0, exec_lo
	s_or_b32 exec_lo, exec_lo, s1
	s_and_saveexec_b32 s1, s0
	s_cbranch_execnz .LBB135_327
	s_branch .LBB135_328
.LBB135_331:
	s_cbranch_execnz .LBB135_335
; %bb.332:
	s_mov_b32 s2, exec_lo
	s_branch .LBB135_324
.LBB135_333:
	s_trap 2
	s_sendmsg_rtn_b32 s0, sendmsg(MSG_RTN_GET_DOORBELL)
	s_mov_b32 ttmp2, m0
	s_waitcnt lgkmcnt(0)
	s_and_b32 s0, s0, 0x3ff
	s_delay_alu instid0(SALU_CYCLE_1) | instskip(NEXT) | instid1(SALU_CYCLE_1)
	s_bitset1_b32 s0, 10
	s_mov_b32 m0, s0
	s_sendmsg sendmsg(MSG_INTERRUPT)
	s_mov_b32 m0, ttmp2
.LBB135_334:                            ; =>This Inner Loop Header: Depth=1
	s_sethalt 5
	s_branch .LBB135_334
.LBB135_335:
	s_trap 2
	s_sendmsg_rtn_b32 s0, sendmsg(MSG_RTN_GET_DOORBELL)
	s_mov_b32 ttmp2, m0
	s_waitcnt lgkmcnt(0)
	s_and_b32 s0, s0, 0x3ff
	s_delay_alu instid0(SALU_CYCLE_1) | instskip(NEXT) | instid1(SALU_CYCLE_1)
	s_bitset1_b32 s0, 10
	s_mov_b32 m0, s0
	s_sendmsg sendmsg(MSG_INTERRUPT)
	s_mov_b32 m0, ttmp2
.LBB135_336:                            ; =>This Inner Loop Header: Depth=1
	s_sethalt 5
	s_branch .LBB135_336
	.section	.rodata,"a",@progbits
	.p2align	6, 0x0
	.amdhsa_kernel _ZN2at6native12_GLOBAL__N_112gatherMedianIN3c104HalfEmLin1EEEvNS_4cuda6detail10TensorInfoIT_T0_EENS7_IlS9_EENS7_IKS8_S9_EES9_S9_S9_b
		.amdhsa_group_segment_fixed_size 5152
		.amdhsa_private_segment_fixed_size 0
		.amdhsa_kernarg_size 1536
		.amdhsa_user_sgpr_count 13
		.amdhsa_user_sgpr_dispatch_ptr 0
		.amdhsa_user_sgpr_queue_ptr 0
		.amdhsa_user_sgpr_kernarg_segment_ptr 1
		.amdhsa_user_sgpr_dispatch_id 0
		.amdhsa_user_sgpr_private_segment_size 0
		.amdhsa_wavefront_size32 1
		.amdhsa_uses_dynamic_stack 0
		.amdhsa_enable_private_segment 0
		.amdhsa_system_sgpr_workgroup_id_x 1
		.amdhsa_system_sgpr_workgroup_id_y 1
		.amdhsa_system_sgpr_workgroup_id_z 1
		.amdhsa_system_sgpr_workgroup_info 0
		.amdhsa_system_vgpr_workitem_id 0
		.amdhsa_next_free_vgpr 50
		.amdhsa_next_free_sgpr 103
		.amdhsa_reserve_vcc 1
		.amdhsa_float_round_mode_32 0
		.amdhsa_float_round_mode_16_64 0
		.amdhsa_float_denorm_mode_32 3
		.amdhsa_float_denorm_mode_16_64 3
		.amdhsa_dx10_clamp 1
		.amdhsa_ieee_mode 1
		.amdhsa_fp16_overflow 0
		.amdhsa_workgroup_processor_mode 1
		.amdhsa_memory_ordered 1
		.amdhsa_forward_progress 0
		.amdhsa_shared_vgpr_count 0
		.amdhsa_exception_fp_ieee_invalid_op 0
		.amdhsa_exception_fp_denorm_src 0
		.amdhsa_exception_fp_ieee_div_zero 0
		.amdhsa_exception_fp_ieee_overflow 0
		.amdhsa_exception_fp_ieee_underflow 0
		.amdhsa_exception_fp_ieee_inexact 0
		.amdhsa_exception_int_div_zero 0
	.end_amdhsa_kernel
	.section	.text._ZN2at6native12_GLOBAL__N_112gatherMedianIN3c104HalfEmLin1EEEvNS_4cuda6detail10TensorInfoIT_T0_EENS7_IlS9_EENS7_IKS8_S9_EES9_S9_S9_b,"axG",@progbits,_ZN2at6native12_GLOBAL__N_112gatherMedianIN3c104HalfEmLin1EEEvNS_4cuda6detail10TensorInfoIT_T0_EENS7_IlS9_EENS7_IKS8_S9_EES9_S9_S9_b,comdat
.Lfunc_end135:
	.size	_ZN2at6native12_GLOBAL__N_112gatherMedianIN3c104HalfEmLin1EEEvNS_4cuda6detail10TensorInfoIT_T0_EENS7_IlS9_EENS7_IKS8_S9_EES9_S9_S9_b, .Lfunc_end135-_ZN2at6native12_GLOBAL__N_112gatherMedianIN3c104HalfEmLin1EEEvNS_4cuda6detail10TensorInfoIT_T0_EENS7_IlS9_EENS7_IKS8_S9_EES9_S9_S9_b
                                        ; -- End function
	.section	.AMDGPU.csdata,"",@progbits
; Kernel info:
; codeLenInByte = 20372
; NumSgprs: 105
; NumVgprs: 50
; ScratchSize: 0
; MemoryBound: 0
; FloatMode: 240
; IeeeMode: 1
; LDSByteSize: 5152 bytes/workgroup (compile time only)
; SGPRBlocks: 13
; VGPRBlocks: 6
; NumSGPRsForWavesPerEU: 105
; NumVGPRsForWavesPerEU: 50
; Occupancy: 16
; WaveLimiterHint : 1
; COMPUTE_PGM_RSRC2:SCRATCH_EN: 0
; COMPUTE_PGM_RSRC2:USER_SGPR: 13
; COMPUTE_PGM_RSRC2:TRAP_HANDLER: 0
; COMPUTE_PGM_RSRC2:TGID_X_EN: 1
; COMPUTE_PGM_RSRC2:TGID_Y_EN: 1
; COMPUTE_PGM_RSRC2:TGID_Z_EN: 1
; COMPUTE_PGM_RSRC2:TIDIG_COMP_CNT: 0
	.section	.text._ZN2at6native12_GLOBAL__N_112gatherMedianIN3c108BFloat16EjLi1EEEvNS_4cuda6detail10TensorInfoIT_T0_EENS7_IlS9_EENS7_IKS8_S9_EES9_S9_S9_b,"axG",@progbits,_ZN2at6native12_GLOBAL__N_112gatherMedianIN3c108BFloat16EjLi1EEEvNS_4cuda6detail10TensorInfoIT_T0_EENS7_IlS9_EENS7_IKS8_S9_EES9_S9_S9_b,comdat
	.globl	_ZN2at6native12_GLOBAL__N_112gatherMedianIN3c108BFloat16EjLi1EEEvNS_4cuda6detail10TensorInfoIT_T0_EENS7_IlS9_EENS7_IKS8_S9_EES9_S9_S9_b ; -- Begin function _ZN2at6native12_GLOBAL__N_112gatherMedianIN3c108BFloat16EjLi1EEEvNS_4cuda6detail10TensorInfoIT_T0_EENS7_IlS9_EENS7_IKS8_S9_EES9_S9_S9_b
	.p2align	8
	.type	_ZN2at6native12_GLOBAL__N_112gatherMedianIN3c108BFloat16EjLi1EEEvNS_4cuda6detail10TensorInfoIT_T0_EENS7_IlS9_EENS7_IKS8_S9_EES9_S9_S9_b,@function
_ZN2at6native12_GLOBAL__N_112gatherMedianIN3c108BFloat16EjLi1EEEvNS_4cuda6detail10TensorInfoIT_T0_EENS7_IlS9_EENS7_IKS8_S9_EES9_S9_S9_b: ; @_ZN2at6native12_GLOBAL__N_112gatherMedianIN3c108BFloat16EjLi1EEEvNS_4cuda6detail10TensorInfoIT_T0_EENS7_IlS9_EENS7_IKS8_S9_EES9_S9_S9_b
; %bb.0:
	s_clause 0x1
	s_load_b64 s[6:7], s[0:1], 0x298
	s_load_b128 s[24:27], s[0:1], 0x288
	s_add_u32 s4, s0, 0x298
	s_addc_u32 s5, s1, 0
	s_waitcnt lgkmcnt(0)
	s_mul_i32 s2, s7, s15
	s_delay_alu instid0(SALU_CYCLE_1) | instskip(NEXT) | instid1(SALU_CYCLE_1)
	s_add_i32 s2, s2, s14
	s_mul_i32 s21, s2, s6
	s_delay_alu instid0(SALU_CYCLE_1) | instskip(NEXT) | instid1(SALU_CYCLE_1)
	s_add_i32 s21, s21, s13
	s_cmp_ge_u32 s21, s25
	s_cbranch_scc1 .LBB136_268
; %bb.1:
	s_clause 0x3
	s_load_b32 s2, s[0:1], 0x21c
	s_load_b64 s[10:11], s[0:1], 0x1b0
	s_load_b64 s[22:23], s[0:1], 0xd8
	;; [unrolled: 1-line block ×3, first 2 shown]
	v_mul_lo_u32 v5, v0, s26
	s_mov_b32 s9, 0
	v_mov_b32_e32 v3, 0
	s_waitcnt lgkmcnt(0)
	s_mul_i32 s8, s2, s21
	v_cmp_gt_u32_e64 s2, s24, v0
	s_lshl_b64 s[14:15], s[8:9], 1
	s_delay_alu instid0(SALU_CYCLE_1) | instskip(SKIP_1) | instid1(VALU_DEP_1)
	s_add_u32 s25, s10, s14
	s_addc_u32 s33, s11, s15
	s_and_saveexec_b32 s7, s2
	s_cbranch_execz .LBB136_5
; %bb.2:
	s_load_b32 s3, s[4:5], 0xc
	v_mul_lo_u32 v1, v0, s26
	v_dual_mov_b32 v3, 0 :: v_dual_mov_b32 v2, 0
	v_mov_b32_e32 v4, v0
	s_waitcnt lgkmcnt(0)
	s_and_b32 s8, s3, 0xffff
	s_delay_alu instid0(SALU_CYCLE_1)
	s_mul_i32 s10, s26, s8
	.p2align	6
.LBB136_3:                              ; =>This Inner Loop Header: Depth=1
	s_delay_alu instid0(VALU_DEP_3) | instskip(SKIP_2) | instid1(VALU_DEP_3)
	v_lshlrev_b64 v[6:7], 1, v[1:2]
	v_add_nc_u32_e32 v4, s8, v4
	v_add_nc_u32_e32 v1, s10, v1
	v_add_co_u32 v6, vcc_lo, s25, v6
	s_delay_alu instid0(VALU_DEP_4) | instskip(NEXT) | instid1(VALU_DEP_4)
	v_add_co_ci_u32_e32 v7, vcc_lo, s33, v7, vcc_lo
	v_cmp_le_u32_e32 vcc_lo, s24, v4
	global_load_u16 v6, v[6:7], off
	s_or_b32 s9, vcc_lo, s9
	s_waitcnt vmcnt(0)
	v_lshlrev_b32_e32 v6, 16, v6
	s_delay_alu instid0(VALU_DEP_1) | instskip(NEXT) | instid1(VALU_DEP_1)
	v_cmp_u_f32_e64 s3, v6, v6
	v_add_co_ci_u32_e64 v3, s3, 0, v3, s3
	s_and_not1_b32 exec_lo, exec_lo, s9
	s_cbranch_execnz .LBB136_3
; %bb.4:
	s_or_b32 exec_lo, exec_lo, s9
.LBB136_5:
	s_delay_alu instid0(SALU_CYCLE_1) | instskip(SKIP_4) | instid1(VALU_DEP_1)
	s_or_b32 exec_lo, exec_lo, s7
	s_clause 0x1
	s_load_b32 s34, s[0:1], 0x144
	s_load_b32 s35, s[0:1], 0x6c
	v_cmp_eq_u32_e64 s0, 0, v0
	s_and_saveexec_b32 s1, s0
	s_cbranch_execz .LBB136_7
; %bb.6:
	v_mov_b32_e32 v1, 0
	s_delay_alu instid0(VALU_DEP_1)
	v_mov_b32_e32 v2, v1
	ds_store_b64 v1, v[1:2] offset:4096
.LBB136_7:
	s_or_b32 exec_lo, exec_lo, s1
	s_delay_alu instid0(SALU_CYCLE_1)
	s_mov_b32 s1, exec_lo
	s_waitcnt lgkmcnt(0)
	s_barrier
	buffer_gl0_inv
	v_cmpx_ne_u32_e32 0, v3
	s_cbranch_execz .LBB136_12
; %bb.8:
	v_mov_b32_e32 v1, 0
	s_mov_b32 s3, exec_lo
	s_mov_b64 s[8:9], 0
.LBB136_9:                              ; =>This Inner Loop Header: Depth=1
	s_ctz_i32_b32 s7, s3
	s_delay_alu instid0(SALU_CYCLE_1) | instskip(SKIP_1) | instid1(VALU_DEP_2)
	v_readlane_b32 s10, v3, s7
	v_readlane_b32 s11, v1, s7
	s_add_u32 s8, s8, s10
	s_delay_alu instid0(VALU_DEP_1) | instskip(SKIP_1) | instid1(SALU_CYCLE_1)
	s_addc_u32 s9, s9, s11
	s_lshl_b32 s7, 1, s7
	s_and_not1_b32 s3, s3, s7
	s_delay_alu instid0(SALU_CYCLE_1)
	s_cmp_lg_u32 s3, 0
	s_cbranch_scc1 .LBB136_9
; %bb.10:
	v_mbcnt_lo_u32_b32 v1, exec_lo, 0
	s_mov_b32 s3, exec_lo
	s_delay_alu instid0(VALU_DEP_1)
	v_cmpx_eq_u32_e32 0, v1
	s_xor_b32 s3, exec_lo, s3
	s_cbranch_execz .LBB136_12
; %bb.11:
	v_mov_b32_e32 v1, s8
	v_dual_mov_b32 v3, 0 :: v_dual_mov_b32 v2, s9
	ds_add_u64 v3, v[1:2] offset:4096
.LBB136_12:
	s_or_b32 exec_lo, exec_lo, s1
	v_mov_b32_e32 v1, 0
	s_waitcnt lgkmcnt(0)
	s_barrier
	buffer_gl0_inv
	s_bitcmp1_b32 s27, 0
	ds_load_b64 v[1:2], v1 offset:4096
	s_cselect_b32 s1, -1, 0
	s_mov_b32 s65, s24
	s_waitcnt lgkmcnt(0)
	v_cmp_gt_i64_e32 vcc_lo, 1, v[1:2]
	s_or_b32 s1, s1, vcc_lo
	s_delay_alu instid0(SALU_CYCLE_1)
	s_and_not1_b32 vcc_lo, exec_lo, s1
	s_cbranch_vccnz .LBB136_14
; %bb.13:
	v_not_b32_e32 v1, v1
	v_not_b32_e32 v2, v2
	s_delay_alu instid0(VALU_DEP_2) | instskip(NEXT) | instid1(VALU_DEP_2)
	v_add_co_u32 v1, vcc_lo, v1, s24
	v_add_co_ci_u32_e32 v2, vcc_lo, 0, v2, vcc_lo
	s_delay_alu instid0(VALU_DEP_1) | instskip(NEXT) | instid1(VALU_DEP_1)
	v_lshrrev_b32_e32 v3, 31, v2
	v_add_co_u32 v1, vcc_lo, v1, v3
	v_add_co_ci_u32_e32 v2, vcc_lo, 0, v2, vcc_lo
	s_delay_alu instid0(VALU_DEP_1) | instskip(NEXT) | instid1(VALU_DEP_1)
	v_alignbit_b32 v1, v2, v1, 1
	v_readfirstlane_b32 s1, v1
	s_delay_alu instid0(VALU_DEP_1)
	s_add_i32 s65, s1, 1
.LBB136_14:
	s_and_saveexec_b32 s1, s0
	s_cbranch_execz .LBB136_16
; %bb.15:
	v_dual_mov_b32 v1, 0 :: v_dual_mov_b32 v2, s24
	ds_store_b32 v1, v1 offset:4112
	ds_store_b64 v1, v[1:2] offset:4104
.LBB136_16:
	s_or_b32 exec_lo, exec_lo, s1
	s_waitcnt lgkmcnt(0)
	s_barrier
	buffer_gl0_inv
	s_load_b32 s7, s[4:5], 0xc
	v_mbcnt_lo_u32_b32 v13, -1, 0
	v_cmp_gt_u32_e32 vcc_lo, 32, v0
	v_lshrrev_b32_e32 v1, 3, v0
	v_dual_mov_b32 v7, 0 :: v_dual_lshlrev_b32 v14, 2, v0
	s_delay_alu instid0(VALU_DEP_4) | instskip(SKIP_1) | instid1(VALU_DEP_4)
	v_cmp_gt_i32_e64 s3, 4, v13
	v_lshlrev_b32_e32 v15, 1, v0
	v_and_b32_e32 v17, 0x7c, v1
	s_delay_alu instid0(VALU_DEP_4)
	v_or_b32_e32 v4, 2, v14
	v_mov_b32_e32 v6, v7
	s_and_b32 s39, vcc_lo, s3
	v_or_b32_e32 v21, 3, v14
	v_cmp_gt_u32_e64 s1, 2, v0
	v_mul_lo_u32 v20, s26, v4
	v_cmp_eq_u32_e64 s3, 0, v13
	v_dual_mov_b32 v27, 0 :: v_dual_add_nc_u32 v16, 0xc00, v15
	v_mul_lo_u32 v21, s26, v21
	v_lshlrev_b32_e32 v22, 2, v5
	s_waitcnt lgkmcnt(0)
	s_and_b32 s27, s7, 0xffff
	s_bfe_u32 s7, s7, 0xb0005
	s_lshl_b32 s38, s27, 2
	s_add_i32 s40, s27, -1
	v_cvt_f32_u32_e32 v2, s38
	s_add_i32 s8, s40, s24
	s_cmpk_gt_u32 s24, 0x600
	v_cvt_f32_u32_e32 v3, s27
	s_cselect_b32 s41, -1, 0
	v_rcp_iflag_f32_e32 v2, v2
	s_cmp_gt_u32 s27, 31
	v_mad_u64_u32 v[8:9], null, s26, v14, s[26:27]
	s_cselect_b32 s42, -1, 0
	s_cmp_lt_u32 s13, s6
	v_rcp_iflag_f32_e32 v3, v3
	s_cselect_b32 s6, 12, 18
	v_lshlrev_b32_e32 v24, 3, v0
	s_add_u32 s30, s4, s6
	s_waitcnt_depctr 0xfff
	v_mul_f32_e32 v2, 0x4f7ffffe, v2
	s_addc_u32 s31, s5, 0
	s_add_i32 s4, s7, -1
	s_bfe_u32 s43, s27, 0x30005
	s_cmp_gt_u32 s4, 6
	v_cvt_u32_f32_e32 v2, v2
	s_cselect_b32 s44, -1, 0
	s_and_b32 s45, s7, 0x7f8
	s_cmp_lg_u32 s43, 0
	v_lshl_or_b32 v25, v13, 2, 0xc00
	v_readfirstlane_b32 s4, v2
	s_cselect_b32 s46, -1, 0
	s_sub_i32 s5, 0, s38
	v_lshlrev_b64 v[1:2], v13, -1
	v_mul_f32_e32 v2, 0x4f7ffffe, v3
	s_mul_i32 s5, s5, s4
	v_mov_b32_e32 v26, 0x8000
	s_mul_hi_u32 s5, s4, s5
	s_mul_i32 s37, s26, s27
	s_add_i32 s47, s4, s5
	v_cvt_u32_f32_e32 v9, v2
	s_mul_hi_u32 s4, s24, s47
	v_lshlrev_b64 v[2:3], 1, v[5:6]
	s_mul_i32 s4, s4, s38
	v_not_b32_e32 v18, v1
	s_sub_i32 s4, s24, s4
	v_add3_u32 v1, s27, s24, v0
	s_sub_i32 s5, s4, s38
	s_cmp_ge_u32 s4, s38
	s_mov_b32 s36, 0
	s_cselect_b32 s4, s5, s4
	v_readfirstlane_b32 s5, v9
	s_sub_i32 s6, s4, s38
	s_cmp_ge_u32 s4, s38
	v_add_co_u32 v9, vcc_lo, s25, v2
	s_cselect_b32 s4, s6, s4
	s_sub_i32 s6, 0, s27
	s_sub_i32 s48, s24, s4
	s_mul_i32 s6, s6, s5
	v_add_nc_u32_e32 v19, s48, v0
	s_mul_hi_u32 s6, s5, s6
	v_add_co_ci_u32_e32 v10, vcc_lo, s33, v3, vcc_lo
	s_add_i32 s49, s5, s6
	s_delay_alu instid0(VALU_DEP_2)
	v_mul_lo_u32 v6, v19, s26
	s_mul_hi_u32 s5, s8, s49
	v_subrev_nc_u32_e32 v3, s4, v1
	s_mul_i32 s5, s5, s27
	v_cmp_gt_u32_e64 s4, s48, v14
	s_sub_i32 s5, s8, s5
	s_mov_b32 s58, 14
	s_sub_i32 s6, s5, s27
	s_cmp_ge_u32 s5, s27
	v_lshlrev_b64 v[1:2], 1, v[6:7]
	s_cselect_b32 s6, s6, s5
	v_mul_lo_u32 v23, s26, v3
	s_sub_i32 s7, s6, s27
	s_cmp_ge_u32 s6, s27
	v_cmp_gt_u32_e64 s5, s24, v19
	s_cselect_b32 s6, s7, s6
	v_add_co_u32 v11, vcc_lo, s25, v1
	s_sub_i32 s51, s8, s6
	v_add_co_ci_u32_e32 v12, vcc_lo, s33, v2, vcc_lo
	v_cmp_gt_u32_e64 s6, s51, v0
	s_lshl_b32 s50, s37, 2
	s_lshl_b32 s52, s27, 3
	;; [unrolled: 1-line block ×3, first 2 shown]
	s_movk_i32 s54, 0x3f80
	s_mov_b32 s61, 0
	s_mov_b32 s63, 0
	;; [unrolled: 1-line block ×3, first 2 shown]
                                        ; implicit-def: $sgpr55
                                        ; implicit-def: $sgpr57
                                        ; implicit-def: $sgpr56
                                        ; implicit-def: $sgpr60
                                        ; implicit-def: $sgpr62
                                        ; implicit-def: $sgpr59
	s_branch .LBB136_21
.LBB136_17:                             ;   in Loop: Header=BB136_21 Depth=1
	s_xor_b32 s61, s61, 1
	s_add_i32 s11, s58, -2
	s_cmp_eq_u32 s58, 0
	s_mov_b32 s7, 0
	s_cselect_b32 s9, -1, 0
	s_mov_b32 s58, s11
.LBB136_18:                             ;   in Loop: Header=BB136_21 Depth=1
	s_and_not1_b32 s11, s13, exec_lo
	s_and_b32 s7, s7, exec_lo
	s_and_not1_b32 s15, s15, exec_lo
	s_or_b32 s13, s11, s7
	s_and_not1_b32 s12, s12, exec_lo
	s_or_not1_b32 s11, s9, exec_lo
	s_mov_b32 s65, s20
.LBB136_19:                             ;   in Loop: Header=BB136_21 Depth=1
	s_or_b32 exec_lo, exec_lo, s8
	s_delay_alu instid0(SALU_CYCLE_1)
	s_and_not1_b32 s7, s59, exec_lo
	s_and_b32 s8, s13, exec_lo
	s_and_not1_b32 s9, s60, exec_lo
	s_or_b32 s59, s7, s8
	s_and_not1_b32 s7, s62, exec_lo
	s_and_b32 s8, s15, exec_lo
	s_and_b32 s12, s12, exec_lo
	s_or_b32 s62, s7, s8
	s_or_b32 s60, s9, s12
	s_or_not1_b32 s12, s11, exec_lo
.LBB136_20:                             ;   in Loop: Header=BB136_21 Depth=1
	s_or_b32 exec_lo, exec_lo, s10
	s_delay_alu instid0(SALU_CYCLE_1)
	s_and_b32 s7, exec_lo, s12
	v_mov_b32_e32 v1, s63
	s_or_b32 s36, s7, s36
	s_and_not1_b32 s7, s56, exec_lo
	s_and_b32 s8, s59, exec_lo
	s_and_not1_b32 s9, s55, exec_lo
	s_or_b32 s56, s7, s8
	s_and_not1_b32 s7, s57, exec_lo
	s_and_b32 s8, s62, exec_lo
	s_and_b32 s10, s60, exec_lo
	s_or_b32 s57, s7, s8
	s_or_b32 s55, s9, s10
	s_and_not1_b32 exec_lo, exec_lo, s36
	s_cbranch_execz .LBB136_251
.LBB136_21:                             ; =>This Loop Header: Depth=1
                                        ;     Child Loop BB136_26 Depth 2
                                        ;     Child Loop BB136_41 Depth 2
	;; [unrolled: 1-line block ×16, first 2 shown]
	ds_load_b64 v[1:2], v7 offset:4104
	s_waitcnt lgkmcnt(0)
	v_readfirstlane_b32 s66, v1
	s_delay_alu instid0(VALU_DEP_1)
	s_cmp_lg_u32 s66, 0
	s_cbranch_scc1 .LBB136_48
; %bb.22:                               ;   in Loop: Header=BB136_21 Depth=1
	s_and_b32 vcc_lo, exec_lo, s41
	s_cbranch_vccz .LBB136_34
; %bb.23:                               ;   in Loop: Header=BB136_21 Depth=1
	v_cmp_gt_u32_e32 vcc_lo, 0x601, v2
	s_mov_b32 s66, 0
	s_mov_b32 s7, 0
	s_cbranch_vccz .LBB136_35
; %bb.24:                               ;   in Loop: Header=BB136_21 Depth=1
	global_load_u16 v1, v7, s[30:31]
	global_load_u16 v4, v[9:10], off
	v_mov_b32_e32 v3, v0
	s_mov_b32 s9, 0
	s_waitcnt vmcnt(1)
	v_add_nc_u32_e32 v2, v0, v1
	s_delay_alu instid0(VALU_DEP_1)
	v_mul_lo_u32 v6, s26, v2
	v_mul_lo_u32 v2, s26, v1
	s_branch .LBB136_26
.LBB136_25:                             ;   in Loop: Header=BB136_26 Depth=2
	s_or_b32 exec_lo, exec_lo, s8
	v_add_nc_u32_e32 v6, v6, v2
	v_mov_b32_e32 v4, v28
	s_and_not1_b32 exec_lo, exec_lo, s9
	s_cbranch_execz .LBB136_136
.LBB136_26:                             ;   Parent Loop BB136_21 Depth=1
                                        ; =>  This Inner Loop Header: Depth=2
	v_dual_mov_b32 v28, 0 :: v_dual_add_nc_u32 v3, v3, v1
	s_waitcnt lgkmcnt(0)
	v_mov_b32_e32 v29, 0
	s_mov_b32 s8, exec_lo
	s_delay_alu instid0(VALU_DEP_2)
	v_cmp_le_u32_e32 vcc_lo, s24, v3
	v_cmpx_gt_u32_e64 s24, v3
	s_cbranch_execz .LBB136_28
; %bb.27:                               ;   in Loop: Header=BB136_26 Depth=2
	v_lshlrev_b64 v[30:31], 1, v[6:7]
	s_delay_alu instid0(VALU_DEP_1) | instskip(NEXT) | instid1(VALU_DEP_1)
	v_add_co_u32 v30, s7, s25, v30
	v_add_co_ci_u32_e64 v31, s7, s33, v31, s7
	global_load_u16 v28, v[30:31], off
.LBB136_28:                             ;   in Loop: Header=BB136_26 Depth=2
	s_or_b32 exec_lo, exec_lo, s8
	s_waitcnt vmcnt(0)
	v_cmp_lt_i16_e64 s7, -1, v4
	v_and_b32_e32 v30, 0xffff, v4
	v_lshlrev_b32_e32 v32, 16, v4
	s_delay_alu instid0(VALU_DEP_3) | instskip(NEXT) | instid1(VALU_DEP_2)
	v_cndmask_b32_e64 v31, 0xffff, v26, s7
	v_cmp_o_f32_e64 s7, v32, v32
	s_delay_alu instid0(VALU_DEP_2) | instskip(NEXT) | instid1(VALU_DEP_1)
	v_xor_b32_e32 v30, v31, v30
	v_cndmask_b32_e64 v30, 0xffff, v30, s7
	s_delay_alu instid0(VALU_DEP_1) | instskip(NEXT) | instid1(VALU_DEP_1)
	v_and_b32_e32 v30, s64, v30
	v_cmp_eq_u32_e64 s7, s63, v30
	s_delay_alu instid0(VALU_DEP_1) | instskip(SKIP_1) | instid1(SALU_CYCLE_1)
	s_cmp_lg_u32 s7, 0
	s_cselect_b32 s8, -1, 0
	s_and_b32 s8, s3, s8
	s_delay_alu instid0(SALU_CYCLE_1)
	s_and_saveexec_b32 s10, s8
	s_cbranch_execz .LBB136_32
; %bb.29:                               ;   in Loop: Header=BB136_26 Depth=2
	s_mov_b32 s13, exec_lo
	s_bcnt1_i32_b32 s11, s7
	v_mbcnt_lo_u32_b32 v29, s13, 0
	s_mov_b32 s12, exec_lo
                                        ; implicit-def: $vgpr30
	s_delay_alu instid0(VALU_DEP_1)
	v_cmpx_eq_u32_e32 0, v29
	s_cbranch_execz .LBB136_31
; %bb.30:                               ;   in Loop: Header=BB136_26 Depth=2
	s_bcnt1_i32_b32 s8, s13
	s_delay_alu instid0(SALU_CYCLE_1) | instskip(NEXT) | instid1(SALU_CYCLE_1)
	s_mul_i32 s8, s11, s8
	v_mov_b32_e32 v30, s8
	ds_add_rtn_u32 v30, v7, v30 offset:4112
.LBB136_31:                             ;   in Loop: Header=BB136_26 Depth=2
	s_or_b32 exec_lo, exec_lo, s12
	s_waitcnt lgkmcnt(0)
	v_readfirstlane_b32 s8, v30
	s_delay_alu instid0(VALU_DEP_1)
	v_mad_u32_u24 v29, s11, v29, s8
.LBB136_32:                             ;   in Loop: Header=BB136_26 Depth=2
	s_or_b32 exec_lo, exec_lo, s10
	ds_bpermute_b32 v29, v7, v29
	s_and_b32 s8, exec_lo, vcc_lo
	s_delay_alu instid0(SALU_CYCLE_1)
	s_or_b32 s9, s8, s9
	s_and_saveexec_b32 s8, s7
	s_cbranch_execz .LBB136_25
; %bb.33:                               ;   in Loop: Header=BB136_26 Depth=2
	v_and_b32_e32 v30, s7, v18
	s_delay_alu instid0(VALU_DEP_1) | instskip(NEXT) | instid1(VALU_DEP_1)
	v_bcnt_u32_b32 v30, v30, 0
	v_lshlrev_b32_e32 v30, 1, v30
	s_waitcnt lgkmcnt(0)
	s_delay_alu instid0(VALU_DEP_1)
	v_lshl_add_u32 v29, v29, 1, v30
	ds_store_b16 v29, v4
	s_branch .LBB136_25
.LBB136_34:                             ;   in Loop: Header=BB136_21 Depth=1
	s_mov_b32 s66, -1
	s_mov_b32 s7, 0
.LBB136_35:                             ;   in Loop: Header=BB136_21 Depth=1
	s_and_b32 vcc_lo, exec_lo, s66
	s_cbranch_vccz .LBB136_46
.LBB136_36:                             ;   in Loop: Header=BB136_21 Depth=1
	v_mov_b32_e32 v1, 0
	s_and_saveexec_b32 s7, s2
	s_cbranch_execz .LBB136_38
; %bb.37:                               ;   in Loop: Header=BB136_21 Depth=1
	global_load_u16 v1, v[9:10], off
.LBB136_38:                             ;   in Loop: Header=BB136_21 Depth=1
	s_or_b32 exec_lo, exec_lo, s7
	s_and_saveexec_b32 s8, s2
	s_cbranch_execz .LBB136_43
; %bb.39:                               ;   in Loop: Header=BB136_21 Depth=1
	global_load_u16 v2, v7, s[30:31]
	s_mov_b32 s9, 0
	v_dual_mov_b32 v28, v15 :: v_dual_mov_b32 v29, v0
	s_waitcnt vmcnt(0)
	v_add_nc_u32_e32 v3, v0, v2
	v_lshlrev_b32_e32 v4, 1, v2
	s_delay_alu instid0(VALU_DEP_2)
	v_mul_lo_u32 v6, s26, v3
	v_mul_lo_u32 v3, s26, v2
	s_set_inst_prefetch_distance 0x1
	s_branch .LBB136_41
	.p2align	6
.LBB136_40:                             ;   in Loop: Header=BB136_41 Depth=2
	s_or_b32 exec_lo, exec_lo, s10
	ds_store_b16 v28, v1
	s_waitcnt vmcnt(0)
	v_dual_mov_b32 v1, v30 :: v_dual_add_nc_u32 v28, v28, v4
	v_add_nc_u32_e32 v6, v6, v3
	s_and_b32 s7, exec_lo, vcc_lo
	s_delay_alu instid0(SALU_CYCLE_1) | instskip(NEXT) | instid1(SALU_CYCLE_1)
	s_or_b32 s9, s7, s9
	s_and_not1_b32 exec_lo, exec_lo, s9
	s_cbranch_execz .LBB136_43
.LBB136_41:                             ;   Parent Loop BB136_21 Depth=1
                                        ; =>  This Inner Loop Header: Depth=2
	v_dual_mov_b32 v30, 0 :: v_dual_add_nc_u32 v29, v29, v2
	s_mov_b32 s10, exec_lo
	s_delay_alu instid0(VALU_DEP_1)
	v_cmp_le_u32_e32 vcc_lo, s24, v29
	v_cmpx_gt_u32_e64 s24, v29
	s_cbranch_execz .LBB136_40
; %bb.42:                               ;   in Loop: Header=BB136_41 Depth=2
	v_lshlrev_b64 v[30:31], 1, v[6:7]
	s_delay_alu instid0(VALU_DEP_1) | instskip(NEXT) | instid1(VALU_DEP_1)
	v_add_co_u32 v30, s7, s25, v30
	v_add_co_ci_u32_e64 v31, s7, s33, v31, s7
	global_load_u16 v30, v[30:31], off
	s_branch .LBB136_40
.LBB136_43:                             ;   in Loop: Header=BB136_21 Depth=1
	s_set_inst_prefetch_distance 0x2
	s_or_b32 exec_lo, exec_lo, s8
	s_waitcnt vmcnt(0) lgkmcnt(0)
	s_barrier
	buffer_gl0_inv
	s_and_saveexec_b32 s7, s0
	s_cbranch_execz .LBB136_45
; %bb.44:                               ;   in Loop: Header=BB136_21 Depth=1
	v_mov_b32_e32 v1, s24
	ds_store_b32 v7, v1 offset:4104
.LBB136_45:                             ;   in Loop: Header=BB136_21 Depth=1
	s_or_b32 exec_lo, exec_lo, s7
	s_mov_b32 s7, -1
	s_waitcnt lgkmcnt(0)
	s_barrier
                                        ; implicit-def: $sgpr66
.LBB136_46:                             ;   in Loop: Header=BB136_21 Depth=1
	s_and_b32 vcc_lo, exec_lo, s7
	s_cbranch_vccz .LBB136_48
; %bb.47:                               ;   in Loop: Header=BB136_21 Depth=1
	buffer_gl0_inv
	ds_load_b32 v1, v7 offset:4104
	s_waitcnt lgkmcnt(0)
	v_readfirstlane_b32 s66, v1
.LBB136_48:                             ;   in Loop: Header=BB136_21 Depth=1
	s_delay_alu instid0(VALU_DEP_1)
	s_cmp_lt_i32 s66, 1
	s_cbranch_scc0 .LBB136_52
; %bb.49:                               ;   in Loop: Header=BB136_21 Depth=1
	v_dual_mov_b32 v1, 0 :: v_dual_mov_b32 v2, 0
	v_dual_mov_b32 v3, 0 :: v_dual_mov_b32 v4, 0
	s_mov_b32 s19, 0
	s_and_saveexec_b32 s18, s4
	s_cbranch_execnz .LBB136_53
; %bb.50:                               ;   in Loop: Header=BB136_21 Depth=1
	s_or_b32 exec_lo, exec_lo, s18
	v_mov_b32_e32 v29, 0
	s_and_saveexec_b32 s7, s5
	s_cbranch_execnz .LBB136_56
.LBB136_51:                             ;   in Loop: Header=BB136_21 Depth=1
	s_or_b32 exec_lo, exec_lo, s7
	s_and_saveexec_b32 s11, s5
	s_cbranch_execnz .LBB136_57
	s_branch .LBB136_62
.LBB136_52:                             ;   in Loop: Header=BB136_21 Depth=1
                                        ; implicit-def: $vgpr4
	s_cbranch_execnz .LBB136_63
	s_branch .LBB136_72
.LBB136_53:                             ;   in Loop: Header=BB136_21 Depth=1
	v_mov_b32_e32 v28, v14
	s_and_b32 s20, s58, 0xfe
	s_mov_b32 s67, 0
	s_mov_b32 s68, 0
	;; [unrolled: 1-line block ×5, first 2 shown]
.LBB136_54:                             ;   Parent Loop BB136_21 Depth=1
                                        ; =>  This Inner Loop Header: Depth=2
	v_add_nc_u32_e32 v6, s67, v22
	v_add_nc_u32_e32 v28, s38, v28
	s_delay_alu instid0(VALU_DEP_2) | instskip(SKIP_1) | instid1(VALU_DEP_1)
	v_lshlrev_b64 v[1:2], 1, v[6:7]
	v_add_nc_u32_e32 v6, s67, v8
	v_lshlrev_b64 v[3:4], 1, v[6:7]
	s_delay_alu instid0(VALU_DEP_3) | instskip(SKIP_2) | instid1(VALU_DEP_4)
	v_add_co_u32 v1, vcc_lo, s25, v1
	v_add_nc_u32_e32 v6, s67, v20
	v_add_co_ci_u32_e32 v2, vcc_lo, s33, v2, vcc_lo
	v_add_co_u32 v3, vcc_lo, s25, v3
	s_delay_alu instid0(VALU_DEP_3)
	v_lshlrev_b64 v[29:30], 1, v[6:7]
	v_add_nc_u32_e32 v6, s67, v21
	v_add_co_ci_u32_e32 v4, vcc_lo, s33, v4, vcc_lo
	global_load_u16 v31, v[1:2], off
	s_add_i32 s67, s67, s50
	v_lshlrev_b64 v[1:2], 1, v[6:7]
	global_load_u16 v6, v[3:4], off
	v_add_co_u32 v3, vcc_lo, s25, v29
	v_add_co_ci_u32_e32 v4, vcc_lo, s33, v30, vcc_lo
	v_add_co_u32 v1, vcc_lo, s25, v1
	v_add_co_ci_u32_e32 v2, vcc_lo, s33, v2, vcc_lo
	global_load_u16 v3, v[3:4], off
	v_cmp_le_u32_e32 vcc_lo, s48, v28
	global_load_u16 v1, v[1:2], off
	s_waitcnt vmcnt(3)
	v_cmp_lt_i16_e64 s7, -1, v31
	v_and_b32_e32 v2, 0xffff, v31
	v_lshlrev_b32_e32 v29, 16, v31
	s_waitcnt vmcnt(2)
	v_and_b32_e32 v30, 0xffff, v6
	v_cndmask_b32_e64 v4, 0xffff, v26, s7
	v_cmp_lt_i16_e64 s7, -1, v6
	s_delay_alu instid0(VALU_DEP_2) | instskip(NEXT) | instid1(VALU_DEP_2)
	v_xor_b32_e32 v2, v4, v2
	v_cndmask_b32_e64 v31, 0xffff, v26, s7
	v_cmp_o_f32_e64 s7, v29, v29
	v_lshlrev_b32_e32 v4, 16, v6
	s_waitcnt vmcnt(1)
	v_cmp_lt_i16_e64 s8, -1, v3
	v_and_b32_e32 v29, 0xffff, v3
	v_xor_b32_e32 v6, v31, v30
	v_cndmask_b32_e64 v2, 0xffff, v2, s7
	v_cmp_o_f32_e64 s7, v4, v4
	v_cndmask_b32_e64 v30, 0xffff, v26, s8
	v_lshlrev_b32_e32 v3, 16, v3
	s_delay_alu instid0(VALU_DEP_4) | instskip(NEXT) | instid1(VALU_DEP_4)
	v_and_b32_e32 v31, s64, v2
	v_cndmask_b32_e64 v4, 0xffff, v6, s7
	s_waitcnt vmcnt(0)
	v_cmp_lt_i16_e64 s7, -1, v1
	v_xor_b32_e32 v6, v30, v29
	v_bfe_u32 v2, v2, s20, 2
	v_and_b32_e32 v29, 0xffff, v1
	v_lshlrev_b32_e32 v1, 16, v1
	v_cndmask_b32_e64 v30, 0xffff, v26, s7
	v_cmp_o_f32_e64 s7, v3, v3
	v_cmp_eq_u32_e64 s8, 0, v2
	v_cmp_eq_u32_e64 s9, 1, v2
	v_cmp_o_f32_e64 s12, v1, v1
	v_cmp_eq_u32_e64 s10, 2, v2
	v_cndmask_b32_e64 v3, 0xffff, v6, s7
	v_cmp_eq_u32_e64 s7, s63, v31
	v_xor_b32_e32 v6, v30, v29
	v_and_b32_e32 v29, s64, v4
	v_bfe_u32 v4, v4, s20, 2
	v_cmp_eq_u32_e64 s11, 3, v2
	s_and_b32 s8, s7, s8
	v_cndmask_b32_e64 v1, 0xffff, v6, s12
	v_cmp_eq_u32_e64 s12, s63, v29
	v_cmp_eq_u32_e64 s13, 0, v4
	v_cndmask_b32_e64 v6, 0, 1, s8
	v_cmp_eq_u32_e64 s8, 1, v4
	s_and_b32 s9, s7, s9
	v_and_b32_e32 v2, s64, v3
	v_bfe_u32 v3, v3, s20, 2
	v_cndmask_b32_e64 v29, 0, 1, s9
	v_cmp_eq_u32_e64 s9, 2, v4
	s_and_b32 s10, s7, s10
	s_and_b32 s7, s7, s11
	v_cndmask_b32_e64 v30, 0, 1, s10
	s_and_b32 s13, s12, s13
	s_and_b32 s8, s12, s8
	v_cmp_eq_u32_e64 s10, 3, v4
	v_cndmask_b32_e64 v4, 0, 1, s7
	v_cmp_eq_u32_e64 s7, s63, v2
	v_cmp_eq_u32_e64 s11, 0, v3
	v_cmp_ne_u32_e64 s14, 0, v6
	v_cndmask_b32_e64 v6, 0, 1, s13
	v_cmp_eq_u32_e64 s13, 1, v3
	v_cmp_ne_u32_e64 s15, 0, v29
	v_cndmask_b32_e64 v29, 0, 1, s8
	v_cmp_eq_u32_e64 s8, 2, v3
	s_and_b32 s9, s12, s9
	v_and_b32_e32 v2, s64, v1
	v_bfe_u32 v1, v1, s20, 2
	v_cmp_ne_u32_e64 s16, 0, v30
	v_cndmask_b32_e64 v30, 0, 1, s9
	v_cmp_eq_u32_e64 s9, 3, v3
	s_and_b32 s10, s12, s10
	s_and_b32 s11, s7, s11
	;; [unrolled: 1-line block ×4, first 2 shown]
	v_cmp_ne_u32_e64 s17, 0, v4
	v_cndmask_b32_e64 v3, 0, 1, s10
	v_cmp_eq_u32_e64 s10, s63, v2
	v_cmp_eq_u32_e64 s12, 0, v1
	s_bcnt1_i32_b32 s72, s14
	v_cmp_ne_u32_e64 s14, 0, v6
	v_cndmask_b32_e64 v2, 0, 1, s11
	v_cmp_eq_u32_e64 s11, 1, v1
	v_cndmask_b32_e64 v4, 0, 1, s13
	v_cmp_eq_u32_e64 s13, 2, v1
	;; [unrolled: 2-line block ×3, first 2 shown]
	s_and_b32 s7, s7, s9
	s_bcnt1_i32_b32 s75, s17
	v_cndmask_b32_e64 v1, 0, 1, s7
	v_cmp_ne_u32_e64 s17, 0, v3
	s_and_b32 s9, s10, s12
	s_and_b32 s11, s10, s11
	s_and_b32 s12, s10, s13
	s_and_b32 s8, s10, s8
	v_cmp_ne_u32_e64 s7, 0, v2
	v_cndmask_b32_e64 v2, 0, 1, s9
	v_cmp_ne_u32_e64 s9, 0, v4
	v_cndmask_b32_e64 v3, 0, 1, s11
	v_cndmask_b32_e64 v4, 0, 1, s12
	v_cmp_ne_u32_e64 s12, 0, v1
	v_cndmask_b32_e64 v1, 0, 1, s8
	s_bcnt1_i32_b32 s73, s15
	v_cmp_ne_u32_e64 s15, 0, v29
	s_bcnt1_i32_b32 s74, s16
	v_cmp_ne_u32_e64 s16, 0, v30
	s_add_i32 s68, s75, s68
	v_cmp_ne_u32_e64 s11, 0, v6
	s_bcnt1_i32_b32 s13, s17
	s_bcnt1_i32_b32 s17, s7
	s_add_i32 s13, s68, s13
	v_cmp_ne_u32_e64 s7, 0, v2
	s_bcnt1_i32_b32 s68, s9
	v_cmp_ne_u32_e64 s8, 0, v3
	v_cmp_ne_u32_e64 s9, 0, v4
	;; [unrolled: 1-line block ×3, first 2 shown]
	s_add_i32 s71, s72, s71
	s_add_i32 s70, s73, s70
	;; [unrolled: 1-line block ×3, first 2 shown]
	s_bcnt1_i32_b32 s14, s14
	s_bcnt1_i32_b32 s15, s15
	;; [unrolled: 1-line block ×3, first 2 shown]
	s_add_i32 s14, s71, s14
	s_add_i32 s15, s70, s15
	s_add_i32 s16, s69, s16
	s_bcnt1_i32_b32 s11, s11
	s_bcnt1_i32_b32 s12, s12
	s_add_i32 s14, s14, s17
	s_add_i32 s15, s15, s68
	;; [unrolled: 1-line block ×4, first 2 shown]
	s_bcnt1_i32_b32 s7, s7
	s_bcnt1_i32_b32 s8, s8
	;; [unrolled: 1-line block ×4, first 2 shown]
	s_add_i32 s71, s14, s7
	s_add_i32 s70, s15, s8
	;; [unrolled: 1-line block ×4, first 2 shown]
	s_delay_alu instid0(SALU_CYCLE_1) | instskip(SKIP_2) | instid1(SALU_CYCLE_1)
	v_dual_mov_b32 v1, s71 :: v_dual_mov_b32 v4, s68
	v_dual_mov_b32 v2, s70 :: v_dual_mov_b32 v3, s69
	s_or_b32 s19, vcc_lo, s19
	s_and_not1_b32 exec_lo, exec_lo, s19
	s_cbranch_execnz .LBB136_54
; %bb.55:                               ;   in Loop: Header=BB136_21 Depth=1
	s_or_b32 exec_lo, exec_lo, s19
	s_delay_alu instid0(SALU_CYCLE_1)
	s_or_b32 exec_lo, exec_lo, s18
	v_mov_b32_e32 v29, 0
	s_and_saveexec_b32 s7, s5
	s_cbranch_execz .LBB136_51
.LBB136_56:                             ;   in Loop: Header=BB136_21 Depth=1
	global_load_u16 v29, v[11:12], off
	s_or_b32 exec_lo, exec_lo, s7
	s_and_saveexec_b32 s11, s5
	s_cbranch_execz .LBB136_62
.LBB136_57:                             ;   in Loop: Header=BB136_21 Depth=1
	v_mov_b32_e32 v6, v23
	v_mov_b32_e32 v28, v19
	s_and_b32 s13, s58, 0xfe
	s_mov_b32 s12, 0
	s_branch .LBB136_59
.LBB136_58:                             ;   in Loop: Header=BB136_59 Depth=2
	s_or_b32 exec_lo, exec_lo, s8
	s_waitcnt vmcnt(0)
	v_cmp_lt_i16_e64 s7, -1, v29
	v_and_b32_e32 v31, 0xffff, v29
	v_lshlrev_b32_e32 v29, 16, v29
	s_and_b32 s8, exec_lo, vcc_lo
	v_add_nc_u32_e32 v6, s37, v6
	v_cndmask_b32_e64 v32, 0xffff, v26, s7
	s_or_b32 s12, s8, s12
	v_cmp_o_f32_e64 s7, v29, v29
	s_delay_alu instid0(VALU_DEP_2) | instskip(NEXT) | instid1(VALU_DEP_1)
	v_xor_b32_e32 v31, v32, v31
	v_cndmask_b32_e64 v29, 0xffff, v31, s7
	s_delay_alu instid0(VALU_DEP_1) | instskip(SKIP_1) | instid1(VALU_DEP_2)
	v_and_b32_e32 v31, s64, v29
	v_bfe_u32 v29, v29, s13, 2
	v_cmp_eq_u32_e32 vcc_lo, s63, v31
	s_delay_alu instid0(VALU_DEP_2) | instskip(SKIP_3) | instid1(VALU_DEP_4)
	v_cmp_eq_u32_e64 s7, 0, v29
	v_cmp_eq_u32_e64 s8, 1, v29
	v_cmp_eq_u32_e64 s9, 2, v29
	v_cmp_eq_u32_e64 s10, 3, v29
	s_and_b32 s7, vcc_lo, s7
	s_delay_alu instid0(SALU_CYCLE_1) | instskip(SKIP_1) | instid1(SALU_CYCLE_1)
	v_cndmask_b32_e64 v29, 0, 1, s7
	s_and_b32 s7, vcc_lo, s8
	v_cndmask_b32_e64 v31, 0, 1, s7
	s_and_b32 s7, vcc_lo, s9
	s_delay_alu instid0(SALU_CYCLE_1)
	v_cndmask_b32_e64 v32, 0, 1, s7
	s_and_b32 s7, vcc_lo, s10
	v_cmp_ne_u32_e32 vcc_lo, 0, v29
	v_mov_b32_e32 v29, v30
	v_cndmask_b32_e64 v33, 0, 1, s7
	v_cmp_ne_u32_e64 s7, 0, v31
	v_cmp_ne_u32_e64 s8, 0, v32
	s_bcnt1_i32_b32 s10, vcc_lo
	s_delay_alu instid0(VALU_DEP_3) | instskip(NEXT) | instid1(VALU_DEP_3)
	v_cmp_ne_u32_e64 s9, 0, v33
	s_bcnt1_i32_b32 s7, s7
	s_delay_alu instid0(VALU_DEP_2)
	s_bcnt1_i32_b32 s8, s8
	v_add_nc_u32_e32 v1, s10, v1
	v_add_nc_u32_e32 v2, s7, v2
	s_bcnt1_i32_b32 s9, s9
	v_add_nc_u32_e32 v3, s8, v3
	v_add_nc_u32_e32 v4, s9, v4
	s_and_not1_b32 exec_lo, exec_lo, s12
	s_cbranch_execz .LBB136_61
.LBB136_59:                             ;   Parent Loop BB136_21 Depth=1
                                        ; =>  This Inner Loop Header: Depth=2
	s_delay_alu instid0(VALU_DEP_1) | instskip(SKIP_2) | instid1(VALU_DEP_2)
	v_add_nc_u32_e32 v28, s27, v28
	v_mov_b32_e32 v30, 0
	s_mov_b32 s8, exec_lo
	v_cmp_le_u32_e32 vcc_lo, s24, v28
	v_cmpx_gt_u32_e64 s24, v28
	s_cbranch_execz .LBB136_58
; %bb.60:                               ;   in Loop: Header=BB136_59 Depth=2
	v_lshlrev_b64 v[30:31], 1, v[6:7]
	s_delay_alu instid0(VALU_DEP_1) | instskip(NEXT) | instid1(VALU_DEP_1)
	v_add_co_u32 v30, s7, s25, v30
	v_add_co_ci_u32_e64 v31, s7, s33, v31, s7
	global_load_u16 v30, v[30:31], off
	s_branch .LBB136_58
.LBB136_61:                             ;   in Loop: Header=BB136_21 Depth=1
	s_or_b32 exec_lo, exec_lo, s12
.LBB136_62:                             ;   in Loop: Header=BB136_21 Depth=1
	s_delay_alu instid0(SALU_CYCLE_1)
	s_or_b32 exec_lo, exec_lo, s11
	s_branch .LBB136_72
.LBB136_63:                             ;   in Loop: Header=BB136_21 Depth=1
	s_mul_hi_u32 s7, s66, s47
	v_dual_mov_b32 v1, 0 :: v_dual_mov_b32 v2, 0
	s_mul_i32 s7, s7, s38
	v_dual_mov_b32 v3, 0 :: v_dual_mov_b32 v4, 0
	s_sub_i32 s7, s66, s7
	s_mov_b32 s69, 0
	s_sub_i32 s8, s7, s38
	s_cmp_ge_u32 s7, s38
	s_mov_b32 s68, exec_lo
	s_cselect_b32 s7, s8, s7
	s_delay_alu instid0(SALU_CYCLE_1) | instskip(SKIP_2) | instid1(SALU_CYCLE_1)
	s_sub_i32 s8, s7, s38
	s_cmp_ge_u32 s7, s38
	s_cselect_b32 s7, s8, s7
	s_sub_i32 s67, s66, s7
	s_delay_alu instid0(SALU_CYCLE_1)
	v_cmpx_gt_u32_e64 s67, v14
	s_cbranch_execz .LBB136_67
; %bb.64:                               ;   in Loop: Header=BB136_21 Depth=1
	v_mov_b32_e32 v6, v24
	v_mov_b32_e32 v28, v14
	s_and_b32 s70, s58, 0xfe
	s_mov_b32 s71, 0
	s_mov_b32 s72, 0
	;; [unrolled: 1-line block ×4, first 2 shown]
.LBB136_65:                             ;   Parent Loop BB136_21 Depth=1
                                        ; =>  This Inner Loop Header: Depth=2
	ds_load_b64 v[1:2], v6
	s_waitcnt lgkmcnt(0)
	v_cmp_lt_i16_e64 s7, -1, v1
	v_lshrrev_b32_e32 v3, 16, v1
	v_lshrrev_b32_e32 v4, 16, v2
	s_waitcnt vmcnt(0)
	v_and_b32_e32 v29, 0xffff, v1
	v_lshlrev_b32_e32 v31, 16, v1
	v_cndmask_b32_e64 v30, 0xffff, v26, s7
	v_cmp_lt_i16_e64 s7, -1, v2
	v_and_b32_e32 v32, 0xffff, v2
	v_cmp_lt_i16_e64 s8, -1, v4
	v_lshlrev_b32_e32 v34, 16, v2
	v_and_b32_e32 v1, 0xffff0000, v1
	v_cndmask_b32_e64 v33, 0xffff, v26, s7
	v_cmp_lt_i16_e64 s7, -1, v3
	v_xor_b32_e32 v29, v30, v29
	v_and_b32_e32 v2, 0xffff0000, v2
	s_delay_alu instid0(VALU_DEP_4) | instskip(NEXT) | instid1(VALU_DEP_4)
	v_xor_b32_e32 v32, v33, v32
	v_cndmask_b32_e64 v30, 0xffff, v26, s7
	v_cndmask_b32_e64 v33, 0xffff, v26, s8
	v_cmp_o_f32_e64 s8, v31, v31
	v_cmp_o_f32_e64 s7, v34, v34
	s_delay_alu instid0(VALU_DEP_4) | instskip(NEXT) | instid1(VALU_DEP_4)
	v_xor_b32_e32 v3, v30, v3
	v_xor_b32_e32 v4, v33, v4
	s_delay_alu instid0(VALU_DEP_4) | instskip(SKIP_3) | instid1(VALU_DEP_4)
	v_cndmask_b32_e64 v29, 0xffff, v29, s8
	v_cmp_o_f32_e64 s8, v1, v1
	v_cndmask_b32_e64 v30, 0xffff, v32, s7
	v_cmp_o_f32_e64 s7, v2, v2
	v_and_b32_e32 v2, s64, v29
	s_delay_alu instid0(VALU_DEP_4) | instskip(SKIP_1) | instid1(VALU_DEP_4)
	v_cndmask_b32_e64 v1, 0xffff, v3, s8
	v_bfe_u32 v29, v29, s70, 2
	v_cndmask_b32_e64 v3, 0xffff, v4, s7
	v_and_b32_e32 v4, s64, v30
	v_bfe_u32 v30, v30, s70, 2
	v_cmp_eq_u32_e64 s7, s63, v2
	v_and_b32_e32 v2, s64, v1
	v_bfe_u32 v1, v1, s70, 2
	v_cmp_eq_u32_e64 s9, 0, v29
	v_cmp_eq_u32_e64 s11, 1, v29
	;; [unrolled: 1-line block ×8, first 2 shown]
	v_and_b32_e32 v4, s64, v3
	v_bfe_u32 v3, v3, s70, 2
	v_cmp_eq_u32_e64 s16, 3, v30
	v_cmp_eq_u32_e64 s17, s63, v2
	;; [unrolled: 1-line block ×3, first 2 shown]
	s_and_b32 s9, s7, s9
	s_and_b32 s11, s7, s11
	;; [unrolled: 1-line block ×3, first 2 shown]
	v_cndmask_b32_e64 v2, 0, 1, s9
	s_and_b32 s9, s8, s10
	v_cndmask_b32_e64 v29, 0, 1, s11
	s_and_b32 s11, s8, s12
	;; [unrolled: 2-line block ×3, first 2 shown]
	s_and_b32 s7, s7, s15
	v_cmp_eq_u32_e64 s18, s63, v4
	v_cmp_eq_u32_e64 s20, 0, v3
	v_cndmask_b32_e64 v4, 0, 1, s9
	v_cmp_eq_u32_e64 s9, 1, v1
	v_cmp_eq_u32_e64 s10, 1, v3
	v_cndmask_b32_e64 v30, 0, 1, s11
	;; [unrolled: 3-line block ×3, first 2 shown]
	v_cmp_eq_u32_e64 s13, 3, v1
	v_cndmask_b32_e64 v1, 0, 1, s7
	s_and_b32 s7, s8, s16
	s_and_b32 s8, s17, s19
	v_cmp_eq_u32_e64 s14, 3, v3
	v_cndmask_b32_e64 v3, 0, 1, s7
	v_cmp_ne_u32_e64 s7, 0, v2
	v_cndmask_b32_e64 v2, 0, 1, s8
	s_and_b32 s15, s18, s20
	s_and_b32 s9, s17, s9
	;; [unrolled: 1-line block ×6, first 2 shown]
	v_cmp_ne_u32_e64 s8, 0, v4
	v_cndmask_b32_e64 v4, 0, 1, s15
	v_cmp_ne_u32_e64 s15, 0, v29
	v_cndmask_b32_e64 v29, 0, 1, s9
	;; [unrolled: 2-line block ×6, first 2 shown]
	s_bcnt1_i32_b32 s16, s7
	v_cmp_ne_u32_e64 s7, 0, v2
	s_and_b32 s14, s18, s14
	v_cmp_ne_u32_e64 s13, 0, v3
	v_cndmask_b32_e64 v3, 0, 1, s14
	s_bcnt1_i32_b32 s17, s8
	v_cmp_ne_u32_e64 s8, 0, v4
	v_cmp_ne_u32_e64 s14, 0, v29
	s_bcnt1_i32_b32 s19, s10
	v_cmp_ne_u32_e64 s10, 0, v31
	s_bcnt1_i32_b32 s75, s12
	v_cmp_ne_u32_e64 s12, 0, v1
	s_add_i32 s16, s16, s74
	s_bcnt1_i32_b32 s7, s7
	s_bcnt1_i32_b32 s15, s15
	s_add_i32 s7, s16, s7
	s_bcnt1_i32_b32 s18, s9
	v_cmp_ne_u32_e64 s9, 0, v30
	s_bcnt1_i32_b32 s20, s11
	v_cmp_ne_u32_e64 s11, 0, v32
	s_bcnt1_i32_b32 s76, s13
	v_cmp_ne_u32_e64 s13, 0, v3
	s_bcnt1_i32_b32 s8, s8
	s_add_i32 s7, s7, s17
	s_add_i32 s15, s15, s73
	;; [unrolled: 1-line block ×4, first 2 shown]
	s_bcnt1_i32_b32 s14, s14
	s_bcnt1_i32_b32 s10, s10
	;; [unrolled: 1-line block ×3, first 2 shown]
	s_add_i32 s74, s7, s8
	s_delay_alu instid0(SALU_CYCLE_1)
	v_dual_mov_b32 v1, s74 :: v_dual_add_nc_u32 v28, s38, v28
	s_add_i32 s14, s15, s14
	s_add_i32 s10, s19, s10
	;; [unrolled: 1-line block ×3, first 2 shown]
	s_bcnt1_i32_b32 s9, s9
	s_bcnt1_i32_b32 s11, s11
	;; [unrolled: 1-line block ×3, first 2 shown]
	s_add_i32 s14, s14, s18
	s_add_i32 s10, s10, s20
	;; [unrolled: 1-line block ×3, first 2 shown]
	v_cmp_le_u32_e32 vcc_lo, s67, v28
	s_add_i32 s73, s14, s9
	s_add_i32 s72, s10, s11
	;; [unrolled: 1-line block ×3, first 2 shown]
	v_dual_mov_b32 v3, s72 :: v_dual_add_nc_u32 v6, s52, v6
	v_mov_b32_e32 v2, s73
	v_mov_b32_e32 v4, s71
	s_or_b32 s69, vcc_lo, s69
	s_delay_alu instid0(SALU_CYCLE_1)
	s_and_not1_b32 exec_lo, exec_lo, s69
	s_cbranch_execnz .LBB136_65
; %bb.66:                               ;   in Loop: Header=BB136_21 Depth=1
	s_or_b32 exec_lo, exec_lo, s69
.LBB136_67:                             ;   in Loop: Header=BB136_21 Depth=1
	s_delay_alu instid0(SALU_CYCLE_1) | instskip(SKIP_2) | instid1(VALU_DEP_1)
	s_or_b32 exec_lo, exec_lo, s68
	v_add_nc_u32_e32 v6, s67, v0
	s_mov_b32 s12, exec_lo
	v_cmpx_gt_u32_e64 s66, v6
	s_cbranch_execz .LBB136_71
; %bb.68:                               ;   in Loop: Header=BB136_21 Depth=1
	v_lshlrev_b32_e32 v28, 1, v6
	s_and_b32 s14, s58, 0xfe
	s_mov_b32 s13, 0
.LBB136_69:                             ;   Parent Loop BB136_21 Depth=1
                                        ; =>  This Inner Loop Header: Depth=2
	s_waitcnt vmcnt(0)
	ds_load_u16 v29, v28
	v_add_nc_u32_e32 v6, s27, v6
	v_add_nc_u32_e32 v28, s53, v28
	s_delay_alu instid0(VALU_DEP_2) | instskip(SKIP_4) | instid1(VALU_DEP_3)
	v_cmp_le_u32_e32 vcc_lo, s66, v6
	s_waitcnt lgkmcnt(0)
	v_cmp_lt_i16_e64 s7, -1, v29
	v_and_b32_e32 v30, 0xffff, v29
	v_lshlrev_b32_e32 v29, 16, v29
	v_cndmask_b32_e64 v31, 0xffff, v26, s7
	s_delay_alu instid0(VALU_DEP_2) | instskip(NEXT) | instid1(VALU_DEP_2)
	v_cmp_o_f32_e64 s7, v29, v29
	v_xor_b32_e32 v30, v31, v30
	s_delay_alu instid0(VALU_DEP_1) | instskip(NEXT) | instid1(VALU_DEP_1)
	v_cndmask_b32_e64 v29, 0xffff, v30, s7
	v_and_b32_e32 v30, s64, v29
	v_bfe_u32 v29, v29, s14, 2
	s_delay_alu instid0(VALU_DEP_2) | instskip(NEXT) | instid1(VALU_DEP_2)
	v_cmp_eq_u32_e64 s7, s63, v30
	v_cmp_eq_u32_e64 s8, 0, v29
	v_cmp_eq_u32_e64 s9, 1, v29
	v_cmp_eq_u32_e64 s10, 2, v29
	v_cmp_eq_u32_e64 s11, 3, v29
	s_delay_alu instid0(VALU_DEP_4) | instskip(NEXT) | instid1(SALU_CYCLE_1)
	s_and_b32 s8, s7, s8
	v_cndmask_b32_e64 v29, 0, 1, s8
	s_and_b32 s8, s7, s9
	s_delay_alu instid0(SALU_CYCLE_1)
	v_cndmask_b32_e64 v30, 0, 1, s8
	s_and_b32 s8, s7, s10
	s_and_b32 s7, s7, s11
	v_cndmask_b32_e64 v31, 0, 1, s8
	v_cndmask_b32_e64 v32, 0, 1, s7
	v_cmp_ne_u32_e64 s7, 0, v29
	v_cmp_ne_u32_e64 s8, 0, v30
	s_delay_alu instid0(VALU_DEP_4) | instskip(NEXT) | instid1(VALU_DEP_4)
	v_cmp_ne_u32_e64 s9, 0, v31
	v_cmp_ne_u32_e64 s10, 0, v32
	s_delay_alu instid0(VALU_DEP_4) | instskip(NEXT) | instid1(VALU_DEP_3)
	s_bcnt1_i32_b32 s7, s7
	s_bcnt1_i32_b32 s8, s8
	v_add_nc_u32_e32 v1, s7, v1
	s_bcnt1_i32_b32 s9, s9
	s_bcnt1_i32_b32 s10, s10
	v_add_nc_u32_e32 v2, s8, v2
	v_add_nc_u32_e32 v3, s9, v3
	;; [unrolled: 1-line block ×3, first 2 shown]
	s_or_b32 s13, vcc_lo, s13
	s_delay_alu instid0(SALU_CYCLE_1)
	s_and_not1_b32 exec_lo, exec_lo, s13
	s_cbranch_execnz .LBB136_69
; %bb.70:                               ;   in Loop: Header=BB136_21 Depth=1
	s_or_b32 exec_lo, exec_lo, s13
.LBB136_71:                             ;   in Loop: Header=BB136_21 Depth=1
	s_delay_alu instid0(SALU_CYCLE_1)
	s_or_b32 exec_lo, exec_lo, s12
.LBB136_72:                             ;   in Loop: Header=BB136_21 Depth=1
	s_lshl_b32 s7, s61, 7
	s_and_saveexec_b32 s8, s3
	s_cbranch_execz .LBB136_74
; %bb.73:                               ;   in Loop: Header=BB136_21 Depth=1
	v_or_b32_e32 v6, s7, v17
	s_delay_alu instid0(VALU_DEP_1)
	v_lshlrev_b32_e32 v6, 2, v6
	ds_store_b128 v6, v[1:4] offset:3072
.LBB136_74:                             ;   in Loop: Header=BB136_21 Depth=1
	s_or_b32 exec_lo, exec_lo, s8
	s_waitcnt vmcnt(0) lgkmcnt(0)
	s_barrier
	buffer_gl0_inv
	s_and_saveexec_b32 s8, s39
	s_cbranch_execz .LBB136_84
; %bb.75:                               ;   in Loop: Header=BB136_21 Depth=1
	v_mov_b32_e32 v1, 0
	s_and_not1_b32 vcc_lo, exec_lo, s42
	s_cbranch_vccnz .LBB136_83
; %bb.76:                               ;   in Loop: Header=BB136_21 Depth=1
	v_mov_b32_e32 v1, 0
	s_and_not1_b32 vcc_lo, exec_lo, s44
	s_mov_b32 s9, 0
	s_cbranch_vccnz .LBB136_80
; %bb.77:                               ;   in Loop: Header=BB136_21 Depth=1
	v_lshl_add_u32 v2, s61, 9, v25
	v_mov_b32_e32 v1, 0
	.p2align	6
.LBB136_78:                             ;   Parent Loop BB136_21 Depth=1
                                        ; =>  This Inner Loop Header: Depth=2
	ds_load_2addr_b32 v[3:4], v2 offset1:4
	ds_load_2addr_b32 v[28:29], v2 offset0:8 offset1:12
	ds_load_2addr_b32 v[30:31], v2 offset0:16 offset1:20
	;; [unrolled: 1-line block ×3, first 2 shown]
	v_add_nc_u32_e32 v2, 0x80, v2
	s_add_i32 s9, s9, 8
	s_delay_alu instid0(SALU_CYCLE_1) | instskip(SKIP_3) | instid1(VALU_DEP_1)
	s_cmp_eq_u32 s45, s9
	s_waitcnt lgkmcnt(3)
	v_add3_u32 v1, v3, v1, v4
	s_waitcnt lgkmcnt(2)
	v_add3_u32 v1, v28, v1, v29
	s_waitcnt lgkmcnt(1)
	s_delay_alu instid0(VALU_DEP_1) | instskip(SKIP_1) | instid1(VALU_DEP_1)
	v_add3_u32 v1, v30, v1, v31
	s_waitcnt lgkmcnt(0)
	v_add3_u32 v1, v32, v1, v33
	s_cbranch_scc0 .LBB136_78
; %bb.79:                               ;   in Loop: Header=BB136_21 Depth=1
	s_mov_b32 s9, s45
.LBB136_80:                             ;   in Loop: Header=BB136_21 Depth=1
	s_and_not1_b32 vcc_lo, exec_lo, s46
	s_cbranch_vccnz .LBB136_83
; %bb.81:                               ;   in Loop: Header=BB136_21 Depth=1
	s_lshl_b32 s10, s61, 9
	s_lshl_b32 s9, s9, 4
	s_delay_alu instid0(SALU_CYCLE_1)
	v_add3_u32 v2, s10, s9, v25
	s_mov_b32 s9, s43
.LBB136_82:                             ;   Parent Loop BB136_21 Depth=1
                                        ; =>  This Inner Loop Header: Depth=2
	ds_load_b32 v3, v2
	v_add_nc_u32_e32 v2, 16, v2
	s_add_i32 s9, s9, -1
	s_delay_alu instid0(SALU_CYCLE_1)
	s_cmp_lg_u32 s9, 0
	s_waitcnt lgkmcnt(0)
	v_add_nc_u32_e32 v1, v3, v1
	s_cbranch_scc1 .LBB136_82
.LBB136_83:                             ;   in Loop: Header=BB136_21 Depth=1
	v_add_lshl_u32 v2, s7, v13, 2
	ds_store_b32 v2, v1 offset:3072
.LBB136_84:                             ;   in Loop: Header=BB136_21 Depth=1
	s_or_b32 exec_lo, exec_lo, s8
	s_lshl_b32 s7, s7, 2
	s_waitcnt lgkmcnt(0)
	v_mov_b32_e32 v1, s7
	s_barrier
	buffer_gl0_inv
	s_and_b32 s16, s58, 0xfe
	s_mov_b32 s12, -1
	ds_load_b128 v[1:4], v1 offset:3072
	s_lshl_b32 s9, 3, s16
	s_delay_alu instid0(SALU_CYCLE_1) | instskip(SKIP_4) | instid1(VALU_DEP_3)
	s_not_b32 s17, s9
	s_waitcnt lgkmcnt(0)
	v_readfirstlane_b32 s11, v1
	v_readfirstlane_b32 s19, v2
	;; [unrolled: 1-line block ×3, first 2 shown]
	s_cmp_eq_u32 s11, 1
	s_cselect_b32 s7, -1, 0
	s_cmp_eq_u32 s65, 1
	s_cselect_b32 s8, -1, 0
	s_delay_alu instid0(SALU_CYCLE_1)
	s_and_b32 s13, s7, s8
	v_readfirstlane_b32 s8, v4
	s_and_b32 vcc_lo, exec_lo, s13
	s_cbranch_vccz .LBB136_96
; %bb.85:                               ;   in Loop: Header=BB136_21 Depth=1
	ds_load_b32 v1, v7 offset:4104
	s_waitcnt lgkmcnt(0)
	s_barrier
	buffer_gl0_inv
	v_readfirstlane_b32 s10, v1
	s_and_saveexec_b32 s7, s1
	s_cbranch_execz .LBB136_87
; %bb.86:                               ;   in Loop: Header=BB136_21 Depth=1
	ds_store_b16 v16, v7
.LBB136_87:                             ;   in Loop: Header=BB136_21 Depth=1
	s_or_b32 exec_lo, exec_lo, s7
	s_and_b32 s63, s63, s17
	s_or_b32 s64, s64, s9
	s_cmp_eq_u32 s10, 0
	s_waitcnt lgkmcnt(0)
	s_barrier
	buffer_gl0_inv
	s_cbranch_scc1 .LBB136_97
; %bb.88:                               ;   in Loop: Header=BB136_21 Depth=1
	s_add_i32 s7, s10, s40
                                        ; implicit-def: $vgpr27
	s_delay_alu instid0(SALU_CYCLE_1) | instskip(NEXT) | instid1(SALU_CYCLE_1)
	s_mul_hi_u32 s15, s7, s49
	s_mul_i32 s15, s15, s27
	s_delay_alu instid0(SALU_CYCLE_1) | instskip(NEXT) | instid1(SALU_CYCLE_1)
	s_sub_i32 s15, s7, s15
	s_sub_i32 s18, s15, s27
	s_cmp_ge_u32 s15, s27
	s_cselect_b32 s15, s18, s15
	s_delay_alu instid0(SALU_CYCLE_1) | instskip(SKIP_2) | instid1(SALU_CYCLE_1)
	s_sub_i32 s18, s15, s27
	s_cmp_ge_u32 s15, s27
	s_cselect_b32 s15, s18, s15
	s_sub_i32 s18, s7, s15
	s_mov_b32 s7, 0
	s_mov_b32 s15, exec_lo
	v_cmpx_gt_u32_e64 s18, v0
	s_cbranch_execz .LBB136_99
; %bb.89:                               ;   in Loop: Header=BB136_21 Depth=1
	v_dual_mov_b32 v1, v15 :: v_dual_mov_b32 v2, v0
	s_mov_b32 s20, 0
                                        ; implicit-def: $sgpr66
	s_branch .LBB136_91
.LBB136_90:                             ;   in Loop: Header=BB136_91 Depth=2
	s_or_b32 exec_lo, exec_lo, s7
	s_waitcnt lgkmcnt(0)
	s_barrier
	buffer_gl0_inv
	ds_load_b32 v3, v7 offset:3072
	v_add_nc_u32_e32 v2, s27, v2
	v_add_nc_u32_e32 v1, s53, v1
	s_waitcnt lgkmcnt(0)
	s_barrier
	buffer_gl0_inv
	v_cmp_le_u32_e32 vcc_lo, s18, v2
	v_and_b32_e32 v4, 0x7fff, v3
	s_delay_alu instid0(VALU_DEP_1) | instskip(NEXT) | instid1(VALU_DEP_1)
	v_cmp_ne_u16_e64 s7, 0, v4
	s_or_b32 s67, vcc_lo, s7
	s_delay_alu instid0(SALU_CYCLE_1) | instskip(NEXT) | instid1(SALU_CYCLE_1)
	s_and_b32 s67, exec_lo, s67
	s_or_b32 s20, s67, s20
	s_and_not1_b32 s66, s66, exec_lo
	s_and_b32 s7, s7, exec_lo
	s_delay_alu instid0(SALU_CYCLE_1)
	s_or_b32 s66, s66, s7
	s_and_not1_b32 exec_lo, exec_lo, s20
	s_cbranch_execz .LBB136_98
.LBB136_91:                             ;   Parent Loop BB136_21 Depth=1
                                        ; =>  This Inner Loop Header: Depth=2
	s_delay_alu instid0(VALU_DEP_1)
	v_cmp_gt_u32_e32 vcc_lo, s10, v2
	v_mov_b32_e32 v3, 0
	s_and_saveexec_b32 s7, vcc_lo
	s_cbranch_execz .LBB136_93
; %bb.92:                               ;   in Loop: Header=BB136_91 Depth=2
	ds_load_u16 v3, v1
.LBB136_93:                             ;   in Loop: Header=BB136_91 Depth=2
	s_or_b32 exec_lo, exec_lo, s7
	s_and_saveexec_b32 s7, vcc_lo
	s_cbranch_execz .LBB136_90
; %bb.94:                               ;   in Loop: Header=BB136_91 Depth=2
	s_waitcnt lgkmcnt(0)
	v_cmp_lt_i16_e32 vcc_lo, -1, v3
	v_and_b32_e32 v4, 0xffff, v3
	v_dual_cndmask_b32 v6, 0xffff, v26 :: v_dual_lshlrev_b32 v27, 16, v3
	s_delay_alu instid0(VALU_DEP_1) | instskip(NEXT) | instid1(VALU_DEP_2)
	v_cmp_o_f32_e32 vcc_lo, v27, v27
	v_xor_b32_e32 v4, v6, v4
	s_delay_alu instid0(VALU_DEP_1) | instskip(NEXT) | instid1(VALU_DEP_1)
	v_cndmask_b32_e32 v4, 0xffff, v4, vcc_lo
	v_and_b32_e32 v4, s64, v4
	s_delay_alu instid0(VALU_DEP_1)
	v_cmp_eq_u32_e32 vcc_lo, s63, v4
	s_and_b32 exec_lo, exec_lo, vcc_lo
	s_cbranch_execz .LBB136_90
; %bb.95:                               ;   in Loop: Header=BB136_91 Depth=2
	v_perm_b32 v3, v3, s54, 0x5040100
	ds_store_b32 v7, v3 offset:3072
	s_branch .LBB136_90
.LBB136_96:                             ;   in Loop: Header=BB136_21 Depth=1
	s_mov_b32 s7, -1
                                        ; implicit-def: $sgpr10
                                        ; implicit-def: $sgpr18
                                        ; implicit-def: $sgpr15
	s_branch .LBB136_110
.LBB136_97:                             ;   in Loop: Header=BB136_21 Depth=1
	s_mov_b32 s10, -1
	s_mov_b32 s7, 0
                                        ; implicit-def: $sgpr15
                                        ; implicit-def: $vgpr27
	s_mov_b32 s18, s10
	s_cbranch_execnz .LBB136_100
	s_branch .LBB136_110
.LBB136_98:                             ;   in Loop: Header=BB136_21 Depth=1
	s_or_b32 exec_lo, exec_lo, s20
	v_lshrrev_b32_e32 v27, 16, v3
	s_and_b32 s7, s66, exec_lo
.LBB136_99:                             ;   in Loop: Header=BB136_21 Depth=1
	s_or_b32 exec_lo, exec_lo, s15
	s_mov_b32 s15, -1
	s_mov_b32 s10, 0
	s_delay_alu instid0(SALU_CYCLE_1)
	s_mov_b32 s18, s10
	s_branch .LBB136_110
.LBB136_100:                            ;   in Loop: Header=BB136_21 Depth=1
	s_mov_b32 s7, 0
                                        ; implicit-def: $vgpr27
	s_and_saveexec_b32 s10, s6
	s_cbranch_execz .LBB136_109
; %bb.101:                              ;   in Loop: Header=BB136_21 Depth=1
	v_dual_mov_b32 v6, v5 :: v_dual_mov_b32 v1, v0
	s_mov_b32 s15, 0
                                        ; implicit-def: $sgpr18
	s_branch .LBB136_103
.LBB136_102:                            ;   in Loop: Header=BB136_103 Depth=2
	s_or_b32 exec_lo, exec_lo, s7
	s_waitcnt vmcnt(0) lgkmcnt(0)
	s_barrier
	buffer_gl0_inv
	ds_load_b32 v2, v7 offset:3072
	v_add_nc_u32_e32 v1, s27, v1
	v_add_nc_u32_e32 v6, s37, v6
	s_waitcnt lgkmcnt(0)
	s_barrier
	buffer_gl0_inv
	v_cmp_le_u32_e32 vcc_lo, s51, v1
	v_and_b32_e32 v3, 0x7fff, v2
	s_delay_alu instid0(VALU_DEP_1) | instskip(NEXT) | instid1(VALU_DEP_1)
	v_cmp_ne_u16_e64 s7, 0, v3
	s_or_b32 s20, vcc_lo, s7
	s_delay_alu instid0(SALU_CYCLE_1) | instskip(NEXT) | instid1(SALU_CYCLE_1)
	s_and_b32 s20, exec_lo, s20
	s_or_b32 s15, s20, s15
	s_and_not1_b32 s18, s18, exec_lo
	s_and_b32 s7, s7, exec_lo
	s_delay_alu instid0(SALU_CYCLE_1)
	s_or_b32 s18, s18, s7
	s_and_not1_b32 exec_lo, exec_lo, s15
	s_cbranch_execz .LBB136_108
.LBB136_103:                            ;   Parent Loop BB136_21 Depth=1
                                        ; =>  This Inner Loop Header: Depth=2
	s_delay_alu instid0(VALU_DEP_1)
	v_cmp_gt_u32_e32 vcc_lo, s24, v1
	v_mov_b32_e32 v2, 0
	s_and_saveexec_b32 s20, vcc_lo
	s_cbranch_execz .LBB136_105
; %bb.104:                              ;   in Loop: Header=BB136_103 Depth=2
	v_lshlrev_b64 v[2:3], 1, v[6:7]
	s_delay_alu instid0(VALU_DEP_1) | instskip(NEXT) | instid1(VALU_DEP_1)
	v_add_co_u32 v2, s7, s25, v2
	v_add_co_ci_u32_e64 v3, s7, s33, v3, s7
	global_load_u16 v2, v[2:3], off
.LBB136_105:                            ;   in Loop: Header=BB136_103 Depth=2
	s_or_b32 exec_lo, exec_lo, s20
	s_and_saveexec_b32 s7, vcc_lo
	s_cbranch_execz .LBB136_102
; %bb.106:                              ;   in Loop: Header=BB136_103 Depth=2
	s_waitcnt vmcnt(0)
	v_cmp_lt_i16_e32 vcc_lo, -1, v2
	v_and_b32_e32 v3, 0xffff, v2
	v_lshlrev_b32_e32 v27, 16, v2
	v_cndmask_b32_e32 v4, 0xffff, v26, vcc_lo
	s_delay_alu instid0(VALU_DEP_2) | instskip(NEXT) | instid1(VALU_DEP_2)
	v_cmp_o_f32_e32 vcc_lo, v27, v27
	v_xor_b32_e32 v3, v4, v3
	s_delay_alu instid0(VALU_DEP_1) | instskip(NEXT) | instid1(VALU_DEP_1)
	v_cndmask_b32_e32 v3, 0xffff, v3, vcc_lo
	v_and_b32_e32 v3, s64, v3
	s_delay_alu instid0(VALU_DEP_1)
	v_cmp_eq_u32_e32 vcc_lo, s63, v3
	s_and_b32 exec_lo, exec_lo, vcc_lo
	s_cbranch_execz .LBB136_102
; %bb.107:                              ;   in Loop: Header=BB136_103 Depth=2
	v_perm_b32 v2, v2, s54, 0x5040100
	ds_store_b32 v7, v2 offset:3072
	s_branch .LBB136_102
.LBB136_108:                            ;   in Loop: Header=BB136_21 Depth=1
	s_or_b32 exec_lo, exec_lo, s15
	v_lshrrev_b32_e32 v27, 16, v2
	s_and_b32 s7, s18, exec_lo
.LBB136_109:                            ;   in Loop: Header=BB136_21 Depth=1
	s_or_b32 exec_lo, exec_lo, s10
	s_mov_b32 s18, -1
	s_mov_b32 s10, 0
	s_mov_b32 s15, 0
.LBB136_110:                            ;   in Loop: Header=BB136_21 Depth=1
	s_and_not1_b32 s20, s59, exec_lo
	s_and_b32 s10, s10, exec_lo
	s_and_b32 s18, s18, exec_lo
	s_or_b32 s59, s20, s10
	s_and_not1_b32 s10, s62, exec_lo
	s_and_not1_b32 s20, s60, exec_lo
	s_and_b32 s15, s15, exec_lo
	s_or_b32 s62, s10, s18
	s_or_b32 s60, s20, s15
	s_and_saveexec_b32 s10, s7
	s_cbranch_execz .LBB136_20
; %bb.111:                              ;   in Loop: Header=BB136_21 Depth=1
	s_xor_b32 s7, s13, -1
	s_mov_b32 s12, 0
	s_and_not1_b32 vcc_lo, exec_lo, s7
	s_mov_b32 s20, 1
	s_cbranch_vccnz .LBB136_122
; %bb.112:                              ;   in Loop: Header=BB136_21 Depth=1
	s_cmp_gt_u32 s65, s11
	s_mov_b32 s12, -1
                                        ; implicit-def: $sgpr7
                                        ; implicit-def: $sgpr13
                                        ; implicit-def: $sgpr15
	s_cbranch_scc1 .LBB136_118
; %bb.113:                              ;   in Loop: Header=BB136_21 Depth=1
	ds_load_b32 v1, v7 offset:4104
	s_waitcnt lgkmcnt(0)
	v_cmp_ne_u32_e32 vcc_lo, 0, v1
	s_cbranch_vccnz .LBB136_117
; %bb.114:                              ;   in Loop: Header=BB136_21 Depth=1
	s_and_saveexec_b32 s7, s0
	s_cbranch_execz .LBB136_116
; %bb.115:                              ;   in Loop: Header=BB136_21 Depth=1
	v_mov_b32_e32 v1, s11
	ds_store_b32 v7, v1 offset:4108
.LBB136_116:                            ;   in Loop: Header=BB136_21 Depth=1
	s_or_b32 exec_lo, exec_lo, s7
	s_waitcnt lgkmcnt(0)
	s_barrier
	buffer_gl0_inv
.LBB136_117:                            ;   in Loop: Header=BB136_21 Depth=1
	s_and_b32 s13, s63, s17
	s_or_b32 s15, s64, s9
	s_mov_b32 s12, 0
	s_mov_b32 s7, 8
.LBB136_118:                            ;   in Loop: Header=BB136_21 Depth=1
	s_and_not1_b32 vcc_lo, exec_lo, s12
	s_cbranch_vccnz .LBB136_120
; %bb.119:                              ;   in Loop: Header=BB136_21 Depth=1
	s_sub_i32 s65, s65, s11
	s_mov_b32 s12, -1
	s_mov_b32 s7, 0
	s_mov_b32 s13, s63
	;; [unrolled: 1-line block ×3, first 2 shown]
.LBB136_120:                            ;   in Loop: Header=BB136_21 Depth=1
	s_delay_alu instid0(SALU_CYCLE_1)
	s_mov_b32 s64, s15
	s_mov_b32 s63, s13
	;; [unrolled: 1-line block ×3, first 2 shown]
	s_and_b32 vcc_lo, exec_lo, s12
	s_mov_b32 s11, -1
	s_cbranch_vccnz .LBB136_123
.LBB136_121:                            ;   in Loop: Header=BB136_21 Depth=1
	s_mov_b32 s67, -1
                                        ; implicit-def: $sgpr12
                                        ; implicit-def: $sgpr15
                                        ; implicit-def: $sgpr13
                                        ; implicit-def: $sgpr65
	s_delay_alu instid0(SALU_CYCLE_1) | instskip(NEXT) | instid1(SALU_CYCLE_1)
	s_and_saveexec_b32 s8, s67
	s_xor_b32 s8, exec_lo, s8
	s_cbranch_execz .LBB136_19
	s_branch .LBB136_249
.LBB136_122:                            ;   in Loop: Header=BB136_21 Depth=1
	s_mov_b32 s7, 1
	s_and_b32 vcc_lo, exec_lo, s12
	s_mov_b32 s11, -1
	s_cbranch_vccz .LBB136_121
.LBB136_123:                            ;   in Loop: Header=BB136_21 Depth=1
	s_cmp_eq_u32 s19, 1
	s_mov_b32 s66, -1
	s_cselect_b32 s7, -1, 0
	s_cmp_eq_u32 s20, 1
	s_cselect_b32 s12, -1, 0
	s_delay_alu instid0(SALU_CYCLE_1) | instskip(NEXT) | instid1(SALU_CYCLE_1)
	s_and_b32 s65, s7, s12
	s_and_b32 vcc_lo, exec_lo, s65
	s_cbranch_vccz .LBB136_135
; %bb.124:                              ;   in Loop: Header=BB136_21 Depth=1
	ds_load_b32 v1, v7 offset:4104
	s_waitcnt lgkmcnt(0)
	s_barrier
	buffer_gl0_inv
	v_readfirstlane_b32 s12, v1
	s_and_saveexec_b32 s7, s1
	s_cbranch_execz .LBB136_126
; %bb.125:                              ;   in Loop: Header=BB136_21 Depth=1
	ds_store_b16 v16, v7
.LBB136_126:                            ;   in Loop: Header=BB136_21 Depth=1
	s_or_b32 exec_lo, exec_lo, s7
	s_lshl_b32 s7, 1, s16
	s_and_b32 s13, s63, s17
	s_or_b32 s64, s64, s9
	s_or_b32 s63, s13, s7
	s_cmp_eq_u32 s12, 0
	s_waitcnt lgkmcnt(0)
	s_barrier
	buffer_gl0_inv
	s_cbranch_scc1 .LBB136_139
; %bb.127:                              ;   in Loop: Header=BB136_21 Depth=1
	s_add_i32 s7, s12, s40
	s_mov_b32 s66, 0
	s_mul_hi_u32 s13, s7, s49
                                        ; implicit-def: $vgpr27
	s_delay_alu instid0(SALU_CYCLE_1) | instskip(NEXT) | instid1(SALU_CYCLE_1)
	s_mul_i32 s13, s13, s27
	s_sub_i32 s13, s7, s13
	s_delay_alu instid0(SALU_CYCLE_1) | instskip(SKIP_2) | instid1(SALU_CYCLE_1)
	s_sub_i32 s15, s13, s27
	s_cmp_ge_u32 s13, s27
	s_cselect_b32 s13, s15, s13
	s_sub_i32 s15, s13, s27
	s_cmp_ge_u32 s13, s27
	s_cselect_b32 s13, s15, s13
	s_delay_alu instid0(SALU_CYCLE_1)
	s_sub_i32 s15, s7, s13
	s_mov_b32 s13, exec_lo
	v_cmpx_gt_u32_e64 s15, v0
	s_cbranch_execz .LBB136_141
; %bb.128:                              ;   in Loop: Header=BB136_21 Depth=1
	v_dual_mov_b32 v1, v15 :: v_dual_mov_b32 v2, v0
	s_mov_b32 s18, 0
                                        ; implicit-def: $sgpr66
	s_branch .LBB136_130
.LBB136_129:                            ;   in Loop: Header=BB136_130 Depth=2
	s_or_b32 exec_lo, exec_lo, s7
	s_waitcnt lgkmcnt(0)
	s_barrier
	buffer_gl0_inv
	ds_load_b32 v3, v7 offset:3072
	v_add_nc_u32_e32 v2, s27, v2
	v_add_nc_u32_e32 v1, s53, v1
	s_waitcnt lgkmcnt(0)
	s_barrier
	buffer_gl0_inv
	v_cmp_le_u32_e32 vcc_lo, s15, v2
	v_and_b32_e32 v4, 0x7fff, v3
	s_delay_alu instid0(VALU_DEP_1) | instskip(NEXT) | instid1(VALU_DEP_1)
	v_cmp_ne_u16_e64 s7, 0, v4
	s_or_b32 s67, vcc_lo, s7
	s_delay_alu instid0(SALU_CYCLE_1) | instskip(NEXT) | instid1(SALU_CYCLE_1)
	s_and_b32 s67, exec_lo, s67
	s_or_b32 s18, s67, s18
	s_and_not1_b32 s66, s66, exec_lo
	s_and_b32 s7, s7, exec_lo
	s_delay_alu instid0(SALU_CYCLE_1)
	s_or_b32 s66, s66, s7
	s_and_not1_b32 exec_lo, exec_lo, s18
	s_cbranch_execz .LBB136_140
.LBB136_130:                            ;   Parent Loop BB136_21 Depth=1
                                        ; =>  This Inner Loop Header: Depth=2
	s_delay_alu instid0(VALU_DEP_1)
	v_cmp_gt_u32_e32 vcc_lo, s12, v2
	v_mov_b32_e32 v3, 0
	s_and_saveexec_b32 s7, vcc_lo
	s_cbranch_execz .LBB136_132
; %bb.131:                              ;   in Loop: Header=BB136_130 Depth=2
	ds_load_u16 v3, v1
.LBB136_132:                            ;   in Loop: Header=BB136_130 Depth=2
	s_or_b32 exec_lo, exec_lo, s7
	s_and_saveexec_b32 s7, vcc_lo
	s_cbranch_execz .LBB136_129
; %bb.133:                              ;   in Loop: Header=BB136_130 Depth=2
	s_waitcnt lgkmcnt(0)
	v_cmp_lt_i16_e32 vcc_lo, -1, v3
	v_and_b32_e32 v4, 0xffff, v3
	v_dual_cndmask_b32 v6, 0xffff, v26 :: v_dual_lshlrev_b32 v27, 16, v3
	s_delay_alu instid0(VALU_DEP_1) | instskip(NEXT) | instid1(VALU_DEP_2)
	v_cmp_o_f32_e32 vcc_lo, v27, v27
	v_xor_b32_e32 v4, v6, v4
	s_delay_alu instid0(VALU_DEP_1) | instskip(NEXT) | instid1(VALU_DEP_1)
	v_cndmask_b32_e32 v4, 0xffff, v4, vcc_lo
	v_and_b32_e32 v4, s64, v4
	s_delay_alu instid0(VALU_DEP_1)
	v_cmp_eq_u32_e32 vcc_lo, s63, v4
	s_and_b32 exec_lo, exec_lo, vcc_lo
	s_cbranch_execz .LBB136_129
; %bb.134:                              ;   in Loop: Header=BB136_130 Depth=2
	v_perm_b32 v3, v3, s54, 0x5040100
	ds_store_b32 v7, v3 offset:3072
	s_branch .LBB136_129
.LBB136_135:                            ;   in Loop: Header=BB136_21 Depth=1
                                        ; implicit-def: $sgpr13
                                        ; implicit-def: $sgpr15
                                        ; implicit-def: $sgpr12
	s_branch .LBB136_152
.LBB136_136:                            ;   in Loop: Header=BB136_21 Depth=1
	s_or_b32 exec_lo, exec_lo, s9
	s_waitcnt lgkmcnt(0)
	s_barrier
	buffer_gl0_inv
	s_and_saveexec_b32 s7, s0
	s_cbranch_execz .LBB136_138
; %bb.137:                              ;   in Loop: Header=BB136_21 Depth=1
	ds_load_b32 v1, v7 offset:4112
	s_waitcnt lgkmcnt(0)
	ds_store_b32 v7, v1 offset:4104
.LBB136_138:                            ;   in Loop: Header=BB136_21 Depth=1
	s_or_b32 exec_lo, exec_lo, s7
	s_waitcnt lgkmcnt(0)
	s_mov_b32 s7, -1
	s_barrier
	s_and_b32 vcc_lo, exec_lo, s66
	s_cbranch_vccnz .LBB136_36
	s_branch .LBB136_46
.LBB136_139:                            ;   in Loop: Header=BB136_21 Depth=1
	s_mov_b32 s13, -1
	s_mov_b32 s66, 0
                                        ; implicit-def: $sgpr12
                                        ; implicit-def: $vgpr27
	s_mov_b32 s15, s13
	s_cbranch_execnz .LBB136_142
	s_branch .LBB136_152
.LBB136_140:                            ;   in Loop: Header=BB136_21 Depth=1
	s_or_b32 exec_lo, exec_lo, s18
	v_lshrrev_b32_e32 v27, 16, v3
	s_and_b32 s66, s66, exec_lo
.LBB136_141:                            ;   in Loop: Header=BB136_21 Depth=1
	s_or_b32 exec_lo, exec_lo, s13
	s_mov_b32 s12, -1
	s_mov_b32 s13, 0
	s_delay_alu instid0(SALU_CYCLE_1)
	s_mov_b32 s15, s13
	s_branch .LBB136_152
.LBB136_142:                            ;   in Loop: Header=BB136_21 Depth=1
	s_mov_b32 s66, 0
                                        ; implicit-def: $vgpr27
	s_and_saveexec_b32 s12, s6
	s_cbranch_execz .LBB136_151
; %bb.143:                              ;   in Loop: Header=BB136_21 Depth=1
	v_dual_mov_b32 v6, v5 :: v_dual_mov_b32 v1, v0
	s_mov_b32 s13, 0
                                        ; implicit-def: $sgpr15
	s_branch .LBB136_145
.LBB136_144:                            ;   in Loop: Header=BB136_145 Depth=2
	s_or_b32 exec_lo, exec_lo, s7
	s_waitcnt vmcnt(0) lgkmcnt(0)
	s_barrier
	buffer_gl0_inv
	ds_load_b32 v2, v7 offset:3072
	v_add_nc_u32_e32 v1, s27, v1
	v_add_nc_u32_e32 v6, s37, v6
	s_waitcnt lgkmcnt(0)
	s_barrier
	buffer_gl0_inv
	v_cmp_le_u32_e32 vcc_lo, s51, v1
	v_and_b32_e32 v3, 0x7fff, v2
	s_delay_alu instid0(VALU_DEP_1) | instskip(NEXT) | instid1(VALU_DEP_1)
	v_cmp_ne_u16_e64 s7, 0, v3
	s_or_b32 s18, vcc_lo, s7
	s_delay_alu instid0(SALU_CYCLE_1) | instskip(NEXT) | instid1(SALU_CYCLE_1)
	s_and_b32 s18, exec_lo, s18
	s_or_b32 s13, s18, s13
	s_and_not1_b32 s15, s15, exec_lo
	s_and_b32 s7, s7, exec_lo
	s_delay_alu instid0(SALU_CYCLE_1)
	s_or_b32 s15, s15, s7
	s_and_not1_b32 exec_lo, exec_lo, s13
	s_cbranch_execz .LBB136_150
.LBB136_145:                            ;   Parent Loop BB136_21 Depth=1
                                        ; =>  This Inner Loop Header: Depth=2
	s_delay_alu instid0(VALU_DEP_1)
	v_cmp_gt_u32_e32 vcc_lo, s24, v1
	v_mov_b32_e32 v2, 0
	s_and_saveexec_b32 s18, vcc_lo
	s_cbranch_execz .LBB136_147
; %bb.146:                              ;   in Loop: Header=BB136_145 Depth=2
	v_lshlrev_b64 v[2:3], 1, v[6:7]
	s_delay_alu instid0(VALU_DEP_1) | instskip(NEXT) | instid1(VALU_DEP_1)
	v_add_co_u32 v2, s7, s25, v2
	v_add_co_ci_u32_e64 v3, s7, s33, v3, s7
	global_load_u16 v2, v[2:3], off
.LBB136_147:                            ;   in Loop: Header=BB136_145 Depth=2
	s_or_b32 exec_lo, exec_lo, s18
	s_and_saveexec_b32 s7, vcc_lo
	s_cbranch_execz .LBB136_144
; %bb.148:                              ;   in Loop: Header=BB136_145 Depth=2
	s_waitcnt vmcnt(0)
	v_cmp_lt_i16_e32 vcc_lo, -1, v2
	v_and_b32_e32 v3, 0xffff, v2
	v_lshlrev_b32_e32 v27, 16, v2
	v_cndmask_b32_e32 v4, 0xffff, v26, vcc_lo
	s_delay_alu instid0(VALU_DEP_2) | instskip(NEXT) | instid1(VALU_DEP_2)
	v_cmp_o_f32_e32 vcc_lo, v27, v27
	v_xor_b32_e32 v3, v4, v3
	s_delay_alu instid0(VALU_DEP_1) | instskip(NEXT) | instid1(VALU_DEP_1)
	v_cndmask_b32_e32 v3, 0xffff, v3, vcc_lo
	v_and_b32_e32 v3, s64, v3
	s_delay_alu instid0(VALU_DEP_1)
	v_cmp_eq_u32_e32 vcc_lo, s63, v3
	s_and_b32 exec_lo, exec_lo, vcc_lo
	s_cbranch_execz .LBB136_144
; %bb.149:                              ;   in Loop: Header=BB136_145 Depth=2
	v_perm_b32 v2, v2, s54, 0x5040100
	ds_store_b32 v7, v2 offset:3072
	s_branch .LBB136_144
.LBB136_150:                            ;   in Loop: Header=BB136_21 Depth=1
	s_or_b32 exec_lo, exec_lo, s13
	v_lshrrev_b32_e32 v27, 16, v2
	s_and_b32 s66, s15, exec_lo
.LBB136_151:                            ;   in Loop: Header=BB136_21 Depth=1
	s_or_b32 exec_lo, exec_lo, s12
	s_mov_b32 s15, -1
	s_mov_b32 s13, 0
	s_mov_b32 s12, 0
.LBB136_152:                            ;   in Loop: Header=BB136_21 Depth=1
	s_mov_b32 s67, 0
                                        ; implicit-def: $sgpr7
	s_and_saveexec_b32 s18, s66
	s_cbranch_execz .LBB136_248
; %bb.153:                              ;   in Loop: Header=BB136_21 Depth=1
	s_xor_b32 s7, s65, -1
	s_mov_b32 s65, 0
	s_and_not1_b32 vcc_lo, exec_lo, s7
	s_mov_b32 s68, 1
	s_cbranch_vccnz .LBB136_164
; %bb.154:                              ;   in Loop: Header=BB136_21 Depth=1
	s_cmp_gt_u32 s20, s19
	s_mov_b32 s65, -1
                                        ; implicit-def: $sgpr7
                                        ; implicit-def: $sgpr66
                                        ; implicit-def: $sgpr67
	s_cbranch_scc1 .LBB136_160
; %bb.155:                              ;   in Loop: Header=BB136_21 Depth=1
	ds_load_b32 v1, v7 offset:4104
	s_waitcnt lgkmcnt(0)
	v_cmp_ne_u32_e32 vcc_lo, 0, v1
	s_cbranch_vccnz .LBB136_159
; %bb.156:                              ;   in Loop: Header=BB136_21 Depth=1
	s_and_saveexec_b32 s7, s0
	s_cbranch_execz .LBB136_158
; %bb.157:                              ;   in Loop: Header=BB136_21 Depth=1
	v_mov_b32_e32 v1, s19
	ds_store_b32 v7, v1 offset:4108
.LBB136_158:                            ;   in Loop: Header=BB136_21 Depth=1
	s_or_b32 exec_lo, exec_lo, s7
	s_waitcnt lgkmcnt(0)
	s_barrier
	buffer_gl0_inv
.LBB136_159:                            ;   in Loop: Header=BB136_21 Depth=1
	s_lshl_b32 s7, 1, s16
	s_and_b32 s65, s63, s17
	s_or_b32 s67, s64, s9
	s_or_b32 s66, s65, s7
	s_mov_b32 s65, 0
	s_mov_b32 s7, 8
.LBB136_160:                            ;   in Loop: Header=BB136_21 Depth=1
	s_and_not1_b32 vcc_lo, exec_lo, s65
	s_cbranch_vccnz .LBB136_162
; %bb.161:                              ;   in Loop: Header=BB136_21 Depth=1
	s_sub_i32 s20, s20, s19
	s_mov_b32 s65, -1
	s_mov_b32 s7, 0
	s_mov_b32 s66, s63
	;; [unrolled: 1-line block ×3, first 2 shown]
.LBB136_162:                            ;   in Loop: Header=BB136_21 Depth=1
	s_delay_alu instid0(SALU_CYCLE_1)
	s_mov_b32 s64, s67
	s_mov_b32 s63, s66
	;; [unrolled: 1-line block ×3, first 2 shown]
	s_and_not1_b32 vcc_lo, exec_lo, s65
	s_mov_b32 s70, -1
	s_cbranch_vccz .LBB136_165
.LBB136_163:                            ;   in Loop: Header=BB136_21 Depth=1
                                        ; implicit-def: $sgpr20
                                        ; implicit-def: $sgpr65
                                        ; implicit-def: $sgpr19
	s_branch .LBB136_247
.LBB136_164:                            ;   in Loop: Header=BB136_21 Depth=1
	s_mov_b32 s7, 1
	s_and_not1_b32 vcc_lo, exec_lo, s65
	s_mov_b32 s70, -1
	s_cbranch_vccnz .LBB136_163
.LBB136_165:                            ;   in Loop: Header=BB136_21 Depth=1
	s_cmp_eq_u32 s14, 1
	s_mov_b32 s69, -1
	s_cselect_b32 s7, -1, 0
	s_cmp_eq_u32 s68, 1
	s_cselect_b32 s19, -1, 0
	s_delay_alu instid0(SALU_CYCLE_1) | instskip(NEXT) | instid1(SALU_CYCLE_1)
	s_and_b32 s67, s7, s19
	s_and_b32 vcc_lo, exec_lo, s67
	s_cbranch_vccz .LBB136_177
; %bb.166:                              ;   in Loop: Header=BB136_21 Depth=1
	ds_load_b32 v1, v7 offset:4104
	s_waitcnt lgkmcnt(0)
	s_barrier
	buffer_gl0_inv
	v_readfirstlane_b32 s19, v1
	s_and_saveexec_b32 s7, s1
	s_cbranch_execz .LBB136_168
; %bb.167:                              ;   in Loop: Header=BB136_21 Depth=1
	ds_store_b16 v16, v7
.LBB136_168:                            ;   in Loop: Header=BB136_21 Depth=1
	s_or_b32 exec_lo, exec_lo, s7
	s_lshl_b32 s7, 2, s16
	s_and_b32 s20, s63, s17
	s_or_b32 s64, s64, s9
	s_or_b32 s63, s20, s7
	s_cmp_eq_u32 s19, 0
	s_waitcnt lgkmcnt(0)
	s_barrier
	buffer_gl0_inv
	s_cbranch_scc1 .LBB136_178
; %bb.169:                              ;   in Loop: Header=BB136_21 Depth=1
	s_add_i32 s7, s19, s40
	s_mov_b32 s69, 0
	s_mul_hi_u32 s20, s7, s49
                                        ; implicit-def: $vgpr27
	s_delay_alu instid0(SALU_CYCLE_1) | instskip(NEXT) | instid1(SALU_CYCLE_1)
	s_mul_i32 s20, s20, s27
	s_sub_i32 s20, s7, s20
	s_delay_alu instid0(SALU_CYCLE_1) | instskip(SKIP_2) | instid1(SALU_CYCLE_1)
	s_sub_i32 s65, s20, s27
	s_cmp_ge_u32 s20, s27
	s_cselect_b32 s20, s65, s20
	s_sub_i32 s65, s20, s27
	s_cmp_ge_u32 s20, s27
	s_cselect_b32 s20, s65, s20
	s_delay_alu instid0(SALU_CYCLE_1)
	s_sub_i32 s65, s7, s20
	s_mov_b32 s20, exec_lo
	v_cmpx_gt_u32_e64 s65, v0
	s_cbranch_execz .LBB136_180
; %bb.170:                              ;   in Loop: Header=BB136_21 Depth=1
	v_dual_mov_b32 v1, v15 :: v_dual_mov_b32 v2, v0
	s_mov_b32 s66, 0
                                        ; implicit-def: $sgpr69
	s_branch .LBB136_172
.LBB136_171:                            ;   in Loop: Header=BB136_172 Depth=2
	s_or_b32 exec_lo, exec_lo, s7
	s_waitcnt lgkmcnt(0)
	s_barrier
	buffer_gl0_inv
	ds_load_b32 v3, v7 offset:3072
	v_add_nc_u32_e32 v2, s27, v2
	v_add_nc_u32_e32 v1, s53, v1
	s_waitcnt lgkmcnt(0)
	s_barrier
	buffer_gl0_inv
	v_cmp_le_u32_e32 vcc_lo, s65, v2
	v_and_b32_e32 v4, 0x7fff, v3
	s_delay_alu instid0(VALU_DEP_1) | instskip(NEXT) | instid1(VALU_DEP_1)
	v_cmp_ne_u16_e64 s7, 0, v4
	s_or_b32 s70, vcc_lo, s7
	s_delay_alu instid0(SALU_CYCLE_1) | instskip(NEXT) | instid1(SALU_CYCLE_1)
	s_and_b32 s70, exec_lo, s70
	s_or_b32 s66, s70, s66
	s_and_not1_b32 s69, s69, exec_lo
	s_and_b32 s7, s7, exec_lo
	s_delay_alu instid0(SALU_CYCLE_1)
	s_or_b32 s69, s69, s7
	s_and_not1_b32 exec_lo, exec_lo, s66
	s_cbranch_execz .LBB136_179
.LBB136_172:                            ;   Parent Loop BB136_21 Depth=1
                                        ; =>  This Inner Loop Header: Depth=2
	s_delay_alu instid0(VALU_DEP_1)
	v_cmp_gt_u32_e32 vcc_lo, s19, v2
	v_mov_b32_e32 v3, 0
	s_and_saveexec_b32 s7, vcc_lo
	s_cbranch_execz .LBB136_174
; %bb.173:                              ;   in Loop: Header=BB136_172 Depth=2
	ds_load_u16 v3, v1
.LBB136_174:                            ;   in Loop: Header=BB136_172 Depth=2
	s_or_b32 exec_lo, exec_lo, s7
	s_and_saveexec_b32 s7, vcc_lo
	s_cbranch_execz .LBB136_171
; %bb.175:                              ;   in Loop: Header=BB136_172 Depth=2
	s_waitcnt lgkmcnt(0)
	v_cmp_lt_i16_e32 vcc_lo, -1, v3
	v_and_b32_e32 v4, 0xffff, v3
	v_dual_cndmask_b32 v6, 0xffff, v26 :: v_dual_lshlrev_b32 v27, 16, v3
	s_delay_alu instid0(VALU_DEP_1) | instskip(NEXT) | instid1(VALU_DEP_2)
	v_cmp_o_f32_e32 vcc_lo, v27, v27
	v_xor_b32_e32 v4, v6, v4
	s_delay_alu instid0(VALU_DEP_1) | instskip(NEXT) | instid1(VALU_DEP_1)
	v_cndmask_b32_e32 v4, 0xffff, v4, vcc_lo
	v_and_b32_e32 v4, s64, v4
	s_delay_alu instid0(VALU_DEP_1)
	v_cmp_eq_u32_e32 vcc_lo, s63, v4
	s_and_b32 exec_lo, exec_lo, vcc_lo
	s_cbranch_execz .LBB136_171
; %bb.176:                              ;   in Loop: Header=BB136_172 Depth=2
	v_perm_b32 v3, v3, s54, 0x5040100
	ds_store_b32 v7, v3 offset:3072
	s_branch .LBB136_171
.LBB136_177:                            ;   in Loop: Header=BB136_21 Depth=1
                                        ; implicit-def: $sgpr19
                                        ; implicit-def: $sgpr65
                                        ; implicit-def: $sgpr20
	s_branch .LBB136_191
.LBB136_178:                            ;   in Loop: Header=BB136_21 Depth=1
	s_mov_b32 s19, -1
	s_mov_b32 s69, 0
                                        ; implicit-def: $sgpr20
                                        ; implicit-def: $vgpr27
	s_mov_b32 s65, s19
	s_cbranch_execnz .LBB136_181
	s_branch .LBB136_191
.LBB136_179:                            ;   in Loop: Header=BB136_21 Depth=1
	s_or_b32 exec_lo, exec_lo, s66
	v_lshrrev_b32_e32 v27, 16, v3
	s_and_b32 s69, s69, exec_lo
.LBB136_180:                            ;   in Loop: Header=BB136_21 Depth=1
	s_or_b32 exec_lo, exec_lo, s20
	s_mov_b32 s20, -1
	s_mov_b32 s19, 0
	s_delay_alu instid0(SALU_CYCLE_1)
	s_mov_b32 s65, s19
	s_branch .LBB136_191
.LBB136_181:                            ;   in Loop: Header=BB136_21 Depth=1
	s_mov_b32 s69, 0
                                        ; implicit-def: $vgpr27
	s_and_saveexec_b32 s19, s6
	s_cbranch_execz .LBB136_190
; %bb.182:                              ;   in Loop: Header=BB136_21 Depth=1
	v_dual_mov_b32 v6, v5 :: v_dual_mov_b32 v1, v0
	s_mov_b32 s20, 0
                                        ; implicit-def: $sgpr65
	s_branch .LBB136_184
.LBB136_183:                            ;   in Loop: Header=BB136_184 Depth=2
	s_or_b32 exec_lo, exec_lo, s7
	s_waitcnt vmcnt(0) lgkmcnt(0)
	s_barrier
	buffer_gl0_inv
	ds_load_b32 v2, v7 offset:3072
	v_add_nc_u32_e32 v1, s27, v1
	v_add_nc_u32_e32 v6, s37, v6
	s_waitcnt lgkmcnt(0)
	s_barrier
	buffer_gl0_inv
	v_cmp_le_u32_e32 vcc_lo, s51, v1
	v_and_b32_e32 v3, 0x7fff, v2
	s_delay_alu instid0(VALU_DEP_1) | instskip(NEXT) | instid1(VALU_DEP_1)
	v_cmp_ne_u16_e64 s7, 0, v3
	s_or_b32 s66, vcc_lo, s7
	s_delay_alu instid0(SALU_CYCLE_1) | instskip(NEXT) | instid1(SALU_CYCLE_1)
	s_and_b32 s66, exec_lo, s66
	s_or_b32 s20, s66, s20
	s_and_not1_b32 s65, s65, exec_lo
	s_and_b32 s7, s7, exec_lo
	s_delay_alu instid0(SALU_CYCLE_1)
	s_or_b32 s65, s65, s7
	s_and_not1_b32 exec_lo, exec_lo, s20
	s_cbranch_execz .LBB136_189
.LBB136_184:                            ;   Parent Loop BB136_21 Depth=1
                                        ; =>  This Inner Loop Header: Depth=2
	s_delay_alu instid0(VALU_DEP_1)
	v_cmp_gt_u32_e32 vcc_lo, s24, v1
	v_mov_b32_e32 v2, 0
	s_and_saveexec_b32 s66, vcc_lo
	s_cbranch_execz .LBB136_186
; %bb.185:                              ;   in Loop: Header=BB136_184 Depth=2
	v_lshlrev_b64 v[2:3], 1, v[6:7]
	s_delay_alu instid0(VALU_DEP_1) | instskip(NEXT) | instid1(VALU_DEP_1)
	v_add_co_u32 v2, s7, s25, v2
	v_add_co_ci_u32_e64 v3, s7, s33, v3, s7
	global_load_u16 v2, v[2:3], off
.LBB136_186:                            ;   in Loop: Header=BB136_184 Depth=2
	s_or_b32 exec_lo, exec_lo, s66
	s_and_saveexec_b32 s7, vcc_lo
	s_cbranch_execz .LBB136_183
; %bb.187:                              ;   in Loop: Header=BB136_184 Depth=2
	s_waitcnt vmcnt(0)
	v_cmp_lt_i16_e32 vcc_lo, -1, v2
	v_and_b32_e32 v3, 0xffff, v2
	v_lshlrev_b32_e32 v27, 16, v2
	v_cndmask_b32_e32 v4, 0xffff, v26, vcc_lo
	s_delay_alu instid0(VALU_DEP_2) | instskip(NEXT) | instid1(VALU_DEP_2)
	v_cmp_o_f32_e32 vcc_lo, v27, v27
	v_xor_b32_e32 v3, v4, v3
	s_delay_alu instid0(VALU_DEP_1) | instskip(NEXT) | instid1(VALU_DEP_1)
	v_cndmask_b32_e32 v3, 0xffff, v3, vcc_lo
	v_and_b32_e32 v3, s64, v3
	s_delay_alu instid0(VALU_DEP_1)
	v_cmp_eq_u32_e32 vcc_lo, s63, v3
	s_and_b32 exec_lo, exec_lo, vcc_lo
	s_cbranch_execz .LBB136_183
; %bb.188:                              ;   in Loop: Header=BB136_184 Depth=2
	v_perm_b32 v2, v2, s54, 0x5040100
	ds_store_b32 v7, v2 offset:3072
	s_branch .LBB136_183
.LBB136_189:                            ;   in Loop: Header=BB136_21 Depth=1
	s_or_b32 exec_lo, exec_lo, s20
	v_lshrrev_b32_e32 v27, 16, v2
	s_and_b32 s69, s65, exec_lo
.LBB136_190:                            ;   in Loop: Header=BB136_21 Depth=1
	s_or_b32 exec_lo, exec_lo, s19
	s_mov_b32 s65, -1
	s_mov_b32 s19, 0
	s_mov_b32 s20, 0
.LBB136_191:                            ;   in Loop: Header=BB136_21 Depth=1
	s_mov_b32 s70, 0
                                        ; implicit-def: $sgpr7
	s_and_saveexec_b32 s66, s69
	s_cbranch_execz .LBB136_246
; %bb.192:                              ;   in Loop: Header=BB136_21 Depth=1
	s_xor_b32 s7, s67, -1
	s_mov_b32 s69, 0
	s_and_not1_b32 vcc_lo, exec_lo, s7
	s_mov_b32 s67, 1
	s_cbranch_vccnz .LBB136_203
; %bb.193:                              ;   in Loop: Header=BB136_21 Depth=1
	s_cmp_gt_u32 s68, s14
	s_mov_b32 s69, -1
                                        ; implicit-def: $sgpr7
                                        ; implicit-def: $sgpr67
                                        ; implicit-def: $sgpr70
	s_cbranch_scc1 .LBB136_199
; %bb.194:                              ;   in Loop: Header=BB136_21 Depth=1
	ds_load_b32 v1, v7 offset:4104
	s_waitcnt lgkmcnt(0)
	v_cmp_ne_u32_e32 vcc_lo, 0, v1
	s_cbranch_vccnz .LBB136_198
; %bb.195:                              ;   in Loop: Header=BB136_21 Depth=1
	s_and_saveexec_b32 s7, s0
	s_cbranch_execz .LBB136_197
; %bb.196:                              ;   in Loop: Header=BB136_21 Depth=1
	v_mov_b32_e32 v1, s14
	ds_store_b32 v7, v1 offset:4108
.LBB136_197:                            ;   in Loop: Header=BB136_21 Depth=1
	s_or_b32 exec_lo, exec_lo, s7
	s_waitcnt lgkmcnt(0)
	s_barrier
	buffer_gl0_inv
.LBB136_198:                            ;   in Loop: Header=BB136_21 Depth=1
	s_lshl_b32 s7, 2, s16
	s_and_b32 s16, s63, s17
	s_or_b32 s70, s64, s9
	s_or_b32 s67, s16, s7
	s_mov_b32 s69, 0
	s_mov_b32 s7, 8
.LBB136_199:                            ;   in Loop: Header=BB136_21 Depth=1
	s_and_not1_b32 vcc_lo, exec_lo, s69
	s_cbranch_vccnz .LBB136_201
; %bb.200:                              ;   in Loop: Header=BB136_21 Depth=1
	s_sub_i32 s68, s68, s14
	s_mov_b32 s69, -1
	s_mov_b32 s7, 0
	s_mov_b32 s67, s63
	s_mov_b32 s70, s64
.LBB136_201:                            ;   in Loop: Header=BB136_21 Depth=1
	s_delay_alu instid0(SALU_CYCLE_1)
	s_mov_b32 s64, s70
	s_mov_b32 s63, s67
	;; [unrolled: 1-line block ×3, first 2 shown]
	s_and_not1_b32 vcc_lo, exec_lo, s69
	s_mov_b32 s71, -1
	s_cbranch_vccz .LBB136_204
.LBB136_202:                            ;   in Loop: Header=BB136_21 Depth=1
                                        ; implicit-def: $sgpr16
                                        ; implicit-def: $sgpr68
                                        ; implicit-def: $sgpr17
	s_branch .LBB136_245
.LBB136_203:                            ;   in Loop: Header=BB136_21 Depth=1
	s_mov_b32 s7, 1
	s_and_not1_b32 vcc_lo, exec_lo, s69
	s_mov_b32 s71, -1
	s_cbranch_vccnz .LBB136_202
.LBB136_204:                            ;   in Loop: Header=BB136_21 Depth=1
	s_cmp_eq_u32 s8, 1
	s_mov_b32 s69, -1
	s_cselect_b32 s7, -1, 0
	s_cmp_eq_u32 s67, 1
	s_cselect_b32 s14, -1, 0
	s_delay_alu instid0(SALU_CYCLE_1) | instskip(NEXT) | instid1(SALU_CYCLE_1)
	s_and_b32 s14, s7, s14
	s_and_b32 vcc_lo, exec_lo, s14
	s_cbranch_vccz .LBB136_216
; %bb.205:                              ;   in Loop: Header=BB136_21 Depth=1
	ds_load_b32 v1, v7 offset:4104
	s_waitcnt lgkmcnt(0)
	s_barrier
	buffer_gl0_inv
	v_readfirstlane_b32 s16, v1
	s_and_saveexec_b32 s7, s1
	s_cbranch_execz .LBB136_207
; %bb.206:                              ;   in Loop: Header=BB136_21 Depth=1
	ds_store_b16 v16, v7
.LBB136_207:                            ;   in Loop: Header=BB136_21 Depth=1
	s_or_b32 exec_lo, exec_lo, s7
	s_or_b32 s63, s63, s9
	s_or_b32 s64, s64, s9
	s_cmp_eq_u32 s16, 0
	s_waitcnt lgkmcnt(0)
	s_barrier
	buffer_gl0_inv
	s_cbranch_scc1 .LBB136_217
; %bb.208:                              ;   in Loop: Header=BB136_21 Depth=1
	s_add_i32 s7, s16, s40
	s_mov_b32 s69, 0
	s_mul_hi_u32 s17, s7, s49
                                        ; implicit-def: $vgpr27
	s_delay_alu instid0(SALU_CYCLE_1) | instskip(NEXT) | instid1(SALU_CYCLE_1)
	s_mul_i32 s17, s17, s27
	s_sub_i32 s17, s7, s17
	s_delay_alu instid0(SALU_CYCLE_1) | instskip(SKIP_2) | instid1(SALU_CYCLE_1)
	s_sub_i32 s68, s17, s27
	s_cmp_ge_u32 s17, s27
	s_cselect_b32 s17, s68, s17
	s_sub_i32 s68, s17, s27
	s_cmp_ge_u32 s17, s27
	s_cselect_b32 s17, s68, s17
	s_delay_alu instid0(SALU_CYCLE_1)
	s_sub_i32 s68, s7, s17
	s_mov_b32 s17, exec_lo
	v_cmpx_gt_u32_e64 s68, v0
	s_cbranch_execz .LBB136_219
; %bb.209:                              ;   in Loop: Header=BB136_21 Depth=1
	v_dual_mov_b32 v1, v15 :: v_dual_mov_b32 v2, v0
                                        ; implicit-def: $sgpr70
	s_branch .LBB136_211
.LBB136_210:                            ;   in Loop: Header=BB136_211 Depth=2
	s_or_b32 exec_lo, exec_lo, s7
	s_waitcnt lgkmcnt(0)
	s_barrier
	buffer_gl0_inv
	ds_load_b32 v3, v7 offset:3072
	v_add_nc_u32_e32 v2, s27, v2
	v_add_nc_u32_e32 v1, s53, v1
	s_waitcnt lgkmcnt(0)
	s_barrier
	buffer_gl0_inv
	v_cmp_le_u32_e32 vcc_lo, s68, v2
	v_and_b32_e32 v4, 0x7fff, v3
	s_delay_alu instid0(VALU_DEP_1) | instskip(NEXT) | instid1(VALU_DEP_1)
	v_cmp_ne_u16_e64 s7, 0, v4
	s_or_b32 s71, vcc_lo, s7
	s_delay_alu instid0(SALU_CYCLE_1) | instskip(NEXT) | instid1(SALU_CYCLE_1)
	s_and_b32 s71, exec_lo, s71
	s_or_b32 s69, s71, s69
	s_and_not1_b32 s70, s70, exec_lo
	s_and_b32 s7, s7, exec_lo
	s_delay_alu instid0(SALU_CYCLE_1)
	s_or_b32 s70, s70, s7
	s_and_not1_b32 exec_lo, exec_lo, s69
	s_cbranch_execz .LBB136_218
.LBB136_211:                            ;   Parent Loop BB136_21 Depth=1
                                        ; =>  This Inner Loop Header: Depth=2
	s_delay_alu instid0(VALU_DEP_1)
	v_cmp_gt_u32_e32 vcc_lo, s16, v2
	v_mov_b32_e32 v3, 0
	s_and_saveexec_b32 s7, vcc_lo
	s_cbranch_execz .LBB136_213
; %bb.212:                              ;   in Loop: Header=BB136_211 Depth=2
	ds_load_u16 v3, v1
.LBB136_213:                            ;   in Loop: Header=BB136_211 Depth=2
	s_or_b32 exec_lo, exec_lo, s7
	s_and_saveexec_b32 s7, vcc_lo
	s_cbranch_execz .LBB136_210
; %bb.214:                              ;   in Loop: Header=BB136_211 Depth=2
	s_waitcnt lgkmcnt(0)
	v_cmp_lt_i16_e32 vcc_lo, -1, v3
	v_and_b32_e32 v4, 0xffff, v3
	v_dual_cndmask_b32 v6, 0xffff, v26 :: v_dual_lshlrev_b32 v27, 16, v3
	s_delay_alu instid0(VALU_DEP_1) | instskip(NEXT) | instid1(VALU_DEP_2)
	v_cmp_o_f32_e32 vcc_lo, v27, v27
	v_xor_b32_e32 v4, v6, v4
	s_delay_alu instid0(VALU_DEP_1) | instskip(NEXT) | instid1(VALU_DEP_1)
	v_cndmask_b32_e32 v4, 0xffff, v4, vcc_lo
	v_and_b32_e32 v4, s64, v4
	s_delay_alu instid0(VALU_DEP_1)
	v_cmp_eq_u32_e32 vcc_lo, s63, v4
	s_and_b32 exec_lo, exec_lo, vcc_lo
	s_cbranch_execz .LBB136_210
; %bb.215:                              ;   in Loop: Header=BB136_211 Depth=2
	v_perm_b32 v3, v3, s54, 0x5040100
	ds_store_b32 v7, v3 offset:3072
	s_branch .LBB136_210
.LBB136_216:                            ;   in Loop: Header=BB136_21 Depth=1
                                        ; implicit-def: $sgpr16
                                        ; implicit-def: $sgpr68
                                        ; implicit-def: $sgpr17
	s_branch .LBB136_230
.LBB136_217:                            ;   in Loop: Header=BB136_21 Depth=1
	s_mov_b32 s16, -1
	s_mov_b32 s69, 0
                                        ; implicit-def: $sgpr17
                                        ; implicit-def: $vgpr27
	s_mov_b32 s68, s16
	s_cbranch_execnz .LBB136_220
	s_branch .LBB136_230
.LBB136_218:                            ;   in Loop: Header=BB136_21 Depth=1
	s_or_b32 exec_lo, exec_lo, s69
	v_lshrrev_b32_e32 v27, 16, v3
	s_and_b32 s69, s70, exec_lo
.LBB136_219:                            ;   in Loop: Header=BB136_21 Depth=1
	s_or_b32 exec_lo, exec_lo, s17
	s_mov_b32 s17, -1
	s_mov_b32 s16, 0
	s_delay_alu instid0(SALU_CYCLE_1)
	s_mov_b32 s68, s16
	s_branch .LBB136_230
.LBB136_220:                            ;   in Loop: Header=BB136_21 Depth=1
	s_mov_b32 s69, 0
                                        ; implicit-def: $vgpr27
	s_and_saveexec_b32 s16, s6
	s_cbranch_execz .LBB136_229
; %bb.221:                              ;   in Loop: Header=BB136_21 Depth=1
	v_dual_mov_b32 v6, v5 :: v_dual_mov_b32 v1, v0
	s_mov_b32 s17, 0
                                        ; implicit-def: $sgpr68
	s_branch .LBB136_223
.LBB136_222:                            ;   in Loop: Header=BB136_223 Depth=2
	s_or_b32 exec_lo, exec_lo, s7
	s_waitcnt vmcnt(0) lgkmcnt(0)
	s_barrier
	buffer_gl0_inv
	ds_load_b32 v2, v7 offset:3072
	v_add_nc_u32_e32 v1, s27, v1
	v_add_nc_u32_e32 v6, s37, v6
	s_waitcnt lgkmcnt(0)
	s_barrier
	buffer_gl0_inv
	v_cmp_le_u32_e32 vcc_lo, s51, v1
	v_and_b32_e32 v3, 0x7fff, v2
	s_delay_alu instid0(VALU_DEP_1) | instskip(NEXT) | instid1(VALU_DEP_1)
	v_cmp_ne_u16_e64 s7, 0, v3
	s_or_b32 s69, vcc_lo, s7
	s_delay_alu instid0(SALU_CYCLE_1) | instskip(NEXT) | instid1(SALU_CYCLE_1)
	s_and_b32 s69, exec_lo, s69
	s_or_b32 s17, s69, s17
	s_and_not1_b32 s68, s68, exec_lo
	s_and_b32 s7, s7, exec_lo
	s_delay_alu instid0(SALU_CYCLE_1)
	s_or_b32 s68, s68, s7
	s_and_not1_b32 exec_lo, exec_lo, s17
	s_cbranch_execz .LBB136_228
.LBB136_223:                            ;   Parent Loop BB136_21 Depth=1
                                        ; =>  This Inner Loop Header: Depth=2
	s_delay_alu instid0(VALU_DEP_1)
	v_cmp_gt_u32_e32 vcc_lo, s24, v1
	v_mov_b32_e32 v2, 0
	s_and_saveexec_b32 s69, vcc_lo
	s_cbranch_execz .LBB136_225
; %bb.224:                              ;   in Loop: Header=BB136_223 Depth=2
	v_lshlrev_b64 v[2:3], 1, v[6:7]
	s_delay_alu instid0(VALU_DEP_1) | instskip(NEXT) | instid1(VALU_DEP_1)
	v_add_co_u32 v2, s7, s25, v2
	v_add_co_ci_u32_e64 v3, s7, s33, v3, s7
	global_load_u16 v2, v[2:3], off
.LBB136_225:                            ;   in Loop: Header=BB136_223 Depth=2
	s_or_b32 exec_lo, exec_lo, s69
	s_and_saveexec_b32 s7, vcc_lo
	s_cbranch_execz .LBB136_222
; %bb.226:                              ;   in Loop: Header=BB136_223 Depth=2
	s_waitcnt vmcnt(0)
	v_cmp_lt_i16_e32 vcc_lo, -1, v2
	v_and_b32_e32 v3, 0xffff, v2
	v_lshlrev_b32_e32 v27, 16, v2
	v_cndmask_b32_e32 v4, 0xffff, v26, vcc_lo
	s_delay_alu instid0(VALU_DEP_2) | instskip(NEXT) | instid1(VALU_DEP_2)
	v_cmp_o_f32_e32 vcc_lo, v27, v27
	v_xor_b32_e32 v3, v4, v3
	s_delay_alu instid0(VALU_DEP_1) | instskip(NEXT) | instid1(VALU_DEP_1)
	v_cndmask_b32_e32 v3, 0xffff, v3, vcc_lo
	v_and_b32_e32 v3, s64, v3
	s_delay_alu instid0(VALU_DEP_1)
	v_cmp_eq_u32_e32 vcc_lo, s63, v3
	s_and_b32 exec_lo, exec_lo, vcc_lo
	s_cbranch_execz .LBB136_222
; %bb.227:                              ;   in Loop: Header=BB136_223 Depth=2
	v_perm_b32 v2, v2, s54, 0x5040100
	ds_store_b32 v7, v2 offset:3072
	s_branch .LBB136_222
.LBB136_228:                            ;   in Loop: Header=BB136_21 Depth=1
	s_or_b32 exec_lo, exec_lo, s17
	v_lshrrev_b32_e32 v27, 16, v2
	s_and_b32 s69, s68, exec_lo
.LBB136_229:                            ;   in Loop: Header=BB136_21 Depth=1
	s_or_b32 exec_lo, exec_lo, s16
	s_mov_b32 s68, -1
	s_mov_b32 s16, 0
	s_mov_b32 s17, 0
.LBB136_230:                            ;   in Loop: Header=BB136_21 Depth=1
	s_mov_b32 s71, 0
                                        ; implicit-def: $sgpr7
	s_and_saveexec_b32 s70, s69
	s_cbranch_execz .LBB136_244
; %bb.231:                              ;   in Loop: Header=BB136_21 Depth=1
	s_xor_b32 s7, s14, -1
	s_delay_alu instid0(SALU_CYCLE_1)
	s_and_not1_b32 vcc_lo, exec_lo, s7
	s_mov_b32 s7, 1
	s_cbranch_vccnz .LBB136_238
; %bb.232:                              ;   in Loop: Header=BB136_21 Depth=1
	s_cmp_gt_u32 s67, s8
	s_cbranch_scc1 .LBB136_239
; %bb.233:                              ;   in Loop: Header=BB136_21 Depth=1
	ds_load_b32 v1, v7 offset:4104
	s_waitcnt lgkmcnt(0)
	v_cmp_ne_u32_e32 vcc_lo, 0, v1
	s_cbranch_vccnz .LBB136_237
; %bb.234:                              ;   in Loop: Header=BB136_21 Depth=1
	s_and_saveexec_b32 s7, s0
	s_cbranch_execz .LBB136_236
; %bb.235:                              ;   in Loop: Header=BB136_21 Depth=1
	v_mov_b32_e32 v1, s8
	ds_store_b32 v7, v1 offset:4108
.LBB136_236:                            ;   in Loop: Header=BB136_21 Depth=1
	s_or_b32 exec_lo, exec_lo, s7
	s_waitcnt lgkmcnt(0)
	s_barrier
	buffer_gl0_inv
.LBB136_237:                            ;   in Loop: Header=BB136_21 Depth=1
	s_or_b32 s14, s63, s9
	s_or_b32 s9, s64, s9
	s_mov_b32 s69, 0
	s_mov_b32 s7, 8
	s_branch .LBB136_240
.LBB136_238:                            ;   in Loop: Header=BB136_21 Depth=1
	s_mov_b32 s67, 1
	s_branch .LBB136_243
.LBB136_239:                            ;   in Loop: Header=BB136_21 Depth=1
	s_mov_b32 s69, -1
                                        ; implicit-def: $sgpr7
                                        ; implicit-def: $sgpr14
                                        ; implicit-def: $sgpr9
.LBB136_240:                            ;   in Loop: Header=BB136_21 Depth=1
	s_delay_alu instid0(SALU_CYCLE_1)
	s_and_not1_b32 vcc_lo, exec_lo, s69
	s_cbranch_vccnz .LBB136_242
; %bb.241:                              ;   in Loop: Header=BB136_21 Depth=1
	s_sub_i32 s67, s67, s8
	s_mov_b32 s7, 8
	s_mov_b32 s14, s63
	;; [unrolled: 1-line block ×3, first 2 shown]
.LBB136_242:                            ;   in Loop: Header=BB136_21 Depth=1
	s_mov_b32 s63, s14
	s_mov_b32 s64, s9
.LBB136_243:                            ;   in Loop: Header=BB136_21 Depth=1
	s_mov_b32 s71, exec_lo
.LBB136_244:                            ;   in Loop: Header=BB136_21 Depth=1
	s_or_b32 exec_lo, exec_lo, s70
.LBB136_245:                            ;   in Loop: Header=BB136_21 Depth=1
	s_delay_alu instid0(SALU_CYCLE_1)
	s_and_not1_b32 s8, s19, exec_lo
	s_and_b32 s9, s16, exec_lo
	s_and_not1_b32 s14, s20, exec_lo
	s_or_b32 s19, s8, s9
	s_and_not1_b32 s8, s65, exec_lo
	s_and_b32 s9, s68, exec_lo
	s_and_b32 s16, s17, exec_lo
	s_or_b32 s65, s8, s9
	s_or_b32 s20, s14, s16
	s_and_b32 s70, s71, exec_lo
	s_mov_b32 s68, s67
.LBB136_246:                            ;   in Loop: Header=BB136_21 Depth=1
	s_or_b32 exec_lo, exec_lo, s66
.LBB136_247:                            ;   in Loop: Header=BB136_21 Depth=1
	s_delay_alu instid0(SALU_CYCLE_1)
	s_and_not1_b32 s8, s13, exec_lo
	s_and_b32 s9, s19, exec_lo
	s_and_not1_b32 s12, s12, exec_lo
	s_or_b32 s13, s8, s9
	s_and_not1_b32 s8, s15, exec_lo
	s_and_b32 s9, s65, exec_lo
	s_and_b32 s14, s20, exec_lo
	s_or_b32 s15, s8, s9
	s_or_b32 s12, s12, s14
	s_and_b32 s67, s70, exec_lo
	s_mov_b32 s20, s68
.LBB136_248:                            ;   in Loop: Header=BB136_21 Depth=1
	s_or_b32 exec_lo, exec_lo, s18
                                        ; implicit-def: $sgpr65
	s_and_saveexec_b32 s8, s67
	s_delay_alu instid0(SALU_CYCLE_1)
	s_xor_b32 s8, exec_lo, s8
	s_cbranch_execz .LBB136_19
.LBB136_249:                            ;   in Loop: Header=BB136_21 Depth=1
	s_and_b32 s7, s7, -9
	s_delay_alu instid0(SALU_CYCLE_1)
	s_cmp_eq_u32 s7, 0
	s_cbranch_scc1 .LBB136_17
; %bb.250:                              ;   in Loop: Header=BB136_21 Depth=1
	s_mov_b32 s7, -1
	s_mov_b32 s9, -1
                                        ; implicit-def: $sgpr64
                                        ; implicit-def: $sgpr20
                                        ; implicit-def: $sgpr58
                                        ; implicit-def: $sgpr61
	s_branch .LBB136_18
.LBB136_251:
	s_or_b32 exec_lo, exec_lo, s36
	s_xor_b32 s4, s57, -1
	s_xor_b32 s3, s55, -1
	;; [unrolled: 1-line block ×3, first 2 shown]
	s_mov_b32 s0, 0
	s_and_saveexec_b32 s5, s3
	s_delay_alu instid0(SALU_CYCLE_1)
	s_xor_b32 s3, exec_lo, s5
	s_cbranch_execz .LBB136_265
; %bb.252:
	s_and_saveexec_b32 s0, s4
	s_delay_alu instid0(SALU_CYCLE_1)
	s_xor_b32 s4, exec_lo, s0
	s_cbranch_execz .LBB136_263
; %bb.253:
	s_and_saveexec_b32 s0, s1
	s_delay_alu instid0(SALU_CYCLE_1)
	s_xor_b32 s0, exec_lo, s0
; %bb.254:
	v_and_b32_e32 v2, 0x8000, v1
	v_mov_b32_e32 v3, 0xffff
	s_delay_alu instid0(VALU_DEP_2) | instskip(NEXT) | instid1(VALU_DEP_2)
	v_cmp_eq_u32_e32 vcc_lo, 0, v2
	v_cndmask_b32_e32 v2, 0x8000, v3, vcc_lo
	s_delay_alu instid0(VALU_DEP_1)
	v_xor_b32_e32 v27, v2, v1
; %bb.255:
	s_or_b32 exec_lo, exec_lo, s0
	s_mul_i32 s0, s35, s21
	s_mov_b32 s1, 0
	v_mov_b32_e32 v6, 0
	s_lshl_b64 s[6:7], s[0:1], 1
	s_delay_alu instid0(SALU_CYCLE_1)
	s_add_u32 s6, s28, s6
	s_addc_u32 s7, s29, s7
	global_store_b16 v6, v27, s[6:7]
	s_and_saveexec_b32 s5, s2
	s_cbranch_execz .LBB136_262
; %bb.256:
	v_lshlrev_b32_e32 v2, 16, v27
                                        ; implicit-def: $sgpr2
                                        ; implicit-def: $sgpr8
                                        ; implicit-def: $sgpr7
	s_delay_alu instid0(VALU_DEP_1)
	v_cmp_u_f32_e32 vcc_lo, v2, v2
	s_xor_b32 s6, vcc_lo, -1
	s_set_inst_prefetch_distance 0x1
	s_branch .LBB136_258
	.p2align	6
.LBB136_257:                            ;   in Loop: Header=BB136_258 Depth=1
	s_or_b32 exec_lo, exec_lo, s0
	s_delay_alu instid0(SALU_CYCLE_1) | instskip(NEXT) | instid1(SALU_CYCLE_1)
	s_and_b32 s0, exec_lo, s8
	s_or_b32 s1, s0, s1
	s_and_not1_b32 s0, s2, exec_lo
	s_and_b32 s2, s7, exec_lo
	s_delay_alu instid0(SALU_CYCLE_1)
	s_or_b32 s2, s0, s2
	s_and_not1_b32 exec_lo, exec_lo, s1
	s_cbranch_execz .LBB136_260
.LBB136_258:                            ; =>This Inner Loop Header: Depth=1
	v_lshlrev_b64 v[3:4], 1, v[5:6]
	s_or_b32 s7, s7, exec_lo
	s_or_b32 s8, s8, exec_lo
	s_delay_alu instid0(VALU_DEP_1) | instskip(NEXT) | instid1(VALU_DEP_2)
	v_add_co_u32 v3, vcc_lo, s25, v3
	v_add_co_ci_u32_e32 v4, vcc_lo, s33, v4, vcc_lo
	global_load_u16 v1, v[3:4], off
	s_waitcnt vmcnt(0)
	v_lshlrev_b32_e32 v1, 16, v1
	s_delay_alu instid0(VALU_DEP_1)
	v_cmp_o_f32_e32 vcc_lo, v1, v1
	v_cmp_neq_f32_e64 s0, v1, v2
	v_mov_b32_e32 v1, v0
                                        ; implicit-def: $vgpr0
	s_or_b32 s9, s6, vcc_lo
	s_delay_alu instid0(VALU_DEP_2) | instid1(SALU_CYCLE_1)
	s_and_b32 s9, s0, s9
	s_delay_alu instid0(SALU_CYCLE_1)
	s_and_saveexec_b32 s0, s9
	s_cbranch_execz .LBB136_257
; %bb.259:                              ;   in Loop: Header=BB136_258 Depth=1
	v_add_nc_u32_e32 v0, s27, v1
	s_and_not1_b32 s8, s8, exec_lo
	v_add_nc_u32_e32 v5, s37, v5
	s_and_not1_b32 s7, s7, exec_lo
	s_delay_alu instid0(VALU_DEP_2) | instskip(SKIP_1) | instid1(SALU_CYCLE_1)
	v_cmp_le_u32_e32 vcc_lo, s24, v0
	s_and_b32 s9, vcc_lo, exec_lo
	s_or_b32 s8, s8, s9
	s_branch .LBB136_257
.LBB136_260:
	s_set_inst_prefetch_distance 0x2
	s_or_b32 exec_lo, exec_lo, s1
	s_and_saveexec_b32 s0, s2
	s_delay_alu instid0(SALU_CYCLE_1)
	s_xor_b32 s0, exec_lo, s0
	s_cbranch_execz .LBB136_262
; %bb.261:
	s_mul_i32 s0, s34, s21
	s_mov_b32 s1, 0
	v_mov_b32_e32 v2, 0
	s_lshl_b64 s[0:1], s[0:1], 3
	s_delay_alu instid0(SALU_CYCLE_1)
	s_add_u32 s0, s22, s0
	s_addc_u32 s1, s23, s1
	global_store_b64 v2, v[1:2], s[0:1]
.LBB136_262:
	s_or_b32 exec_lo, exec_lo, s5
.LBB136_263:
	s_or_saveexec_b32 s0, s4
	s_mov_b32 s1, 0
	s_xor_b32 exec_lo, exec_lo, s0
	s_cbranch_execnz .LBB136_271
.LBB136_264:
	s_or_b32 exec_lo, exec_lo, s0
	s_delay_alu instid0(SALU_CYCLE_1)
	s_and_b32 s0, s1, exec_lo
.LBB136_265:
	s_and_not1_saveexec_b32 s1, s3
	s_cbranch_execnz .LBB136_269
; %bb.266:
	s_or_b32 exec_lo, exec_lo, s1
	s_and_saveexec_b32 s1, s0
.LBB136_267:
	; divergent unreachable
.LBB136_268:
	s_nop 0
	s_sendmsg sendmsg(MSG_DEALLOC_VGPRS)
	s_endpgm
.LBB136_269:
	s_cbranch_execnz .LBB136_273
; %bb.270:
	s_or_b32 s0, s0, exec_lo
	s_or_b32 exec_lo, exec_lo, s1
	s_and_saveexec_b32 s1, s0
	s_cbranch_execnz .LBB136_267
	s_branch .LBB136_268
.LBB136_271:
	s_cbranch_execnz .LBB136_275
; %bb.272:
	s_mov_b32 s1, exec_lo
	s_branch .LBB136_264
.LBB136_273:
	s_trap 2
	s_sendmsg_rtn_b32 s0, sendmsg(MSG_RTN_GET_DOORBELL)
	s_mov_b32 ttmp2, m0
	s_waitcnt lgkmcnt(0)
	s_and_b32 s0, s0, 0x3ff
	s_delay_alu instid0(SALU_CYCLE_1) | instskip(NEXT) | instid1(SALU_CYCLE_1)
	s_bitset1_b32 s0, 10
	s_mov_b32 m0, s0
	s_sendmsg sendmsg(MSG_INTERRUPT)
	s_mov_b32 m0, ttmp2
.LBB136_274:                            ; =>This Inner Loop Header: Depth=1
	s_sethalt 5
	s_branch .LBB136_274
.LBB136_275:
	s_trap 2
	s_sendmsg_rtn_b32 s0, sendmsg(MSG_RTN_GET_DOORBELL)
	s_mov_b32 ttmp2, m0
	s_waitcnt lgkmcnt(0)
	s_and_b32 s0, s0, 0x3ff
	s_delay_alu instid0(SALU_CYCLE_1) | instskip(NEXT) | instid1(SALU_CYCLE_1)
	s_bitset1_b32 s0, 10
	s_mov_b32 m0, s0
	s_sendmsg sendmsg(MSG_INTERRUPT)
	s_mov_b32 m0, ttmp2
.LBB136_276:                            ; =>This Inner Loop Header: Depth=1
	s_sethalt 5
	s_branch .LBB136_276
	.section	.rodata,"a",@progbits
	.p2align	6, 0x0
	.amdhsa_kernel _ZN2at6native12_GLOBAL__N_112gatherMedianIN3c108BFloat16EjLi1EEEvNS_4cuda6detail10TensorInfoIT_T0_EENS7_IlS9_EENS7_IKS8_S9_EES9_S9_S9_b
		.amdhsa_group_segment_fixed_size 4120
		.amdhsa_private_segment_fixed_size 0
		.amdhsa_kernarg_size 920
		.amdhsa_user_sgpr_count 13
		.amdhsa_user_sgpr_dispatch_ptr 0
		.amdhsa_user_sgpr_queue_ptr 0
		.amdhsa_user_sgpr_kernarg_segment_ptr 1
		.amdhsa_user_sgpr_dispatch_id 0
		.amdhsa_user_sgpr_private_segment_size 0
		.amdhsa_wavefront_size32 1
		.amdhsa_uses_dynamic_stack 0
		.amdhsa_enable_private_segment 0
		.amdhsa_system_sgpr_workgroup_id_x 1
		.amdhsa_system_sgpr_workgroup_id_y 1
		.amdhsa_system_sgpr_workgroup_id_z 1
		.amdhsa_system_sgpr_workgroup_info 0
		.amdhsa_system_vgpr_workitem_id 0
		.amdhsa_next_free_vgpr 35
		.amdhsa_next_free_sgpr 77
		.amdhsa_reserve_vcc 1
		.amdhsa_float_round_mode_32 0
		.amdhsa_float_round_mode_16_64 0
		.amdhsa_float_denorm_mode_32 3
		.amdhsa_float_denorm_mode_16_64 3
		.amdhsa_dx10_clamp 1
		.amdhsa_ieee_mode 1
		.amdhsa_fp16_overflow 0
		.amdhsa_workgroup_processor_mode 1
		.amdhsa_memory_ordered 1
		.amdhsa_forward_progress 0
		.amdhsa_shared_vgpr_count 0
		.amdhsa_exception_fp_ieee_invalid_op 0
		.amdhsa_exception_fp_denorm_src 0
		.amdhsa_exception_fp_ieee_div_zero 0
		.amdhsa_exception_fp_ieee_overflow 0
		.amdhsa_exception_fp_ieee_underflow 0
		.amdhsa_exception_fp_ieee_inexact 0
		.amdhsa_exception_int_div_zero 0
	.end_amdhsa_kernel
	.section	.text._ZN2at6native12_GLOBAL__N_112gatherMedianIN3c108BFloat16EjLi1EEEvNS_4cuda6detail10TensorInfoIT_T0_EENS7_IlS9_EENS7_IKS8_S9_EES9_S9_S9_b,"axG",@progbits,_ZN2at6native12_GLOBAL__N_112gatherMedianIN3c108BFloat16EjLi1EEEvNS_4cuda6detail10TensorInfoIT_T0_EENS7_IlS9_EENS7_IKS8_S9_EES9_S9_S9_b,comdat
.Lfunc_end136:
	.size	_ZN2at6native12_GLOBAL__N_112gatherMedianIN3c108BFloat16EjLi1EEEvNS_4cuda6detail10TensorInfoIT_T0_EENS7_IlS9_EENS7_IKS8_S9_EES9_S9_S9_b, .Lfunc_end136-_ZN2at6native12_GLOBAL__N_112gatherMedianIN3c108BFloat16EjLi1EEEvNS_4cuda6detail10TensorInfoIT_T0_EENS7_IlS9_EENS7_IKS8_S9_EES9_S9_S9_b
                                        ; -- End function
	.section	.AMDGPU.csdata,"",@progbits
; Kernel info:
; codeLenInByte = 10780
; NumSgprs: 79
; NumVgprs: 35
; ScratchSize: 0
; MemoryBound: 0
; FloatMode: 240
; IeeeMode: 1
; LDSByteSize: 4120 bytes/workgroup (compile time only)
; SGPRBlocks: 9
; VGPRBlocks: 4
; NumSGPRsForWavesPerEU: 79
; NumVGPRsForWavesPerEU: 35
; Occupancy: 16
; WaveLimiterHint : 1
; COMPUTE_PGM_RSRC2:SCRATCH_EN: 0
; COMPUTE_PGM_RSRC2:USER_SGPR: 13
; COMPUTE_PGM_RSRC2:TRAP_HANDLER: 0
; COMPUTE_PGM_RSRC2:TGID_X_EN: 1
; COMPUTE_PGM_RSRC2:TGID_Y_EN: 1
; COMPUTE_PGM_RSRC2:TGID_Z_EN: 1
; COMPUTE_PGM_RSRC2:TIDIG_COMP_CNT: 0
	.section	.text._ZN2at6native12_GLOBAL__N_112gatherMedianIN3c108BFloat16EjLi2EEEvNS_4cuda6detail10TensorInfoIT_T0_EENS7_IlS9_EENS7_IKS8_S9_EES9_S9_S9_b,"axG",@progbits,_ZN2at6native12_GLOBAL__N_112gatherMedianIN3c108BFloat16EjLi2EEEvNS_4cuda6detail10TensorInfoIT_T0_EENS7_IlS9_EENS7_IKS8_S9_EES9_S9_S9_b,comdat
	.globl	_ZN2at6native12_GLOBAL__N_112gatherMedianIN3c108BFloat16EjLi2EEEvNS_4cuda6detail10TensorInfoIT_T0_EENS7_IlS9_EENS7_IKS8_S9_EES9_S9_S9_b ; -- Begin function _ZN2at6native12_GLOBAL__N_112gatherMedianIN3c108BFloat16EjLi2EEEvNS_4cuda6detail10TensorInfoIT_T0_EENS7_IlS9_EENS7_IKS8_S9_EES9_S9_S9_b
	.p2align	8
	.type	_ZN2at6native12_GLOBAL__N_112gatherMedianIN3c108BFloat16EjLi2EEEvNS_4cuda6detail10TensorInfoIT_T0_EENS7_IlS9_EENS7_IKS8_S9_EES9_S9_S9_b,@function
_ZN2at6native12_GLOBAL__N_112gatherMedianIN3c108BFloat16EjLi2EEEvNS_4cuda6detail10TensorInfoIT_T0_EENS7_IlS9_EENS7_IKS8_S9_EES9_S9_S9_b: ; @_ZN2at6native12_GLOBAL__N_112gatherMedianIN3c108BFloat16EjLi2EEEvNS_4cuda6detail10TensorInfoIT_T0_EENS7_IlS9_EENS7_IKS8_S9_EES9_S9_S9_b
; %bb.0:
	s_clause 0x1
	s_load_b64 s[6:7], s[0:1], 0x298
	s_load_b128 s[24:27], s[0:1], 0x288
	s_add_u32 s4, s0, 0x298
	s_addc_u32 s5, s1, 0
	s_waitcnt lgkmcnt(0)
	s_mul_i32 s2, s7, s15
	s_delay_alu instid0(SALU_CYCLE_1) | instskip(NEXT) | instid1(SALU_CYCLE_1)
	s_add_i32 s2, s2, s14
	s_mul_i32 s21, s2, s6
	s_delay_alu instid0(SALU_CYCLE_1) | instskip(NEXT) | instid1(SALU_CYCLE_1)
	s_add_i32 s21, s21, s13
	s_cmp_ge_u32 s21, s25
	s_cbranch_scc1 .LBB137_268
; %bb.1:
	s_clause 0x8
	s_load_b32 s40, s[0:1], 0xc
	s_load_b32 s2, s[0:1], 0x1bc
	;; [unrolled: 1-line block ×3, first 2 shown]
	s_load_b64 s[8:9], s[0:1], 0x1b0
	s_load_b64 s[10:11], s[0:1], 0x21c
	s_load_b64 s[28:29], s[0:1], 0x144
	s_load_b64 s[34:35], s[0:1], 0x0
	s_load_b64 s[22:23], s[0:1], 0xd8
	s_load_b64 s[30:31], s[0:1], 0x6c
	v_mul_lo_u32 v5, v0, s26
	s_waitcnt lgkmcnt(0)
	v_cvt_f32_u32_e32 v1, s40
	v_cvt_f32_u32_e32 v2, s2
	v_cvt_f32_u32_e32 v3, s25
	s_sub_i32 s16, 0, s2
	s_sub_i32 s3, 0, s40
	v_rcp_iflag_f32_e32 v1, v1
	v_rcp_iflag_f32_e32 v2, v2
	;; [unrolled: 1-line block ×3, first 2 shown]
	s_sub_i32 s15, 0, s25
	s_waitcnt_depctr 0xfff
	v_dual_mul_f32 v1, 0x4f7ffffe, v1 :: v_dual_mul_f32 v2, 0x4f7ffffe, v2
	v_mul_f32_e32 v3, 0x4f7ffffe, v3
	s_delay_alu instid0(VALU_DEP_2) | instskip(NEXT) | instid1(VALU_DEP_3)
	v_cvt_u32_f32_e32 v1, v1
	v_cvt_u32_f32_e32 v2, v2
	s_delay_alu instid0(VALU_DEP_3) | instskip(NEXT) | instid1(VALU_DEP_3)
	v_cvt_u32_f32_e32 v3, v3
	v_readfirstlane_b32 s7, v1
	s_delay_alu instid0(VALU_DEP_3) | instskip(NEXT) | instid1(VALU_DEP_3)
	v_readfirstlane_b32 s12, v2
	v_readfirstlane_b32 s14, v3
	v_mov_b32_e32 v3, 0
	s_delay_alu instid0(VALU_DEP_4) | instskip(NEXT) | instid1(VALU_DEP_3)
	s_mul_i32 s3, s3, s7
	s_mul_i32 s16, s16, s12
	s_mul_hi_u32 s3, s7, s3
	s_mul_hi_u32 s16, s12, s16
	s_mul_i32 s15, s15, s14
	s_add_i32 s12, s12, s16
	s_add_i32 s7, s7, s3
	s_mul_hi_u32 s12, s21, s12
	s_mul_hi_u32 s15, s14, s15
	s_mul_i32 s3, s12, s2
	s_add_i32 s14, s14, s15
	s_sub_i32 s3, s21, s3
	s_add_i32 s15, s12, 1
	s_sub_i32 s16, s3, s2
	s_cmp_ge_u32 s3, s2
	s_mul_hi_u32 s41, s21, s7
	s_cselect_b32 s0, s15, s12
	s_cselect_b32 s1, s16, s3
	s_add_i32 s3, s0, 1
	s_cmp_ge_u32 s1, s2
	s_mul_hi_u32 s33, s21, s14
	s_cselect_b32 s1, s3, s0
	s_mov_b32 s3, 0
	s_mul_i32 s2, s1, s2
	s_mul_i32 s1, s1, s10
	s_sub_i32 s2, s21, s2
	v_cmp_gt_u32_e64 s0, s24, v0
	s_mul_i32 s2, s2, s11
	s_delay_alu instid0(SALU_CYCLE_1) | instskip(NEXT) | instid1(SALU_CYCLE_1)
	s_add_i32 s2, s1, s2
	s_lshl_b64 s[10:11], s[2:3], 1
	s_delay_alu instid0(SALU_CYCLE_1)
	s_add_u32 s38, s8, s10
	s_addc_u32 s39, s9, s11
	s_and_saveexec_b32 s2, s0
	s_cbranch_execz .LBB137_5
; %bb.2:
	s_load_b32 s1, s[4:5], 0xc
	v_mul_lo_u32 v1, v0, s26
	v_dual_mov_b32 v3, 0 :: v_dual_mov_b32 v2, 0
	v_mov_b32_e32 v4, v0
	s_waitcnt lgkmcnt(0)
	s_and_b32 s7, s1, 0xffff
	s_delay_alu instid0(SALU_CYCLE_1)
	s_mul_i32 s8, s26, s7
	.p2align	6
.LBB137_3:                              ; =>This Inner Loop Header: Depth=1
	s_delay_alu instid0(VALU_DEP_3) | instskip(SKIP_2) | instid1(VALU_DEP_3)
	v_lshlrev_b64 v[6:7], 1, v[1:2]
	v_add_nc_u32_e32 v4, s7, v4
	v_add_nc_u32_e32 v1, s8, v1
	v_add_co_u32 v6, vcc_lo, s38, v6
	s_delay_alu instid0(VALU_DEP_4) | instskip(NEXT) | instid1(VALU_DEP_4)
	v_add_co_ci_u32_e32 v7, vcc_lo, s39, v7, vcc_lo
	v_cmp_le_u32_e32 vcc_lo, s24, v4
	global_load_u16 v6, v[6:7], off
	s_or_b32 s3, vcc_lo, s3
	s_waitcnt vmcnt(0)
	v_lshlrev_b32_e32 v6, 16, v6
	s_delay_alu instid0(VALU_DEP_1) | instskip(NEXT) | instid1(VALU_DEP_1)
	v_cmp_u_f32_e64 s1, v6, v6
	v_add_co_ci_u32_e64 v3, s1, 0, v3, s1
	s_and_not1_b32 exec_lo, exec_lo, s3
	s_cbranch_execnz .LBB137_3
; %bb.4:
	s_or_b32 exec_lo, exec_lo, s3
.LBB137_5:
	s_delay_alu instid0(SALU_CYCLE_1) | instskip(SKIP_1) | instid1(VALU_DEP_1)
	s_or_b32 exec_lo, exec_lo, s2
	v_cmp_eq_u32_e64 s1, 0, v0
	s_and_saveexec_b32 s2, s1
	s_cbranch_execz .LBB137_7
; %bb.6:
	v_mov_b32_e32 v1, 0
	s_delay_alu instid0(VALU_DEP_1)
	v_mov_b32_e32 v2, v1
	ds_store_b64 v1, v[1:2] offset:4096
.LBB137_7:
	s_or_b32 exec_lo, exec_lo, s2
	s_delay_alu instid0(SALU_CYCLE_1)
	s_mov_b32 s7, exec_lo
	s_waitcnt lgkmcnt(0)
	s_barrier
	buffer_gl0_inv
	v_cmpx_ne_u32_e32 0, v3
	s_cbranch_execz .LBB137_12
; %bb.8:
	v_mov_b32_e32 v1, 0
	s_mov_b32 s8, exec_lo
	s_mov_b64 s[2:3], 0
.LBB137_9:                              ; =>This Inner Loop Header: Depth=1
	s_ctz_i32_b32 s9, s8
	s_delay_alu instid0(SALU_CYCLE_1) | instskip(SKIP_1) | instid1(VALU_DEP_2)
	v_readlane_b32 s10, v3, s9
	v_readlane_b32 s11, v1, s9
	s_add_u32 s2, s2, s10
	s_delay_alu instid0(VALU_DEP_1) | instskip(SKIP_1) | instid1(SALU_CYCLE_1)
	s_addc_u32 s3, s3, s11
	s_lshl_b32 s9, 1, s9
	s_and_not1_b32 s8, s8, s9
	s_delay_alu instid0(SALU_CYCLE_1)
	s_cmp_lg_u32 s8, 0
	s_cbranch_scc1 .LBB137_9
; %bb.10:
	v_mbcnt_lo_u32_b32 v1, exec_lo, 0
	s_mov_b32 s8, exec_lo
	s_delay_alu instid0(VALU_DEP_1)
	v_cmpx_eq_u32_e32 0, v1
	s_xor_b32 s8, exec_lo, s8
	s_cbranch_execz .LBB137_12
; %bb.11:
	v_mov_b32_e32 v1, s2
	v_dual_mov_b32 v3, 0 :: v_dual_mov_b32 v2, s3
	ds_add_u64 v3, v[1:2] offset:4096
.LBB137_12:
	s_or_b32 exec_lo, exec_lo, s7
	v_mov_b32_e32 v1, 0
	s_waitcnt lgkmcnt(0)
	s_barrier
	buffer_gl0_inv
	s_bitcmp1_b32 s27, 0
	ds_load_b64 v[1:2], v1 offset:4096
	s_cselect_b32 s2, -1, 0
	s_mov_b32 s71, s24
	s_waitcnt lgkmcnt(0)
	v_cmp_gt_i64_e32 vcc_lo, 1, v[1:2]
	s_or_b32 s2, s2, vcc_lo
	s_delay_alu instid0(SALU_CYCLE_1)
	s_and_not1_b32 vcc_lo, exec_lo, s2
	s_cbranch_vccnz .LBB137_14
; %bb.13:
	v_not_b32_e32 v1, v1
	v_not_b32_e32 v2, v2
	s_delay_alu instid0(VALU_DEP_2) | instskip(NEXT) | instid1(VALU_DEP_2)
	v_add_co_u32 v1, vcc_lo, v1, s24
	v_add_co_ci_u32_e32 v2, vcc_lo, 0, v2, vcc_lo
	s_delay_alu instid0(VALU_DEP_1) | instskip(NEXT) | instid1(VALU_DEP_1)
	v_lshrrev_b32_e32 v3, 31, v2
	v_add_co_u32 v1, vcc_lo, v1, v3
	v_add_co_ci_u32_e32 v2, vcc_lo, 0, v2, vcc_lo
	s_delay_alu instid0(VALU_DEP_1) | instskip(NEXT) | instid1(VALU_DEP_1)
	v_alignbit_b32 v1, v2, v1, 1
	v_readfirstlane_b32 s2, v1
	s_delay_alu instid0(VALU_DEP_1)
	s_add_i32 s71, s2, 1
.LBB137_14:
	s_and_saveexec_b32 s2, s1
	s_cbranch_execz .LBB137_16
; %bb.15:
	v_dual_mov_b32 v1, 0 :: v_dual_mov_b32 v2, s24
	ds_store_b32 v1, v1 offset:4112
	ds_store_b64 v1, v[1:2] offset:4104
.LBB137_16:
	s_or_b32 exec_lo, exec_lo, s2
	s_waitcnt lgkmcnt(0)
	s_barrier
	buffer_gl0_inv
	s_load_b32 s7, s[4:5], 0xc
	v_mbcnt_lo_u32_b32 v13, -1, 0
	v_cmp_gt_u32_e32 vcc_lo, 32, v0
	v_lshrrev_b32_e32 v1, 3, v0
	v_dual_mov_b32 v7, 0 :: v_dual_lshlrev_b32 v14, 2, v0
	s_delay_alu instid0(VALU_DEP_4) | instskip(SKIP_1) | instid1(VALU_DEP_4)
	v_cmp_gt_i32_e64 s3, 4, v13
	v_lshlrev_b32_e32 v15, 1, v0
	v_and_b32_e32 v17, 0x7c, v1
	s_delay_alu instid0(VALU_DEP_4)
	v_or_b32_e32 v4, 2, v14
	v_mov_b32_e32 v6, v7
	s_and_b32 s45, vcc_lo, s3
	v_or_b32_e32 v21, 3, v14
	v_cmp_gt_u32_e64 s2, 2, v0
	v_mul_lo_u32 v20, s26, v4
	v_cmp_eq_u32_e64 s3, 0, v13
	v_dual_mov_b32 v27, 0 :: v_dual_add_nc_u32 v16, 0xc00, v15
	v_mul_lo_u32 v21, s26, v21
	v_lshlrev_b32_e32 v22, 2, v5
	s_waitcnt lgkmcnt(0)
	s_and_b32 s27, s7, 0xffff
	s_bfe_u32 s7, s7, 0xb0005
	s_lshl_b32 s44, s27, 2
	s_add_i32 s46, s27, -1
	v_cvt_f32_u32_e32 v2, s44
	s_add_i32 s8, s46, s24
	s_cmpk_gt_u32 s24, 0x600
	v_cvt_f32_u32_e32 v3, s27
	s_cselect_b32 s47, -1, 0
	v_rcp_iflag_f32_e32 v2, v2
	s_cmp_gt_u32 s27, 31
	v_mad_u64_u32 v[8:9], null, s26, v14, s[26:27]
	s_cselect_b32 s48, -1, 0
	s_cmp_lt_u32 s13, s6
	v_rcp_iflag_f32_e32 v3, v3
	s_cselect_b32 s6, 12, 18
	v_lshlrev_b32_e32 v24, 3, v0
	s_add_u32 s36, s4, s6
	s_waitcnt_depctr 0xfff
	v_mul_f32_e32 v2, 0x4f7ffffe, v2
	s_addc_u32 s37, s5, 0
	s_add_i32 s4, s7, -1
	s_bfe_u32 s49, s27, 0x30005
	s_cmp_gt_u32 s4, 6
	v_cvt_u32_f32_e32 v2, v2
	s_cselect_b32 s50, -1, 0
	s_and_b32 s51, s7, 0x7f8
	s_cmp_lg_u32 s49, 0
	v_lshl_or_b32 v25, v13, 2, 0xc00
	v_readfirstlane_b32 s4, v2
	s_cselect_b32 s52, -1, 0
	s_sub_i32 s5, 0, s44
	v_lshlrev_b64 v[1:2], v13, -1
	v_mul_f32_e32 v2, 0x4f7ffffe, v3
	s_mul_i32 s5, s5, s4
	v_mov_b32_e32 v26, 0x8000
	s_mul_hi_u32 s5, s4, s5
	s_mul_i32 s43, s26, s27
	s_add_i32 s53, s4, s5
	v_cvt_u32_f32_e32 v9, v2
	s_mul_hi_u32 s4, s24, s53
	v_lshlrev_b64 v[2:3], 1, v[5:6]
	s_mul_i32 s4, s4, s44
	v_not_b32_e32 v18, v1
	s_sub_i32 s4, s24, s4
	v_add3_u32 v1, s27, s24, v0
	s_sub_i32 s5, s4, s44
	s_cmp_ge_u32 s4, s44
	s_mov_b32 s42, 0
	s_cselect_b32 s4, s5, s4
	v_readfirstlane_b32 s5, v9
	s_sub_i32 s6, s4, s44
	s_cmp_ge_u32 s4, s44
	v_add_co_u32 v9, vcc_lo, s38, v2
	s_cselect_b32 s4, s6, s4
	s_sub_i32 s6, 0, s27
	s_sub_i32 s54, s24, s4
	s_mul_i32 s6, s6, s5
	v_add_nc_u32_e32 v19, s54, v0
	s_mul_hi_u32 s6, s5, s6
	v_add_co_ci_u32_e32 v10, vcc_lo, s39, v3, vcc_lo
	s_add_i32 s55, s5, s6
	s_delay_alu instid0(VALU_DEP_2)
	v_mul_lo_u32 v6, v19, s26
	s_mul_hi_u32 s5, s8, s55
	v_subrev_nc_u32_e32 v3, s4, v1
	s_mul_i32 s5, s5, s27
	v_cmp_gt_u32_e64 s4, s54, v14
	s_sub_i32 s5, s8, s5
	s_mov_b32 s64, 14
	s_sub_i32 s6, s5, s27
	s_cmp_ge_u32 s5, s27
	v_lshlrev_b64 v[1:2], 1, v[6:7]
	s_cselect_b32 s6, s6, s5
	v_mul_lo_u32 v23, s26, v3
	s_sub_i32 s7, s6, s27
	s_cmp_ge_u32 s6, s27
	v_cmp_gt_u32_e64 s5, s24, v19
	s_cselect_b32 s6, s7, s6
	v_add_co_u32 v11, vcc_lo, s38, v1
	s_sub_i32 s57, s8, s6
	v_add_co_ci_u32_e32 v12, vcc_lo, s39, v2, vcc_lo
	v_cmp_gt_u32_e64 s6, s57, v0
	s_lshl_b32 s56, s43, 2
	s_lshl_b32 s58, s27, 3
	;; [unrolled: 1-line block ×3, first 2 shown]
	s_movk_i32 s60, 0x3f80
	s_mov_b32 s67, 0
	s_mov_b32 s69, 0
	;; [unrolled: 1-line block ×3, first 2 shown]
                                        ; implicit-def: $sgpr61
                                        ; implicit-def: $sgpr63
                                        ; implicit-def: $sgpr62
                                        ; implicit-def: $sgpr66
                                        ; implicit-def: $sgpr68
                                        ; implicit-def: $sgpr65
	s_branch .LBB137_21
.LBB137_17:                             ;   in Loop: Header=BB137_21 Depth=1
	s_xor_b32 s67, s67, 1
	s_add_i32 s11, s64, -2
	s_cmp_eq_u32 s64, 0
	s_mov_b32 s7, 0
	s_cselect_b32 s9, -1, 0
	s_mov_b32 s64, s11
.LBB137_18:                             ;   in Loop: Header=BB137_21 Depth=1
	s_and_not1_b32 s11, s13, exec_lo
	s_and_b32 s7, s7, exec_lo
	s_and_not1_b32 s15, s15, exec_lo
	s_or_b32 s13, s11, s7
	s_and_not1_b32 s12, s12, exec_lo
	s_or_not1_b32 s11, s9, exec_lo
	s_mov_b32 s71, s20
.LBB137_19:                             ;   in Loop: Header=BB137_21 Depth=1
	s_or_b32 exec_lo, exec_lo, s8
	s_delay_alu instid0(SALU_CYCLE_1)
	s_and_not1_b32 s7, s65, exec_lo
	s_and_b32 s8, s13, exec_lo
	s_and_not1_b32 s9, s66, exec_lo
	s_or_b32 s65, s7, s8
	s_and_not1_b32 s7, s68, exec_lo
	s_and_b32 s8, s15, exec_lo
	s_and_b32 s12, s12, exec_lo
	s_or_b32 s68, s7, s8
	s_or_b32 s66, s9, s12
	s_or_not1_b32 s12, s11, exec_lo
.LBB137_20:                             ;   in Loop: Header=BB137_21 Depth=1
	s_or_b32 exec_lo, exec_lo, s10
	s_delay_alu instid0(SALU_CYCLE_1)
	s_and_b32 s7, exec_lo, s12
	v_mov_b32_e32 v1, s69
	s_or_b32 s42, s7, s42
	s_and_not1_b32 s7, s62, exec_lo
	s_and_b32 s8, s65, exec_lo
	s_and_not1_b32 s9, s61, exec_lo
	s_or_b32 s62, s7, s8
	s_and_not1_b32 s7, s63, exec_lo
	s_and_b32 s8, s68, exec_lo
	s_and_b32 s10, s66, exec_lo
	s_or_b32 s63, s7, s8
	s_or_b32 s61, s9, s10
	s_and_not1_b32 exec_lo, exec_lo, s42
	s_cbranch_execz .LBB137_251
.LBB137_21:                             ; =>This Loop Header: Depth=1
                                        ;     Child Loop BB137_26 Depth 2
                                        ;     Child Loop BB137_41 Depth 2
	;; [unrolled: 1-line block ×16, first 2 shown]
	ds_load_b64 v[1:2], v7 offset:4104
	s_waitcnt lgkmcnt(0)
	v_readfirstlane_b32 s72, v1
	s_delay_alu instid0(VALU_DEP_1)
	s_cmp_lg_u32 s72, 0
	s_cbranch_scc1 .LBB137_48
; %bb.22:                               ;   in Loop: Header=BB137_21 Depth=1
	s_and_b32 vcc_lo, exec_lo, s47
	s_cbranch_vccz .LBB137_34
; %bb.23:                               ;   in Loop: Header=BB137_21 Depth=1
	v_cmp_gt_u32_e32 vcc_lo, 0x601, v2
	s_mov_b32 s72, 0
	s_mov_b32 s7, 0
	s_cbranch_vccz .LBB137_35
; %bb.24:                               ;   in Loop: Header=BB137_21 Depth=1
	global_load_u16 v1, v7, s[36:37]
	global_load_u16 v4, v[9:10], off
	v_mov_b32_e32 v3, v0
	s_mov_b32 s9, 0
	s_waitcnt vmcnt(1)
	v_add_nc_u32_e32 v2, v0, v1
	s_delay_alu instid0(VALU_DEP_1)
	v_mul_lo_u32 v6, s26, v2
	v_mul_lo_u32 v2, s26, v1
	s_branch .LBB137_26
.LBB137_25:                             ;   in Loop: Header=BB137_26 Depth=2
	s_or_b32 exec_lo, exec_lo, s8
	v_add_nc_u32_e32 v6, v6, v2
	v_mov_b32_e32 v4, v28
	s_and_not1_b32 exec_lo, exec_lo, s9
	s_cbranch_execz .LBB137_136
.LBB137_26:                             ;   Parent Loop BB137_21 Depth=1
                                        ; =>  This Inner Loop Header: Depth=2
	v_dual_mov_b32 v28, 0 :: v_dual_add_nc_u32 v3, v3, v1
	s_waitcnt lgkmcnt(0)
	v_mov_b32_e32 v29, 0
	s_mov_b32 s8, exec_lo
	s_delay_alu instid0(VALU_DEP_2)
	v_cmp_le_u32_e32 vcc_lo, s24, v3
	v_cmpx_gt_u32_e64 s24, v3
	s_cbranch_execz .LBB137_28
; %bb.27:                               ;   in Loop: Header=BB137_26 Depth=2
	v_lshlrev_b64 v[30:31], 1, v[6:7]
	s_delay_alu instid0(VALU_DEP_1) | instskip(NEXT) | instid1(VALU_DEP_1)
	v_add_co_u32 v30, s7, s38, v30
	v_add_co_ci_u32_e64 v31, s7, s39, v31, s7
	global_load_u16 v28, v[30:31], off
.LBB137_28:                             ;   in Loop: Header=BB137_26 Depth=2
	s_or_b32 exec_lo, exec_lo, s8
	s_waitcnt vmcnt(0)
	v_cmp_lt_i16_e64 s7, -1, v4
	v_and_b32_e32 v30, 0xffff, v4
	v_lshlrev_b32_e32 v32, 16, v4
	s_delay_alu instid0(VALU_DEP_3) | instskip(NEXT) | instid1(VALU_DEP_2)
	v_cndmask_b32_e64 v31, 0xffff, v26, s7
	v_cmp_o_f32_e64 s7, v32, v32
	s_delay_alu instid0(VALU_DEP_2) | instskip(NEXT) | instid1(VALU_DEP_1)
	v_xor_b32_e32 v30, v31, v30
	v_cndmask_b32_e64 v30, 0xffff, v30, s7
	s_delay_alu instid0(VALU_DEP_1) | instskip(NEXT) | instid1(VALU_DEP_1)
	v_and_b32_e32 v30, s70, v30
	v_cmp_eq_u32_e64 s7, s69, v30
	s_delay_alu instid0(VALU_DEP_1) | instskip(SKIP_1) | instid1(SALU_CYCLE_1)
	s_cmp_lg_u32 s7, 0
	s_cselect_b32 s8, -1, 0
	s_and_b32 s8, s3, s8
	s_delay_alu instid0(SALU_CYCLE_1)
	s_and_saveexec_b32 s10, s8
	s_cbranch_execz .LBB137_32
; %bb.29:                               ;   in Loop: Header=BB137_26 Depth=2
	s_mov_b32 s13, exec_lo
	s_bcnt1_i32_b32 s11, s7
	v_mbcnt_lo_u32_b32 v29, s13, 0
	s_mov_b32 s12, exec_lo
                                        ; implicit-def: $vgpr30
	s_delay_alu instid0(VALU_DEP_1)
	v_cmpx_eq_u32_e32 0, v29
	s_cbranch_execz .LBB137_31
; %bb.30:                               ;   in Loop: Header=BB137_26 Depth=2
	s_bcnt1_i32_b32 s8, s13
	s_delay_alu instid0(SALU_CYCLE_1) | instskip(NEXT) | instid1(SALU_CYCLE_1)
	s_mul_i32 s8, s11, s8
	v_mov_b32_e32 v30, s8
	ds_add_rtn_u32 v30, v7, v30 offset:4112
.LBB137_31:                             ;   in Loop: Header=BB137_26 Depth=2
	s_or_b32 exec_lo, exec_lo, s12
	s_waitcnt lgkmcnt(0)
	v_readfirstlane_b32 s8, v30
	s_delay_alu instid0(VALU_DEP_1)
	v_mad_u32_u24 v29, s11, v29, s8
.LBB137_32:                             ;   in Loop: Header=BB137_26 Depth=2
	s_or_b32 exec_lo, exec_lo, s10
	ds_bpermute_b32 v29, v7, v29
	s_and_b32 s8, exec_lo, vcc_lo
	s_delay_alu instid0(SALU_CYCLE_1)
	s_or_b32 s9, s8, s9
	s_and_saveexec_b32 s8, s7
	s_cbranch_execz .LBB137_25
; %bb.33:                               ;   in Loop: Header=BB137_26 Depth=2
	v_and_b32_e32 v30, s7, v18
	s_delay_alu instid0(VALU_DEP_1) | instskip(NEXT) | instid1(VALU_DEP_1)
	v_bcnt_u32_b32 v30, v30, 0
	v_lshlrev_b32_e32 v30, 1, v30
	s_waitcnt lgkmcnt(0)
	s_delay_alu instid0(VALU_DEP_1)
	v_lshl_add_u32 v29, v29, 1, v30
	ds_store_b16 v29, v4
	s_branch .LBB137_25
.LBB137_34:                             ;   in Loop: Header=BB137_21 Depth=1
	s_mov_b32 s72, -1
	s_mov_b32 s7, 0
.LBB137_35:                             ;   in Loop: Header=BB137_21 Depth=1
	s_and_b32 vcc_lo, exec_lo, s72
	s_cbranch_vccz .LBB137_46
.LBB137_36:                             ;   in Loop: Header=BB137_21 Depth=1
	v_mov_b32_e32 v1, 0
	s_and_saveexec_b32 s7, s0
	s_cbranch_execz .LBB137_38
; %bb.37:                               ;   in Loop: Header=BB137_21 Depth=1
	global_load_u16 v1, v[9:10], off
.LBB137_38:                             ;   in Loop: Header=BB137_21 Depth=1
	s_or_b32 exec_lo, exec_lo, s7
	s_and_saveexec_b32 s8, s0
	s_cbranch_execz .LBB137_43
; %bb.39:                               ;   in Loop: Header=BB137_21 Depth=1
	global_load_u16 v2, v7, s[36:37]
	s_mov_b32 s9, 0
	v_dual_mov_b32 v28, v15 :: v_dual_mov_b32 v29, v0
	s_waitcnt vmcnt(0)
	v_add_nc_u32_e32 v3, v0, v2
	v_lshlrev_b32_e32 v4, 1, v2
	s_delay_alu instid0(VALU_DEP_2)
	v_mul_lo_u32 v6, s26, v3
	v_mul_lo_u32 v3, s26, v2
	s_set_inst_prefetch_distance 0x1
	s_branch .LBB137_41
	.p2align	6
.LBB137_40:                             ;   in Loop: Header=BB137_41 Depth=2
	s_or_b32 exec_lo, exec_lo, s10
	ds_store_b16 v28, v1
	s_waitcnt vmcnt(0)
	v_dual_mov_b32 v1, v30 :: v_dual_add_nc_u32 v28, v28, v4
	v_add_nc_u32_e32 v6, v6, v3
	s_and_b32 s7, exec_lo, vcc_lo
	s_delay_alu instid0(SALU_CYCLE_1) | instskip(NEXT) | instid1(SALU_CYCLE_1)
	s_or_b32 s9, s7, s9
	s_and_not1_b32 exec_lo, exec_lo, s9
	s_cbranch_execz .LBB137_43
.LBB137_41:                             ;   Parent Loop BB137_21 Depth=1
                                        ; =>  This Inner Loop Header: Depth=2
	v_dual_mov_b32 v30, 0 :: v_dual_add_nc_u32 v29, v29, v2
	s_mov_b32 s10, exec_lo
	s_delay_alu instid0(VALU_DEP_1)
	v_cmp_le_u32_e32 vcc_lo, s24, v29
	v_cmpx_gt_u32_e64 s24, v29
	s_cbranch_execz .LBB137_40
; %bb.42:                               ;   in Loop: Header=BB137_41 Depth=2
	v_lshlrev_b64 v[30:31], 1, v[6:7]
	s_delay_alu instid0(VALU_DEP_1) | instskip(NEXT) | instid1(VALU_DEP_1)
	v_add_co_u32 v30, s7, s38, v30
	v_add_co_ci_u32_e64 v31, s7, s39, v31, s7
	global_load_u16 v30, v[30:31], off
	s_branch .LBB137_40
.LBB137_43:                             ;   in Loop: Header=BB137_21 Depth=1
	s_set_inst_prefetch_distance 0x2
	s_or_b32 exec_lo, exec_lo, s8
	s_waitcnt vmcnt(0) lgkmcnt(0)
	s_barrier
	buffer_gl0_inv
	s_and_saveexec_b32 s7, s1
	s_cbranch_execz .LBB137_45
; %bb.44:                               ;   in Loop: Header=BB137_21 Depth=1
	v_mov_b32_e32 v1, s24
	ds_store_b32 v7, v1 offset:4104
.LBB137_45:                             ;   in Loop: Header=BB137_21 Depth=1
	s_or_b32 exec_lo, exec_lo, s7
	s_mov_b32 s7, -1
	s_waitcnt lgkmcnt(0)
	s_barrier
                                        ; implicit-def: $sgpr72
.LBB137_46:                             ;   in Loop: Header=BB137_21 Depth=1
	s_and_b32 vcc_lo, exec_lo, s7
	s_cbranch_vccz .LBB137_48
; %bb.47:                               ;   in Loop: Header=BB137_21 Depth=1
	buffer_gl0_inv
	ds_load_b32 v1, v7 offset:4104
	s_waitcnt lgkmcnt(0)
	v_readfirstlane_b32 s72, v1
.LBB137_48:                             ;   in Loop: Header=BB137_21 Depth=1
	s_delay_alu instid0(VALU_DEP_1)
	s_cmp_lt_i32 s72, 1
	s_cbranch_scc0 .LBB137_52
; %bb.49:                               ;   in Loop: Header=BB137_21 Depth=1
	v_dual_mov_b32 v1, 0 :: v_dual_mov_b32 v2, 0
	v_dual_mov_b32 v3, 0 :: v_dual_mov_b32 v4, 0
	s_mov_b32 s19, 0
	s_and_saveexec_b32 s18, s4
	s_cbranch_execnz .LBB137_53
; %bb.50:                               ;   in Loop: Header=BB137_21 Depth=1
	s_or_b32 exec_lo, exec_lo, s18
	v_mov_b32_e32 v29, 0
	s_and_saveexec_b32 s7, s5
	s_cbranch_execnz .LBB137_56
.LBB137_51:                             ;   in Loop: Header=BB137_21 Depth=1
	s_or_b32 exec_lo, exec_lo, s7
	s_and_saveexec_b32 s11, s5
	s_cbranch_execnz .LBB137_57
	s_branch .LBB137_62
.LBB137_52:                             ;   in Loop: Header=BB137_21 Depth=1
                                        ; implicit-def: $vgpr4
	s_cbranch_execnz .LBB137_63
	s_branch .LBB137_72
.LBB137_53:                             ;   in Loop: Header=BB137_21 Depth=1
	v_mov_b32_e32 v28, v14
	s_and_b32 s20, s64, 0xfe
	s_mov_b32 s73, 0
	s_mov_b32 s74, 0
	;; [unrolled: 1-line block ×5, first 2 shown]
.LBB137_54:                             ;   Parent Loop BB137_21 Depth=1
                                        ; =>  This Inner Loop Header: Depth=2
	v_add_nc_u32_e32 v6, s73, v22
	v_add_nc_u32_e32 v28, s44, v28
	s_delay_alu instid0(VALU_DEP_2) | instskip(SKIP_1) | instid1(VALU_DEP_1)
	v_lshlrev_b64 v[1:2], 1, v[6:7]
	v_add_nc_u32_e32 v6, s73, v8
	v_lshlrev_b64 v[3:4], 1, v[6:7]
	s_delay_alu instid0(VALU_DEP_3) | instskip(SKIP_2) | instid1(VALU_DEP_4)
	v_add_co_u32 v1, vcc_lo, s38, v1
	v_add_nc_u32_e32 v6, s73, v20
	v_add_co_ci_u32_e32 v2, vcc_lo, s39, v2, vcc_lo
	v_add_co_u32 v3, vcc_lo, s38, v3
	s_delay_alu instid0(VALU_DEP_3)
	v_lshlrev_b64 v[29:30], 1, v[6:7]
	v_add_nc_u32_e32 v6, s73, v21
	v_add_co_ci_u32_e32 v4, vcc_lo, s39, v4, vcc_lo
	global_load_u16 v31, v[1:2], off
	s_add_i32 s73, s73, s56
	v_lshlrev_b64 v[1:2], 1, v[6:7]
	global_load_u16 v6, v[3:4], off
	v_add_co_u32 v3, vcc_lo, s38, v29
	v_add_co_ci_u32_e32 v4, vcc_lo, s39, v30, vcc_lo
	v_add_co_u32 v1, vcc_lo, s38, v1
	v_add_co_ci_u32_e32 v2, vcc_lo, s39, v2, vcc_lo
	global_load_u16 v3, v[3:4], off
	v_cmp_le_u32_e32 vcc_lo, s54, v28
	global_load_u16 v1, v[1:2], off
	s_waitcnt vmcnt(3)
	v_cmp_lt_i16_e64 s7, -1, v31
	v_and_b32_e32 v2, 0xffff, v31
	v_lshlrev_b32_e32 v29, 16, v31
	s_waitcnt vmcnt(2)
	v_and_b32_e32 v30, 0xffff, v6
	v_cndmask_b32_e64 v4, 0xffff, v26, s7
	v_cmp_lt_i16_e64 s7, -1, v6
	s_delay_alu instid0(VALU_DEP_2) | instskip(NEXT) | instid1(VALU_DEP_2)
	v_xor_b32_e32 v2, v4, v2
	v_cndmask_b32_e64 v31, 0xffff, v26, s7
	v_cmp_o_f32_e64 s7, v29, v29
	v_lshlrev_b32_e32 v4, 16, v6
	s_waitcnt vmcnt(1)
	v_cmp_lt_i16_e64 s8, -1, v3
	v_and_b32_e32 v29, 0xffff, v3
	v_xor_b32_e32 v6, v31, v30
	v_cndmask_b32_e64 v2, 0xffff, v2, s7
	v_cmp_o_f32_e64 s7, v4, v4
	v_cndmask_b32_e64 v30, 0xffff, v26, s8
	v_lshlrev_b32_e32 v3, 16, v3
	s_delay_alu instid0(VALU_DEP_4) | instskip(NEXT) | instid1(VALU_DEP_4)
	v_and_b32_e32 v31, s70, v2
	v_cndmask_b32_e64 v4, 0xffff, v6, s7
	s_waitcnt vmcnt(0)
	v_cmp_lt_i16_e64 s7, -1, v1
	v_xor_b32_e32 v6, v30, v29
	v_bfe_u32 v2, v2, s20, 2
	v_and_b32_e32 v29, 0xffff, v1
	v_lshlrev_b32_e32 v1, 16, v1
	v_cndmask_b32_e64 v30, 0xffff, v26, s7
	v_cmp_o_f32_e64 s7, v3, v3
	v_cmp_eq_u32_e64 s8, 0, v2
	v_cmp_eq_u32_e64 s9, 1, v2
	v_cmp_o_f32_e64 s12, v1, v1
	v_cmp_eq_u32_e64 s10, 2, v2
	v_cndmask_b32_e64 v3, 0xffff, v6, s7
	v_cmp_eq_u32_e64 s7, s69, v31
	v_xor_b32_e32 v6, v30, v29
	v_and_b32_e32 v29, s70, v4
	v_bfe_u32 v4, v4, s20, 2
	v_cmp_eq_u32_e64 s11, 3, v2
	s_and_b32 s8, s7, s8
	v_cndmask_b32_e64 v1, 0xffff, v6, s12
	v_cmp_eq_u32_e64 s12, s69, v29
	v_cmp_eq_u32_e64 s13, 0, v4
	v_cndmask_b32_e64 v6, 0, 1, s8
	v_cmp_eq_u32_e64 s8, 1, v4
	s_and_b32 s9, s7, s9
	v_and_b32_e32 v2, s70, v3
	v_bfe_u32 v3, v3, s20, 2
	v_cndmask_b32_e64 v29, 0, 1, s9
	v_cmp_eq_u32_e64 s9, 2, v4
	s_and_b32 s10, s7, s10
	s_and_b32 s7, s7, s11
	v_cndmask_b32_e64 v30, 0, 1, s10
	s_and_b32 s13, s12, s13
	s_and_b32 s8, s12, s8
	v_cmp_eq_u32_e64 s10, 3, v4
	v_cndmask_b32_e64 v4, 0, 1, s7
	v_cmp_eq_u32_e64 s7, s69, v2
	v_cmp_eq_u32_e64 s11, 0, v3
	v_cmp_ne_u32_e64 s14, 0, v6
	v_cndmask_b32_e64 v6, 0, 1, s13
	v_cmp_eq_u32_e64 s13, 1, v3
	v_cmp_ne_u32_e64 s15, 0, v29
	v_cndmask_b32_e64 v29, 0, 1, s8
	v_cmp_eq_u32_e64 s8, 2, v3
	s_and_b32 s9, s12, s9
	v_and_b32_e32 v2, s70, v1
	v_bfe_u32 v1, v1, s20, 2
	v_cmp_ne_u32_e64 s16, 0, v30
	v_cndmask_b32_e64 v30, 0, 1, s9
	v_cmp_eq_u32_e64 s9, 3, v3
	s_and_b32 s10, s12, s10
	s_and_b32 s11, s7, s11
	s_and_b32 s13, s7, s13
	s_and_b32 s8, s7, s8
	v_cmp_ne_u32_e64 s17, 0, v4
	v_cndmask_b32_e64 v3, 0, 1, s10
	v_cmp_eq_u32_e64 s10, s69, v2
	v_cmp_eq_u32_e64 s12, 0, v1
	s_bcnt1_i32_b32 s78, s14
	v_cmp_ne_u32_e64 s14, 0, v6
	v_cndmask_b32_e64 v2, 0, 1, s11
	v_cmp_eq_u32_e64 s11, 1, v1
	v_cndmask_b32_e64 v4, 0, 1, s13
	v_cmp_eq_u32_e64 s13, 2, v1
	;; [unrolled: 2-line block ×3, first 2 shown]
	s_and_b32 s7, s7, s9
	s_bcnt1_i32_b32 s81, s17
	v_cndmask_b32_e64 v1, 0, 1, s7
	v_cmp_ne_u32_e64 s17, 0, v3
	s_and_b32 s9, s10, s12
	s_and_b32 s11, s10, s11
	;; [unrolled: 1-line block ×4, first 2 shown]
	v_cmp_ne_u32_e64 s7, 0, v2
	v_cndmask_b32_e64 v2, 0, 1, s9
	v_cmp_ne_u32_e64 s9, 0, v4
	v_cndmask_b32_e64 v3, 0, 1, s11
	v_cndmask_b32_e64 v4, 0, 1, s12
	v_cmp_ne_u32_e64 s12, 0, v1
	v_cndmask_b32_e64 v1, 0, 1, s8
	s_bcnt1_i32_b32 s79, s15
	v_cmp_ne_u32_e64 s15, 0, v29
	s_bcnt1_i32_b32 s80, s16
	v_cmp_ne_u32_e64 s16, 0, v30
	s_add_i32 s74, s81, s74
	v_cmp_ne_u32_e64 s11, 0, v6
	s_bcnt1_i32_b32 s13, s17
	s_bcnt1_i32_b32 s17, s7
	s_add_i32 s13, s74, s13
	v_cmp_ne_u32_e64 s7, 0, v2
	s_bcnt1_i32_b32 s74, s9
	v_cmp_ne_u32_e64 s8, 0, v3
	v_cmp_ne_u32_e64 s9, 0, v4
	;; [unrolled: 1-line block ×3, first 2 shown]
	s_add_i32 s77, s78, s77
	s_add_i32 s76, s79, s76
	;; [unrolled: 1-line block ×3, first 2 shown]
	s_bcnt1_i32_b32 s14, s14
	s_bcnt1_i32_b32 s15, s15
	;; [unrolled: 1-line block ×3, first 2 shown]
	s_add_i32 s14, s77, s14
	s_add_i32 s15, s76, s15
	s_add_i32 s16, s75, s16
	s_bcnt1_i32_b32 s11, s11
	s_bcnt1_i32_b32 s12, s12
	s_add_i32 s14, s14, s17
	s_add_i32 s15, s15, s74
	s_add_i32 s11, s16, s11
	s_add_i32 s12, s13, s12
	s_bcnt1_i32_b32 s7, s7
	s_bcnt1_i32_b32 s8, s8
	s_bcnt1_i32_b32 s9, s9
	s_bcnt1_i32_b32 s10, s10
	s_add_i32 s77, s14, s7
	s_add_i32 s76, s15, s8
	;; [unrolled: 1-line block ×4, first 2 shown]
	s_delay_alu instid0(SALU_CYCLE_1) | instskip(SKIP_2) | instid1(SALU_CYCLE_1)
	v_dual_mov_b32 v1, s77 :: v_dual_mov_b32 v4, s74
	v_dual_mov_b32 v2, s76 :: v_dual_mov_b32 v3, s75
	s_or_b32 s19, vcc_lo, s19
	s_and_not1_b32 exec_lo, exec_lo, s19
	s_cbranch_execnz .LBB137_54
; %bb.55:                               ;   in Loop: Header=BB137_21 Depth=1
	s_or_b32 exec_lo, exec_lo, s19
	s_delay_alu instid0(SALU_CYCLE_1)
	s_or_b32 exec_lo, exec_lo, s18
	v_mov_b32_e32 v29, 0
	s_and_saveexec_b32 s7, s5
	s_cbranch_execz .LBB137_51
.LBB137_56:                             ;   in Loop: Header=BB137_21 Depth=1
	global_load_u16 v29, v[11:12], off
	s_or_b32 exec_lo, exec_lo, s7
	s_and_saveexec_b32 s11, s5
	s_cbranch_execz .LBB137_62
.LBB137_57:                             ;   in Loop: Header=BB137_21 Depth=1
	v_mov_b32_e32 v6, v23
	v_mov_b32_e32 v28, v19
	s_and_b32 s13, s64, 0xfe
	s_mov_b32 s12, 0
	s_branch .LBB137_59
.LBB137_58:                             ;   in Loop: Header=BB137_59 Depth=2
	s_or_b32 exec_lo, exec_lo, s8
	s_waitcnt vmcnt(0)
	v_cmp_lt_i16_e64 s7, -1, v29
	v_and_b32_e32 v31, 0xffff, v29
	v_lshlrev_b32_e32 v29, 16, v29
	s_and_b32 s8, exec_lo, vcc_lo
	v_add_nc_u32_e32 v6, s43, v6
	v_cndmask_b32_e64 v32, 0xffff, v26, s7
	s_or_b32 s12, s8, s12
	v_cmp_o_f32_e64 s7, v29, v29
	s_delay_alu instid0(VALU_DEP_2) | instskip(NEXT) | instid1(VALU_DEP_1)
	v_xor_b32_e32 v31, v32, v31
	v_cndmask_b32_e64 v29, 0xffff, v31, s7
	s_delay_alu instid0(VALU_DEP_1) | instskip(SKIP_1) | instid1(VALU_DEP_2)
	v_and_b32_e32 v31, s70, v29
	v_bfe_u32 v29, v29, s13, 2
	v_cmp_eq_u32_e32 vcc_lo, s69, v31
	s_delay_alu instid0(VALU_DEP_2) | instskip(SKIP_3) | instid1(VALU_DEP_4)
	v_cmp_eq_u32_e64 s7, 0, v29
	v_cmp_eq_u32_e64 s8, 1, v29
	;; [unrolled: 1-line block ×4, first 2 shown]
	s_and_b32 s7, vcc_lo, s7
	s_delay_alu instid0(SALU_CYCLE_1) | instskip(SKIP_1) | instid1(SALU_CYCLE_1)
	v_cndmask_b32_e64 v29, 0, 1, s7
	s_and_b32 s7, vcc_lo, s8
	v_cndmask_b32_e64 v31, 0, 1, s7
	s_and_b32 s7, vcc_lo, s9
	s_delay_alu instid0(SALU_CYCLE_1)
	v_cndmask_b32_e64 v32, 0, 1, s7
	s_and_b32 s7, vcc_lo, s10
	v_cmp_ne_u32_e32 vcc_lo, 0, v29
	v_mov_b32_e32 v29, v30
	v_cndmask_b32_e64 v33, 0, 1, s7
	v_cmp_ne_u32_e64 s7, 0, v31
	v_cmp_ne_u32_e64 s8, 0, v32
	s_bcnt1_i32_b32 s10, vcc_lo
	s_delay_alu instid0(VALU_DEP_3) | instskip(NEXT) | instid1(VALU_DEP_3)
	v_cmp_ne_u32_e64 s9, 0, v33
	s_bcnt1_i32_b32 s7, s7
	s_delay_alu instid0(VALU_DEP_2)
	s_bcnt1_i32_b32 s8, s8
	v_add_nc_u32_e32 v1, s10, v1
	v_add_nc_u32_e32 v2, s7, v2
	s_bcnt1_i32_b32 s9, s9
	v_add_nc_u32_e32 v3, s8, v3
	v_add_nc_u32_e32 v4, s9, v4
	s_and_not1_b32 exec_lo, exec_lo, s12
	s_cbranch_execz .LBB137_61
.LBB137_59:                             ;   Parent Loop BB137_21 Depth=1
                                        ; =>  This Inner Loop Header: Depth=2
	s_delay_alu instid0(VALU_DEP_1) | instskip(SKIP_2) | instid1(VALU_DEP_2)
	v_add_nc_u32_e32 v28, s27, v28
	v_mov_b32_e32 v30, 0
	s_mov_b32 s8, exec_lo
	v_cmp_le_u32_e32 vcc_lo, s24, v28
	v_cmpx_gt_u32_e64 s24, v28
	s_cbranch_execz .LBB137_58
; %bb.60:                               ;   in Loop: Header=BB137_59 Depth=2
	v_lshlrev_b64 v[30:31], 1, v[6:7]
	s_delay_alu instid0(VALU_DEP_1) | instskip(NEXT) | instid1(VALU_DEP_1)
	v_add_co_u32 v30, s7, s38, v30
	v_add_co_ci_u32_e64 v31, s7, s39, v31, s7
	global_load_u16 v30, v[30:31], off
	s_branch .LBB137_58
.LBB137_61:                             ;   in Loop: Header=BB137_21 Depth=1
	s_or_b32 exec_lo, exec_lo, s12
.LBB137_62:                             ;   in Loop: Header=BB137_21 Depth=1
	s_delay_alu instid0(SALU_CYCLE_1)
	s_or_b32 exec_lo, exec_lo, s11
	s_branch .LBB137_72
.LBB137_63:                             ;   in Loop: Header=BB137_21 Depth=1
	s_mul_hi_u32 s7, s72, s53
	v_dual_mov_b32 v1, 0 :: v_dual_mov_b32 v2, 0
	s_mul_i32 s7, s7, s44
	v_dual_mov_b32 v3, 0 :: v_dual_mov_b32 v4, 0
	s_sub_i32 s7, s72, s7
	s_mov_b32 s75, 0
	s_sub_i32 s8, s7, s44
	s_cmp_ge_u32 s7, s44
	s_mov_b32 s74, exec_lo
	s_cselect_b32 s7, s8, s7
	s_delay_alu instid0(SALU_CYCLE_1) | instskip(SKIP_2) | instid1(SALU_CYCLE_1)
	s_sub_i32 s8, s7, s44
	s_cmp_ge_u32 s7, s44
	s_cselect_b32 s7, s8, s7
	s_sub_i32 s73, s72, s7
	s_delay_alu instid0(SALU_CYCLE_1)
	v_cmpx_gt_u32_e64 s73, v14
	s_cbranch_execz .LBB137_67
; %bb.64:                               ;   in Loop: Header=BB137_21 Depth=1
	v_mov_b32_e32 v6, v24
	v_mov_b32_e32 v28, v14
	s_and_b32 s76, s64, 0xfe
	s_mov_b32 s77, 0
	s_mov_b32 s78, 0
	;; [unrolled: 1-line block ×4, first 2 shown]
.LBB137_65:                             ;   Parent Loop BB137_21 Depth=1
                                        ; =>  This Inner Loop Header: Depth=2
	ds_load_b64 v[1:2], v6
	s_waitcnt lgkmcnt(0)
	v_cmp_lt_i16_e64 s7, -1, v1
	v_lshrrev_b32_e32 v3, 16, v1
	v_lshrrev_b32_e32 v4, 16, v2
	s_waitcnt vmcnt(0)
	v_and_b32_e32 v29, 0xffff, v1
	v_lshlrev_b32_e32 v31, 16, v1
	v_cndmask_b32_e64 v30, 0xffff, v26, s7
	v_cmp_lt_i16_e64 s7, -1, v2
	v_and_b32_e32 v32, 0xffff, v2
	v_cmp_lt_i16_e64 s8, -1, v4
	v_lshlrev_b32_e32 v34, 16, v2
	v_and_b32_e32 v1, 0xffff0000, v1
	v_cndmask_b32_e64 v33, 0xffff, v26, s7
	v_cmp_lt_i16_e64 s7, -1, v3
	v_xor_b32_e32 v29, v30, v29
	v_and_b32_e32 v2, 0xffff0000, v2
	s_delay_alu instid0(VALU_DEP_4) | instskip(NEXT) | instid1(VALU_DEP_4)
	v_xor_b32_e32 v32, v33, v32
	v_cndmask_b32_e64 v30, 0xffff, v26, s7
	v_cndmask_b32_e64 v33, 0xffff, v26, s8
	v_cmp_o_f32_e64 s8, v31, v31
	v_cmp_o_f32_e64 s7, v34, v34
	s_delay_alu instid0(VALU_DEP_4) | instskip(NEXT) | instid1(VALU_DEP_4)
	v_xor_b32_e32 v3, v30, v3
	v_xor_b32_e32 v4, v33, v4
	s_delay_alu instid0(VALU_DEP_4) | instskip(SKIP_3) | instid1(VALU_DEP_4)
	v_cndmask_b32_e64 v29, 0xffff, v29, s8
	v_cmp_o_f32_e64 s8, v1, v1
	v_cndmask_b32_e64 v30, 0xffff, v32, s7
	v_cmp_o_f32_e64 s7, v2, v2
	v_and_b32_e32 v2, s70, v29
	s_delay_alu instid0(VALU_DEP_4) | instskip(SKIP_1) | instid1(VALU_DEP_4)
	v_cndmask_b32_e64 v1, 0xffff, v3, s8
	v_bfe_u32 v29, v29, s76, 2
	v_cndmask_b32_e64 v3, 0xffff, v4, s7
	v_and_b32_e32 v4, s70, v30
	v_bfe_u32 v30, v30, s76, 2
	v_cmp_eq_u32_e64 s7, s69, v2
	v_and_b32_e32 v2, s70, v1
	v_bfe_u32 v1, v1, s76, 2
	v_cmp_eq_u32_e64 s9, 0, v29
	v_cmp_eq_u32_e64 s11, 1, v29
	;; [unrolled: 1-line block ×8, first 2 shown]
	v_and_b32_e32 v4, s70, v3
	v_bfe_u32 v3, v3, s76, 2
	v_cmp_eq_u32_e64 s16, 3, v30
	v_cmp_eq_u32_e64 s17, s69, v2
	v_cmp_eq_u32_e64 s19, 0, v1
	s_and_b32 s9, s7, s9
	s_and_b32 s11, s7, s11
	;; [unrolled: 1-line block ×3, first 2 shown]
	v_cndmask_b32_e64 v2, 0, 1, s9
	s_and_b32 s9, s8, s10
	v_cndmask_b32_e64 v29, 0, 1, s11
	s_and_b32 s11, s8, s12
	;; [unrolled: 2-line block ×3, first 2 shown]
	s_and_b32 s7, s7, s15
	v_cmp_eq_u32_e64 s18, s69, v4
	v_cmp_eq_u32_e64 s20, 0, v3
	v_cndmask_b32_e64 v4, 0, 1, s9
	v_cmp_eq_u32_e64 s9, 1, v1
	v_cmp_eq_u32_e64 s10, 1, v3
	v_cndmask_b32_e64 v30, 0, 1, s11
	;; [unrolled: 3-line block ×3, first 2 shown]
	v_cmp_eq_u32_e64 s13, 3, v1
	v_cndmask_b32_e64 v1, 0, 1, s7
	s_and_b32 s7, s8, s16
	s_and_b32 s8, s17, s19
	v_cmp_eq_u32_e64 s14, 3, v3
	v_cndmask_b32_e64 v3, 0, 1, s7
	v_cmp_ne_u32_e64 s7, 0, v2
	v_cndmask_b32_e64 v2, 0, 1, s8
	s_and_b32 s15, s18, s20
	s_and_b32 s9, s17, s9
	;; [unrolled: 1-line block ×6, first 2 shown]
	v_cmp_ne_u32_e64 s8, 0, v4
	v_cndmask_b32_e64 v4, 0, 1, s15
	v_cmp_ne_u32_e64 s15, 0, v29
	v_cndmask_b32_e64 v29, 0, 1, s9
	;; [unrolled: 2-line block ×6, first 2 shown]
	s_bcnt1_i32_b32 s16, s7
	v_cmp_ne_u32_e64 s7, 0, v2
	s_and_b32 s14, s18, s14
	v_cmp_ne_u32_e64 s13, 0, v3
	v_cndmask_b32_e64 v3, 0, 1, s14
	s_bcnt1_i32_b32 s17, s8
	v_cmp_ne_u32_e64 s8, 0, v4
	v_cmp_ne_u32_e64 s14, 0, v29
	s_bcnt1_i32_b32 s19, s10
	v_cmp_ne_u32_e64 s10, 0, v31
	s_bcnt1_i32_b32 s81, s12
	v_cmp_ne_u32_e64 s12, 0, v1
	s_add_i32 s16, s16, s80
	s_bcnt1_i32_b32 s7, s7
	s_bcnt1_i32_b32 s15, s15
	s_add_i32 s7, s16, s7
	s_bcnt1_i32_b32 s18, s9
	v_cmp_ne_u32_e64 s9, 0, v30
	s_bcnt1_i32_b32 s20, s11
	v_cmp_ne_u32_e64 s11, 0, v32
	;; [unrolled: 2-line block ×3, first 2 shown]
	s_bcnt1_i32_b32 s8, s8
	s_add_i32 s7, s7, s17
	s_add_i32 s15, s15, s79
	;; [unrolled: 1-line block ×4, first 2 shown]
	s_bcnt1_i32_b32 s14, s14
	s_bcnt1_i32_b32 s10, s10
	;; [unrolled: 1-line block ×3, first 2 shown]
	s_add_i32 s80, s7, s8
	s_delay_alu instid0(SALU_CYCLE_1)
	v_dual_mov_b32 v1, s80 :: v_dual_add_nc_u32 v28, s44, v28
	s_add_i32 s14, s15, s14
	s_add_i32 s10, s19, s10
	;; [unrolled: 1-line block ×3, first 2 shown]
	s_bcnt1_i32_b32 s9, s9
	s_bcnt1_i32_b32 s11, s11
	;; [unrolled: 1-line block ×3, first 2 shown]
	s_add_i32 s14, s14, s18
	s_add_i32 s10, s10, s20
	;; [unrolled: 1-line block ×3, first 2 shown]
	v_cmp_le_u32_e32 vcc_lo, s73, v28
	s_add_i32 s79, s14, s9
	s_add_i32 s78, s10, s11
	;; [unrolled: 1-line block ×3, first 2 shown]
	v_dual_mov_b32 v3, s78 :: v_dual_add_nc_u32 v6, s58, v6
	v_mov_b32_e32 v2, s79
	v_mov_b32_e32 v4, s77
	s_or_b32 s75, vcc_lo, s75
	s_delay_alu instid0(SALU_CYCLE_1)
	s_and_not1_b32 exec_lo, exec_lo, s75
	s_cbranch_execnz .LBB137_65
; %bb.66:                               ;   in Loop: Header=BB137_21 Depth=1
	s_or_b32 exec_lo, exec_lo, s75
.LBB137_67:                             ;   in Loop: Header=BB137_21 Depth=1
	s_delay_alu instid0(SALU_CYCLE_1) | instskip(SKIP_2) | instid1(VALU_DEP_1)
	s_or_b32 exec_lo, exec_lo, s74
	v_add_nc_u32_e32 v6, s73, v0
	s_mov_b32 s12, exec_lo
	v_cmpx_gt_u32_e64 s72, v6
	s_cbranch_execz .LBB137_71
; %bb.68:                               ;   in Loop: Header=BB137_21 Depth=1
	v_lshlrev_b32_e32 v28, 1, v6
	s_and_b32 s14, s64, 0xfe
	s_mov_b32 s13, 0
.LBB137_69:                             ;   Parent Loop BB137_21 Depth=1
                                        ; =>  This Inner Loop Header: Depth=2
	s_waitcnt vmcnt(0)
	ds_load_u16 v29, v28
	v_add_nc_u32_e32 v6, s27, v6
	v_add_nc_u32_e32 v28, s59, v28
	s_delay_alu instid0(VALU_DEP_2) | instskip(SKIP_4) | instid1(VALU_DEP_3)
	v_cmp_le_u32_e32 vcc_lo, s72, v6
	s_waitcnt lgkmcnt(0)
	v_cmp_lt_i16_e64 s7, -1, v29
	v_and_b32_e32 v30, 0xffff, v29
	v_lshlrev_b32_e32 v29, 16, v29
	v_cndmask_b32_e64 v31, 0xffff, v26, s7
	s_delay_alu instid0(VALU_DEP_2) | instskip(NEXT) | instid1(VALU_DEP_2)
	v_cmp_o_f32_e64 s7, v29, v29
	v_xor_b32_e32 v30, v31, v30
	s_delay_alu instid0(VALU_DEP_1) | instskip(NEXT) | instid1(VALU_DEP_1)
	v_cndmask_b32_e64 v29, 0xffff, v30, s7
	v_and_b32_e32 v30, s70, v29
	v_bfe_u32 v29, v29, s14, 2
	s_delay_alu instid0(VALU_DEP_2) | instskip(NEXT) | instid1(VALU_DEP_2)
	v_cmp_eq_u32_e64 s7, s69, v30
	v_cmp_eq_u32_e64 s8, 0, v29
	;; [unrolled: 1-line block ×5, first 2 shown]
	s_delay_alu instid0(VALU_DEP_4) | instskip(NEXT) | instid1(SALU_CYCLE_1)
	s_and_b32 s8, s7, s8
	v_cndmask_b32_e64 v29, 0, 1, s8
	s_and_b32 s8, s7, s9
	s_delay_alu instid0(SALU_CYCLE_1)
	v_cndmask_b32_e64 v30, 0, 1, s8
	s_and_b32 s8, s7, s10
	s_and_b32 s7, s7, s11
	v_cndmask_b32_e64 v31, 0, 1, s8
	v_cndmask_b32_e64 v32, 0, 1, s7
	v_cmp_ne_u32_e64 s7, 0, v29
	v_cmp_ne_u32_e64 s8, 0, v30
	s_delay_alu instid0(VALU_DEP_4) | instskip(NEXT) | instid1(VALU_DEP_4)
	v_cmp_ne_u32_e64 s9, 0, v31
	v_cmp_ne_u32_e64 s10, 0, v32
	s_delay_alu instid0(VALU_DEP_4) | instskip(NEXT) | instid1(VALU_DEP_3)
	s_bcnt1_i32_b32 s7, s7
	s_bcnt1_i32_b32 s8, s8
	v_add_nc_u32_e32 v1, s7, v1
	s_bcnt1_i32_b32 s9, s9
	s_bcnt1_i32_b32 s10, s10
	v_add_nc_u32_e32 v2, s8, v2
	v_add_nc_u32_e32 v3, s9, v3
	;; [unrolled: 1-line block ×3, first 2 shown]
	s_or_b32 s13, vcc_lo, s13
	s_delay_alu instid0(SALU_CYCLE_1)
	s_and_not1_b32 exec_lo, exec_lo, s13
	s_cbranch_execnz .LBB137_69
; %bb.70:                               ;   in Loop: Header=BB137_21 Depth=1
	s_or_b32 exec_lo, exec_lo, s13
.LBB137_71:                             ;   in Loop: Header=BB137_21 Depth=1
	s_delay_alu instid0(SALU_CYCLE_1)
	s_or_b32 exec_lo, exec_lo, s12
.LBB137_72:                             ;   in Loop: Header=BB137_21 Depth=1
	s_lshl_b32 s7, s67, 7
	s_and_saveexec_b32 s8, s3
	s_cbranch_execz .LBB137_74
; %bb.73:                               ;   in Loop: Header=BB137_21 Depth=1
	v_or_b32_e32 v6, s7, v17
	s_delay_alu instid0(VALU_DEP_1)
	v_lshlrev_b32_e32 v6, 2, v6
	ds_store_b128 v6, v[1:4] offset:3072
.LBB137_74:                             ;   in Loop: Header=BB137_21 Depth=1
	s_or_b32 exec_lo, exec_lo, s8
	s_waitcnt vmcnt(0) lgkmcnt(0)
	s_barrier
	buffer_gl0_inv
	s_and_saveexec_b32 s8, s45
	s_cbranch_execz .LBB137_84
; %bb.75:                               ;   in Loop: Header=BB137_21 Depth=1
	v_mov_b32_e32 v1, 0
	s_and_not1_b32 vcc_lo, exec_lo, s48
	s_cbranch_vccnz .LBB137_83
; %bb.76:                               ;   in Loop: Header=BB137_21 Depth=1
	v_mov_b32_e32 v1, 0
	s_and_not1_b32 vcc_lo, exec_lo, s50
	s_mov_b32 s9, 0
	s_cbranch_vccnz .LBB137_80
; %bb.77:                               ;   in Loop: Header=BB137_21 Depth=1
	v_lshl_add_u32 v2, s67, 9, v25
	v_mov_b32_e32 v1, 0
	.p2align	6
.LBB137_78:                             ;   Parent Loop BB137_21 Depth=1
                                        ; =>  This Inner Loop Header: Depth=2
	ds_load_2addr_b32 v[3:4], v2 offset1:4
	ds_load_2addr_b32 v[28:29], v2 offset0:8 offset1:12
	ds_load_2addr_b32 v[30:31], v2 offset0:16 offset1:20
	;; [unrolled: 1-line block ×3, first 2 shown]
	v_add_nc_u32_e32 v2, 0x80, v2
	s_add_i32 s9, s9, 8
	s_delay_alu instid0(SALU_CYCLE_1) | instskip(SKIP_3) | instid1(VALU_DEP_1)
	s_cmp_eq_u32 s51, s9
	s_waitcnt lgkmcnt(3)
	v_add3_u32 v1, v3, v1, v4
	s_waitcnt lgkmcnt(2)
	v_add3_u32 v1, v28, v1, v29
	s_waitcnt lgkmcnt(1)
	s_delay_alu instid0(VALU_DEP_1) | instskip(SKIP_1) | instid1(VALU_DEP_1)
	v_add3_u32 v1, v30, v1, v31
	s_waitcnt lgkmcnt(0)
	v_add3_u32 v1, v32, v1, v33
	s_cbranch_scc0 .LBB137_78
; %bb.79:                               ;   in Loop: Header=BB137_21 Depth=1
	s_mov_b32 s9, s51
.LBB137_80:                             ;   in Loop: Header=BB137_21 Depth=1
	s_and_not1_b32 vcc_lo, exec_lo, s52
	s_cbranch_vccnz .LBB137_83
; %bb.81:                               ;   in Loop: Header=BB137_21 Depth=1
	s_lshl_b32 s10, s67, 9
	s_lshl_b32 s9, s9, 4
	s_delay_alu instid0(SALU_CYCLE_1)
	v_add3_u32 v2, s10, s9, v25
	s_mov_b32 s9, s49
.LBB137_82:                             ;   Parent Loop BB137_21 Depth=1
                                        ; =>  This Inner Loop Header: Depth=2
	ds_load_b32 v3, v2
	v_add_nc_u32_e32 v2, 16, v2
	s_add_i32 s9, s9, -1
	s_delay_alu instid0(SALU_CYCLE_1)
	s_cmp_lg_u32 s9, 0
	s_waitcnt lgkmcnt(0)
	v_add_nc_u32_e32 v1, v3, v1
	s_cbranch_scc1 .LBB137_82
.LBB137_83:                             ;   in Loop: Header=BB137_21 Depth=1
	v_add_lshl_u32 v2, s7, v13, 2
	ds_store_b32 v2, v1 offset:3072
.LBB137_84:                             ;   in Loop: Header=BB137_21 Depth=1
	s_or_b32 exec_lo, exec_lo, s8
	s_lshl_b32 s7, s7, 2
	s_waitcnt lgkmcnt(0)
	v_mov_b32_e32 v1, s7
	s_barrier
	buffer_gl0_inv
	s_and_b32 s16, s64, 0xfe
	s_mov_b32 s12, -1
	ds_load_b128 v[1:4], v1 offset:3072
	s_lshl_b32 s9, 3, s16
	s_delay_alu instid0(SALU_CYCLE_1) | instskip(SKIP_4) | instid1(VALU_DEP_3)
	s_not_b32 s17, s9
	s_waitcnt lgkmcnt(0)
	v_readfirstlane_b32 s11, v1
	v_readfirstlane_b32 s19, v2
	;; [unrolled: 1-line block ×3, first 2 shown]
	s_cmp_eq_u32 s11, 1
	s_cselect_b32 s7, -1, 0
	s_cmp_eq_u32 s71, 1
	s_cselect_b32 s8, -1, 0
	s_delay_alu instid0(SALU_CYCLE_1)
	s_and_b32 s13, s7, s8
	v_readfirstlane_b32 s8, v4
	s_and_b32 vcc_lo, exec_lo, s13
	s_cbranch_vccz .LBB137_96
; %bb.85:                               ;   in Loop: Header=BB137_21 Depth=1
	ds_load_b32 v1, v7 offset:4104
	s_waitcnt lgkmcnt(0)
	s_barrier
	buffer_gl0_inv
	v_readfirstlane_b32 s10, v1
	s_and_saveexec_b32 s7, s2
	s_cbranch_execz .LBB137_87
; %bb.86:                               ;   in Loop: Header=BB137_21 Depth=1
	ds_store_b16 v16, v7
.LBB137_87:                             ;   in Loop: Header=BB137_21 Depth=1
	s_or_b32 exec_lo, exec_lo, s7
	s_and_b32 s69, s69, s17
	s_or_b32 s70, s70, s9
	s_cmp_eq_u32 s10, 0
	s_waitcnt lgkmcnt(0)
	s_barrier
	buffer_gl0_inv
	s_cbranch_scc1 .LBB137_97
; %bb.88:                               ;   in Loop: Header=BB137_21 Depth=1
	s_add_i32 s7, s10, s46
                                        ; implicit-def: $vgpr27
	s_delay_alu instid0(SALU_CYCLE_1) | instskip(NEXT) | instid1(SALU_CYCLE_1)
	s_mul_hi_u32 s15, s7, s55
	s_mul_i32 s15, s15, s27
	s_delay_alu instid0(SALU_CYCLE_1) | instskip(NEXT) | instid1(SALU_CYCLE_1)
	s_sub_i32 s15, s7, s15
	s_sub_i32 s18, s15, s27
	s_cmp_ge_u32 s15, s27
	s_cselect_b32 s15, s18, s15
	s_delay_alu instid0(SALU_CYCLE_1) | instskip(SKIP_2) | instid1(SALU_CYCLE_1)
	s_sub_i32 s18, s15, s27
	s_cmp_ge_u32 s15, s27
	s_cselect_b32 s15, s18, s15
	s_sub_i32 s18, s7, s15
	s_mov_b32 s7, 0
	s_mov_b32 s15, exec_lo
	v_cmpx_gt_u32_e64 s18, v0
	s_cbranch_execz .LBB137_99
; %bb.89:                               ;   in Loop: Header=BB137_21 Depth=1
	v_dual_mov_b32 v1, v15 :: v_dual_mov_b32 v2, v0
	s_mov_b32 s20, 0
                                        ; implicit-def: $sgpr72
	s_branch .LBB137_91
.LBB137_90:                             ;   in Loop: Header=BB137_91 Depth=2
	s_or_b32 exec_lo, exec_lo, s7
	s_waitcnt lgkmcnt(0)
	s_barrier
	buffer_gl0_inv
	ds_load_b32 v3, v7 offset:3072
	v_add_nc_u32_e32 v2, s27, v2
	v_add_nc_u32_e32 v1, s59, v1
	s_waitcnt lgkmcnt(0)
	s_barrier
	buffer_gl0_inv
	v_cmp_le_u32_e32 vcc_lo, s18, v2
	v_and_b32_e32 v4, 0x7fff, v3
	s_delay_alu instid0(VALU_DEP_1) | instskip(NEXT) | instid1(VALU_DEP_1)
	v_cmp_ne_u16_e64 s7, 0, v4
	s_or_b32 s73, vcc_lo, s7
	s_delay_alu instid0(SALU_CYCLE_1) | instskip(NEXT) | instid1(SALU_CYCLE_1)
	s_and_b32 s73, exec_lo, s73
	s_or_b32 s20, s73, s20
	s_and_not1_b32 s72, s72, exec_lo
	s_and_b32 s7, s7, exec_lo
	s_delay_alu instid0(SALU_CYCLE_1)
	s_or_b32 s72, s72, s7
	s_and_not1_b32 exec_lo, exec_lo, s20
	s_cbranch_execz .LBB137_98
.LBB137_91:                             ;   Parent Loop BB137_21 Depth=1
                                        ; =>  This Inner Loop Header: Depth=2
	s_delay_alu instid0(VALU_DEP_1)
	v_cmp_gt_u32_e32 vcc_lo, s10, v2
	v_mov_b32_e32 v3, 0
	s_and_saveexec_b32 s7, vcc_lo
	s_cbranch_execz .LBB137_93
; %bb.92:                               ;   in Loop: Header=BB137_91 Depth=2
	ds_load_u16 v3, v1
.LBB137_93:                             ;   in Loop: Header=BB137_91 Depth=2
	s_or_b32 exec_lo, exec_lo, s7
	s_and_saveexec_b32 s7, vcc_lo
	s_cbranch_execz .LBB137_90
; %bb.94:                               ;   in Loop: Header=BB137_91 Depth=2
	s_waitcnt lgkmcnt(0)
	v_cmp_lt_i16_e32 vcc_lo, -1, v3
	v_and_b32_e32 v4, 0xffff, v3
	v_dual_cndmask_b32 v6, 0xffff, v26 :: v_dual_lshlrev_b32 v27, 16, v3
	s_delay_alu instid0(VALU_DEP_1) | instskip(NEXT) | instid1(VALU_DEP_2)
	v_cmp_o_f32_e32 vcc_lo, v27, v27
	v_xor_b32_e32 v4, v6, v4
	s_delay_alu instid0(VALU_DEP_1) | instskip(NEXT) | instid1(VALU_DEP_1)
	v_cndmask_b32_e32 v4, 0xffff, v4, vcc_lo
	v_and_b32_e32 v4, s70, v4
	s_delay_alu instid0(VALU_DEP_1)
	v_cmp_eq_u32_e32 vcc_lo, s69, v4
	s_and_b32 exec_lo, exec_lo, vcc_lo
	s_cbranch_execz .LBB137_90
; %bb.95:                               ;   in Loop: Header=BB137_91 Depth=2
	v_perm_b32 v3, v3, s60, 0x5040100
	ds_store_b32 v7, v3 offset:3072
	s_branch .LBB137_90
.LBB137_96:                             ;   in Loop: Header=BB137_21 Depth=1
	s_mov_b32 s7, -1
                                        ; implicit-def: $sgpr10
                                        ; implicit-def: $sgpr18
                                        ; implicit-def: $sgpr15
	s_branch .LBB137_110
.LBB137_97:                             ;   in Loop: Header=BB137_21 Depth=1
	s_mov_b32 s10, -1
	s_mov_b32 s7, 0
                                        ; implicit-def: $sgpr15
                                        ; implicit-def: $vgpr27
	s_mov_b32 s18, s10
	s_cbranch_execnz .LBB137_100
	s_branch .LBB137_110
.LBB137_98:                             ;   in Loop: Header=BB137_21 Depth=1
	s_or_b32 exec_lo, exec_lo, s20
	v_lshrrev_b32_e32 v27, 16, v3
	s_and_b32 s7, s72, exec_lo
.LBB137_99:                             ;   in Loop: Header=BB137_21 Depth=1
	s_or_b32 exec_lo, exec_lo, s15
	s_mov_b32 s15, -1
	s_mov_b32 s10, 0
	s_delay_alu instid0(SALU_CYCLE_1)
	s_mov_b32 s18, s10
	s_branch .LBB137_110
.LBB137_100:                            ;   in Loop: Header=BB137_21 Depth=1
	s_mov_b32 s7, 0
                                        ; implicit-def: $vgpr27
	s_and_saveexec_b32 s10, s6
	s_cbranch_execz .LBB137_109
; %bb.101:                              ;   in Loop: Header=BB137_21 Depth=1
	v_dual_mov_b32 v6, v5 :: v_dual_mov_b32 v1, v0
	s_mov_b32 s15, 0
                                        ; implicit-def: $sgpr18
	s_branch .LBB137_103
.LBB137_102:                            ;   in Loop: Header=BB137_103 Depth=2
	s_or_b32 exec_lo, exec_lo, s7
	s_waitcnt vmcnt(0) lgkmcnt(0)
	s_barrier
	buffer_gl0_inv
	ds_load_b32 v2, v7 offset:3072
	v_add_nc_u32_e32 v1, s27, v1
	v_add_nc_u32_e32 v6, s43, v6
	s_waitcnt lgkmcnt(0)
	s_barrier
	buffer_gl0_inv
	v_cmp_le_u32_e32 vcc_lo, s57, v1
	v_and_b32_e32 v3, 0x7fff, v2
	s_delay_alu instid0(VALU_DEP_1) | instskip(NEXT) | instid1(VALU_DEP_1)
	v_cmp_ne_u16_e64 s7, 0, v3
	s_or_b32 s20, vcc_lo, s7
	s_delay_alu instid0(SALU_CYCLE_1) | instskip(NEXT) | instid1(SALU_CYCLE_1)
	s_and_b32 s20, exec_lo, s20
	s_or_b32 s15, s20, s15
	s_and_not1_b32 s18, s18, exec_lo
	s_and_b32 s7, s7, exec_lo
	s_delay_alu instid0(SALU_CYCLE_1)
	s_or_b32 s18, s18, s7
	s_and_not1_b32 exec_lo, exec_lo, s15
	s_cbranch_execz .LBB137_108
.LBB137_103:                            ;   Parent Loop BB137_21 Depth=1
                                        ; =>  This Inner Loop Header: Depth=2
	s_delay_alu instid0(VALU_DEP_1)
	v_cmp_gt_u32_e32 vcc_lo, s24, v1
	v_mov_b32_e32 v2, 0
	s_and_saveexec_b32 s20, vcc_lo
	s_cbranch_execz .LBB137_105
; %bb.104:                              ;   in Loop: Header=BB137_103 Depth=2
	v_lshlrev_b64 v[2:3], 1, v[6:7]
	s_delay_alu instid0(VALU_DEP_1) | instskip(NEXT) | instid1(VALU_DEP_1)
	v_add_co_u32 v2, s7, s38, v2
	v_add_co_ci_u32_e64 v3, s7, s39, v3, s7
	global_load_u16 v2, v[2:3], off
.LBB137_105:                            ;   in Loop: Header=BB137_103 Depth=2
	s_or_b32 exec_lo, exec_lo, s20
	s_and_saveexec_b32 s7, vcc_lo
	s_cbranch_execz .LBB137_102
; %bb.106:                              ;   in Loop: Header=BB137_103 Depth=2
	s_waitcnt vmcnt(0)
	v_cmp_lt_i16_e32 vcc_lo, -1, v2
	v_and_b32_e32 v3, 0xffff, v2
	v_lshlrev_b32_e32 v27, 16, v2
	v_cndmask_b32_e32 v4, 0xffff, v26, vcc_lo
	s_delay_alu instid0(VALU_DEP_2) | instskip(NEXT) | instid1(VALU_DEP_2)
	v_cmp_o_f32_e32 vcc_lo, v27, v27
	v_xor_b32_e32 v3, v4, v3
	s_delay_alu instid0(VALU_DEP_1) | instskip(NEXT) | instid1(VALU_DEP_1)
	v_cndmask_b32_e32 v3, 0xffff, v3, vcc_lo
	v_and_b32_e32 v3, s70, v3
	s_delay_alu instid0(VALU_DEP_1)
	v_cmp_eq_u32_e32 vcc_lo, s69, v3
	s_and_b32 exec_lo, exec_lo, vcc_lo
	s_cbranch_execz .LBB137_102
; %bb.107:                              ;   in Loop: Header=BB137_103 Depth=2
	v_perm_b32 v2, v2, s60, 0x5040100
	ds_store_b32 v7, v2 offset:3072
	s_branch .LBB137_102
.LBB137_108:                            ;   in Loop: Header=BB137_21 Depth=1
	s_or_b32 exec_lo, exec_lo, s15
	v_lshrrev_b32_e32 v27, 16, v2
	s_and_b32 s7, s18, exec_lo
.LBB137_109:                            ;   in Loop: Header=BB137_21 Depth=1
	s_or_b32 exec_lo, exec_lo, s10
	s_mov_b32 s18, -1
	s_mov_b32 s10, 0
	s_mov_b32 s15, 0
.LBB137_110:                            ;   in Loop: Header=BB137_21 Depth=1
	s_and_not1_b32 s20, s65, exec_lo
	s_and_b32 s10, s10, exec_lo
	s_and_b32 s18, s18, exec_lo
	s_or_b32 s65, s20, s10
	s_and_not1_b32 s10, s68, exec_lo
	s_and_not1_b32 s20, s66, exec_lo
	s_and_b32 s15, s15, exec_lo
	s_or_b32 s68, s10, s18
	s_or_b32 s66, s20, s15
	s_and_saveexec_b32 s10, s7
	s_cbranch_execz .LBB137_20
; %bb.111:                              ;   in Loop: Header=BB137_21 Depth=1
	s_xor_b32 s7, s13, -1
	s_mov_b32 s12, 0
	s_and_not1_b32 vcc_lo, exec_lo, s7
	s_mov_b32 s20, 1
	s_cbranch_vccnz .LBB137_122
; %bb.112:                              ;   in Loop: Header=BB137_21 Depth=1
	s_cmp_gt_u32 s71, s11
	s_mov_b32 s12, -1
                                        ; implicit-def: $sgpr7
                                        ; implicit-def: $sgpr13
                                        ; implicit-def: $sgpr15
	s_cbranch_scc1 .LBB137_118
; %bb.113:                              ;   in Loop: Header=BB137_21 Depth=1
	ds_load_b32 v1, v7 offset:4104
	s_waitcnt lgkmcnt(0)
	v_cmp_ne_u32_e32 vcc_lo, 0, v1
	s_cbranch_vccnz .LBB137_117
; %bb.114:                              ;   in Loop: Header=BB137_21 Depth=1
	s_and_saveexec_b32 s7, s1
	s_cbranch_execz .LBB137_116
; %bb.115:                              ;   in Loop: Header=BB137_21 Depth=1
	v_mov_b32_e32 v1, s11
	ds_store_b32 v7, v1 offset:4108
.LBB137_116:                            ;   in Loop: Header=BB137_21 Depth=1
	s_or_b32 exec_lo, exec_lo, s7
	s_waitcnt lgkmcnt(0)
	s_barrier
	buffer_gl0_inv
.LBB137_117:                            ;   in Loop: Header=BB137_21 Depth=1
	s_and_b32 s13, s69, s17
	s_or_b32 s15, s70, s9
	s_mov_b32 s12, 0
	s_mov_b32 s7, 8
.LBB137_118:                            ;   in Loop: Header=BB137_21 Depth=1
	s_and_not1_b32 vcc_lo, exec_lo, s12
	s_cbranch_vccnz .LBB137_120
; %bb.119:                              ;   in Loop: Header=BB137_21 Depth=1
	s_sub_i32 s71, s71, s11
	s_mov_b32 s12, -1
	s_mov_b32 s7, 0
	s_mov_b32 s13, s69
	;; [unrolled: 1-line block ×3, first 2 shown]
.LBB137_120:                            ;   in Loop: Header=BB137_21 Depth=1
	s_delay_alu instid0(SALU_CYCLE_1)
	s_mov_b32 s70, s15
	s_mov_b32 s69, s13
	;; [unrolled: 1-line block ×3, first 2 shown]
	s_and_b32 vcc_lo, exec_lo, s12
	s_mov_b32 s11, -1
	s_cbranch_vccnz .LBB137_123
.LBB137_121:                            ;   in Loop: Header=BB137_21 Depth=1
	s_mov_b32 s73, -1
                                        ; implicit-def: $sgpr12
                                        ; implicit-def: $sgpr15
                                        ; implicit-def: $sgpr13
                                        ; implicit-def: $sgpr71
	s_delay_alu instid0(SALU_CYCLE_1) | instskip(NEXT) | instid1(SALU_CYCLE_1)
	s_and_saveexec_b32 s8, s73
	s_xor_b32 s8, exec_lo, s8
	s_cbranch_execz .LBB137_19
	s_branch .LBB137_249
.LBB137_122:                            ;   in Loop: Header=BB137_21 Depth=1
	s_mov_b32 s7, 1
	s_and_b32 vcc_lo, exec_lo, s12
	s_mov_b32 s11, -1
	s_cbranch_vccz .LBB137_121
.LBB137_123:                            ;   in Loop: Header=BB137_21 Depth=1
	s_cmp_eq_u32 s19, 1
	s_mov_b32 s72, -1
	s_cselect_b32 s7, -1, 0
	s_cmp_eq_u32 s20, 1
	s_cselect_b32 s12, -1, 0
	s_delay_alu instid0(SALU_CYCLE_1) | instskip(NEXT) | instid1(SALU_CYCLE_1)
	s_and_b32 s71, s7, s12
	s_and_b32 vcc_lo, exec_lo, s71
	s_cbranch_vccz .LBB137_135
; %bb.124:                              ;   in Loop: Header=BB137_21 Depth=1
	ds_load_b32 v1, v7 offset:4104
	s_waitcnt lgkmcnt(0)
	s_barrier
	buffer_gl0_inv
	v_readfirstlane_b32 s12, v1
	s_and_saveexec_b32 s7, s2
	s_cbranch_execz .LBB137_126
; %bb.125:                              ;   in Loop: Header=BB137_21 Depth=1
	ds_store_b16 v16, v7
.LBB137_126:                            ;   in Loop: Header=BB137_21 Depth=1
	s_or_b32 exec_lo, exec_lo, s7
	s_lshl_b32 s7, 1, s16
	s_and_b32 s13, s69, s17
	s_or_b32 s70, s70, s9
	s_or_b32 s69, s13, s7
	s_cmp_eq_u32 s12, 0
	s_waitcnt lgkmcnt(0)
	s_barrier
	buffer_gl0_inv
	s_cbranch_scc1 .LBB137_139
; %bb.127:                              ;   in Loop: Header=BB137_21 Depth=1
	s_add_i32 s7, s12, s46
	s_mov_b32 s72, 0
	s_mul_hi_u32 s13, s7, s55
                                        ; implicit-def: $vgpr27
	s_delay_alu instid0(SALU_CYCLE_1) | instskip(NEXT) | instid1(SALU_CYCLE_1)
	s_mul_i32 s13, s13, s27
	s_sub_i32 s13, s7, s13
	s_delay_alu instid0(SALU_CYCLE_1) | instskip(SKIP_2) | instid1(SALU_CYCLE_1)
	s_sub_i32 s15, s13, s27
	s_cmp_ge_u32 s13, s27
	s_cselect_b32 s13, s15, s13
	s_sub_i32 s15, s13, s27
	s_cmp_ge_u32 s13, s27
	s_cselect_b32 s13, s15, s13
	s_delay_alu instid0(SALU_CYCLE_1)
	s_sub_i32 s15, s7, s13
	s_mov_b32 s13, exec_lo
	v_cmpx_gt_u32_e64 s15, v0
	s_cbranch_execz .LBB137_141
; %bb.128:                              ;   in Loop: Header=BB137_21 Depth=1
	v_dual_mov_b32 v1, v15 :: v_dual_mov_b32 v2, v0
	s_mov_b32 s18, 0
                                        ; implicit-def: $sgpr72
	s_branch .LBB137_130
.LBB137_129:                            ;   in Loop: Header=BB137_130 Depth=2
	s_or_b32 exec_lo, exec_lo, s7
	s_waitcnt lgkmcnt(0)
	s_barrier
	buffer_gl0_inv
	ds_load_b32 v3, v7 offset:3072
	v_add_nc_u32_e32 v2, s27, v2
	v_add_nc_u32_e32 v1, s59, v1
	s_waitcnt lgkmcnt(0)
	s_barrier
	buffer_gl0_inv
	v_cmp_le_u32_e32 vcc_lo, s15, v2
	v_and_b32_e32 v4, 0x7fff, v3
	s_delay_alu instid0(VALU_DEP_1) | instskip(NEXT) | instid1(VALU_DEP_1)
	v_cmp_ne_u16_e64 s7, 0, v4
	s_or_b32 s73, vcc_lo, s7
	s_delay_alu instid0(SALU_CYCLE_1) | instskip(NEXT) | instid1(SALU_CYCLE_1)
	s_and_b32 s73, exec_lo, s73
	s_or_b32 s18, s73, s18
	s_and_not1_b32 s72, s72, exec_lo
	s_and_b32 s7, s7, exec_lo
	s_delay_alu instid0(SALU_CYCLE_1)
	s_or_b32 s72, s72, s7
	s_and_not1_b32 exec_lo, exec_lo, s18
	s_cbranch_execz .LBB137_140
.LBB137_130:                            ;   Parent Loop BB137_21 Depth=1
                                        ; =>  This Inner Loop Header: Depth=2
	s_delay_alu instid0(VALU_DEP_1)
	v_cmp_gt_u32_e32 vcc_lo, s12, v2
	v_mov_b32_e32 v3, 0
	s_and_saveexec_b32 s7, vcc_lo
	s_cbranch_execz .LBB137_132
; %bb.131:                              ;   in Loop: Header=BB137_130 Depth=2
	ds_load_u16 v3, v1
.LBB137_132:                            ;   in Loop: Header=BB137_130 Depth=2
	s_or_b32 exec_lo, exec_lo, s7
	s_and_saveexec_b32 s7, vcc_lo
	s_cbranch_execz .LBB137_129
; %bb.133:                              ;   in Loop: Header=BB137_130 Depth=2
	s_waitcnt lgkmcnt(0)
	v_cmp_lt_i16_e32 vcc_lo, -1, v3
	v_and_b32_e32 v4, 0xffff, v3
	v_dual_cndmask_b32 v6, 0xffff, v26 :: v_dual_lshlrev_b32 v27, 16, v3
	s_delay_alu instid0(VALU_DEP_1) | instskip(NEXT) | instid1(VALU_DEP_2)
	v_cmp_o_f32_e32 vcc_lo, v27, v27
	v_xor_b32_e32 v4, v6, v4
	s_delay_alu instid0(VALU_DEP_1) | instskip(NEXT) | instid1(VALU_DEP_1)
	v_cndmask_b32_e32 v4, 0xffff, v4, vcc_lo
	v_and_b32_e32 v4, s70, v4
	s_delay_alu instid0(VALU_DEP_1)
	v_cmp_eq_u32_e32 vcc_lo, s69, v4
	s_and_b32 exec_lo, exec_lo, vcc_lo
	s_cbranch_execz .LBB137_129
; %bb.134:                              ;   in Loop: Header=BB137_130 Depth=2
	v_perm_b32 v3, v3, s60, 0x5040100
	ds_store_b32 v7, v3 offset:3072
	s_branch .LBB137_129
.LBB137_135:                            ;   in Loop: Header=BB137_21 Depth=1
                                        ; implicit-def: $sgpr13
                                        ; implicit-def: $sgpr15
                                        ; implicit-def: $sgpr12
	s_branch .LBB137_152
.LBB137_136:                            ;   in Loop: Header=BB137_21 Depth=1
	s_or_b32 exec_lo, exec_lo, s9
	s_waitcnt lgkmcnt(0)
	s_barrier
	buffer_gl0_inv
	s_and_saveexec_b32 s7, s1
	s_cbranch_execz .LBB137_138
; %bb.137:                              ;   in Loop: Header=BB137_21 Depth=1
	ds_load_b32 v1, v7 offset:4112
	s_waitcnt lgkmcnt(0)
	ds_store_b32 v7, v1 offset:4104
.LBB137_138:                            ;   in Loop: Header=BB137_21 Depth=1
	s_or_b32 exec_lo, exec_lo, s7
	s_waitcnt lgkmcnt(0)
	s_mov_b32 s7, -1
	s_barrier
	s_and_b32 vcc_lo, exec_lo, s72
	s_cbranch_vccnz .LBB137_36
	s_branch .LBB137_46
.LBB137_139:                            ;   in Loop: Header=BB137_21 Depth=1
	s_mov_b32 s13, -1
	s_mov_b32 s72, 0
                                        ; implicit-def: $sgpr12
                                        ; implicit-def: $vgpr27
	s_mov_b32 s15, s13
	s_cbranch_execnz .LBB137_142
	s_branch .LBB137_152
.LBB137_140:                            ;   in Loop: Header=BB137_21 Depth=1
	s_or_b32 exec_lo, exec_lo, s18
	v_lshrrev_b32_e32 v27, 16, v3
	s_and_b32 s72, s72, exec_lo
.LBB137_141:                            ;   in Loop: Header=BB137_21 Depth=1
	s_or_b32 exec_lo, exec_lo, s13
	s_mov_b32 s12, -1
	s_mov_b32 s13, 0
	s_delay_alu instid0(SALU_CYCLE_1)
	s_mov_b32 s15, s13
	s_branch .LBB137_152
.LBB137_142:                            ;   in Loop: Header=BB137_21 Depth=1
	s_mov_b32 s72, 0
                                        ; implicit-def: $vgpr27
	s_and_saveexec_b32 s12, s6
	s_cbranch_execz .LBB137_151
; %bb.143:                              ;   in Loop: Header=BB137_21 Depth=1
	v_dual_mov_b32 v6, v5 :: v_dual_mov_b32 v1, v0
	s_mov_b32 s13, 0
                                        ; implicit-def: $sgpr15
	s_branch .LBB137_145
.LBB137_144:                            ;   in Loop: Header=BB137_145 Depth=2
	s_or_b32 exec_lo, exec_lo, s7
	s_waitcnt vmcnt(0) lgkmcnt(0)
	s_barrier
	buffer_gl0_inv
	ds_load_b32 v2, v7 offset:3072
	v_add_nc_u32_e32 v1, s27, v1
	v_add_nc_u32_e32 v6, s43, v6
	s_waitcnt lgkmcnt(0)
	s_barrier
	buffer_gl0_inv
	v_cmp_le_u32_e32 vcc_lo, s57, v1
	v_and_b32_e32 v3, 0x7fff, v2
	s_delay_alu instid0(VALU_DEP_1) | instskip(NEXT) | instid1(VALU_DEP_1)
	v_cmp_ne_u16_e64 s7, 0, v3
	s_or_b32 s18, vcc_lo, s7
	s_delay_alu instid0(SALU_CYCLE_1) | instskip(NEXT) | instid1(SALU_CYCLE_1)
	s_and_b32 s18, exec_lo, s18
	s_or_b32 s13, s18, s13
	s_and_not1_b32 s15, s15, exec_lo
	s_and_b32 s7, s7, exec_lo
	s_delay_alu instid0(SALU_CYCLE_1)
	s_or_b32 s15, s15, s7
	s_and_not1_b32 exec_lo, exec_lo, s13
	s_cbranch_execz .LBB137_150
.LBB137_145:                            ;   Parent Loop BB137_21 Depth=1
                                        ; =>  This Inner Loop Header: Depth=2
	s_delay_alu instid0(VALU_DEP_1)
	v_cmp_gt_u32_e32 vcc_lo, s24, v1
	v_mov_b32_e32 v2, 0
	s_and_saveexec_b32 s18, vcc_lo
	s_cbranch_execz .LBB137_147
; %bb.146:                              ;   in Loop: Header=BB137_145 Depth=2
	v_lshlrev_b64 v[2:3], 1, v[6:7]
	s_delay_alu instid0(VALU_DEP_1) | instskip(NEXT) | instid1(VALU_DEP_1)
	v_add_co_u32 v2, s7, s38, v2
	v_add_co_ci_u32_e64 v3, s7, s39, v3, s7
	global_load_u16 v2, v[2:3], off
.LBB137_147:                            ;   in Loop: Header=BB137_145 Depth=2
	s_or_b32 exec_lo, exec_lo, s18
	s_and_saveexec_b32 s7, vcc_lo
	s_cbranch_execz .LBB137_144
; %bb.148:                              ;   in Loop: Header=BB137_145 Depth=2
	s_waitcnt vmcnt(0)
	v_cmp_lt_i16_e32 vcc_lo, -1, v2
	v_and_b32_e32 v3, 0xffff, v2
	v_lshlrev_b32_e32 v27, 16, v2
	v_cndmask_b32_e32 v4, 0xffff, v26, vcc_lo
	s_delay_alu instid0(VALU_DEP_2) | instskip(NEXT) | instid1(VALU_DEP_2)
	v_cmp_o_f32_e32 vcc_lo, v27, v27
	v_xor_b32_e32 v3, v4, v3
	s_delay_alu instid0(VALU_DEP_1) | instskip(NEXT) | instid1(VALU_DEP_1)
	v_cndmask_b32_e32 v3, 0xffff, v3, vcc_lo
	v_and_b32_e32 v3, s70, v3
	s_delay_alu instid0(VALU_DEP_1)
	v_cmp_eq_u32_e32 vcc_lo, s69, v3
	s_and_b32 exec_lo, exec_lo, vcc_lo
	s_cbranch_execz .LBB137_144
; %bb.149:                              ;   in Loop: Header=BB137_145 Depth=2
	v_perm_b32 v2, v2, s60, 0x5040100
	ds_store_b32 v7, v2 offset:3072
	s_branch .LBB137_144
.LBB137_150:                            ;   in Loop: Header=BB137_21 Depth=1
	s_or_b32 exec_lo, exec_lo, s13
	v_lshrrev_b32_e32 v27, 16, v2
	s_and_b32 s72, s15, exec_lo
.LBB137_151:                            ;   in Loop: Header=BB137_21 Depth=1
	s_or_b32 exec_lo, exec_lo, s12
	s_mov_b32 s15, -1
	s_mov_b32 s13, 0
	s_mov_b32 s12, 0
.LBB137_152:                            ;   in Loop: Header=BB137_21 Depth=1
	s_mov_b32 s73, 0
                                        ; implicit-def: $sgpr7
	s_and_saveexec_b32 s18, s72
	s_cbranch_execz .LBB137_248
; %bb.153:                              ;   in Loop: Header=BB137_21 Depth=1
	s_xor_b32 s7, s71, -1
	s_mov_b32 s71, 0
	s_and_not1_b32 vcc_lo, exec_lo, s7
	s_mov_b32 s74, 1
	s_cbranch_vccnz .LBB137_164
; %bb.154:                              ;   in Loop: Header=BB137_21 Depth=1
	s_cmp_gt_u32 s20, s19
	s_mov_b32 s71, -1
                                        ; implicit-def: $sgpr7
                                        ; implicit-def: $sgpr72
                                        ; implicit-def: $sgpr73
	s_cbranch_scc1 .LBB137_160
; %bb.155:                              ;   in Loop: Header=BB137_21 Depth=1
	ds_load_b32 v1, v7 offset:4104
	s_waitcnt lgkmcnt(0)
	v_cmp_ne_u32_e32 vcc_lo, 0, v1
	s_cbranch_vccnz .LBB137_159
; %bb.156:                              ;   in Loop: Header=BB137_21 Depth=1
	s_and_saveexec_b32 s7, s1
	s_cbranch_execz .LBB137_158
; %bb.157:                              ;   in Loop: Header=BB137_21 Depth=1
	v_mov_b32_e32 v1, s19
	ds_store_b32 v7, v1 offset:4108
.LBB137_158:                            ;   in Loop: Header=BB137_21 Depth=1
	s_or_b32 exec_lo, exec_lo, s7
	s_waitcnt lgkmcnt(0)
	s_barrier
	buffer_gl0_inv
.LBB137_159:                            ;   in Loop: Header=BB137_21 Depth=1
	s_lshl_b32 s7, 1, s16
	s_and_b32 s71, s69, s17
	s_or_b32 s73, s70, s9
	s_or_b32 s72, s71, s7
	s_mov_b32 s71, 0
	s_mov_b32 s7, 8
.LBB137_160:                            ;   in Loop: Header=BB137_21 Depth=1
	s_and_not1_b32 vcc_lo, exec_lo, s71
	s_cbranch_vccnz .LBB137_162
; %bb.161:                              ;   in Loop: Header=BB137_21 Depth=1
	s_sub_i32 s20, s20, s19
	s_mov_b32 s71, -1
	s_mov_b32 s7, 0
	s_mov_b32 s72, s69
	;; [unrolled: 1-line block ×3, first 2 shown]
.LBB137_162:                            ;   in Loop: Header=BB137_21 Depth=1
	s_delay_alu instid0(SALU_CYCLE_1)
	s_mov_b32 s70, s73
	s_mov_b32 s69, s72
	;; [unrolled: 1-line block ×3, first 2 shown]
	s_and_not1_b32 vcc_lo, exec_lo, s71
	s_mov_b32 s76, -1
	s_cbranch_vccz .LBB137_165
.LBB137_163:                            ;   in Loop: Header=BB137_21 Depth=1
                                        ; implicit-def: $sgpr20
                                        ; implicit-def: $sgpr71
                                        ; implicit-def: $sgpr19
	s_branch .LBB137_247
.LBB137_164:                            ;   in Loop: Header=BB137_21 Depth=1
	s_mov_b32 s7, 1
	s_and_not1_b32 vcc_lo, exec_lo, s71
	s_mov_b32 s76, -1
	s_cbranch_vccnz .LBB137_163
.LBB137_165:                            ;   in Loop: Header=BB137_21 Depth=1
	s_cmp_eq_u32 s14, 1
	s_mov_b32 s75, -1
	s_cselect_b32 s7, -1, 0
	s_cmp_eq_u32 s74, 1
	s_cselect_b32 s19, -1, 0
	s_delay_alu instid0(SALU_CYCLE_1) | instskip(NEXT) | instid1(SALU_CYCLE_1)
	s_and_b32 s73, s7, s19
	s_and_b32 vcc_lo, exec_lo, s73
	s_cbranch_vccz .LBB137_177
; %bb.166:                              ;   in Loop: Header=BB137_21 Depth=1
	ds_load_b32 v1, v7 offset:4104
	s_waitcnt lgkmcnt(0)
	s_barrier
	buffer_gl0_inv
	v_readfirstlane_b32 s19, v1
	s_and_saveexec_b32 s7, s2
	s_cbranch_execz .LBB137_168
; %bb.167:                              ;   in Loop: Header=BB137_21 Depth=1
	ds_store_b16 v16, v7
.LBB137_168:                            ;   in Loop: Header=BB137_21 Depth=1
	s_or_b32 exec_lo, exec_lo, s7
	s_lshl_b32 s7, 2, s16
	s_and_b32 s20, s69, s17
	s_or_b32 s70, s70, s9
	s_or_b32 s69, s20, s7
	s_cmp_eq_u32 s19, 0
	s_waitcnt lgkmcnt(0)
	s_barrier
	buffer_gl0_inv
	s_cbranch_scc1 .LBB137_178
; %bb.169:                              ;   in Loop: Header=BB137_21 Depth=1
	s_add_i32 s7, s19, s46
	s_mov_b32 s75, 0
	s_mul_hi_u32 s20, s7, s55
                                        ; implicit-def: $vgpr27
	s_delay_alu instid0(SALU_CYCLE_1) | instskip(NEXT) | instid1(SALU_CYCLE_1)
	s_mul_i32 s20, s20, s27
	s_sub_i32 s20, s7, s20
	s_delay_alu instid0(SALU_CYCLE_1) | instskip(SKIP_2) | instid1(SALU_CYCLE_1)
	s_sub_i32 s71, s20, s27
	s_cmp_ge_u32 s20, s27
	s_cselect_b32 s20, s71, s20
	s_sub_i32 s71, s20, s27
	s_cmp_ge_u32 s20, s27
	s_cselect_b32 s20, s71, s20
	s_delay_alu instid0(SALU_CYCLE_1)
	s_sub_i32 s71, s7, s20
	s_mov_b32 s20, exec_lo
	v_cmpx_gt_u32_e64 s71, v0
	s_cbranch_execz .LBB137_180
; %bb.170:                              ;   in Loop: Header=BB137_21 Depth=1
	v_dual_mov_b32 v1, v15 :: v_dual_mov_b32 v2, v0
	s_mov_b32 s72, 0
                                        ; implicit-def: $sgpr75
	s_branch .LBB137_172
.LBB137_171:                            ;   in Loop: Header=BB137_172 Depth=2
	s_or_b32 exec_lo, exec_lo, s7
	s_waitcnt lgkmcnt(0)
	s_barrier
	buffer_gl0_inv
	ds_load_b32 v3, v7 offset:3072
	v_add_nc_u32_e32 v2, s27, v2
	v_add_nc_u32_e32 v1, s59, v1
	s_waitcnt lgkmcnt(0)
	s_barrier
	buffer_gl0_inv
	v_cmp_le_u32_e32 vcc_lo, s71, v2
	v_and_b32_e32 v4, 0x7fff, v3
	s_delay_alu instid0(VALU_DEP_1) | instskip(NEXT) | instid1(VALU_DEP_1)
	v_cmp_ne_u16_e64 s7, 0, v4
	s_or_b32 s76, vcc_lo, s7
	s_delay_alu instid0(SALU_CYCLE_1) | instskip(NEXT) | instid1(SALU_CYCLE_1)
	s_and_b32 s76, exec_lo, s76
	s_or_b32 s72, s76, s72
	s_and_not1_b32 s75, s75, exec_lo
	s_and_b32 s7, s7, exec_lo
	s_delay_alu instid0(SALU_CYCLE_1)
	s_or_b32 s75, s75, s7
	s_and_not1_b32 exec_lo, exec_lo, s72
	s_cbranch_execz .LBB137_179
.LBB137_172:                            ;   Parent Loop BB137_21 Depth=1
                                        ; =>  This Inner Loop Header: Depth=2
	s_delay_alu instid0(VALU_DEP_1)
	v_cmp_gt_u32_e32 vcc_lo, s19, v2
	v_mov_b32_e32 v3, 0
	s_and_saveexec_b32 s7, vcc_lo
	s_cbranch_execz .LBB137_174
; %bb.173:                              ;   in Loop: Header=BB137_172 Depth=2
	ds_load_u16 v3, v1
.LBB137_174:                            ;   in Loop: Header=BB137_172 Depth=2
	s_or_b32 exec_lo, exec_lo, s7
	s_and_saveexec_b32 s7, vcc_lo
	s_cbranch_execz .LBB137_171
; %bb.175:                              ;   in Loop: Header=BB137_172 Depth=2
	s_waitcnt lgkmcnt(0)
	v_cmp_lt_i16_e32 vcc_lo, -1, v3
	v_and_b32_e32 v4, 0xffff, v3
	v_dual_cndmask_b32 v6, 0xffff, v26 :: v_dual_lshlrev_b32 v27, 16, v3
	s_delay_alu instid0(VALU_DEP_1) | instskip(NEXT) | instid1(VALU_DEP_2)
	v_cmp_o_f32_e32 vcc_lo, v27, v27
	v_xor_b32_e32 v4, v6, v4
	s_delay_alu instid0(VALU_DEP_1) | instskip(NEXT) | instid1(VALU_DEP_1)
	v_cndmask_b32_e32 v4, 0xffff, v4, vcc_lo
	v_and_b32_e32 v4, s70, v4
	s_delay_alu instid0(VALU_DEP_1)
	v_cmp_eq_u32_e32 vcc_lo, s69, v4
	s_and_b32 exec_lo, exec_lo, vcc_lo
	s_cbranch_execz .LBB137_171
; %bb.176:                              ;   in Loop: Header=BB137_172 Depth=2
	v_perm_b32 v3, v3, s60, 0x5040100
	ds_store_b32 v7, v3 offset:3072
	s_branch .LBB137_171
.LBB137_177:                            ;   in Loop: Header=BB137_21 Depth=1
                                        ; implicit-def: $sgpr19
                                        ; implicit-def: $sgpr71
                                        ; implicit-def: $sgpr20
	s_branch .LBB137_191
.LBB137_178:                            ;   in Loop: Header=BB137_21 Depth=1
	s_mov_b32 s19, -1
	s_mov_b32 s75, 0
                                        ; implicit-def: $sgpr20
                                        ; implicit-def: $vgpr27
	s_mov_b32 s71, s19
	s_cbranch_execnz .LBB137_181
	s_branch .LBB137_191
.LBB137_179:                            ;   in Loop: Header=BB137_21 Depth=1
	s_or_b32 exec_lo, exec_lo, s72
	v_lshrrev_b32_e32 v27, 16, v3
	s_and_b32 s75, s75, exec_lo
.LBB137_180:                            ;   in Loop: Header=BB137_21 Depth=1
	s_or_b32 exec_lo, exec_lo, s20
	s_mov_b32 s20, -1
	s_mov_b32 s19, 0
	s_delay_alu instid0(SALU_CYCLE_1)
	s_mov_b32 s71, s19
	s_branch .LBB137_191
.LBB137_181:                            ;   in Loop: Header=BB137_21 Depth=1
	s_mov_b32 s75, 0
                                        ; implicit-def: $vgpr27
	s_and_saveexec_b32 s19, s6
	s_cbranch_execz .LBB137_190
; %bb.182:                              ;   in Loop: Header=BB137_21 Depth=1
	v_dual_mov_b32 v6, v5 :: v_dual_mov_b32 v1, v0
	s_mov_b32 s20, 0
                                        ; implicit-def: $sgpr71
	s_branch .LBB137_184
.LBB137_183:                            ;   in Loop: Header=BB137_184 Depth=2
	s_or_b32 exec_lo, exec_lo, s7
	s_waitcnt vmcnt(0) lgkmcnt(0)
	s_barrier
	buffer_gl0_inv
	ds_load_b32 v2, v7 offset:3072
	v_add_nc_u32_e32 v1, s27, v1
	v_add_nc_u32_e32 v6, s43, v6
	s_waitcnt lgkmcnt(0)
	s_barrier
	buffer_gl0_inv
	v_cmp_le_u32_e32 vcc_lo, s57, v1
	v_and_b32_e32 v3, 0x7fff, v2
	s_delay_alu instid0(VALU_DEP_1) | instskip(NEXT) | instid1(VALU_DEP_1)
	v_cmp_ne_u16_e64 s7, 0, v3
	s_or_b32 s72, vcc_lo, s7
	s_delay_alu instid0(SALU_CYCLE_1) | instskip(NEXT) | instid1(SALU_CYCLE_1)
	s_and_b32 s72, exec_lo, s72
	s_or_b32 s20, s72, s20
	s_and_not1_b32 s71, s71, exec_lo
	s_and_b32 s7, s7, exec_lo
	s_delay_alu instid0(SALU_CYCLE_1)
	s_or_b32 s71, s71, s7
	s_and_not1_b32 exec_lo, exec_lo, s20
	s_cbranch_execz .LBB137_189
.LBB137_184:                            ;   Parent Loop BB137_21 Depth=1
                                        ; =>  This Inner Loop Header: Depth=2
	s_delay_alu instid0(VALU_DEP_1)
	v_cmp_gt_u32_e32 vcc_lo, s24, v1
	v_mov_b32_e32 v2, 0
	s_and_saveexec_b32 s72, vcc_lo
	s_cbranch_execz .LBB137_186
; %bb.185:                              ;   in Loop: Header=BB137_184 Depth=2
	v_lshlrev_b64 v[2:3], 1, v[6:7]
	s_delay_alu instid0(VALU_DEP_1) | instskip(NEXT) | instid1(VALU_DEP_1)
	v_add_co_u32 v2, s7, s38, v2
	v_add_co_ci_u32_e64 v3, s7, s39, v3, s7
	global_load_u16 v2, v[2:3], off
.LBB137_186:                            ;   in Loop: Header=BB137_184 Depth=2
	s_or_b32 exec_lo, exec_lo, s72
	s_and_saveexec_b32 s7, vcc_lo
	s_cbranch_execz .LBB137_183
; %bb.187:                              ;   in Loop: Header=BB137_184 Depth=2
	s_waitcnt vmcnt(0)
	v_cmp_lt_i16_e32 vcc_lo, -1, v2
	v_and_b32_e32 v3, 0xffff, v2
	v_lshlrev_b32_e32 v27, 16, v2
	v_cndmask_b32_e32 v4, 0xffff, v26, vcc_lo
	s_delay_alu instid0(VALU_DEP_2) | instskip(NEXT) | instid1(VALU_DEP_2)
	v_cmp_o_f32_e32 vcc_lo, v27, v27
	v_xor_b32_e32 v3, v4, v3
	s_delay_alu instid0(VALU_DEP_1) | instskip(NEXT) | instid1(VALU_DEP_1)
	v_cndmask_b32_e32 v3, 0xffff, v3, vcc_lo
	v_and_b32_e32 v3, s70, v3
	s_delay_alu instid0(VALU_DEP_1)
	v_cmp_eq_u32_e32 vcc_lo, s69, v3
	s_and_b32 exec_lo, exec_lo, vcc_lo
	s_cbranch_execz .LBB137_183
; %bb.188:                              ;   in Loop: Header=BB137_184 Depth=2
	v_perm_b32 v2, v2, s60, 0x5040100
	ds_store_b32 v7, v2 offset:3072
	s_branch .LBB137_183
.LBB137_189:                            ;   in Loop: Header=BB137_21 Depth=1
	s_or_b32 exec_lo, exec_lo, s20
	v_lshrrev_b32_e32 v27, 16, v2
	s_and_b32 s75, s71, exec_lo
.LBB137_190:                            ;   in Loop: Header=BB137_21 Depth=1
	s_or_b32 exec_lo, exec_lo, s19
	s_mov_b32 s71, -1
	s_mov_b32 s19, 0
	s_mov_b32 s20, 0
.LBB137_191:                            ;   in Loop: Header=BB137_21 Depth=1
	s_mov_b32 s76, 0
                                        ; implicit-def: $sgpr7
	s_and_saveexec_b32 s72, s75
	s_cbranch_execz .LBB137_246
; %bb.192:                              ;   in Loop: Header=BB137_21 Depth=1
	s_xor_b32 s7, s73, -1
	s_mov_b32 s75, 0
	s_and_not1_b32 vcc_lo, exec_lo, s7
	s_mov_b32 s73, 1
	s_cbranch_vccnz .LBB137_203
; %bb.193:                              ;   in Loop: Header=BB137_21 Depth=1
	s_cmp_gt_u32 s74, s14
	s_mov_b32 s75, -1
                                        ; implicit-def: $sgpr7
                                        ; implicit-def: $sgpr73
                                        ; implicit-def: $sgpr76
	s_cbranch_scc1 .LBB137_199
; %bb.194:                              ;   in Loop: Header=BB137_21 Depth=1
	ds_load_b32 v1, v7 offset:4104
	s_waitcnt lgkmcnt(0)
	v_cmp_ne_u32_e32 vcc_lo, 0, v1
	s_cbranch_vccnz .LBB137_198
; %bb.195:                              ;   in Loop: Header=BB137_21 Depth=1
	s_and_saveexec_b32 s7, s1
	s_cbranch_execz .LBB137_197
; %bb.196:                              ;   in Loop: Header=BB137_21 Depth=1
	v_mov_b32_e32 v1, s14
	ds_store_b32 v7, v1 offset:4108
.LBB137_197:                            ;   in Loop: Header=BB137_21 Depth=1
	s_or_b32 exec_lo, exec_lo, s7
	s_waitcnt lgkmcnt(0)
	s_barrier
	buffer_gl0_inv
.LBB137_198:                            ;   in Loop: Header=BB137_21 Depth=1
	s_lshl_b32 s7, 2, s16
	s_and_b32 s16, s69, s17
	s_or_b32 s76, s70, s9
	s_or_b32 s73, s16, s7
	s_mov_b32 s75, 0
	s_mov_b32 s7, 8
.LBB137_199:                            ;   in Loop: Header=BB137_21 Depth=1
	s_and_not1_b32 vcc_lo, exec_lo, s75
	s_cbranch_vccnz .LBB137_201
; %bb.200:                              ;   in Loop: Header=BB137_21 Depth=1
	s_sub_i32 s74, s74, s14
	s_mov_b32 s75, -1
	s_mov_b32 s7, 0
	s_mov_b32 s73, s69
	;; [unrolled: 1-line block ×3, first 2 shown]
.LBB137_201:                            ;   in Loop: Header=BB137_21 Depth=1
	s_delay_alu instid0(SALU_CYCLE_1)
	s_mov_b32 s70, s76
	s_mov_b32 s69, s73
	;; [unrolled: 1-line block ×3, first 2 shown]
	s_and_not1_b32 vcc_lo, exec_lo, s75
	s_mov_b32 s77, -1
	s_cbranch_vccz .LBB137_204
.LBB137_202:                            ;   in Loop: Header=BB137_21 Depth=1
                                        ; implicit-def: $sgpr16
                                        ; implicit-def: $sgpr74
                                        ; implicit-def: $sgpr17
	s_branch .LBB137_245
.LBB137_203:                            ;   in Loop: Header=BB137_21 Depth=1
	s_mov_b32 s7, 1
	s_and_not1_b32 vcc_lo, exec_lo, s75
	s_mov_b32 s77, -1
	s_cbranch_vccnz .LBB137_202
.LBB137_204:                            ;   in Loop: Header=BB137_21 Depth=1
	s_cmp_eq_u32 s8, 1
	s_mov_b32 s75, -1
	s_cselect_b32 s7, -1, 0
	s_cmp_eq_u32 s73, 1
	s_cselect_b32 s14, -1, 0
	s_delay_alu instid0(SALU_CYCLE_1) | instskip(NEXT) | instid1(SALU_CYCLE_1)
	s_and_b32 s14, s7, s14
	s_and_b32 vcc_lo, exec_lo, s14
	s_cbranch_vccz .LBB137_216
; %bb.205:                              ;   in Loop: Header=BB137_21 Depth=1
	ds_load_b32 v1, v7 offset:4104
	s_waitcnt lgkmcnt(0)
	s_barrier
	buffer_gl0_inv
	v_readfirstlane_b32 s16, v1
	s_and_saveexec_b32 s7, s2
	s_cbranch_execz .LBB137_207
; %bb.206:                              ;   in Loop: Header=BB137_21 Depth=1
	ds_store_b16 v16, v7
.LBB137_207:                            ;   in Loop: Header=BB137_21 Depth=1
	s_or_b32 exec_lo, exec_lo, s7
	s_or_b32 s69, s69, s9
	s_or_b32 s70, s70, s9
	s_cmp_eq_u32 s16, 0
	s_waitcnt lgkmcnt(0)
	s_barrier
	buffer_gl0_inv
	s_cbranch_scc1 .LBB137_217
; %bb.208:                              ;   in Loop: Header=BB137_21 Depth=1
	s_add_i32 s7, s16, s46
	s_mov_b32 s75, 0
	s_mul_hi_u32 s17, s7, s55
                                        ; implicit-def: $vgpr27
	s_delay_alu instid0(SALU_CYCLE_1) | instskip(NEXT) | instid1(SALU_CYCLE_1)
	s_mul_i32 s17, s17, s27
	s_sub_i32 s17, s7, s17
	s_delay_alu instid0(SALU_CYCLE_1) | instskip(SKIP_2) | instid1(SALU_CYCLE_1)
	s_sub_i32 s74, s17, s27
	s_cmp_ge_u32 s17, s27
	s_cselect_b32 s17, s74, s17
	s_sub_i32 s74, s17, s27
	s_cmp_ge_u32 s17, s27
	s_cselect_b32 s17, s74, s17
	s_delay_alu instid0(SALU_CYCLE_1)
	s_sub_i32 s74, s7, s17
	s_mov_b32 s17, exec_lo
	v_cmpx_gt_u32_e64 s74, v0
	s_cbranch_execz .LBB137_219
; %bb.209:                              ;   in Loop: Header=BB137_21 Depth=1
	v_dual_mov_b32 v1, v15 :: v_dual_mov_b32 v2, v0
                                        ; implicit-def: $sgpr76
	s_branch .LBB137_211
.LBB137_210:                            ;   in Loop: Header=BB137_211 Depth=2
	s_or_b32 exec_lo, exec_lo, s7
	s_waitcnt lgkmcnt(0)
	s_barrier
	buffer_gl0_inv
	ds_load_b32 v3, v7 offset:3072
	v_add_nc_u32_e32 v2, s27, v2
	v_add_nc_u32_e32 v1, s59, v1
	s_waitcnt lgkmcnt(0)
	s_barrier
	buffer_gl0_inv
	v_cmp_le_u32_e32 vcc_lo, s74, v2
	v_and_b32_e32 v4, 0x7fff, v3
	s_delay_alu instid0(VALU_DEP_1) | instskip(NEXT) | instid1(VALU_DEP_1)
	v_cmp_ne_u16_e64 s7, 0, v4
	s_or_b32 s77, vcc_lo, s7
	s_delay_alu instid0(SALU_CYCLE_1) | instskip(NEXT) | instid1(SALU_CYCLE_1)
	s_and_b32 s77, exec_lo, s77
	s_or_b32 s75, s77, s75
	s_and_not1_b32 s76, s76, exec_lo
	s_and_b32 s7, s7, exec_lo
	s_delay_alu instid0(SALU_CYCLE_1)
	s_or_b32 s76, s76, s7
	s_and_not1_b32 exec_lo, exec_lo, s75
	s_cbranch_execz .LBB137_218
.LBB137_211:                            ;   Parent Loop BB137_21 Depth=1
                                        ; =>  This Inner Loop Header: Depth=2
	s_delay_alu instid0(VALU_DEP_1)
	v_cmp_gt_u32_e32 vcc_lo, s16, v2
	v_mov_b32_e32 v3, 0
	s_and_saveexec_b32 s7, vcc_lo
	s_cbranch_execz .LBB137_213
; %bb.212:                              ;   in Loop: Header=BB137_211 Depth=2
	ds_load_u16 v3, v1
.LBB137_213:                            ;   in Loop: Header=BB137_211 Depth=2
	s_or_b32 exec_lo, exec_lo, s7
	s_and_saveexec_b32 s7, vcc_lo
	s_cbranch_execz .LBB137_210
; %bb.214:                              ;   in Loop: Header=BB137_211 Depth=2
	s_waitcnt lgkmcnt(0)
	v_cmp_lt_i16_e32 vcc_lo, -1, v3
	v_and_b32_e32 v4, 0xffff, v3
	v_dual_cndmask_b32 v6, 0xffff, v26 :: v_dual_lshlrev_b32 v27, 16, v3
	s_delay_alu instid0(VALU_DEP_1) | instskip(NEXT) | instid1(VALU_DEP_2)
	v_cmp_o_f32_e32 vcc_lo, v27, v27
	v_xor_b32_e32 v4, v6, v4
	s_delay_alu instid0(VALU_DEP_1) | instskip(NEXT) | instid1(VALU_DEP_1)
	v_cndmask_b32_e32 v4, 0xffff, v4, vcc_lo
	v_and_b32_e32 v4, s70, v4
	s_delay_alu instid0(VALU_DEP_1)
	v_cmp_eq_u32_e32 vcc_lo, s69, v4
	s_and_b32 exec_lo, exec_lo, vcc_lo
	s_cbranch_execz .LBB137_210
; %bb.215:                              ;   in Loop: Header=BB137_211 Depth=2
	v_perm_b32 v3, v3, s60, 0x5040100
	ds_store_b32 v7, v3 offset:3072
	s_branch .LBB137_210
.LBB137_216:                            ;   in Loop: Header=BB137_21 Depth=1
                                        ; implicit-def: $sgpr16
                                        ; implicit-def: $sgpr74
                                        ; implicit-def: $sgpr17
	s_branch .LBB137_230
.LBB137_217:                            ;   in Loop: Header=BB137_21 Depth=1
	s_mov_b32 s16, -1
	s_mov_b32 s75, 0
                                        ; implicit-def: $sgpr17
                                        ; implicit-def: $vgpr27
	s_mov_b32 s74, s16
	s_cbranch_execnz .LBB137_220
	s_branch .LBB137_230
.LBB137_218:                            ;   in Loop: Header=BB137_21 Depth=1
	s_or_b32 exec_lo, exec_lo, s75
	v_lshrrev_b32_e32 v27, 16, v3
	s_and_b32 s75, s76, exec_lo
.LBB137_219:                            ;   in Loop: Header=BB137_21 Depth=1
	s_or_b32 exec_lo, exec_lo, s17
	s_mov_b32 s17, -1
	s_mov_b32 s16, 0
	s_delay_alu instid0(SALU_CYCLE_1)
	s_mov_b32 s74, s16
	s_branch .LBB137_230
.LBB137_220:                            ;   in Loop: Header=BB137_21 Depth=1
	s_mov_b32 s75, 0
                                        ; implicit-def: $vgpr27
	s_and_saveexec_b32 s16, s6
	s_cbranch_execz .LBB137_229
; %bb.221:                              ;   in Loop: Header=BB137_21 Depth=1
	v_dual_mov_b32 v6, v5 :: v_dual_mov_b32 v1, v0
	s_mov_b32 s17, 0
                                        ; implicit-def: $sgpr74
	s_branch .LBB137_223
.LBB137_222:                            ;   in Loop: Header=BB137_223 Depth=2
	s_or_b32 exec_lo, exec_lo, s7
	s_waitcnt vmcnt(0) lgkmcnt(0)
	s_barrier
	buffer_gl0_inv
	ds_load_b32 v2, v7 offset:3072
	v_add_nc_u32_e32 v1, s27, v1
	v_add_nc_u32_e32 v6, s43, v6
	s_waitcnt lgkmcnt(0)
	s_barrier
	buffer_gl0_inv
	v_cmp_le_u32_e32 vcc_lo, s57, v1
	v_and_b32_e32 v3, 0x7fff, v2
	s_delay_alu instid0(VALU_DEP_1) | instskip(NEXT) | instid1(VALU_DEP_1)
	v_cmp_ne_u16_e64 s7, 0, v3
	s_or_b32 s75, vcc_lo, s7
	s_delay_alu instid0(SALU_CYCLE_1) | instskip(NEXT) | instid1(SALU_CYCLE_1)
	s_and_b32 s75, exec_lo, s75
	s_or_b32 s17, s75, s17
	s_and_not1_b32 s74, s74, exec_lo
	s_and_b32 s7, s7, exec_lo
	s_delay_alu instid0(SALU_CYCLE_1)
	s_or_b32 s74, s74, s7
	s_and_not1_b32 exec_lo, exec_lo, s17
	s_cbranch_execz .LBB137_228
.LBB137_223:                            ;   Parent Loop BB137_21 Depth=1
                                        ; =>  This Inner Loop Header: Depth=2
	s_delay_alu instid0(VALU_DEP_1)
	v_cmp_gt_u32_e32 vcc_lo, s24, v1
	v_mov_b32_e32 v2, 0
	s_and_saveexec_b32 s75, vcc_lo
	s_cbranch_execz .LBB137_225
; %bb.224:                              ;   in Loop: Header=BB137_223 Depth=2
	v_lshlrev_b64 v[2:3], 1, v[6:7]
	s_delay_alu instid0(VALU_DEP_1) | instskip(NEXT) | instid1(VALU_DEP_1)
	v_add_co_u32 v2, s7, s38, v2
	v_add_co_ci_u32_e64 v3, s7, s39, v3, s7
	global_load_u16 v2, v[2:3], off
.LBB137_225:                            ;   in Loop: Header=BB137_223 Depth=2
	s_or_b32 exec_lo, exec_lo, s75
	s_and_saveexec_b32 s7, vcc_lo
	s_cbranch_execz .LBB137_222
; %bb.226:                              ;   in Loop: Header=BB137_223 Depth=2
	s_waitcnt vmcnt(0)
	v_cmp_lt_i16_e32 vcc_lo, -1, v2
	v_and_b32_e32 v3, 0xffff, v2
	v_lshlrev_b32_e32 v27, 16, v2
	v_cndmask_b32_e32 v4, 0xffff, v26, vcc_lo
	s_delay_alu instid0(VALU_DEP_2) | instskip(NEXT) | instid1(VALU_DEP_2)
	v_cmp_o_f32_e32 vcc_lo, v27, v27
	v_xor_b32_e32 v3, v4, v3
	s_delay_alu instid0(VALU_DEP_1) | instskip(NEXT) | instid1(VALU_DEP_1)
	v_cndmask_b32_e32 v3, 0xffff, v3, vcc_lo
	v_and_b32_e32 v3, s70, v3
	s_delay_alu instid0(VALU_DEP_1)
	v_cmp_eq_u32_e32 vcc_lo, s69, v3
	s_and_b32 exec_lo, exec_lo, vcc_lo
	s_cbranch_execz .LBB137_222
; %bb.227:                              ;   in Loop: Header=BB137_223 Depth=2
	v_perm_b32 v2, v2, s60, 0x5040100
	ds_store_b32 v7, v2 offset:3072
	s_branch .LBB137_222
.LBB137_228:                            ;   in Loop: Header=BB137_21 Depth=1
	s_or_b32 exec_lo, exec_lo, s17
	v_lshrrev_b32_e32 v27, 16, v2
	s_and_b32 s75, s74, exec_lo
.LBB137_229:                            ;   in Loop: Header=BB137_21 Depth=1
	s_or_b32 exec_lo, exec_lo, s16
	s_mov_b32 s74, -1
	s_mov_b32 s16, 0
	s_mov_b32 s17, 0
.LBB137_230:                            ;   in Loop: Header=BB137_21 Depth=1
	s_mov_b32 s77, 0
                                        ; implicit-def: $sgpr7
	s_and_saveexec_b32 s76, s75
	s_cbranch_execz .LBB137_244
; %bb.231:                              ;   in Loop: Header=BB137_21 Depth=1
	s_xor_b32 s7, s14, -1
	s_delay_alu instid0(SALU_CYCLE_1)
	s_and_not1_b32 vcc_lo, exec_lo, s7
	s_mov_b32 s7, 1
	s_cbranch_vccnz .LBB137_238
; %bb.232:                              ;   in Loop: Header=BB137_21 Depth=1
	s_cmp_gt_u32 s73, s8
	s_cbranch_scc1 .LBB137_239
; %bb.233:                              ;   in Loop: Header=BB137_21 Depth=1
	ds_load_b32 v1, v7 offset:4104
	s_waitcnt lgkmcnt(0)
	v_cmp_ne_u32_e32 vcc_lo, 0, v1
	s_cbranch_vccnz .LBB137_237
; %bb.234:                              ;   in Loop: Header=BB137_21 Depth=1
	s_and_saveexec_b32 s7, s1
	s_cbranch_execz .LBB137_236
; %bb.235:                              ;   in Loop: Header=BB137_21 Depth=1
	v_mov_b32_e32 v1, s8
	ds_store_b32 v7, v1 offset:4108
.LBB137_236:                            ;   in Loop: Header=BB137_21 Depth=1
	s_or_b32 exec_lo, exec_lo, s7
	s_waitcnt lgkmcnt(0)
	s_barrier
	buffer_gl0_inv
.LBB137_237:                            ;   in Loop: Header=BB137_21 Depth=1
	s_or_b32 s14, s69, s9
	s_or_b32 s9, s70, s9
	s_mov_b32 s75, 0
	s_mov_b32 s7, 8
	s_branch .LBB137_240
.LBB137_238:                            ;   in Loop: Header=BB137_21 Depth=1
	s_mov_b32 s73, 1
	s_branch .LBB137_243
.LBB137_239:                            ;   in Loop: Header=BB137_21 Depth=1
	s_mov_b32 s75, -1
                                        ; implicit-def: $sgpr7
                                        ; implicit-def: $sgpr14
                                        ; implicit-def: $sgpr9
.LBB137_240:                            ;   in Loop: Header=BB137_21 Depth=1
	s_delay_alu instid0(SALU_CYCLE_1)
	s_and_not1_b32 vcc_lo, exec_lo, s75
	s_cbranch_vccnz .LBB137_242
; %bb.241:                              ;   in Loop: Header=BB137_21 Depth=1
	s_sub_i32 s73, s73, s8
	s_mov_b32 s7, 8
	s_mov_b32 s14, s69
	;; [unrolled: 1-line block ×3, first 2 shown]
.LBB137_242:                            ;   in Loop: Header=BB137_21 Depth=1
	s_mov_b32 s69, s14
	s_mov_b32 s70, s9
.LBB137_243:                            ;   in Loop: Header=BB137_21 Depth=1
	s_mov_b32 s77, exec_lo
.LBB137_244:                            ;   in Loop: Header=BB137_21 Depth=1
	s_or_b32 exec_lo, exec_lo, s76
.LBB137_245:                            ;   in Loop: Header=BB137_21 Depth=1
	s_delay_alu instid0(SALU_CYCLE_1)
	s_and_not1_b32 s8, s19, exec_lo
	s_and_b32 s9, s16, exec_lo
	s_and_not1_b32 s14, s20, exec_lo
	s_or_b32 s19, s8, s9
	s_and_not1_b32 s8, s71, exec_lo
	s_and_b32 s9, s74, exec_lo
	s_and_b32 s16, s17, exec_lo
	s_or_b32 s71, s8, s9
	s_or_b32 s20, s14, s16
	s_and_b32 s76, s77, exec_lo
	s_mov_b32 s74, s73
.LBB137_246:                            ;   in Loop: Header=BB137_21 Depth=1
	s_or_b32 exec_lo, exec_lo, s72
.LBB137_247:                            ;   in Loop: Header=BB137_21 Depth=1
	s_delay_alu instid0(SALU_CYCLE_1)
	s_and_not1_b32 s8, s13, exec_lo
	s_and_b32 s9, s19, exec_lo
	s_and_not1_b32 s12, s12, exec_lo
	s_or_b32 s13, s8, s9
	s_and_not1_b32 s8, s15, exec_lo
	s_and_b32 s9, s71, exec_lo
	s_and_b32 s14, s20, exec_lo
	s_or_b32 s15, s8, s9
	s_or_b32 s12, s12, s14
	s_and_b32 s73, s76, exec_lo
	s_mov_b32 s20, s74
.LBB137_248:                            ;   in Loop: Header=BB137_21 Depth=1
	s_or_b32 exec_lo, exec_lo, s18
                                        ; implicit-def: $sgpr71
	s_and_saveexec_b32 s8, s73
	s_delay_alu instid0(SALU_CYCLE_1)
	s_xor_b32 s8, exec_lo, s8
	s_cbranch_execz .LBB137_19
.LBB137_249:                            ;   in Loop: Header=BB137_21 Depth=1
	s_and_b32 s7, s7, -9
	s_delay_alu instid0(SALU_CYCLE_1)
	s_cmp_eq_u32 s7, 0
	s_cbranch_scc1 .LBB137_17
; %bb.250:                              ;   in Loop: Header=BB137_21 Depth=1
	s_mov_b32 s7, -1
	s_mov_b32 s9, -1
                                        ; implicit-def: $sgpr70
                                        ; implicit-def: $sgpr20
                                        ; implicit-def: $sgpr64
                                        ; implicit-def: $sgpr67
	s_branch .LBB137_18
.LBB137_251:
	s_or_b32 exec_lo, exec_lo, s42
	s_xor_b32 s4, s63, -1
	s_xor_b32 s1, s61, -1
	;; [unrolled: 1-line block ×3, first 2 shown]
	s_mov_b32 s2, 0
	s_and_saveexec_b32 s5, s1
	s_delay_alu instid0(SALU_CYCLE_1)
	s_xor_b32 s1, exec_lo, s5
	s_cbranch_execz .LBB137_265
; %bb.252:
	s_and_saveexec_b32 s2, s4
	s_delay_alu instid0(SALU_CYCLE_1)
	s_xor_b32 s4, exec_lo, s2
	s_cbranch_execz .LBB137_263
; %bb.253:
	s_and_saveexec_b32 s2, s3
	s_delay_alu instid0(SALU_CYCLE_1)
	s_xor_b32 s2, exec_lo, s2
; %bb.254:
	v_and_b32_e32 v2, 0x8000, v1
	v_mov_b32_e32 v3, 0xffff
	s_delay_alu instid0(VALU_DEP_2) | instskip(NEXT) | instid1(VALU_DEP_2)
	v_cmp_eq_u32_e32 vcc_lo, 0, v2
	v_cndmask_b32_e32 v2, 0x8000, v3, vcc_lo
	s_delay_alu instid0(VALU_DEP_1)
	v_xor_b32_e32 v27, v2, v1
; %bb.255:
	s_or_b32 exec_lo, exec_lo, s2
	s_mul_i32 s2, s41, s40
	s_add_i32 s3, s41, 1
	s_sub_i32 s2, s21, s2
	v_mov_b32_e32 v6, 0
	s_sub_i32 s5, s2, s40
	s_cmp_ge_u32 s2, s40
	s_cselect_b32 s3, s3, s41
	s_cselect_b32 s2, s5, s2
	s_add_i32 s5, s3, 1
	s_cmp_ge_u32 s2, s40
	s_cselect_b32 s2, s5, s3
	s_delay_alu instid0(SALU_CYCLE_1) | instskip(SKIP_2) | instid1(SALU_CYCLE_1)
	s_mul_i32 s3, s2, s40
	s_mul_i32 s2, s2, s30
	s_sub_i32 s3, s21, s3
	s_mul_i32 s5, s3, s31
	s_mov_b32 s3, 0
	s_add_i32 s2, s2, s5
	s_delay_alu instid0(SALU_CYCLE_1) | instskip(NEXT) | instid1(SALU_CYCLE_1)
	s_lshl_b64 s[6:7], s[2:3], 1
	s_add_u32 s6, s34, s6
	s_addc_u32 s7, s35, s7
	global_store_b16 v6, v27, s[6:7]
	s_and_saveexec_b32 s2, s0
	s_cbranch_execz .LBB137_262
; %bb.256:
	v_lshlrev_b32_e32 v2, 16, v27
                                        ; implicit-def: $sgpr5
                                        ; implicit-def: $sgpr8
                                        ; implicit-def: $sgpr7
	s_delay_alu instid0(VALU_DEP_1)
	v_cmp_u_f32_e32 vcc_lo, v2, v2
	s_xor_b32 s6, vcc_lo, -1
	s_set_inst_prefetch_distance 0x1
	s_branch .LBB137_258
	.p2align	6
.LBB137_257:                            ;   in Loop: Header=BB137_258 Depth=1
	s_or_b32 exec_lo, exec_lo, s0
	s_delay_alu instid0(SALU_CYCLE_1) | instskip(NEXT) | instid1(SALU_CYCLE_1)
	s_and_b32 s0, exec_lo, s8
	s_or_b32 s3, s0, s3
	s_and_not1_b32 s0, s5, exec_lo
	s_and_b32 s5, s7, exec_lo
	s_delay_alu instid0(SALU_CYCLE_1)
	s_or_b32 s5, s0, s5
	s_and_not1_b32 exec_lo, exec_lo, s3
	s_cbranch_execz .LBB137_260
.LBB137_258:                            ; =>This Inner Loop Header: Depth=1
	v_lshlrev_b64 v[3:4], 1, v[5:6]
	s_or_b32 s7, s7, exec_lo
	s_or_b32 s8, s8, exec_lo
	s_delay_alu instid0(VALU_DEP_1) | instskip(NEXT) | instid1(VALU_DEP_2)
	v_add_co_u32 v3, vcc_lo, s38, v3
	v_add_co_ci_u32_e32 v4, vcc_lo, s39, v4, vcc_lo
	global_load_u16 v1, v[3:4], off
	s_waitcnt vmcnt(0)
	v_lshlrev_b32_e32 v1, 16, v1
	s_delay_alu instid0(VALU_DEP_1)
	v_cmp_o_f32_e32 vcc_lo, v1, v1
	v_cmp_neq_f32_e64 s0, v1, v2
	v_mov_b32_e32 v1, v0
                                        ; implicit-def: $vgpr0
	s_or_b32 s9, s6, vcc_lo
	s_delay_alu instid0(VALU_DEP_2) | instid1(SALU_CYCLE_1)
	s_and_b32 s9, s0, s9
	s_delay_alu instid0(SALU_CYCLE_1)
	s_and_saveexec_b32 s0, s9
	s_cbranch_execz .LBB137_257
; %bb.259:                              ;   in Loop: Header=BB137_258 Depth=1
	v_add_nc_u32_e32 v0, s27, v1
	s_and_not1_b32 s8, s8, exec_lo
	v_add_nc_u32_e32 v5, s43, v5
	s_and_not1_b32 s7, s7, exec_lo
	s_delay_alu instid0(VALU_DEP_2) | instskip(SKIP_1) | instid1(SALU_CYCLE_1)
	v_cmp_le_u32_e32 vcc_lo, s24, v0
	s_and_b32 s9, vcc_lo, exec_lo
	s_or_b32 s8, s8, s9
	s_branch .LBB137_257
.LBB137_260:
	s_set_inst_prefetch_distance 0x2
	s_or_b32 exec_lo, exec_lo, s3
	s_and_saveexec_b32 s0, s5
	s_delay_alu instid0(SALU_CYCLE_1)
	s_xor_b32 s0, exec_lo, s0
	s_cbranch_execz .LBB137_262
; %bb.261:
	s_mul_i32 s0, s33, s25
	s_add_i32 s3, s33, 1
	s_sub_i32 s0, s21, s0
	s_mov_b32 s7, 0
	s_sub_i32 s5, s0, s25
	s_cmp_ge_u32 s0, s25
	v_mov_b32_e32 v2, 0
	s_cselect_b32 s3, s3, s33
	s_cselect_b32 s0, s5, s0
	s_add_i32 s5, s3, 1
	s_cmp_ge_u32 s0, s25
	s_cselect_b32 s0, s5, s3
	s_delay_alu instid0(SALU_CYCLE_1) | instskip(SKIP_2) | instid1(SALU_CYCLE_1)
	s_mul_i32 s3, s0, s25
	s_mul_i32 s0, s0, s28
	s_sub_i32 s3, s21, s3
	s_mul_i32 s3, s3, s29
	s_delay_alu instid0(SALU_CYCLE_1) | instskip(NEXT) | instid1(SALU_CYCLE_1)
	s_add_i32 s6, s0, s3
	s_lshl_b64 s[6:7], s[6:7], 3
	s_delay_alu instid0(SALU_CYCLE_1)
	s_add_u32 s6, s22, s6
	s_addc_u32 s7, s23, s7
	global_store_b64 v2, v[1:2], s[6:7]
.LBB137_262:
	s_or_b32 exec_lo, exec_lo, s2
.LBB137_263:
	s_or_saveexec_b32 s0, s4
	s_mov_b32 s2, 0
	s_xor_b32 exec_lo, exec_lo, s0
	s_cbranch_execnz .LBB137_271
.LBB137_264:
	s_or_b32 exec_lo, exec_lo, s0
	s_delay_alu instid0(SALU_CYCLE_1)
	s_and_b32 s2, s2, exec_lo
.LBB137_265:
	s_and_not1_saveexec_b32 s0, s1
	s_cbranch_execnz .LBB137_269
; %bb.266:
	s_or_b32 exec_lo, exec_lo, s0
	s_and_saveexec_b32 s0, s2
.LBB137_267:
	; divergent unreachable
.LBB137_268:
	s_nop 0
	s_sendmsg sendmsg(MSG_DEALLOC_VGPRS)
	s_endpgm
.LBB137_269:
	s_cbranch_execnz .LBB137_273
; %bb.270:
	s_or_b32 s2, s2, exec_lo
	s_or_b32 exec_lo, exec_lo, s0
	s_and_saveexec_b32 s0, s2
	s_cbranch_execnz .LBB137_267
	s_branch .LBB137_268
.LBB137_271:
	s_cbranch_execnz .LBB137_275
; %bb.272:
	s_mov_b32 s2, exec_lo
	s_branch .LBB137_264
.LBB137_273:
	s_trap 2
	s_sendmsg_rtn_b32 s0, sendmsg(MSG_RTN_GET_DOORBELL)
	s_mov_b32 ttmp2, m0
	s_waitcnt lgkmcnt(0)
	s_and_b32 s0, s0, 0x3ff
	s_delay_alu instid0(SALU_CYCLE_1) | instskip(NEXT) | instid1(SALU_CYCLE_1)
	s_bitset1_b32 s0, 10
	s_mov_b32 m0, s0
	s_sendmsg sendmsg(MSG_INTERRUPT)
	s_mov_b32 m0, ttmp2
.LBB137_274:                            ; =>This Inner Loop Header: Depth=1
	s_sethalt 5
	s_branch .LBB137_274
.LBB137_275:
	s_trap 2
	s_sendmsg_rtn_b32 s0, sendmsg(MSG_RTN_GET_DOORBELL)
	s_mov_b32 ttmp2, m0
	s_waitcnt lgkmcnt(0)
	s_and_b32 s0, s0, 0x3ff
	s_delay_alu instid0(SALU_CYCLE_1) | instskip(NEXT) | instid1(SALU_CYCLE_1)
	s_bitset1_b32 s0, 10
	s_mov_b32 m0, s0
	s_sendmsg sendmsg(MSG_INTERRUPT)
	s_mov_b32 m0, ttmp2
.LBB137_276:                            ; =>This Inner Loop Header: Depth=1
	s_sethalt 5
	s_branch .LBB137_276
	.section	.rodata,"a",@progbits
	.p2align	6, 0x0
	.amdhsa_kernel _ZN2at6native12_GLOBAL__N_112gatherMedianIN3c108BFloat16EjLi2EEEvNS_4cuda6detail10TensorInfoIT_T0_EENS7_IlS9_EENS7_IKS8_S9_EES9_S9_S9_b
		.amdhsa_group_segment_fixed_size 4120
		.amdhsa_private_segment_fixed_size 0
		.amdhsa_kernarg_size 920
		.amdhsa_user_sgpr_count 13
		.amdhsa_user_sgpr_dispatch_ptr 0
		.amdhsa_user_sgpr_queue_ptr 0
		.amdhsa_user_sgpr_kernarg_segment_ptr 1
		.amdhsa_user_sgpr_dispatch_id 0
		.amdhsa_user_sgpr_private_segment_size 0
		.amdhsa_wavefront_size32 1
		.amdhsa_uses_dynamic_stack 0
		.amdhsa_enable_private_segment 0
		.amdhsa_system_sgpr_workgroup_id_x 1
		.amdhsa_system_sgpr_workgroup_id_y 1
		.amdhsa_system_sgpr_workgroup_id_z 1
		.amdhsa_system_sgpr_workgroup_info 0
		.amdhsa_system_vgpr_workitem_id 0
		.amdhsa_next_free_vgpr 35
		.amdhsa_next_free_sgpr 83
		.amdhsa_reserve_vcc 1
		.amdhsa_float_round_mode_32 0
		.amdhsa_float_round_mode_16_64 0
		.amdhsa_float_denorm_mode_32 3
		.amdhsa_float_denorm_mode_16_64 3
		.amdhsa_dx10_clamp 1
		.amdhsa_ieee_mode 1
		.amdhsa_fp16_overflow 0
		.amdhsa_workgroup_processor_mode 1
		.amdhsa_memory_ordered 1
		.amdhsa_forward_progress 0
		.amdhsa_shared_vgpr_count 0
		.amdhsa_exception_fp_ieee_invalid_op 0
		.amdhsa_exception_fp_denorm_src 0
		.amdhsa_exception_fp_ieee_div_zero 0
		.amdhsa_exception_fp_ieee_overflow 0
		.amdhsa_exception_fp_ieee_underflow 0
		.amdhsa_exception_fp_ieee_inexact 0
		.amdhsa_exception_int_div_zero 0
	.end_amdhsa_kernel
	.section	.text._ZN2at6native12_GLOBAL__N_112gatherMedianIN3c108BFloat16EjLi2EEEvNS_4cuda6detail10TensorInfoIT_T0_EENS7_IlS9_EENS7_IKS8_S9_EES9_S9_S9_b,"axG",@progbits,_ZN2at6native12_GLOBAL__N_112gatherMedianIN3c108BFloat16EjLi2EEEvNS_4cuda6detail10TensorInfoIT_T0_EENS7_IlS9_EENS7_IKS8_S9_EES9_S9_S9_b,comdat
.Lfunc_end137:
	.size	_ZN2at6native12_GLOBAL__N_112gatherMedianIN3c108BFloat16EjLi2EEEvNS_4cuda6detail10TensorInfoIT_T0_EENS7_IlS9_EENS7_IKS8_S9_EES9_S9_S9_b, .Lfunc_end137-_ZN2at6native12_GLOBAL__N_112gatherMedianIN3c108BFloat16EjLi2EEEvNS_4cuda6detail10TensorInfoIT_T0_EENS7_IlS9_EENS7_IKS8_S9_EES9_S9_S9_b
                                        ; -- End function
	.section	.AMDGPU.csdata,"",@progbits
; Kernel info:
; codeLenInByte = 11132
; NumSgprs: 85
; NumVgprs: 35
; ScratchSize: 0
; MemoryBound: 0
; FloatMode: 240
; IeeeMode: 1
; LDSByteSize: 4120 bytes/workgroup (compile time only)
; SGPRBlocks: 10
; VGPRBlocks: 4
; NumSGPRsForWavesPerEU: 85
; NumVGPRsForWavesPerEU: 35
; Occupancy: 16
; WaveLimiterHint : 1
; COMPUTE_PGM_RSRC2:SCRATCH_EN: 0
; COMPUTE_PGM_RSRC2:USER_SGPR: 13
; COMPUTE_PGM_RSRC2:TRAP_HANDLER: 0
; COMPUTE_PGM_RSRC2:TGID_X_EN: 1
; COMPUTE_PGM_RSRC2:TGID_Y_EN: 1
; COMPUTE_PGM_RSRC2:TGID_Z_EN: 1
; COMPUTE_PGM_RSRC2:TIDIG_COMP_CNT: 0
	.section	.text._ZN2at6native12_GLOBAL__N_112gatherMedianIN3c108BFloat16EjLi3EEEvNS_4cuda6detail10TensorInfoIT_T0_EENS7_IlS9_EENS7_IKS8_S9_EES9_S9_S9_b,"axG",@progbits,_ZN2at6native12_GLOBAL__N_112gatherMedianIN3c108BFloat16EjLi3EEEvNS_4cuda6detail10TensorInfoIT_T0_EENS7_IlS9_EENS7_IKS8_S9_EES9_S9_S9_b,comdat
	.globl	_ZN2at6native12_GLOBAL__N_112gatherMedianIN3c108BFloat16EjLi3EEEvNS_4cuda6detail10TensorInfoIT_T0_EENS7_IlS9_EENS7_IKS8_S9_EES9_S9_S9_b ; -- Begin function _ZN2at6native12_GLOBAL__N_112gatherMedianIN3c108BFloat16EjLi3EEEvNS_4cuda6detail10TensorInfoIT_T0_EENS7_IlS9_EENS7_IKS8_S9_EES9_S9_S9_b
	.p2align	8
	.type	_ZN2at6native12_GLOBAL__N_112gatherMedianIN3c108BFloat16EjLi3EEEvNS_4cuda6detail10TensorInfoIT_T0_EENS7_IlS9_EENS7_IKS8_S9_EES9_S9_S9_b,@function
_ZN2at6native12_GLOBAL__N_112gatherMedianIN3c108BFloat16EjLi3EEEvNS_4cuda6detail10TensorInfoIT_T0_EENS7_IlS9_EENS7_IKS8_S9_EES9_S9_S9_b: ; @_ZN2at6native12_GLOBAL__N_112gatherMedianIN3c108BFloat16EjLi3EEEvNS_4cuda6detail10TensorInfoIT_T0_EENS7_IlS9_EENS7_IKS8_S9_EES9_S9_S9_b
; %bb.0:
	s_clause 0x1
	s_load_b64 s[6:7], s[0:1], 0x298
	s_load_b128 s[24:27], s[0:1], 0x288
	s_add_u32 s4, s0, 0x298
	s_addc_u32 s5, s1, 0
	s_waitcnt lgkmcnt(0)
	s_mul_i32 s2, s7, s15
	s_delay_alu instid0(SALU_CYCLE_1) | instskip(NEXT) | instid1(SALU_CYCLE_1)
	s_add_i32 s2, s2, s14
	s_mul_i32 s21, s2, s6
	s_delay_alu instid0(SALU_CYCLE_1) | instskip(NEXT) | instid1(SALU_CYCLE_1)
	s_add_i32 s21, s21, s13
	s_cmp_ge_u32 s21, s25
	s_cbranch_scc1 .LBB138_268
; %bb.1:
	s_clause 0x7
	s_load_b64 s[34:35], s[0:1], 0xc
	s_load_b64 s[22:23], s[0:1], 0xe4
	;; [unrolled: 1-line block ×5, first 2 shown]
	s_load_b128 s[28:31], s[0:1], 0x144
	s_load_b64 s[40:41], s[0:1], 0xd8
	s_load_b128 s[36:39], s[0:1], 0x6c
	s_waitcnt lgkmcnt(0)
	v_cvt_f32_u32_e32 v1, s35
	v_cvt_f32_u32_e32 v2, s34
	;; [unrolled: 1-line block ×4, first 2 shown]
	s_sub_i32 s10, 0, s35
	v_rcp_iflag_f32_e32 v1, v1
	v_rcp_iflag_f32_e32 v2, v2
	;; [unrolled: 1-line block ×4, first 2 shown]
	v_cvt_f32_u32_e32 v5, s9
	v_cvt_f32_u32_e32 v6, s8
	s_delay_alu instid0(VALU_DEP_2)
	v_rcp_iflag_f32_e32 v5, v5
	v_dual_mul_f32 v1, 0x4f7ffffe, v1 :: v_dual_mul_f32 v2, 0x4f7ffffe, v2
	s_waitcnt_depctr 0xfff
	v_dual_mul_f32 v3, 0x4f7ffffe, v3 :: v_dual_mul_f32 v4, 0x4f7ffffe, v4
	v_cvt_u32_f32_e32 v1, v1
	v_cvt_u32_f32_e32 v2, v2
	s_delay_alu instid0(VALU_DEP_3) | instskip(SKIP_1) | instid1(VALU_DEP_4)
	v_cvt_u32_f32_e32 v3, v3
	v_mul_f32_e32 v5, 0x4f7ffffe, v5
	v_readfirstlane_b32 s7, v1
	v_rcp_iflag_f32_e32 v1, v6
	s_delay_alu instid0(VALU_DEP_3) | instskip(SKIP_1) | instid1(VALU_DEP_3)
	v_readfirstlane_b32 s14, v3
	v_cvt_u32_f32_e32 v3, v4
	s_mul_i32 s10, s10, s7
	s_delay_alu instid0(SALU_CYCLE_1) | instskip(NEXT) | instid1(SALU_CYCLE_1)
	s_mul_hi_u32 s10, s7, s10
	s_add_i32 s7, s7, s10
	s_waitcnt_depctr 0xfff
	v_mul_f32_e32 v1, 0x4f7ffffe, v1
	s_mul_hi_u32 s7, s21, s7
	s_delay_alu instid0(SALU_CYCLE_1)
	s_mul_i32 s10, s7, s35
	s_add_i32 s11, s7, 1
	s_sub_i32 s10, s21, s10
	v_cvt_u32_f32_e32 v1, v1
	s_sub_i32 s12, s10, s35
	s_cmp_ge_u32 s10, s35
	s_cselect_b32 s7, s11, s7
	s_cselect_b32 s10, s12, s10
	s_add_i32 s11, s7, 1
	s_cmp_ge_u32 s10, s35
	v_readfirstlane_b32 s10, v2
	s_cselect_b32 s46, s11, s7
	s_sub_i32 s7, 0, s23
	s_sub_i32 s11, 0, s34
	s_mul_i32 s7, s7, s14
	s_mul_i32 s11, s11, s10
	s_mul_hi_u32 s7, s14, s7
	s_mul_hi_u32 s11, s10, s11
	s_add_i32 s14, s14, s7
	s_add_i32 s10, s10, s11
	s_mul_hi_u32 s7, s21, s14
	v_cvt_u32_f32_e32 v2, v5
	s_mul_i32 s12, s7, s23
	v_readfirstlane_b32 s16, v1
	s_sub_i32 s11, s21, s12
	s_add_i32 s12, s7, 1
	s_sub_i32 s14, s11, s23
	s_cmp_ge_u32 s11, s23
	v_readfirstlane_b32 s15, v2
	s_cselect_b32 s7, s12, s7
	s_cselect_b32 s11, s14, s11
	s_add_i32 s12, s7, 1
	s_cmp_ge_u32 s11, s23
	v_readfirstlane_b32 s11, v3
	s_cselect_b32 s25, s12, s7
	s_sub_i32 s7, 0, s9
	s_sub_i32 s12, 0, s22
	s_mul_i32 s7, s7, s15
	s_mul_i32 s12, s12, s11
	s_mul_hi_u32 s7, s15, s7
	s_mul_hi_u32 s12, s11, s12
	s_add_i32 s15, s15, s7
	s_add_i32 s12, s11, s12
	s_mul_hi_u32 s7, s21, s15
	v_mul_lo_u32 v5, v0, s26
	s_mul_i32 s14, s7, s9
	s_mul_hi_u32 s47, s46, s10
	s_sub_i32 s11, s21, s14
	s_add_i32 s14, s7, 1
	s_sub_i32 s15, s11, s9
	s_cmp_ge_u32 s11, s9
	v_mov_b32_e32 v3, 0
	s_cselect_b32 s7, s14, s7
	s_cselect_b32 s11, s15, s11
	s_add_i32 s14, s7, 1
	s_cmp_ge_u32 s11, s9
	s_mul_hi_u32 s31, s25, s12
	s_cselect_b32 s7, s14, s7
	s_sub_i32 s11, 0, s8
	s_mul_i32 s9, s7, s9
	s_mul_i32 s11, s11, s16
	s_sub_i32 s15, s21, s9
	s_mul_hi_u32 s11, s16, s11
	s_delay_alu instid0(SALU_CYCLE_1) | instskip(SKIP_2) | instid1(SALU_CYCLE_1)
	s_add_i32 s11, s16, s11
	s_load_b128 s[16:19], s[0:1], 0x21c
	s_mul_hi_u32 s11, s7, s11
	s_mul_i32 s14, s11, s8
	s_delay_alu instid0(SALU_CYCLE_1)
	s_sub_i32 s9, s7, s14
	s_add_i32 s14, s11, 1
	s_waitcnt lgkmcnt(0)
	s_sub_i32 s19, s9, s8
	s_cmp_ge_u32 s9, s8
	s_cselect_b32 s0, s14, s11
	s_cselect_b32 s1, s19, s9
	s_add_i32 s9, s0, 1
	s_cmp_ge_u32 s1, s8
	s_cselect_b32 s1, s9, s0
	s_mov_b32 s9, 0
	s_mul_i32 s8, s1, s8
	v_cmp_gt_u32_e64 s0, s24, v0
	s_sub_i32 s7, s7, s8
	s_mul_i32 s15, s15, s18
	s_mul_i32 s7, s7, s17
	;; [unrolled: 1-line block ×3, first 2 shown]
	s_add_i32 s7, s7, s15
	s_delay_alu instid0(SALU_CYCLE_1) | instskip(NEXT) | instid1(SALU_CYCLE_1)
	s_add_i32 s8, s7, s1
	s_lshl_b64 s[10:11], s[8:9], 1
	s_delay_alu instid0(SALU_CYCLE_1)
	s_add_u32 s33, s2, s10
	s_addc_u32 s39, s3, s11
	s_and_saveexec_b32 s2, s0
	s_cbranch_execz .LBB138_5
; %bb.2:
	s_load_b32 s1, s[4:5], 0xc
	v_mul_lo_u32 v1, v0, s26
	v_dual_mov_b32 v3, 0 :: v_dual_mov_b32 v2, 0
	v_mov_b32_e32 v4, v0
	s_waitcnt lgkmcnt(0)
	s_and_b32 s3, s1, 0xffff
	s_delay_alu instid0(SALU_CYCLE_1)
	s_mul_i32 s7, s26, s3
	.p2align	6
.LBB138_3:                              ; =>This Inner Loop Header: Depth=1
	s_delay_alu instid0(VALU_DEP_3) | instskip(SKIP_2) | instid1(VALU_DEP_3)
	v_lshlrev_b64 v[6:7], 1, v[1:2]
	v_add_nc_u32_e32 v4, s3, v4
	v_add_nc_u32_e32 v1, s7, v1
	v_add_co_u32 v6, vcc_lo, s33, v6
	s_delay_alu instid0(VALU_DEP_4) | instskip(NEXT) | instid1(VALU_DEP_4)
	v_add_co_ci_u32_e32 v7, vcc_lo, s39, v7, vcc_lo
	v_cmp_le_u32_e32 vcc_lo, s24, v4
	global_load_u16 v6, v[6:7], off
	s_or_b32 s9, vcc_lo, s9
	s_waitcnt vmcnt(0)
	v_lshlrev_b32_e32 v6, 16, v6
	s_delay_alu instid0(VALU_DEP_1) | instskip(NEXT) | instid1(VALU_DEP_1)
	v_cmp_u_f32_e64 s1, v6, v6
	v_add_co_ci_u32_e64 v3, s1, 0, v3, s1
	s_and_not1_b32 exec_lo, exec_lo, s9
	s_cbranch_execnz .LBB138_3
; %bb.4:
	s_or_b32 exec_lo, exec_lo, s9
.LBB138_5:
	s_delay_alu instid0(SALU_CYCLE_1) | instskip(SKIP_1) | instid1(VALU_DEP_1)
	s_or_b32 exec_lo, exec_lo, s2
	v_cmp_eq_u32_e64 s1, 0, v0
	s_and_saveexec_b32 s2, s1
	s_cbranch_execz .LBB138_7
; %bb.6:
	v_mov_b32_e32 v1, 0
	s_delay_alu instid0(VALU_DEP_1)
	v_mov_b32_e32 v2, v1
	ds_store_b64 v1, v[1:2] offset:4096
.LBB138_7:
	s_or_b32 exec_lo, exec_lo, s2
	s_delay_alu instid0(SALU_CYCLE_1)
	s_mov_b32 s7, exec_lo
	s_waitcnt lgkmcnt(0)
	s_barrier
	buffer_gl0_inv
	v_cmpx_ne_u32_e32 0, v3
	s_cbranch_execz .LBB138_12
; %bb.8:
	v_mov_b32_e32 v1, 0
	s_mov_b32 s8, exec_lo
	s_mov_b64 s[2:3], 0
.LBB138_9:                              ; =>This Inner Loop Header: Depth=1
	s_ctz_i32_b32 s9, s8
	s_delay_alu instid0(SALU_CYCLE_1) | instskip(SKIP_1) | instid1(VALU_DEP_2)
	v_readlane_b32 s10, v3, s9
	v_readlane_b32 s11, v1, s9
	s_add_u32 s2, s2, s10
	s_delay_alu instid0(VALU_DEP_1) | instskip(SKIP_1) | instid1(SALU_CYCLE_1)
	s_addc_u32 s3, s3, s11
	s_lshl_b32 s9, 1, s9
	s_and_not1_b32 s8, s8, s9
	s_delay_alu instid0(SALU_CYCLE_1)
	s_cmp_lg_u32 s8, 0
	s_cbranch_scc1 .LBB138_9
; %bb.10:
	v_mbcnt_lo_u32_b32 v1, exec_lo, 0
	s_mov_b32 s8, exec_lo
	s_delay_alu instid0(VALU_DEP_1)
	v_cmpx_eq_u32_e32 0, v1
	s_xor_b32 s8, exec_lo, s8
	s_cbranch_execz .LBB138_12
; %bb.11:
	v_mov_b32_e32 v1, s2
	v_dual_mov_b32 v3, 0 :: v_dual_mov_b32 v2, s3
	ds_add_u64 v3, v[1:2] offset:4096
.LBB138_12:
	s_or_b32 exec_lo, exec_lo, s7
	v_mov_b32_e32 v1, 0
	s_waitcnt lgkmcnt(0)
	s_barrier
	buffer_gl0_inv
	s_bitcmp1_b32 s27, 0
	ds_load_b64 v[1:2], v1 offset:4096
	s_cselect_b32 s2, -1, 0
	s_mov_b32 s77, s24
	s_waitcnt lgkmcnt(0)
	v_cmp_gt_i64_e32 vcc_lo, 1, v[1:2]
	s_or_b32 s2, s2, vcc_lo
	s_delay_alu instid0(SALU_CYCLE_1)
	s_and_not1_b32 vcc_lo, exec_lo, s2
	s_cbranch_vccnz .LBB138_14
; %bb.13:
	v_not_b32_e32 v1, v1
	v_not_b32_e32 v2, v2
	s_delay_alu instid0(VALU_DEP_2) | instskip(NEXT) | instid1(VALU_DEP_2)
	v_add_co_u32 v1, vcc_lo, v1, s24
	v_add_co_ci_u32_e32 v2, vcc_lo, 0, v2, vcc_lo
	s_delay_alu instid0(VALU_DEP_1) | instskip(NEXT) | instid1(VALU_DEP_1)
	v_lshrrev_b32_e32 v3, 31, v2
	v_add_co_u32 v1, vcc_lo, v1, v3
	v_add_co_ci_u32_e32 v2, vcc_lo, 0, v2, vcc_lo
	s_delay_alu instid0(VALU_DEP_1) | instskip(NEXT) | instid1(VALU_DEP_1)
	v_alignbit_b32 v1, v2, v1, 1
	v_readfirstlane_b32 s2, v1
	s_delay_alu instid0(VALU_DEP_1)
	s_add_i32 s77, s2, 1
.LBB138_14:
	s_and_saveexec_b32 s2, s1
	s_cbranch_execz .LBB138_16
; %bb.15:
	v_dual_mov_b32 v1, 0 :: v_dual_mov_b32 v2, s24
	ds_store_b32 v1, v1 offset:4112
	ds_store_b64 v1, v[1:2] offset:4104
.LBB138_16:
	s_or_b32 exec_lo, exec_lo, s2
	s_waitcnt lgkmcnt(0)
	s_barrier
	buffer_gl0_inv
	s_load_b32 s7, s[4:5], 0xc
	v_mbcnt_lo_u32_b32 v13, -1, 0
	v_cmp_gt_u32_e32 vcc_lo, 32, v0
	v_lshrrev_b32_e32 v1, 3, v0
	v_dual_mov_b32 v7, 0 :: v_dual_lshlrev_b32 v14, 2, v0
	s_delay_alu instid0(VALU_DEP_4) | instskip(SKIP_1) | instid1(VALU_DEP_4)
	v_cmp_gt_i32_e64 s3, 4, v13
	v_lshlrev_b32_e32 v15, 1, v0
	v_and_b32_e32 v17, 0x7c, v1
	s_delay_alu instid0(VALU_DEP_4)
	v_or_b32_e32 v4, 2, v14
	v_mov_b32_e32 v6, v7
	s_and_b32 s51, vcc_lo, s3
	v_or_b32_e32 v21, 3, v14
	v_cmp_gt_u32_e64 s2, 2, v0
	v_mul_lo_u32 v20, s26, v4
	v_cmp_eq_u32_e64 s3, 0, v13
	v_dual_mov_b32 v27, 0 :: v_dual_add_nc_u32 v16, 0xc00, v15
	v_mul_lo_u32 v21, s26, v21
	v_lshlrev_b32_e32 v22, 2, v5
	s_waitcnt lgkmcnt(0)
	s_and_b32 s27, s7, 0xffff
	s_bfe_u32 s7, s7, 0xb0005
	s_lshl_b32 s50, s27, 2
	s_add_i32 s52, s27, -1
	v_cvt_f32_u32_e32 v2, s50
	s_add_i32 s8, s52, s24
	s_cmpk_gt_u32 s24, 0x600
	v_cvt_f32_u32_e32 v3, s27
	s_cselect_b32 s53, -1, 0
	v_rcp_iflag_f32_e32 v2, v2
	s_cmp_gt_u32 s27, 31
	v_mad_u64_u32 v[8:9], null, s26, v14, s[26:27]
	s_cselect_b32 s54, -1, 0
	s_cmp_lt_u32 s13, s6
	v_rcp_iflag_f32_e32 v3, v3
	s_cselect_b32 s6, 12, 18
	v_lshlrev_b32_e32 v24, 3, v0
	s_add_u32 s44, s4, s6
	s_waitcnt_depctr 0xfff
	v_mul_f32_e32 v2, 0x4f7ffffe, v2
	s_addc_u32 s45, s5, 0
	s_add_i32 s4, s7, -1
	s_bfe_u32 s55, s27, 0x30005
	s_cmp_gt_u32 s4, 6
	v_cvt_u32_f32_e32 v2, v2
	s_cselect_b32 s56, -1, 0
	s_and_b32 s57, s7, 0x7f8
	s_cmp_lg_u32 s55, 0
	v_lshl_or_b32 v25, v13, 2, 0xc00
	v_readfirstlane_b32 s4, v2
	s_cselect_b32 s58, -1, 0
	s_sub_i32 s5, 0, s50
	v_lshlrev_b64 v[1:2], v13, -1
	v_mul_f32_e32 v2, 0x4f7ffffe, v3
	s_mul_i32 s5, s5, s4
	v_mov_b32_e32 v26, 0x8000
	s_mul_hi_u32 s5, s4, s5
	s_mul_i32 s49, s26, s27
	s_add_i32 s59, s4, s5
	v_cvt_u32_f32_e32 v9, v2
	s_mul_hi_u32 s4, s24, s59
	v_lshlrev_b64 v[2:3], 1, v[5:6]
	s_mul_i32 s4, s4, s50
	v_not_b32_e32 v18, v1
	s_sub_i32 s4, s24, s4
	v_add3_u32 v1, s27, s24, v0
	s_sub_i32 s5, s4, s50
	s_cmp_ge_u32 s4, s50
	s_mov_b32 s48, 0
	s_cselect_b32 s4, s5, s4
	v_readfirstlane_b32 s5, v9
	s_sub_i32 s6, s4, s50
	s_cmp_ge_u32 s4, s50
	v_add_co_u32 v9, vcc_lo, s33, v2
	s_cselect_b32 s4, s6, s4
	s_sub_i32 s6, 0, s27
	s_sub_i32 s60, s24, s4
	s_mul_i32 s6, s6, s5
	v_add_nc_u32_e32 v19, s60, v0
	s_mul_hi_u32 s6, s5, s6
	v_add_co_ci_u32_e32 v10, vcc_lo, s39, v3, vcc_lo
	s_add_i32 s61, s5, s6
	s_delay_alu instid0(VALU_DEP_2)
	v_mul_lo_u32 v6, v19, s26
	s_mul_hi_u32 s5, s8, s61
	v_subrev_nc_u32_e32 v3, s4, v1
	s_mul_i32 s5, s5, s27
	v_cmp_gt_u32_e64 s4, s60, v14
	s_sub_i32 s5, s8, s5
	s_mov_b32 s70, 14
	s_sub_i32 s6, s5, s27
	s_cmp_ge_u32 s5, s27
	v_lshlrev_b64 v[1:2], 1, v[6:7]
	s_cselect_b32 s6, s6, s5
	v_mul_lo_u32 v23, s26, v3
	s_sub_i32 s7, s6, s27
	s_cmp_ge_u32 s6, s27
	v_cmp_gt_u32_e64 s5, s24, v19
	s_cselect_b32 s6, s7, s6
	v_add_co_u32 v11, vcc_lo, s33, v1
	s_sub_i32 s63, s8, s6
	v_add_co_ci_u32_e32 v12, vcc_lo, s39, v2, vcc_lo
	v_cmp_gt_u32_e64 s6, s63, v0
	s_lshl_b32 s62, s49, 2
	s_lshl_b32 s64, s27, 3
	;; [unrolled: 1-line block ×3, first 2 shown]
	s_movk_i32 s66, 0x3f80
	s_mov_b32 s73, 0
	s_mov_b32 s75, 0
	;; [unrolled: 1-line block ×3, first 2 shown]
                                        ; implicit-def: $sgpr67
                                        ; implicit-def: $sgpr69
                                        ; implicit-def: $sgpr68
                                        ; implicit-def: $sgpr72
                                        ; implicit-def: $sgpr74
                                        ; implicit-def: $sgpr71
	s_branch .LBB138_21
.LBB138_17:                             ;   in Loop: Header=BB138_21 Depth=1
	s_xor_b32 s73, s73, 1
	s_add_i32 s11, s70, -2
	s_cmp_eq_u32 s70, 0
	s_mov_b32 s7, 0
	s_cselect_b32 s9, -1, 0
	s_mov_b32 s70, s11
.LBB138_18:                             ;   in Loop: Header=BB138_21 Depth=1
	s_and_not1_b32 s11, s13, exec_lo
	s_and_b32 s7, s7, exec_lo
	s_and_not1_b32 s15, s15, exec_lo
	s_or_b32 s13, s11, s7
	s_and_not1_b32 s12, s12, exec_lo
	s_or_not1_b32 s11, s9, exec_lo
	s_mov_b32 s77, s20
.LBB138_19:                             ;   in Loop: Header=BB138_21 Depth=1
	s_or_b32 exec_lo, exec_lo, s8
	s_delay_alu instid0(SALU_CYCLE_1)
	s_and_not1_b32 s7, s71, exec_lo
	s_and_b32 s8, s13, exec_lo
	s_and_not1_b32 s9, s72, exec_lo
	s_or_b32 s71, s7, s8
	s_and_not1_b32 s7, s74, exec_lo
	s_and_b32 s8, s15, exec_lo
	s_and_b32 s12, s12, exec_lo
	s_or_b32 s74, s7, s8
	s_or_b32 s72, s9, s12
	s_or_not1_b32 s12, s11, exec_lo
.LBB138_20:                             ;   in Loop: Header=BB138_21 Depth=1
	s_or_b32 exec_lo, exec_lo, s10
	s_delay_alu instid0(SALU_CYCLE_1)
	s_and_b32 s7, exec_lo, s12
	v_mov_b32_e32 v1, s75
	s_or_b32 s48, s7, s48
	s_and_not1_b32 s7, s68, exec_lo
	s_and_b32 s8, s71, exec_lo
	s_and_not1_b32 s9, s67, exec_lo
	s_or_b32 s68, s7, s8
	s_and_not1_b32 s7, s69, exec_lo
	s_and_b32 s8, s74, exec_lo
	s_and_b32 s10, s72, exec_lo
	s_or_b32 s69, s7, s8
	s_or_b32 s67, s9, s10
	s_and_not1_b32 exec_lo, exec_lo, s48
	s_cbranch_execz .LBB138_251
.LBB138_21:                             ; =>This Loop Header: Depth=1
                                        ;     Child Loop BB138_26 Depth 2
                                        ;     Child Loop BB138_41 Depth 2
	;; [unrolled: 1-line block ×16, first 2 shown]
	ds_load_b64 v[1:2], v7 offset:4104
	s_waitcnt lgkmcnt(0)
	v_readfirstlane_b32 s78, v1
	s_delay_alu instid0(VALU_DEP_1)
	s_cmp_lg_u32 s78, 0
	s_cbranch_scc1 .LBB138_48
; %bb.22:                               ;   in Loop: Header=BB138_21 Depth=1
	s_and_b32 vcc_lo, exec_lo, s53
	s_cbranch_vccz .LBB138_34
; %bb.23:                               ;   in Loop: Header=BB138_21 Depth=1
	v_cmp_gt_u32_e32 vcc_lo, 0x601, v2
	s_mov_b32 s78, 0
	s_mov_b32 s7, 0
	s_cbranch_vccz .LBB138_35
; %bb.24:                               ;   in Loop: Header=BB138_21 Depth=1
	global_load_u16 v1, v7, s[44:45]
	global_load_u16 v4, v[9:10], off
	v_mov_b32_e32 v3, v0
	s_mov_b32 s9, 0
	s_waitcnt vmcnt(1)
	v_add_nc_u32_e32 v2, v0, v1
	s_delay_alu instid0(VALU_DEP_1)
	v_mul_lo_u32 v6, s26, v2
	v_mul_lo_u32 v2, s26, v1
	s_branch .LBB138_26
.LBB138_25:                             ;   in Loop: Header=BB138_26 Depth=2
	s_or_b32 exec_lo, exec_lo, s8
	v_add_nc_u32_e32 v6, v6, v2
	v_mov_b32_e32 v4, v28
	s_and_not1_b32 exec_lo, exec_lo, s9
	s_cbranch_execz .LBB138_136
.LBB138_26:                             ;   Parent Loop BB138_21 Depth=1
                                        ; =>  This Inner Loop Header: Depth=2
	v_dual_mov_b32 v28, 0 :: v_dual_add_nc_u32 v3, v3, v1
	s_waitcnt lgkmcnt(0)
	v_mov_b32_e32 v29, 0
	s_mov_b32 s8, exec_lo
	s_delay_alu instid0(VALU_DEP_2)
	v_cmp_le_u32_e32 vcc_lo, s24, v3
	v_cmpx_gt_u32_e64 s24, v3
	s_cbranch_execz .LBB138_28
; %bb.27:                               ;   in Loop: Header=BB138_26 Depth=2
	v_lshlrev_b64 v[30:31], 1, v[6:7]
	s_delay_alu instid0(VALU_DEP_1) | instskip(NEXT) | instid1(VALU_DEP_1)
	v_add_co_u32 v30, s7, s33, v30
	v_add_co_ci_u32_e64 v31, s7, s39, v31, s7
	global_load_u16 v28, v[30:31], off
.LBB138_28:                             ;   in Loop: Header=BB138_26 Depth=2
	s_or_b32 exec_lo, exec_lo, s8
	s_waitcnt vmcnt(0)
	v_cmp_lt_i16_e64 s7, -1, v4
	v_and_b32_e32 v30, 0xffff, v4
	v_lshlrev_b32_e32 v32, 16, v4
	s_delay_alu instid0(VALU_DEP_3) | instskip(NEXT) | instid1(VALU_DEP_2)
	v_cndmask_b32_e64 v31, 0xffff, v26, s7
	v_cmp_o_f32_e64 s7, v32, v32
	s_delay_alu instid0(VALU_DEP_2) | instskip(NEXT) | instid1(VALU_DEP_1)
	v_xor_b32_e32 v30, v31, v30
	v_cndmask_b32_e64 v30, 0xffff, v30, s7
	s_delay_alu instid0(VALU_DEP_1) | instskip(NEXT) | instid1(VALU_DEP_1)
	v_and_b32_e32 v30, s76, v30
	v_cmp_eq_u32_e64 s7, s75, v30
	s_delay_alu instid0(VALU_DEP_1) | instskip(SKIP_1) | instid1(SALU_CYCLE_1)
	s_cmp_lg_u32 s7, 0
	s_cselect_b32 s8, -1, 0
	s_and_b32 s8, s3, s8
	s_delay_alu instid0(SALU_CYCLE_1)
	s_and_saveexec_b32 s10, s8
	s_cbranch_execz .LBB138_32
; %bb.29:                               ;   in Loop: Header=BB138_26 Depth=2
	s_mov_b32 s13, exec_lo
	s_bcnt1_i32_b32 s11, s7
	v_mbcnt_lo_u32_b32 v29, s13, 0
	s_mov_b32 s12, exec_lo
                                        ; implicit-def: $vgpr30
	s_delay_alu instid0(VALU_DEP_1)
	v_cmpx_eq_u32_e32 0, v29
	s_cbranch_execz .LBB138_31
; %bb.30:                               ;   in Loop: Header=BB138_26 Depth=2
	s_bcnt1_i32_b32 s8, s13
	s_delay_alu instid0(SALU_CYCLE_1) | instskip(NEXT) | instid1(SALU_CYCLE_1)
	s_mul_i32 s8, s11, s8
	v_mov_b32_e32 v30, s8
	ds_add_rtn_u32 v30, v7, v30 offset:4112
.LBB138_31:                             ;   in Loop: Header=BB138_26 Depth=2
	s_or_b32 exec_lo, exec_lo, s12
	s_waitcnt lgkmcnt(0)
	v_readfirstlane_b32 s8, v30
	s_delay_alu instid0(VALU_DEP_1)
	v_mad_u32_u24 v29, s11, v29, s8
.LBB138_32:                             ;   in Loop: Header=BB138_26 Depth=2
	s_or_b32 exec_lo, exec_lo, s10
	ds_bpermute_b32 v29, v7, v29
	s_and_b32 s8, exec_lo, vcc_lo
	s_delay_alu instid0(SALU_CYCLE_1)
	s_or_b32 s9, s8, s9
	s_and_saveexec_b32 s8, s7
	s_cbranch_execz .LBB138_25
; %bb.33:                               ;   in Loop: Header=BB138_26 Depth=2
	v_and_b32_e32 v30, s7, v18
	s_delay_alu instid0(VALU_DEP_1) | instskip(NEXT) | instid1(VALU_DEP_1)
	v_bcnt_u32_b32 v30, v30, 0
	v_lshlrev_b32_e32 v30, 1, v30
	s_waitcnt lgkmcnt(0)
	s_delay_alu instid0(VALU_DEP_1)
	v_lshl_add_u32 v29, v29, 1, v30
	ds_store_b16 v29, v4
	s_branch .LBB138_25
.LBB138_34:                             ;   in Loop: Header=BB138_21 Depth=1
	s_mov_b32 s78, -1
	s_mov_b32 s7, 0
.LBB138_35:                             ;   in Loop: Header=BB138_21 Depth=1
	s_and_b32 vcc_lo, exec_lo, s78
	s_cbranch_vccz .LBB138_46
.LBB138_36:                             ;   in Loop: Header=BB138_21 Depth=1
	v_mov_b32_e32 v1, 0
	s_and_saveexec_b32 s7, s0
	s_cbranch_execz .LBB138_38
; %bb.37:                               ;   in Loop: Header=BB138_21 Depth=1
	global_load_u16 v1, v[9:10], off
.LBB138_38:                             ;   in Loop: Header=BB138_21 Depth=1
	s_or_b32 exec_lo, exec_lo, s7
	s_and_saveexec_b32 s8, s0
	s_cbranch_execz .LBB138_43
; %bb.39:                               ;   in Loop: Header=BB138_21 Depth=1
	global_load_u16 v2, v7, s[44:45]
	s_mov_b32 s9, 0
	v_dual_mov_b32 v28, v15 :: v_dual_mov_b32 v29, v0
	s_waitcnt vmcnt(0)
	v_add_nc_u32_e32 v3, v0, v2
	v_lshlrev_b32_e32 v4, 1, v2
	s_delay_alu instid0(VALU_DEP_2)
	v_mul_lo_u32 v6, s26, v3
	v_mul_lo_u32 v3, s26, v2
	s_set_inst_prefetch_distance 0x1
	s_branch .LBB138_41
	.p2align	6
.LBB138_40:                             ;   in Loop: Header=BB138_41 Depth=2
	s_or_b32 exec_lo, exec_lo, s10
	ds_store_b16 v28, v1
	s_waitcnt vmcnt(0)
	v_dual_mov_b32 v1, v30 :: v_dual_add_nc_u32 v28, v28, v4
	v_add_nc_u32_e32 v6, v6, v3
	s_and_b32 s7, exec_lo, vcc_lo
	s_delay_alu instid0(SALU_CYCLE_1) | instskip(NEXT) | instid1(SALU_CYCLE_1)
	s_or_b32 s9, s7, s9
	s_and_not1_b32 exec_lo, exec_lo, s9
	s_cbranch_execz .LBB138_43
.LBB138_41:                             ;   Parent Loop BB138_21 Depth=1
                                        ; =>  This Inner Loop Header: Depth=2
	v_dual_mov_b32 v30, 0 :: v_dual_add_nc_u32 v29, v29, v2
	s_mov_b32 s10, exec_lo
	s_delay_alu instid0(VALU_DEP_1)
	v_cmp_le_u32_e32 vcc_lo, s24, v29
	v_cmpx_gt_u32_e64 s24, v29
	s_cbranch_execz .LBB138_40
; %bb.42:                               ;   in Loop: Header=BB138_41 Depth=2
	v_lshlrev_b64 v[30:31], 1, v[6:7]
	s_delay_alu instid0(VALU_DEP_1) | instskip(NEXT) | instid1(VALU_DEP_1)
	v_add_co_u32 v30, s7, s33, v30
	v_add_co_ci_u32_e64 v31, s7, s39, v31, s7
	global_load_u16 v30, v[30:31], off
	s_branch .LBB138_40
.LBB138_43:                             ;   in Loop: Header=BB138_21 Depth=1
	s_set_inst_prefetch_distance 0x2
	s_or_b32 exec_lo, exec_lo, s8
	s_waitcnt vmcnt(0) lgkmcnt(0)
	s_barrier
	buffer_gl0_inv
	s_and_saveexec_b32 s7, s1
	s_cbranch_execz .LBB138_45
; %bb.44:                               ;   in Loop: Header=BB138_21 Depth=1
	v_mov_b32_e32 v1, s24
	ds_store_b32 v7, v1 offset:4104
.LBB138_45:                             ;   in Loop: Header=BB138_21 Depth=1
	s_or_b32 exec_lo, exec_lo, s7
	s_mov_b32 s7, -1
	s_waitcnt lgkmcnt(0)
	s_barrier
                                        ; implicit-def: $sgpr78
.LBB138_46:                             ;   in Loop: Header=BB138_21 Depth=1
	s_and_b32 vcc_lo, exec_lo, s7
	s_cbranch_vccz .LBB138_48
; %bb.47:                               ;   in Loop: Header=BB138_21 Depth=1
	buffer_gl0_inv
	ds_load_b32 v1, v7 offset:4104
	s_waitcnt lgkmcnt(0)
	v_readfirstlane_b32 s78, v1
.LBB138_48:                             ;   in Loop: Header=BB138_21 Depth=1
	s_delay_alu instid0(VALU_DEP_1)
	s_cmp_lt_i32 s78, 1
	s_cbranch_scc0 .LBB138_52
; %bb.49:                               ;   in Loop: Header=BB138_21 Depth=1
	v_dual_mov_b32 v1, 0 :: v_dual_mov_b32 v2, 0
	v_dual_mov_b32 v3, 0 :: v_dual_mov_b32 v4, 0
	s_mov_b32 s19, 0
	s_and_saveexec_b32 s18, s4
	s_cbranch_execnz .LBB138_53
; %bb.50:                               ;   in Loop: Header=BB138_21 Depth=1
	s_or_b32 exec_lo, exec_lo, s18
	v_mov_b32_e32 v29, 0
	s_and_saveexec_b32 s7, s5
	s_cbranch_execnz .LBB138_56
.LBB138_51:                             ;   in Loop: Header=BB138_21 Depth=1
	s_or_b32 exec_lo, exec_lo, s7
	s_and_saveexec_b32 s11, s5
	s_cbranch_execnz .LBB138_57
	s_branch .LBB138_62
.LBB138_52:                             ;   in Loop: Header=BB138_21 Depth=1
                                        ; implicit-def: $vgpr4
	s_cbranch_execnz .LBB138_63
	s_branch .LBB138_72
.LBB138_53:                             ;   in Loop: Header=BB138_21 Depth=1
	v_mov_b32_e32 v28, v14
	s_and_b32 s20, s70, 0xfe
	s_mov_b32 s79, 0
	s_mov_b32 s80, 0
	;; [unrolled: 1-line block ×5, first 2 shown]
.LBB138_54:                             ;   Parent Loop BB138_21 Depth=1
                                        ; =>  This Inner Loop Header: Depth=2
	v_add_nc_u32_e32 v6, s79, v22
	v_add_nc_u32_e32 v28, s50, v28
	s_delay_alu instid0(VALU_DEP_2) | instskip(SKIP_1) | instid1(VALU_DEP_1)
	v_lshlrev_b64 v[1:2], 1, v[6:7]
	v_add_nc_u32_e32 v6, s79, v8
	v_lshlrev_b64 v[3:4], 1, v[6:7]
	s_delay_alu instid0(VALU_DEP_3) | instskip(SKIP_2) | instid1(VALU_DEP_4)
	v_add_co_u32 v1, vcc_lo, s33, v1
	v_add_nc_u32_e32 v6, s79, v20
	v_add_co_ci_u32_e32 v2, vcc_lo, s39, v2, vcc_lo
	v_add_co_u32 v3, vcc_lo, s33, v3
	s_delay_alu instid0(VALU_DEP_3)
	v_lshlrev_b64 v[29:30], 1, v[6:7]
	v_add_nc_u32_e32 v6, s79, v21
	v_add_co_ci_u32_e32 v4, vcc_lo, s39, v4, vcc_lo
	global_load_u16 v31, v[1:2], off
	s_add_i32 s79, s79, s62
	v_lshlrev_b64 v[1:2], 1, v[6:7]
	global_load_u16 v6, v[3:4], off
	v_add_co_u32 v3, vcc_lo, s33, v29
	v_add_co_ci_u32_e32 v4, vcc_lo, s39, v30, vcc_lo
	v_add_co_u32 v1, vcc_lo, s33, v1
	v_add_co_ci_u32_e32 v2, vcc_lo, s39, v2, vcc_lo
	global_load_u16 v3, v[3:4], off
	v_cmp_le_u32_e32 vcc_lo, s60, v28
	global_load_u16 v1, v[1:2], off
	s_waitcnt vmcnt(3)
	v_cmp_lt_i16_e64 s7, -1, v31
	v_and_b32_e32 v2, 0xffff, v31
	v_lshlrev_b32_e32 v29, 16, v31
	s_waitcnt vmcnt(2)
	v_and_b32_e32 v30, 0xffff, v6
	v_cndmask_b32_e64 v4, 0xffff, v26, s7
	v_cmp_lt_i16_e64 s7, -1, v6
	s_delay_alu instid0(VALU_DEP_2) | instskip(NEXT) | instid1(VALU_DEP_2)
	v_xor_b32_e32 v2, v4, v2
	v_cndmask_b32_e64 v31, 0xffff, v26, s7
	v_cmp_o_f32_e64 s7, v29, v29
	v_lshlrev_b32_e32 v4, 16, v6
	s_waitcnt vmcnt(1)
	v_cmp_lt_i16_e64 s8, -1, v3
	v_and_b32_e32 v29, 0xffff, v3
	v_xor_b32_e32 v6, v31, v30
	v_cndmask_b32_e64 v2, 0xffff, v2, s7
	v_cmp_o_f32_e64 s7, v4, v4
	v_cndmask_b32_e64 v30, 0xffff, v26, s8
	v_lshlrev_b32_e32 v3, 16, v3
	s_delay_alu instid0(VALU_DEP_4) | instskip(NEXT) | instid1(VALU_DEP_4)
	v_and_b32_e32 v31, s76, v2
	v_cndmask_b32_e64 v4, 0xffff, v6, s7
	s_waitcnt vmcnt(0)
	v_cmp_lt_i16_e64 s7, -1, v1
	v_xor_b32_e32 v6, v30, v29
	v_bfe_u32 v2, v2, s20, 2
	v_and_b32_e32 v29, 0xffff, v1
	v_lshlrev_b32_e32 v1, 16, v1
	v_cndmask_b32_e64 v30, 0xffff, v26, s7
	v_cmp_o_f32_e64 s7, v3, v3
	v_cmp_eq_u32_e64 s8, 0, v2
	v_cmp_eq_u32_e64 s9, 1, v2
	v_cmp_o_f32_e64 s12, v1, v1
	v_cmp_eq_u32_e64 s10, 2, v2
	v_cndmask_b32_e64 v3, 0xffff, v6, s7
	v_cmp_eq_u32_e64 s7, s75, v31
	v_xor_b32_e32 v6, v30, v29
	v_and_b32_e32 v29, s76, v4
	v_bfe_u32 v4, v4, s20, 2
	v_cmp_eq_u32_e64 s11, 3, v2
	s_and_b32 s8, s7, s8
	v_cndmask_b32_e64 v1, 0xffff, v6, s12
	v_cmp_eq_u32_e64 s12, s75, v29
	v_cmp_eq_u32_e64 s13, 0, v4
	v_cndmask_b32_e64 v6, 0, 1, s8
	v_cmp_eq_u32_e64 s8, 1, v4
	s_and_b32 s9, s7, s9
	v_and_b32_e32 v2, s76, v3
	v_bfe_u32 v3, v3, s20, 2
	v_cndmask_b32_e64 v29, 0, 1, s9
	v_cmp_eq_u32_e64 s9, 2, v4
	s_and_b32 s10, s7, s10
	s_and_b32 s7, s7, s11
	v_cndmask_b32_e64 v30, 0, 1, s10
	s_and_b32 s13, s12, s13
	s_and_b32 s8, s12, s8
	v_cmp_eq_u32_e64 s10, 3, v4
	v_cndmask_b32_e64 v4, 0, 1, s7
	v_cmp_eq_u32_e64 s7, s75, v2
	v_cmp_eq_u32_e64 s11, 0, v3
	v_cmp_ne_u32_e64 s14, 0, v6
	v_cndmask_b32_e64 v6, 0, 1, s13
	v_cmp_eq_u32_e64 s13, 1, v3
	v_cmp_ne_u32_e64 s15, 0, v29
	v_cndmask_b32_e64 v29, 0, 1, s8
	v_cmp_eq_u32_e64 s8, 2, v3
	s_and_b32 s9, s12, s9
	v_and_b32_e32 v2, s76, v1
	v_bfe_u32 v1, v1, s20, 2
	v_cmp_ne_u32_e64 s16, 0, v30
	v_cndmask_b32_e64 v30, 0, 1, s9
	v_cmp_eq_u32_e64 s9, 3, v3
	s_and_b32 s10, s12, s10
	s_and_b32 s11, s7, s11
	;; [unrolled: 1-line block ×4, first 2 shown]
	v_cmp_ne_u32_e64 s17, 0, v4
	v_cndmask_b32_e64 v3, 0, 1, s10
	v_cmp_eq_u32_e64 s10, s75, v2
	v_cmp_eq_u32_e64 s12, 0, v1
	s_bcnt1_i32_b32 s84, s14
	v_cmp_ne_u32_e64 s14, 0, v6
	v_cndmask_b32_e64 v2, 0, 1, s11
	v_cmp_eq_u32_e64 s11, 1, v1
	v_cndmask_b32_e64 v4, 0, 1, s13
	v_cmp_eq_u32_e64 s13, 2, v1
	;; [unrolled: 2-line block ×3, first 2 shown]
	s_and_b32 s7, s7, s9
	s_bcnt1_i32_b32 s87, s17
	v_cndmask_b32_e64 v1, 0, 1, s7
	v_cmp_ne_u32_e64 s17, 0, v3
	s_and_b32 s9, s10, s12
	s_and_b32 s11, s10, s11
	;; [unrolled: 1-line block ×4, first 2 shown]
	v_cmp_ne_u32_e64 s7, 0, v2
	v_cndmask_b32_e64 v2, 0, 1, s9
	v_cmp_ne_u32_e64 s9, 0, v4
	v_cndmask_b32_e64 v3, 0, 1, s11
	v_cndmask_b32_e64 v4, 0, 1, s12
	v_cmp_ne_u32_e64 s12, 0, v1
	v_cndmask_b32_e64 v1, 0, 1, s8
	s_bcnt1_i32_b32 s85, s15
	v_cmp_ne_u32_e64 s15, 0, v29
	s_bcnt1_i32_b32 s86, s16
	v_cmp_ne_u32_e64 s16, 0, v30
	s_add_i32 s80, s87, s80
	v_cmp_ne_u32_e64 s11, 0, v6
	s_bcnt1_i32_b32 s13, s17
	s_bcnt1_i32_b32 s17, s7
	s_add_i32 s13, s80, s13
	v_cmp_ne_u32_e64 s7, 0, v2
	s_bcnt1_i32_b32 s80, s9
	v_cmp_ne_u32_e64 s8, 0, v3
	v_cmp_ne_u32_e64 s9, 0, v4
	v_cmp_ne_u32_e64 s10, 0, v1
	s_add_i32 s83, s84, s83
	s_add_i32 s82, s85, s82
	s_add_i32 s81, s86, s81
	s_bcnt1_i32_b32 s14, s14
	s_bcnt1_i32_b32 s15, s15
	;; [unrolled: 1-line block ×3, first 2 shown]
	s_add_i32 s14, s83, s14
	s_add_i32 s15, s82, s15
	;; [unrolled: 1-line block ×3, first 2 shown]
	s_bcnt1_i32_b32 s11, s11
	s_bcnt1_i32_b32 s12, s12
	s_add_i32 s14, s14, s17
	s_add_i32 s15, s15, s80
	;; [unrolled: 1-line block ×4, first 2 shown]
	s_bcnt1_i32_b32 s7, s7
	s_bcnt1_i32_b32 s8, s8
	;; [unrolled: 1-line block ×4, first 2 shown]
	s_add_i32 s83, s14, s7
	s_add_i32 s82, s15, s8
	s_add_i32 s81, s11, s9
	s_add_i32 s80, s12, s10
	s_delay_alu instid0(SALU_CYCLE_1) | instskip(SKIP_2) | instid1(SALU_CYCLE_1)
	v_dual_mov_b32 v1, s83 :: v_dual_mov_b32 v4, s80
	v_dual_mov_b32 v2, s82 :: v_dual_mov_b32 v3, s81
	s_or_b32 s19, vcc_lo, s19
	s_and_not1_b32 exec_lo, exec_lo, s19
	s_cbranch_execnz .LBB138_54
; %bb.55:                               ;   in Loop: Header=BB138_21 Depth=1
	s_or_b32 exec_lo, exec_lo, s19
	s_delay_alu instid0(SALU_CYCLE_1)
	s_or_b32 exec_lo, exec_lo, s18
	v_mov_b32_e32 v29, 0
	s_and_saveexec_b32 s7, s5
	s_cbranch_execz .LBB138_51
.LBB138_56:                             ;   in Loop: Header=BB138_21 Depth=1
	global_load_u16 v29, v[11:12], off
	s_or_b32 exec_lo, exec_lo, s7
	s_and_saveexec_b32 s11, s5
	s_cbranch_execz .LBB138_62
.LBB138_57:                             ;   in Loop: Header=BB138_21 Depth=1
	v_mov_b32_e32 v6, v23
	v_mov_b32_e32 v28, v19
	s_and_b32 s13, s70, 0xfe
	s_mov_b32 s12, 0
	s_branch .LBB138_59
.LBB138_58:                             ;   in Loop: Header=BB138_59 Depth=2
	s_or_b32 exec_lo, exec_lo, s8
	s_waitcnt vmcnt(0)
	v_cmp_lt_i16_e64 s7, -1, v29
	v_and_b32_e32 v31, 0xffff, v29
	v_lshlrev_b32_e32 v29, 16, v29
	s_and_b32 s8, exec_lo, vcc_lo
	v_add_nc_u32_e32 v6, s49, v6
	v_cndmask_b32_e64 v32, 0xffff, v26, s7
	s_or_b32 s12, s8, s12
	v_cmp_o_f32_e64 s7, v29, v29
	s_delay_alu instid0(VALU_DEP_2) | instskip(NEXT) | instid1(VALU_DEP_1)
	v_xor_b32_e32 v31, v32, v31
	v_cndmask_b32_e64 v29, 0xffff, v31, s7
	s_delay_alu instid0(VALU_DEP_1) | instskip(SKIP_1) | instid1(VALU_DEP_2)
	v_and_b32_e32 v31, s76, v29
	v_bfe_u32 v29, v29, s13, 2
	v_cmp_eq_u32_e32 vcc_lo, s75, v31
	s_delay_alu instid0(VALU_DEP_2) | instskip(SKIP_3) | instid1(VALU_DEP_4)
	v_cmp_eq_u32_e64 s7, 0, v29
	v_cmp_eq_u32_e64 s8, 1, v29
	;; [unrolled: 1-line block ×4, first 2 shown]
	s_and_b32 s7, vcc_lo, s7
	s_delay_alu instid0(SALU_CYCLE_1) | instskip(SKIP_1) | instid1(SALU_CYCLE_1)
	v_cndmask_b32_e64 v29, 0, 1, s7
	s_and_b32 s7, vcc_lo, s8
	v_cndmask_b32_e64 v31, 0, 1, s7
	s_and_b32 s7, vcc_lo, s9
	s_delay_alu instid0(SALU_CYCLE_1)
	v_cndmask_b32_e64 v32, 0, 1, s7
	s_and_b32 s7, vcc_lo, s10
	v_cmp_ne_u32_e32 vcc_lo, 0, v29
	v_mov_b32_e32 v29, v30
	v_cndmask_b32_e64 v33, 0, 1, s7
	v_cmp_ne_u32_e64 s7, 0, v31
	v_cmp_ne_u32_e64 s8, 0, v32
	s_bcnt1_i32_b32 s10, vcc_lo
	s_delay_alu instid0(VALU_DEP_3) | instskip(NEXT) | instid1(VALU_DEP_3)
	v_cmp_ne_u32_e64 s9, 0, v33
	s_bcnt1_i32_b32 s7, s7
	s_delay_alu instid0(VALU_DEP_2)
	s_bcnt1_i32_b32 s8, s8
	v_add_nc_u32_e32 v1, s10, v1
	v_add_nc_u32_e32 v2, s7, v2
	s_bcnt1_i32_b32 s9, s9
	v_add_nc_u32_e32 v3, s8, v3
	v_add_nc_u32_e32 v4, s9, v4
	s_and_not1_b32 exec_lo, exec_lo, s12
	s_cbranch_execz .LBB138_61
.LBB138_59:                             ;   Parent Loop BB138_21 Depth=1
                                        ; =>  This Inner Loop Header: Depth=2
	s_delay_alu instid0(VALU_DEP_1) | instskip(SKIP_2) | instid1(VALU_DEP_2)
	v_add_nc_u32_e32 v28, s27, v28
	v_mov_b32_e32 v30, 0
	s_mov_b32 s8, exec_lo
	v_cmp_le_u32_e32 vcc_lo, s24, v28
	v_cmpx_gt_u32_e64 s24, v28
	s_cbranch_execz .LBB138_58
; %bb.60:                               ;   in Loop: Header=BB138_59 Depth=2
	v_lshlrev_b64 v[30:31], 1, v[6:7]
	s_delay_alu instid0(VALU_DEP_1) | instskip(NEXT) | instid1(VALU_DEP_1)
	v_add_co_u32 v30, s7, s33, v30
	v_add_co_ci_u32_e64 v31, s7, s39, v31, s7
	global_load_u16 v30, v[30:31], off
	s_branch .LBB138_58
.LBB138_61:                             ;   in Loop: Header=BB138_21 Depth=1
	s_or_b32 exec_lo, exec_lo, s12
.LBB138_62:                             ;   in Loop: Header=BB138_21 Depth=1
	s_delay_alu instid0(SALU_CYCLE_1)
	s_or_b32 exec_lo, exec_lo, s11
	s_branch .LBB138_72
.LBB138_63:                             ;   in Loop: Header=BB138_21 Depth=1
	s_mul_hi_u32 s7, s78, s59
	v_dual_mov_b32 v1, 0 :: v_dual_mov_b32 v2, 0
	s_mul_i32 s7, s7, s50
	v_dual_mov_b32 v3, 0 :: v_dual_mov_b32 v4, 0
	s_sub_i32 s7, s78, s7
	s_mov_b32 s81, 0
	s_sub_i32 s8, s7, s50
	s_cmp_ge_u32 s7, s50
	s_mov_b32 s80, exec_lo
	s_cselect_b32 s7, s8, s7
	s_delay_alu instid0(SALU_CYCLE_1) | instskip(SKIP_2) | instid1(SALU_CYCLE_1)
	s_sub_i32 s8, s7, s50
	s_cmp_ge_u32 s7, s50
	s_cselect_b32 s7, s8, s7
	s_sub_i32 s79, s78, s7
	s_delay_alu instid0(SALU_CYCLE_1)
	v_cmpx_gt_u32_e64 s79, v14
	s_cbranch_execz .LBB138_67
; %bb.64:                               ;   in Loop: Header=BB138_21 Depth=1
	v_mov_b32_e32 v6, v24
	v_mov_b32_e32 v28, v14
	s_and_b32 s82, s70, 0xfe
	s_mov_b32 s83, 0
	s_mov_b32 s84, 0
	;; [unrolled: 1-line block ×4, first 2 shown]
.LBB138_65:                             ;   Parent Loop BB138_21 Depth=1
                                        ; =>  This Inner Loop Header: Depth=2
	ds_load_b64 v[1:2], v6
	s_waitcnt lgkmcnt(0)
	v_cmp_lt_i16_e64 s7, -1, v1
	v_lshrrev_b32_e32 v3, 16, v1
	v_lshrrev_b32_e32 v4, 16, v2
	s_waitcnt vmcnt(0)
	v_and_b32_e32 v29, 0xffff, v1
	v_lshlrev_b32_e32 v31, 16, v1
	v_cndmask_b32_e64 v30, 0xffff, v26, s7
	v_cmp_lt_i16_e64 s7, -1, v2
	v_and_b32_e32 v32, 0xffff, v2
	v_cmp_lt_i16_e64 s8, -1, v4
	v_lshlrev_b32_e32 v34, 16, v2
	v_and_b32_e32 v1, 0xffff0000, v1
	v_cndmask_b32_e64 v33, 0xffff, v26, s7
	v_cmp_lt_i16_e64 s7, -1, v3
	v_xor_b32_e32 v29, v30, v29
	v_and_b32_e32 v2, 0xffff0000, v2
	s_delay_alu instid0(VALU_DEP_4) | instskip(NEXT) | instid1(VALU_DEP_4)
	v_xor_b32_e32 v32, v33, v32
	v_cndmask_b32_e64 v30, 0xffff, v26, s7
	v_cndmask_b32_e64 v33, 0xffff, v26, s8
	v_cmp_o_f32_e64 s8, v31, v31
	v_cmp_o_f32_e64 s7, v34, v34
	s_delay_alu instid0(VALU_DEP_4) | instskip(NEXT) | instid1(VALU_DEP_4)
	v_xor_b32_e32 v3, v30, v3
	v_xor_b32_e32 v4, v33, v4
	s_delay_alu instid0(VALU_DEP_4) | instskip(SKIP_3) | instid1(VALU_DEP_4)
	v_cndmask_b32_e64 v29, 0xffff, v29, s8
	v_cmp_o_f32_e64 s8, v1, v1
	v_cndmask_b32_e64 v30, 0xffff, v32, s7
	v_cmp_o_f32_e64 s7, v2, v2
	v_and_b32_e32 v2, s76, v29
	s_delay_alu instid0(VALU_DEP_4) | instskip(SKIP_1) | instid1(VALU_DEP_4)
	v_cndmask_b32_e64 v1, 0xffff, v3, s8
	v_bfe_u32 v29, v29, s82, 2
	v_cndmask_b32_e64 v3, 0xffff, v4, s7
	v_and_b32_e32 v4, s76, v30
	v_bfe_u32 v30, v30, s82, 2
	v_cmp_eq_u32_e64 s7, s75, v2
	v_and_b32_e32 v2, s76, v1
	v_bfe_u32 v1, v1, s82, 2
	v_cmp_eq_u32_e64 s9, 0, v29
	v_cmp_eq_u32_e64 s11, 1, v29
	;; [unrolled: 1-line block ×8, first 2 shown]
	v_and_b32_e32 v4, s76, v3
	v_bfe_u32 v3, v3, s82, 2
	v_cmp_eq_u32_e64 s16, 3, v30
	v_cmp_eq_u32_e64 s17, s75, v2
	;; [unrolled: 1-line block ×3, first 2 shown]
	s_and_b32 s9, s7, s9
	s_and_b32 s11, s7, s11
	s_and_b32 s13, s7, s13
	v_cndmask_b32_e64 v2, 0, 1, s9
	s_and_b32 s9, s8, s10
	v_cndmask_b32_e64 v29, 0, 1, s11
	s_and_b32 s11, s8, s12
	;; [unrolled: 2-line block ×3, first 2 shown]
	s_and_b32 s7, s7, s15
	v_cmp_eq_u32_e64 s18, s75, v4
	v_cmp_eq_u32_e64 s20, 0, v3
	v_cndmask_b32_e64 v4, 0, 1, s9
	v_cmp_eq_u32_e64 s9, 1, v1
	v_cmp_eq_u32_e64 s10, 1, v3
	v_cndmask_b32_e64 v30, 0, 1, s11
	;; [unrolled: 3-line block ×3, first 2 shown]
	v_cmp_eq_u32_e64 s13, 3, v1
	v_cndmask_b32_e64 v1, 0, 1, s7
	s_and_b32 s7, s8, s16
	s_and_b32 s8, s17, s19
	v_cmp_eq_u32_e64 s14, 3, v3
	v_cndmask_b32_e64 v3, 0, 1, s7
	v_cmp_ne_u32_e64 s7, 0, v2
	v_cndmask_b32_e64 v2, 0, 1, s8
	s_and_b32 s15, s18, s20
	s_and_b32 s9, s17, s9
	;; [unrolled: 1-line block ×6, first 2 shown]
	v_cmp_ne_u32_e64 s8, 0, v4
	v_cndmask_b32_e64 v4, 0, 1, s15
	v_cmp_ne_u32_e64 s15, 0, v29
	v_cndmask_b32_e64 v29, 0, 1, s9
	;; [unrolled: 2-line block ×6, first 2 shown]
	s_bcnt1_i32_b32 s16, s7
	v_cmp_ne_u32_e64 s7, 0, v2
	s_and_b32 s14, s18, s14
	v_cmp_ne_u32_e64 s13, 0, v3
	v_cndmask_b32_e64 v3, 0, 1, s14
	s_bcnt1_i32_b32 s17, s8
	v_cmp_ne_u32_e64 s8, 0, v4
	v_cmp_ne_u32_e64 s14, 0, v29
	s_bcnt1_i32_b32 s19, s10
	v_cmp_ne_u32_e64 s10, 0, v31
	s_bcnt1_i32_b32 s87, s12
	v_cmp_ne_u32_e64 s12, 0, v1
	s_add_i32 s16, s16, s86
	s_bcnt1_i32_b32 s7, s7
	s_bcnt1_i32_b32 s15, s15
	s_add_i32 s7, s16, s7
	s_bcnt1_i32_b32 s18, s9
	v_cmp_ne_u32_e64 s9, 0, v30
	s_bcnt1_i32_b32 s20, s11
	v_cmp_ne_u32_e64 s11, 0, v32
	;; [unrolled: 2-line block ×3, first 2 shown]
	s_bcnt1_i32_b32 s8, s8
	s_add_i32 s7, s7, s17
	s_add_i32 s15, s15, s85
	;; [unrolled: 1-line block ×4, first 2 shown]
	s_bcnt1_i32_b32 s14, s14
	s_bcnt1_i32_b32 s10, s10
	;; [unrolled: 1-line block ×3, first 2 shown]
	s_add_i32 s86, s7, s8
	s_delay_alu instid0(SALU_CYCLE_1)
	v_dual_mov_b32 v1, s86 :: v_dual_add_nc_u32 v28, s50, v28
	s_add_i32 s14, s15, s14
	s_add_i32 s10, s19, s10
	s_add_i32 s12, s83, s12
	s_bcnt1_i32_b32 s9, s9
	s_bcnt1_i32_b32 s11, s11
	;; [unrolled: 1-line block ×3, first 2 shown]
	s_add_i32 s14, s14, s18
	s_add_i32 s10, s10, s20
	;; [unrolled: 1-line block ×3, first 2 shown]
	v_cmp_le_u32_e32 vcc_lo, s79, v28
	s_add_i32 s85, s14, s9
	s_add_i32 s84, s10, s11
	;; [unrolled: 1-line block ×3, first 2 shown]
	v_dual_mov_b32 v3, s84 :: v_dual_add_nc_u32 v6, s64, v6
	v_mov_b32_e32 v2, s85
	v_mov_b32_e32 v4, s83
	s_or_b32 s81, vcc_lo, s81
	s_delay_alu instid0(SALU_CYCLE_1)
	s_and_not1_b32 exec_lo, exec_lo, s81
	s_cbranch_execnz .LBB138_65
; %bb.66:                               ;   in Loop: Header=BB138_21 Depth=1
	s_or_b32 exec_lo, exec_lo, s81
.LBB138_67:                             ;   in Loop: Header=BB138_21 Depth=1
	s_delay_alu instid0(SALU_CYCLE_1) | instskip(SKIP_2) | instid1(VALU_DEP_1)
	s_or_b32 exec_lo, exec_lo, s80
	v_add_nc_u32_e32 v6, s79, v0
	s_mov_b32 s12, exec_lo
	v_cmpx_gt_u32_e64 s78, v6
	s_cbranch_execz .LBB138_71
; %bb.68:                               ;   in Loop: Header=BB138_21 Depth=1
	v_lshlrev_b32_e32 v28, 1, v6
	s_and_b32 s14, s70, 0xfe
	s_mov_b32 s13, 0
.LBB138_69:                             ;   Parent Loop BB138_21 Depth=1
                                        ; =>  This Inner Loop Header: Depth=2
	s_waitcnt vmcnt(0)
	ds_load_u16 v29, v28
	v_add_nc_u32_e32 v6, s27, v6
	v_add_nc_u32_e32 v28, s65, v28
	s_delay_alu instid0(VALU_DEP_2) | instskip(SKIP_4) | instid1(VALU_DEP_3)
	v_cmp_le_u32_e32 vcc_lo, s78, v6
	s_waitcnt lgkmcnt(0)
	v_cmp_lt_i16_e64 s7, -1, v29
	v_and_b32_e32 v30, 0xffff, v29
	v_lshlrev_b32_e32 v29, 16, v29
	v_cndmask_b32_e64 v31, 0xffff, v26, s7
	s_delay_alu instid0(VALU_DEP_2) | instskip(NEXT) | instid1(VALU_DEP_2)
	v_cmp_o_f32_e64 s7, v29, v29
	v_xor_b32_e32 v30, v31, v30
	s_delay_alu instid0(VALU_DEP_1) | instskip(NEXT) | instid1(VALU_DEP_1)
	v_cndmask_b32_e64 v29, 0xffff, v30, s7
	v_and_b32_e32 v30, s76, v29
	v_bfe_u32 v29, v29, s14, 2
	s_delay_alu instid0(VALU_DEP_2) | instskip(NEXT) | instid1(VALU_DEP_2)
	v_cmp_eq_u32_e64 s7, s75, v30
	v_cmp_eq_u32_e64 s8, 0, v29
	v_cmp_eq_u32_e64 s9, 1, v29
	v_cmp_eq_u32_e64 s10, 2, v29
	v_cmp_eq_u32_e64 s11, 3, v29
	s_delay_alu instid0(VALU_DEP_4) | instskip(NEXT) | instid1(SALU_CYCLE_1)
	s_and_b32 s8, s7, s8
	v_cndmask_b32_e64 v29, 0, 1, s8
	s_and_b32 s8, s7, s9
	s_delay_alu instid0(SALU_CYCLE_1)
	v_cndmask_b32_e64 v30, 0, 1, s8
	s_and_b32 s8, s7, s10
	s_and_b32 s7, s7, s11
	v_cndmask_b32_e64 v31, 0, 1, s8
	v_cndmask_b32_e64 v32, 0, 1, s7
	v_cmp_ne_u32_e64 s7, 0, v29
	v_cmp_ne_u32_e64 s8, 0, v30
	s_delay_alu instid0(VALU_DEP_4) | instskip(NEXT) | instid1(VALU_DEP_4)
	v_cmp_ne_u32_e64 s9, 0, v31
	v_cmp_ne_u32_e64 s10, 0, v32
	s_delay_alu instid0(VALU_DEP_4) | instskip(NEXT) | instid1(VALU_DEP_3)
	s_bcnt1_i32_b32 s7, s7
	s_bcnt1_i32_b32 s8, s8
	v_add_nc_u32_e32 v1, s7, v1
	s_bcnt1_i32_b32 s9, s9
	s_bcnt1_i32_b32 s10, s10
	v_add_nc_u32_e32 v2, s8, v2
	v_add_nc_u32_e32 v3, s9, v3
	;; [unrolled: 1-line block ×3, first 2 shown]
	s_or_b32 s13, vcc_lo, s13
	s_delay_alu instid0(SALU_CYCLE_1)
	s_and_not1_b32 exec_lo, exec_lo, s13
	s_cbranch_execnz .LBB138_69
; %bb.70:                               ;   in Loop: Header=BB138_21 Depth=1
	s_or_b32 exec_lo, exec_lo, s13
.LBB138_71:                             ;   in Loop: Header=BB138_21 Depth=1
	s_delay_alu instid0(SALU_CYCLE_1)
	s_or_b32 exec_lo, exec_lo, s12
.LBB138_72:                             ;   in Loop: Header=BB138_21 Depth=1
	s_lshl_b32 s7, s73, 7
	s_and_saveexec_b32 s8, s3
	s_cbranch_execz .LBB138_74
; %bb.73:                               ;   in Loop: Header=BB138_21 Depth=1
	v_or_b32_e32 v6, s7, v17
	s_delay_alu instid0(VALU_DEP_1)
	v_lshlrev_b32_e32 v6, 2, v6
	ds_store_b128 v6, v[1:4] offset:3072
.LBB138_74:                             ;   in Loop: Header=BB138_21 Depth=1
	s_or_b32 exec_lo, exec_lo, s8
	s_waitcnt vmcnt(0) lgkmcnt(0)
	s_barrier
	buffer_gl0_inv
	s_and_saveexec_b32 s8, s51
	s_cbranch_execz .LBB138_84
; %bb.75:                               ;   in Loop: Header=BB138_21 Depth=1
	v_mov_b32_e32 v1, 0
	s_and_not1_b32 vcc_lo, exec_lo, s54
	s_cbranch_vccnz .LBB138_83
; %bb.76:                               ;   in Loop: Header=BB138_21 Depth=1
	v_mov_b32_e32 v1, 0
	s_and_not1_b32 vcc_lo, exec_lo, s56
	s_mov_b32 s9, 0
	s_cbranch_vccnz .LBB138_80
; %bb.77:                               ;   in Loop: Header=BB138_21 Depth=1
	v_lshl_add_u32 v2, s73, 9, v25
	v_mov_b32_e32 v1, 0
	.p2align	6
.LBB138_78:                             ;   Parent Loop BB138_21 Depth=1
                                        ; =>  This Inner Loop Header: Depth=2
	ds_load_2addr_b32 v[3:4], v2 offset1:4
	ds_load_2addr_b32 v[28:29], v2 offset0:8 offset1:12
	ds_load_2addr_b32 v[30:31], v2 offset0:16 offset1:20
	ds_load_2addr_b32 v[32:33], v2 offset0:24 offset1:28
	v_add_nc_u32_e32 v2, 0x80, v2
	s_add_i32 s9, s9, 8
	s_delay_alu instid0(SALU_CYCLE_1) | instskip(SKIP_3) | instid1(VALU_DEP_1)
	s_cmp_eq_u32 s57, s9
	s_waitcnt lgkmcnt(3)
	v_add3_u32 v1, v3, v1, v4
	s_waitcnt lgkmcnt(2)
	v_add3_u32 v1, v28, v1, v29
	s_waitcnt lgkmcnt(1)
	s_delay_alu instid0(VALU_DEP_1) | instskip(SKIP_1) | instid1(VALU_DEP_1)
	v_add3_u32 v1, v30, v1, v31
	s_waitcnt lgkmcnt(0)
	v_add3_u32 v1, v32, v1, v33
	s_cbranch_scc0 .LBB138_78
; %bb.79:                               ;   in Loop: Header=BB138_21 Depth=1
	s_mov_b32 s9, s57
.LBB138_80:                             ;   in Loop: Header=BB138_21 Depth=1
	s_and_not1_b32 vcc_lo, exec_lo, s58
	s_cbranch_vccnz .LBB138_83
; %bb.81:                               ;   in Loop: Header=BB138_21 Depth=1
	s_lshl_b32 s10, s73, 9
	s_lshl_b32 s9, s9, 4
	s_delay_alu instid0(SALU_CYCLE_1)
	v_add3_u32 v2, s10, s9, v25
	s_mov_b32 s9, s55
.LBB138_82:                             ;   Parent Loop BB138_21 Depth=1
                                        ; =>  This Inner Loop Header: Depth=2
	ds_load_b32 v3, v2
	v_add_nc_u32_e32 v2, 16, v2
	s_add_i32 s9, s9, -1
	s_delay_alu instid0(SALU_CYCLE_1)
	s_cmp_lg_u32 s9, 0
	s_waitcnt lgkmcnt(0)
	v_add_nc_u32_e32 v1, v3, v1
	s_cbranch_scc1 .LBB138_82
.LBB138_83:                             ;   in Loop: Header=BB138_21 Depth=1
	v_add_lshl_u32 v2, s7, v13, 2
	ds_store_b32 v2, v1 offset:3072
.LBB138_84:                             ;   in Loop: Header=BB138_21 Depth=1
	s_or_b32 exec_lo, exec_lo, s8
	s_lshl_b32 s7, s7, 2
	s_waitcnt lgkmcnt(0)
	v_mov_b32_e32 v1, s7
	s_barrier
	buffer_gl0_inv
	s_and_b32 s16, s70, 0xfe
	s_mov_b32 s12, -1
	ds_load_b128 v[1:4], v1 offset:3072
	s_lshl_b32 s9, 3, s16
	s_delay_alu instid0(SALU_CYCLE_1) | instskip(SKIP_4) | instid1(VALU_DEP_3)
	s_not_b32 s17, s9
	s_waitcnt lgkmcnt(0)
	v_readfirstlane_b32 s11, v1
	v_readfirstlane_b32 s19, v2
	;; [unrolled: 1-line block ×3, first 2 shown]
	s_cmp_eq_u32 s11, 1
	s_cselect_b32 s7, -1, 0
	s_cmp_eq_u32 s77, 1
	s_cselect_b32 s8, -1, 0
	s_delay_alu instid0(SALU_CYCLE_1)
	s_and_b32 s13, s7, s8
	v_readfirstlane_b32 s8, v4
	s_and_b32 vcc_lo, exec_lo, s13
	s_cbranch_vccz .LBB138_96
; %bb.85:                               ;   in Loop: Header=BB138_21 Depth=1
	ds_load_b32 v1, v7 offset:4104
	s_waitcnt lgkmcnt(0)
	s_barrier
	buffer_gl0_inv
	v_readfirstlane_b32 s10, v1
	s_and_saveexec_b32 s7, s2
	s_cbranch_execz .LBB138_87
; %bb.86:                               ;   in Loop: Header=BB138_21 Depth=1
	ds_store_b16 v16, v7
.LBB138_87:                             ;   in Loop: Header=BB138_21 Depth=1
	s_or_b32 exec_lo, exec_lo, s7
	s_and_b32 s75, s75, s17
	s_or_b32 s76, s76, s9
	s_cmp_eq_u32 s10, 0
	s_waitcnt lgkmcnt(0)
	s_barrier
	buffer_gl0_inv
	s_cbranch_scc1 .LBB138_97
; %bb.88:                               ;   in Loop: Header=BB138_21 Depth=1
	s_add_i32 s7, s10, s52
                                        ; implicit-def: $vgpr27
	s_delay_alu instid0(SALU_CYCLE_1) | instskip(NEXT) | instid1(SALU_CYCLE_1)
	s_mul_hi_u32 s15, s7, s61
	s_mul_i32 s15, s15, s27
	s_delay_alu instid0(SALU_CYCLE_1) | instskip(NEXT) | instid1(SALU_CYCLE_1)
	s_sub_i32 s15, s7, s15
	s_sub_i32 s18, s15, s27
	s_cmp_ge_u32 s15, s27
	s_cselect_b32 s15, s18, s15
	s_delay_alu instid0(SALU_CYCLE_1) | instskip(SKIP_2) | instid1(SALU_CYCLE_1)
	s_sub_i32 s18, s15, s27
	s_cmp_ge_u32 s15, s27
	s_cselect_b32 s15, s18, s15
	s_sub_i32 s18, s7, s15
	s_mov_b32 s7, 0
	s_mov_b32 s15, exec_lo
	v_cmpx_gt_u32_e64 s18, v0
	s_cbranch_execz .LBB138_99
; %bb.89:                               ;   in Loop: Header=BB138_21 Depth=1
	v_dual_mov_b32 v1, v15 :: v_dual_mov_b32 v2, v0
	s_mov_b32 s20, 0
                                        ; implicit-def: $sgpr78
	s_branch .LBB138_91
.LBB138_90:                             ;   in Loop: Header=BB138_91 Depth=2
	s_or_b32 exec_lo, exec_lo, s7
	s_waitcnt lgkmcnt(0)
	s_barrier
	buffer_gl0_inv
	ds_load_b32 v3, v7 offset:3072
	v_add_nc_u32_e32 v2, s27, v2
	v_add_nc_u32_e32 v1, s65, v1
	s_waitcnt lgkmcnt(0)
	s_barrier
	buffer_gl0_inv
	v_cmp_le_u32_e32 vcc_lo, s18, v2
	v_and_b32_e32 v4, 0x7fff, v3
	s_delay_alu instid0(VALU_DEP_1) | instskip(NEXT) | instid1(VALU_DEP_1)
	v_cmp_ne_u16_e64 s7, 0, v4
	s_or_b32 s79, vcc_lo, s7
	s_delay_alu instid0(SALU_CYCLE_1) | instskip(NEXT) | instid1(SALU_CYCLE_1)
	s_and_b32 s79, exec_lo, s79
	s_or_b32 s20, s79, s20
	s_and_not1_b32 s78, s78, exec_lo
	s_and_b32 s7, s7, exec_lo
	s_delay_alu instid0(SALU_CYCLE_1)
	s_or_b32 s78, s78, s7
	s_and_not1_b32 exec_lo, exec_lo, s20
	s_cbranch_execz .LBB138_98
.LBB138_91:                             ;   Parent Loop BB138_21 Depth=1
                                        ; =>  This Inner Loop Header: Depth=2
	s_delay_alu instid0(VALU_DEP_1)
	v_cmp_gt_u32_e32 vcc_lo, s10, v2
	v_mov_b32_e32 v3, 0
	s_and_saveexec_b32 s7, vcc_lo
	s_cbranch_execz .LBB138_93
; %bb.92:                               ;   in Loop: Header=BB138_91 Depth=2
	ds_load_u16 v3, v1
.LBB138_93:                             ;   in Loop: Header=BB138_91 Depth=2
	s_or_b32 exec_lo, exec_lo, s7
	s_and_saveexec_b32 s7, vcc_lo
	s_cbranch_execz .LBB138_90
; %bb.94:                               ;   in Loop: Header=BB138_91 Depth=2
	s_waitcnt lgkmcnt(0)
	v_cmp_lt_i16_e32 vcc_lo, -1, v3
	v_and_b32_e32 v4, 0xffff, v3
	v_dual_cndmask_b32 v6, 0xffff, v26 :: v_dual_lshlrev_b32 v27, 16, v3
	s_delay_alu instid0(VALU_DEP_1) | instskip(NEXT) | instid1(VALU_DEP_2)
	v_cmp_o_f32_e32 vcc_lo, v27, v27
	v_xor_b32_e32 v4, v6, v4
	s_delay_alu instid0(VALU_DEP_1) | instskip(NEXT) | instid1(VALU_DEP_1)
	v_cndmask_b32_e32 v4, 0xffff, v4, vcc_lo
	v_and_b32_e32 v4, s76, v4
	s_delay_alu instid0(VALU_DEP_1)
	v_cmp_eq_u32_e32 vcc_lo, s75, v4
	s_and_b32 exec_lo, exec_lo, vcc_lo
	s_cbranch_execz .LBB138_90
; %bb.95:                               ;   in Loop: Header=BB138_91 Depth=2
	v_perm_b32 v3, v3, s66, 0x5040100
	ds_store_b32 v7, v3 offset:3072
	s_branch .LBB138_90
.LBB138_96:                             ;   in Loop: Header=BB138_21 Depth=1
	s_mov_b32 s7, -1
                                        ; implicit-def: $sgpr10
                                        ; implicit-def: $sgpr18
                                        ; implicit-def: $sgpr15
	s_branch .LBB138_110
.LBB138_97:                             ;   in Loop: Header=BB138_21 Depth=1
	s_mov_b32 s10, -1
	s_mov_b32 s7, 0
                                        ; implicit-def: $sgpr15
                                        ; implicit-def: $vgpr27
	s_mov_b32 s18, s10
	s_cbranch_execnz .LBB138_100
	s_branch .LBB138_110
.LBB138_98:                             ;   in Loop: Header=BB138_21 Depth=1
	s_or_b32 exec_lo, exec_lo, s20
	v_lshrrev_b32_e32 v27, 16, v3
	s_and_b32 s7, s78, exec_lo
.LBB138_99:                             ;   in Loop: Header=BB138_21 Depth=1
	s_or_b32 exec_lo, exec_lo, s15
	s_mov_b32 s15, -1
	s_mov_b32 s10, 0
	s_delay_alu instid0(SALU_CYCLE_1)
	s_mov_b32 s18, s10
	s_branch .LBB138_110
.LBB138_100:                            ;   in Loop: Header=BB138_21 Depth=1
	s_mov_b32 s7, 0
                                        ; implicit-def: $vgpr27
	s_and_saveexec_b32 s10, s6
	s_cbranch_execz .LBB138_109
; %bb.101:                              ;   in Loop: Header=BB138_21 Depth=1
	v_dual_mov_b32 v6, v5 :: v_dual_mov_b32 v1, v0
	s_mov_b32 s15, 0
                                        ; implicit-def: $sgpr18
	s_branch .LBB138_103
.LBB138_102:                            ;   in Loop: Header=BB138_103 Depth=2
	s_or_b32 exec_lo, exec_lo, s7
	s_waitcnt vmcnt(0) lgkmcnt(0)
	s_barrier
	buffer_gl0_inv
	ds_load_b32 v2, v7 offset:3072
	v_add_nc_u32_e32 v1, s27, v1
	v_add_nc_u32_e32 v6, s49, v6
	s_waitcnt lgkmcnt(0)
	s_barrier
	buffer_gl0_inv
	v_cmp_le_u32_e32 vcc_lo, s63, v1
	v_and_b32_e32 v3, 0x7fff, v2
	s_delay_alu instid0(VALU_DEP_1) | instskip(NEXT) | instid1(VALU_DEP_1)
	v_cmp_ne_u16_e64 s7, 0, v3
	s_or_b32 s20, vcc_lo, s7
	s_delay_alu instid0(SALU_CYCLE_1) | instskip(NEXT) | instid1(SALU_CYCLE_1)
	s_and_b32 s20, exec_lo, s20
	s_or_b32 s15, s20, s15
	s_and_not1_b32 s18, s18, exec_lo
	s_and_b32 s7, s7, exec_lo
	s_delay_alu instid0(SALU_CYCLE_1)
	s_or_b32 s18, s18, s7
	s_and_not1_b32 exec_lo, exec_lo, s15
	s_cbranch_execz .LBB138_108
.LBB138_103:                            ;   Parent Loop BB138_21 Depth=1
                                        ; =>  This Inner Loop Header: Depth=2
	s_delay_alu instid0(VALU_DEP_1)
	v_cmp_gt_u32_e32 vcc_lo, s24, v1
	v_mov_b32_e32 v2, 0
	s_and_saveexec_b32 s20, vcc_lo
	s_cbranch_execz .LBB138_105
; %bb.104:                              ;   in Loop: Header=BB138_103 Depth=2
	v_lshlrev_b64 v[2:3], 1, v[6:7]
	s_delay_alu instid0(VALU_DEP_1) | instskip(NEXT) | instid1(VALU_DEP_1)
	v_add_co_u32 v2, s7, s33, v2
	v_add_co_ci_u32_e64 v3, s7, s39, v3, s7
	global_load_u16 v2, v[2:3], off
.LBB138_105:                            ;   in Loop: Header=BB138_103 Depth=2
	s_or_b32 exec_lo, exec_lo, s20
	s_and_saveexec_b32 s7, vcc_lo
	s_cbranch_execz .LBB138_102
; %bb.106:                              ;   in Loop: Header=BB138_103 Depth=2
	s_waitcnt vmcnt(0)
	v_cmp_lt_i16_e32 vcc_lo, -1, v2
	v_and_b32_e32 v3, 0xffff, v2
	v_lshlrev_b32_e32 v27, 16, v2
	v_cndmask_b32_e32 v4, 0xffff, v26, vcc_lo
	s_delay_alu instid0(VALU_DEP_2) | instskip(NEXT) | instid1(VALU_DEP_2)
	v_cmp_o_f32_e32 vcc_lo, v27, v27
	v_xor_b32_e32 v3, v4, v3
	s_delay_alu instid0(VALU_DEP_1) | instskip(NEXT) | instid1(VALU_DEP_1)
	v_cndmask_b32_e32 v3, 0xffff, v3, vcc_lo
	v_and_b32_e32 v3, s76, v3
	s_delay_alu instid0(VALU_DEP_1)
	v_cmp_eq_u32_e32 vcc_lo, s75, v3
	s_and_b32 exec_lo, exec_lo, vcc_lo
	s_cbranch_execz .LBB138_102
; %bb.107:                              ;   in Loop: Header=BB138_103 Depth=2
	v_perm_b32 v2, v2, s66, 0x5040100
	ds_store_b32 v7, v2 offset:3072
	s_branch .LBB138_102
.LBB138_108:                            ;   in Loop: Header=BB138_21 Depth=1
	s_or_b32 exec_lo, exec_lo, s15
	v_lshrrev_b32_e32 v27, 16, v2
	s_and_b32 s7, s18, exec_lo
.LBB138_109:                            ;   in Loop: Header=BB138_21 Depth=1
	s_or_b32 exec_lo, exec_lo, s10
	s_mov_b32 s18, -1
	s_mov_b32 s10, 0
	s_mov_b32 s15, 0
.LBB138_110:                            ;   in Loop: Header=BB138_21 Depth=1
	s_and_not1_b32 s20, s71, exec_lo
	s_and_b32 s10, s10, exec_lo
	s_and_b32 s18, s18, exec_lo
	s_or_b32 s71, s20, s10
	s_and_not1_b32 s10, s74, exec_lo
	s_and_not1_b32 s20, s72, exec_lo
	s_and_b32 s15, s15, exec_lo
	s_or_b32 s74, s10, s18
	s_or_b32 s72, s20, s15
	s_and_saveexec_b32 s10, s7
	s_cbranch_execz .LBB138_20
; %bb.111:                              ;   in Loop: Header=BB138_21 Depth=1
	s_xor_b32 s7, s13, -1
	s_mov_b32 s12, 0
	s_and_not1_b32 vcc_lo, exec_lo, s7
	s_mov_b32 s20, 1
	s_cbranch_vccnz .LBB138_122
; %bb.112:                              ;   in Loop: Header=BB138_21 Depth=1
	s_cmp_gt_u32 s77, s11
	s_mov_b32 s12, -1
                                        ; implicit-def: $sgpr7
                                        ; implicit-def: $sgpr13
                                        ; implicit-def: $sgpr15
	s_cbranch_scc1 .LBB138_118
; %bb.113:                              ;   in Loop: Header=BB138_21 Depth=1
	ds_load_b32 v1, v7 offset:4104
	s_waitcnt lgkmcnt(0)
	v_cmp_ne_u32_e32 vcc_lo, 0, v1
	s_cbranch_vccnz .LBB138_117
; %bb.114:                              ;   in Loop: Header=BB138_21 Depth=1
	s_and_saveexec_b32 s7, s1
	s_cbranch_execz .LBB138_116
; %bb.115:                              ;   in Loop: Header=BB138_21 Depth=1
	v_mov_b32_e32 v1, s11
	ds_store_b32 v7, v1 offset:4108
.LBB138_116:                            ;   in Loop: Header=BB138_21 Depth=1
	s_or_b32 exec_lo, exec_lo, s7
	s_waitcnt lgkmcnt(0)
	s_barrier
	buffer_gl0_inv
.LBB138_117:                            ;   in Loop: Header=BB138_21 Depth=1
	s_and_b32 s13, s75, s17
	s_or_b32 s15, s76, s9
	s_mov_b32 s12, 0
	s_mov_b32 s7, 8
.LBB138_118:                            ;   in Loop: Header=BB138_21 Depth=1
	s_and_not1_b32 vcc_lo, exec_lo, s12
	s_cbranch_vccnz .LBB138_120
; %bb.119:                              ;   in Loop: Header=BB138_21 Depth=1
	s_sub_i32 s77, s77, s11
	s_mov_b32 s12, -1
	s_mov_b32 s7, 0
	s_mov_b32 s13, s75
	;; [unrolled: 1-line block ×3, first 2 shown]
.LBB138_120:                            ;   in Loop: Header=BB138_21 Depth=1
	s_delay_alu instid0(SALU_CYCLE_1)
	s_mov_b32 s76, s15
	s_mov_b32 s75, s13
	;; [unrolled: 1-line block ×3, first 2 shown]
	s_and_b32 vcc_lo, exec_lo, s12
	s_mov_b32 s11, -1
	s_cbranch_vccnz .LBB138_123
.LBB138_121:                            ;   in Loop: Header=BB138_21 Depth=1
	s_mov_b32 s79, -1
                                        ; implicit-def: $sgpr12
                                        ; implicit-def: $sgpr15
                                        ; implicit-def: $sgpr13
                                        ; implicit-def: $sgpr77
	s_delay_alu instid0(SALU_CYCLE_1) | instskip(NEXT) | instid1(SALU_CYCLE_1)
	s_and_saveexec_b32 s8, s79
	s_xor_b32 s8, exec_lo, s8
	s_cbranch_execz .LBB138_19
	s_branch .LBB138_249
.LBB138_122:                            ;   in Loop: Header=BB138_21 Depth=1
	s_mov_b32 s7, 1
	s_and_b32 vcc_lo, exec_lo, s12
	s_mov_b32 s11, -1
	s_cbranch_vccz .LBB138_121
.LBB138_123:                            ;   in Loop: Header=BB138_21 Depth=1
	s_cmp_eq_u32 s19, 1
	s_mov_b32 s78, -1
	s_cselect_b32 s7, -1, 0
	s_cmp_eq_u32 s20, 1
	s_cselect_b32 s12, -1, 0
	s_delay_alu instid0(SALU_CYCLE_1) | instskip(NEXT) | instid1(SALU_CYCLE_1)
	s_and_b32 s77, s7, s12
	s_and_b32 vcc_lo, exec_lo, s77
	s_cbranch_vccz .LBB138_135
; %bb.124:                              ;   in Loop: Header=BB138_21 Depth=1
	ds_load_b32 v1, v7 offset:4104
	s_waitcnt lgkmcnt(0)
	s_barrier
	buffer_gl0_inv
	v_readfirstlane_b32 s12, v1
	s_and_saveexec_b32 s7, s2
	s_cbranch_execz .LBB138_126
; %bb.125:                              ;   in Loop: Header=BB138_21 Depth=1
	ds_store_b16 v16, v7
.LBB138_126:                            ;   in Loop: Header=BB138_21 Depth=1
	s_or_b32 exec_lo, exec_lo, s7
	s_lshl_b32 s7, 1, s16
	s_and_b32 s13, s75, s17
	s_or_b32 s76, s76, s9
	s_or_b32 s75, s13, s7
	s_cmp_eq_u32 s12, 0
	s_waitcnt lgkmcnt(0)
	s_barrier
	buffer_gl0_inv
	s_cbranch_scc1 .LBB138_139
; %bb.127:                              ;   in Loop: Header=BB138_21 Depth=1
	s_add_i32 s7, s12, s52
	s_mov_b32 s78, 0
	s_mul_hi_u32 s13, s7, s61
                                        ; implicit-def: $vgpr27
	s_delay_alu instid0(SALU_CYCLE_1) | instskip(NEXT) | instid1(SALU_CYCLE_1)
	s_mul_i32 s13, s13, s27
	s_sub_i32 s13, s7, s13
	s_delay_alu instid0(SALU_CYCLE_1) | instskip(SKIP_2) | instid1(SALU_CYCLE_1)
	s_sub_i32 s15, s13, s27
	s_cmp_ge_u32 s13, s27
	s_cselect_b32 s13, s15, s13
	s_sub_i32 s15, s13, s27
	s_cmp_ge_u32 s13, s27
	s_cselect_b32 s13, s15, s13
	s_delay_alu instid0(SALU_CYCLE_1)
	s_sub_i32 s15, s7, s13
	s_mov_b32 s13, exec_lo
	v_cmpx_gt_u32_e64 s15, v0
	s_cbranch_execz .LBB138_141
; %bb.128:                              ;   in Loop: Header=BB138_21 Depth=1
	v_dual_mov_b32 v1, v15 :: v_dual_mov_b32 v2, v0
	s_mov_b32 s18, 0
                                        ; implicit-def: $sgpr78
	s_branch .LBB138_130
.LBB138_129:                            ;   in Loop: Header=BB138_130 Depth=2
	s_or_b32 exec_lo, exec_lo, s7
	s_waitcnt lgkmcnt(0)
	s_barrier
	buffer_gl0_inv
	ds_load_b32 v3, v7 offset:3072
	v_add_nc_u32_e32 v2, s27, v2
	v_add_nc_u32_e32 v1, s65, v1
	s_waitcnt lgkmcnt(0)
	s_barrier
	buffer_gl0_inv
	v_cmp_le_u32_e32 vcc_lo, s15, v2
	v_and_b32_e32 v4, 0x7fff, v3
	s_delay_alu instid0(VALU_DEP_1) | instskip(NEXT) | instid1(VALU_DEP_1)
	v_cmp_ne_u16_e64 s7, 0, v4
	s_or_b32 s79, vcc_lo, s7
	s_delay_alu instid0(SALU_CYCLE_1) | instskip(NEXT) | instid1(SALU_CYCLE_1)
	s_and_b32 s79, exec_lo, s79
	s_or_b32 s18, s79, s18
	s_and_not1_b32 s78, s78, exec_lo
	s_and_b32 s7, s7, exec_lo
	s_delay_alu instid0(SALU_CYCLE_1)
	s_or_b32 s78, s78, s7
	s_and_not1_b32 exec_lo, exec_lo, s18
	s_cbranch_execz .LBB138_140
.LBB138_130:                            ;   Parent Loop BB138_21 Depth=1
                                        ; =>  This Inner Loop Header: Depth=2
	s_delay_alu instid0(VALU_DEP_1)
	v_cmp_gt_u32_e32 vcc_lo, s12, v2
	v_mov_b32_e32 v3, 0
	s_and_saveexec_b32 s7, vcc_lo
	s_cbranch_execz .LBB138_132
; %bb.131:                              ;   in Loop: Header=BB138_130 Depth=2
	ds_load_u16 v3, v1
.LBB138_132:                            ;   in Loop: Header=BB138_130 Depth=2
	s_or_b32 exec_lo, exec_lo, s7
	s_and_saveexec_b32 s7, vcc_lo
	s_cbranch_execz .LBB138_129
; %bb.133:                              ;   in Loop: Header=BB138_130 Depth=2
	s_waitcnt lgkmcnt(0)
	v_cmp_lt_i16_e32 vcc_lo, -1, v3
	v_and_b32_e32 v4, 0xffff, v3
	v_dual_cndmask_b32 v6, 0xffff, v26 :: v_dual_lshlrev_b32 v27, 16, v3
	s_delay_alu instid0(VALU_DEP_1) | instskip(NEXT) | instid1(VALU_DEP_2)
	v_cmp_o_f32_e32 vcc_lo, v27, v27
	v_xor_b32_e32 v4, v6, v4
	s_delay_alu instid0(VALU_DEP_1) | instskip(NEXT) | instid1(VALU_DEP_1)
	v_cndmask_b32_e32 v4, 0xffff, v4, vcc_lo
	v_and_b32_e32 v4, s76, v4
	s_delay_alu instid0(VALU_DEP_1)
	v_cmp_eq_u32_e32 vcc_lo, s75, v4
	s_and_b32 exec_lo, exec_lo, vcc_lo
	s_cbranch_execz .LBB138_129
; %bb.134:                              ;   in Loop: Header=BB138_130 Depth=2
	v_perm_b32 v3, v3, s66, 0x5040100
	ds_store_b32 v7, v3 offset:3072
	s_branch .LBB138_129
.LBB138_135:                            ;   in Loop: Header=BB138_21 Depth=1
                                        ; implicit-def: $sgpr13
                                        ; implicit-def: $sgpr15
                                        ; implicit-def: $sgpr12
	s_branch .LBB138_152
.LBB138_136:                            ;   in Loop: Header=BB138_21 Depth=1
	s_or_b32 exec_lo, exec_lo, s9
	s_waitcnt lgkmcnt(0)
	s_barrier
	buffer_gl0_inv
	s_and_saveexec_b32 s7, s1
	s_cbranch_execz .LBB138_138
; %bb.137:                              ;   in Loop: Header=BB138_21 Depth=1
	ds_load_b32 v1, v7 offset:4112
	s_waitcnt lgkmcnt(0)
	ds_store_b32 v7, v1 offset:4104
.LBB138_138:                            ;   in Loop: Header=BB138_21 Depth=1
	s_or_b32 exec_lo, exec_lo, s7
	s_waitcnt lgkmcnt(0)
	s_mov_b32 s7, -1
	s_barrier
	s_and_b32 vcc_lo, exec_lo, s78
	s_cbranch_vccnz .LBB138_36
	s_branch .LBB138_46
.LBB138_139:                            ;   in Loop: Header=BB138_21 Depth=1
	s_mov_b32 s13, -1
	s_mov_b32 s78, 0
                                        ; implicit-def: $sgpr12
                                        ; implicit-def: $vgpr27
	s_mov_b32 s15, s13
	s_cbranch_execnz .LBB138_142
	s_branch .LBB138_152
.LBB138_140:                            ;   in Loop: Header=BB138_21 Depth=1
	s_or_b32 exec_lo, exec_lo, s18
	v_lshrrev_b32_e32 v27, 16, v3
	s_and_b32 s78, s78, exec_lo
.LBB138_141:                            ;   in Loop: Header=BB138_21 Depth=1
	s_or_b32 exec_lo, exec_lo, s13
	s_mov_b32 s12, -1
	s_mov_b32 s13, 0
	s_delay_alu instid0(SALU_CYCLE_1)
	s_mov_b32 s15, s13
	s_branch .LBB138_152
.LBB138_142:                            ;   in Loop: Header=BB138_21 Depth=1
	s_mov_b32 s78, 0
                                        ; implicit-def: $vgpr27
	s_and_saveexec_b32 s12, s6
	s_cbranch_execz .LBB138_151
; %bb.143:                              ;   in Loop: Header=BB138_21 Depth=1
	v_dual_mov_b32 v6, v5 :: v_dual_mov_b32 v1, v0
	s_mov_b32 s13, 0
                                        ; implicit-def: $sgpr15
	s_branch .LBB138_145
.LBB138_144:                            ;   in Loop: Header=BB138_145 Depth=2
	s_or_b32 exec_lo, exec_lo, s7
	s_waitcnt vmcnt(0) lgkmcnt(0)
	s_barrier
	buffer_gl0_inv
	ds_load_b32 v2, v7 offset:3072
	v_add_nc_u32_e32 v1, s27, v1
	v_add_nc_u32_e32 v6, s49, v6
	s_waitcnt lgkmcnt(0)
	s_barrier
	buffer_gl0_inv
	v_cmp_le_u32_e32 vcc_lo, s63, v1
	v_and_b32_e32 v3, 0x7fff, v2
	s_delay_alu instid0(VALU_DEP_1) | instskip(NEXT) | instid1(VALU_DEP_1)
	v_cmp_ne_u16_e64 s7, 0, v3
	s_or_b32 s18, vcc_lo, s7
	s_delay_alu instid0(SALU_CYCLE_1) | instskip(NEXT) | instid1(SALU_CYCLE_1)
	s_and_b32 s18, exec_lo, s18
	s_or_b32 s13, s18, s13
	s_and_not1_b32 s15, s15, exec_lo
	s_and_b32 s7, s7, exec_lo
	s_delay_alu instid0(SALU_CYCLE_1)
	s_or_b32 s15, s15, s7
	s_and_not1_b32 exec_lo, exec_lo, s13
	s_cbranch_execz .LBB138_150
.LBB138_145:                            ;   Parent Loop BB138_21 Depth=1
                                        ; =>  This Inner Loop Header: Depth=2
	s_delay_alu instid0(VALU_DEP_1)
	v_cmp_gt_u32_e32 vcc_lo, s24, v1
	v_mov_b32_e32 v2, 0
	s_and_saveexec_b32 s18, vcc_lo
	s_cbranch_execz .LBB138_147
; %bb.146:                              ;   in Loop: Header=BB138_145 Depth=2
	v_lshlrev_b64 v[2:3], 1, v[6:7]
	s_delay_alu instid0(VALU_DEP_1) | instskip(NEXT) | instid1(VALU_DEP_1)
	v_add_co_u32 v2, s7, s33, v2
	v_add_co_ci_u32_e64 v3, s7, s39, v3, s7
	global_load_u16 v2, v[2:3], off
.LBB138_147:                            ;   in Loop: Header=BB138_145 Depth=2
	s_or_b32 exec_lo, exec_lo, s18
	s_and_saveexec_b32 s7, vcc_lo
	s_cbranch_execz .LBB138_144
; %bb.148:                              ;   in Loop: Header=BB138_145 Depth=2
	s_waitcnt vmcnt(0)
	v_cmp_lt_i16_e32 vcc_lo, -1, v2
	v_and_b32_e32 v3, 0xffff, v2
	v_lshlrev_b32_e32 v27, 16, v2
	v_cndmask_b32_e32 v4, 0xffff, v26, vcc_lo
	s_delay_alu instid0(VALU_DEP_2) | instskip(NEXT) | instid1(VALU_DEP_2)
	v_cmp_o_f32_e32 vcc_lo, v27, v27
	v_xor_b32_e32 v3, v4, v3
	s_delay_alu instid0(VALU_DEP_1) | instskip(NEXT) | instid1(VALU_DEP_1)
	v_cndmask_b32_e32 v3, 0xffff, v3, vcc_lo
	v_and_b32_e32 v3, s76, v3
	s_delay_alu instid0(VALU_DEP_1)
	v_cmp_eq_u32_e32 vcc_lo, s75, v3
	s_and_b32 exec_lo, exec_lo, vcc_lo
	s_cbranch_execz .LBB138_144
; %bb.149:                              ;   in Loop: Header=BB138_145 Depth=2
	v_perm_b32 v2, v2, s66, 0x5040100
	ds_store_b32 v7, v2 offset:3072
	s_branch .LBB138_144
.LBB138_150:                            ;   in Loop: Header=BB138_21 Depth=1
	s_or_b32 exec_lo, exec_lo, s13
	v_lshrrev_b32_e32 v27, 16, v2
	s_and_b32 s78, s15, exec_lo
.LBB138_151:                            ;   in Loop: Header=BB138_21 Depth=1
	s_or_b32 exec_lo, exec_lo, s12
	s_mov_b32 s15, -1
	s_mov_b32 s13, 0
	s_mov_b32 s12, 0
.LBB138_152:                            ;   in Loop: Header=BB138_21 Depth=1
	s_mov_b32 s79, 0
                                        ; implicit-def: $sgpr7
	s_and_saveexec_b32 s18, s78
	s_cbranch_execz .LBB138_248
; %bb.153:                              ;   in Loop: Header=BB138_21 Depth=1
	s_xor_b32 s7, s77, -1
	s_mov_b32 s77, 0
	s_and_not1_b32 vcc_lo, exec_lo, s7
	s_mov_b32 s80, 1
	s_cbranch_vccnz .LBB138_164
; %bb.154:                              ;   in Loop: Header=BB138_21 Depth=1
	s_cmp_gt_u32 s20, s19
	s_mov_b32 s77, -1
                                        ; implicit-def: $sgpr7
                                        ; implicit-def: $sgpr78
                                        ; implicit-def: $sgpr79
	s_cbranch_scc1 .LBB138_160
; %bb.155:                              ;   in Loop: Header=BB138_21 Depth=1
	ds_load_b32 v1, v7 offset:4104
	s_waitcnt lgkmcnt(0)
	v_cmp_ne_u32_e32 vcc_lo, 0, v1
	s_cbranch_vccnz .LBB138_159
; %bb.156:                              ;   in Loop: Header=BB138_21 Depth=1
	s_and_saveexec_b32 s7, s1
	s_cbranch_execz .LBB138_158
; %bb.157:                              ;   in Loop: Header=BB138_21 Depth=1
	v_mov_b32_e32 v1, s19
	ds_store_b32 v7, v1 offset:4108
.LBB138_158:                            ;   in Loop: Header=BB138_21 Depth=1
	s_or_b32 exec_lo, exec_lo, s7
	s_waitcnt lgkmcnt(0)
	s_barrier
	buffer_gl0_inv
.LBB138_159:                            ;   in Loop: Header=BB138_21 Depth=1
	s_lshl_b32 s7, 1, s16
	s_and_b32 s77, s75, s17
	s_or_b32 s79, s76, s9
	s_or_b32 s78, s77, s7
	s_mov_b32 s77, 0
	s_mov_b32 s7, 8
.LBB138_160:                            ;   in Loop: Header=BB138_21 Depth=1
	s_and_not1_b32 vcc_lo, exec_lo, s77
	s_cbranch_vccnz .LBB138_162
; %bb.161:                              ;   in Loop: Header=BB138_21 Depth=1
	s_sub_i32 s20, s20, s19
	s_mov_b32 s77, -1
	s_mov_b32 s7, 0
	s_mov_b32 s78, s75
	;; [unrolled: 1-line block ×3, first 2 shown]
.LBB138_162:                            ;   in Loop: Header=BB138_21 Depth=1
	s_delay_alu instid0(SALU_CYCLE_1)
	s_mov_b32 s76, s79
	s_mov_b32 s75, s78
	;; [unrolled: 1-line block ×3, first 2 shown]
	s_and_not1_b32 vcc_lo, exec_lo, s77
	s_mov_b32 s82, -1
	s_cbranch_vccz .LBB138_165
.LBB138_163:                            ;   in Loop: Header=BB138_21 Depth=1
                                        ; implicit-def: $sgpr20
                                        ; implicit-def: $sgpr77
                                        ; implicit-def: $sgpr19
	s_branch .LBB138_247
.LBB138_164:                            ;   in Loop: Header=BB138_21 Depth=1
	s_mov_b32 s7, 1
	s_and_not1_b32 vcc_lo, exec_lo, s77
	s_mov_b32 s82, -1
	s_cbranch_vccnz .LBB138_163
.LBB138_165:                            ;   in Loop: Header=BB138_21 Depth=1
	s_cmp_eq_u32 s14, 1
	s_mov_b32 s81, -1
	s_cselect_b32 s7, -1, 0
	s_cmp_eq_u32 s80, 1
	s_cselect_b32 s19, -1, 0
	s_delay_alu instid0(SALU_CYCLE_1) | instskip(NEXT) | instid1(SALU_CYCLE_1)
	s_and_b32 s79, s7, s19
	s_and_b32 vcc_lo, exec_lo, s79
	s_cbranch_vccz .LBB138_177
; %bb.166:                              ;   in Loop: Header=BB138_21 Depth=1
	ds_load_b32 v1, v7 offset:4104
	s_waitcnt lgkmcnt(0)
	s_barrier
	buffer_gl0_inv
	v_readfirstlane_b32 s19, v1
	s_and_saveexec_b32 s7, s2
	s_cbranch_execz .LBB138_168
; %bb.167:                              ;   in Loop: Header=BB138_21 Depth=1
	ds_store_b16 v16, v7
.LBB138_168:                            ;   in Loop: Header=BB138_21 Depth=1
	s_or_b32 exec_lo, exec_lo, s7
	s_lshl_b32 s7, 2, s16
	s_and_b32 s20, s75, s17
	s_or_b32 s76, s76, s9
	s_or_b32 s75, s20, s7
	s_cmp_eq_u32 s19, 0
	s_waitcnt lgkmcnt(0)
	s_barrier
	buffer_gl0_inv
	s_cbranch_scc1 .LBB138_178
; %bb.169:                              ;   in Loop: Header=BB138_21 Depth=1
	s_add_i32 s7, s19, s52
	s_mov_b32 s81, 0
	s_mul_hi_u32 s20, s7, s61
                                        ; implicit-def: $vgpr27
	s_delay_alu instid0(SALU_CYCLE_1) | instskip(NEXT) | instid1(SALU_CYCLE_1)
	s_mul_i32 s20, s20, s27
	s_sub_i32 s20, s7, s20
	s_delay_alu instid0(SALU_CYCLE_1) | instskip(SKIP_2) | instid1(SALU_CYCLE_1)
	s_sub_i32 s77, s20, s27
	s_cmp_ge_u32 s20, s27
	s_cselect_b32 s20, s77, s20
	s_sub_i32 s77, s20, s27
	s_cmp_ge_u32 s20, s27
	s_cselect_b32 s20, s77, s20
	s_delay_alu instid0(SALU_CYCLE_1)
	s_sub_i32 s77, s7, s20
	s_mov_b32 s20, exec_lo
	v_cmpx_gt_u32_e64 s77, v0
	s_cbranch_execz .LBB138_180
; %bb.170:                              ;   in Loop: Header=BB138_21 Depth=1
	v_dual_mov_b32 v1, v15 :: v_dual_mov_b32 v2, v0
	s_mov_b32 s78, 0
                                        ; implicit-def: $sgpr81
	s_branch .LBB138_172
.LBB138_171:                            ;   in Loop: Header=BB138_172 Depth=2
	s_or_b32 exec_lo, exec_lo, s7
	s_waitcnt lgkmcnt(0)
	s_barrier
	buffer_gl0_inv
	ds_load_b32 v3, v7 offset:3072
	v_add_nc_u32_e32 v2, s27, v2
	v_add_nc_u32_e32 v1, s65, v1
	s_waitcnt lgkmcnt(0)
	s_barrier
	buffer_gl0_inv
	v_cmp_le_u32_e32 vcc_lo, s77, v2
	v_and_b32_e32 v4, 0x7fff, v3
	s_delay_alu instid0(VALU_DEP_1) | instskip(NEXT) | instid1(VALU_DEP_1)
	v_cmp_ne_u16_e64 s7, 0, v4
	s_or_b32 s82, vcc_lo, s7
	s_delay_alu instid0(SALU_CYCLE_1) | instskip(NEXT) | instid1(SALU_CYCLE_1)
	s_and_b32 s82, exec_lo, s82
	s_or_b32 s78, s82, s78
	s_and_not1_b32 s81, s81, exec_lo
	s_and_b32 s7, s7, exec_lo
	s_delay_alu instid0(SALU_CYCLE_1)
	s_or_b32 s81, s81, s7
	s_and_not1_b32 exec_lo, exec_lo, s78
	s_cbranch_execz .LBB138_179
.LBB138_172:                            ;   Parent Loop BB138_21 Depth=1
                                        ; =>  This Inner Loop Header: Depth=2
	s_delay_alu instid0(VALU_DEP_1)
	v_cmp_gt_u32_e32 vcc_lo, s19, v2
	v_mov_b32_e32 v3, 0
	s_and_saveexec_b32 s7, vcc_lo
	s_cbranch_execz .LBB138_174
; %bb.173:                              ;   in Loop: Header=BB138_172 Depth=2
	ds_load_u16 v3, v1
.LBB138_174:                            ;   in Loop: Header=BB138_172 Depth=2
	s_or_b32 exec_lo, exec_lo, s7
	s_and_saveexec_b32 s7, vcc_lo
	s_cbranch_execz .LBB138_171
; %bb.175:                              ;   in Loop: Header=BB138_172 Depth=2
	s_waitcnt lgkmcnt(0)
	v_cmp_lt_i16_e32 vcc_lo, -1, v3
	v_and_b32_e32 v4, 0xffff, v3
	v_dual_cndmask_b32 v6, 0xffff, v26 :: v_dual_lshlrev_b32 v27, 16, v3
	s_delay_alu instid0(VALU_DEP_1) | instskip(NEXT) | instid1(VALU_DEP_2)
	v_cmp_o_f32_e32 vcc_lo, v27, v27
	v_xor_b32_e32 v4, v6, v4
	s_delay_alu instid0(VALU_DEP_1) | instskip(NEXT) | instid1(VALU_DEP_1)
	v_cndmask_b32_e32 v4, 0xffff, v4, vcc_lo
	v_and_b32_e32 v4, s76, v4
	s_delay_alu instid0(VALU_DEP_1)
	v_cmp_eq_u32_e32 vcc_lo, s75, v4
	s_and_b32 exec_lo, exec_lo, vcc_lo
	s_cbranch_execz .LBB138_171
; %bb.176:                              ;   in Loop: Header=BB138_172 Depth=2
	v_perm_b32 v3, v3, s66, 0x5040100
	ds_store_b32 v7, v3 offset:3072
	s_branch .LBB138_171
.LBB138_177:                            ;   in Loop: Header=BB138_21 Depth=1
                                        ; implicit-def: $sgpr19
                                        ; implicit-def: $sgpr77
                                        ; implicit-def: $sgpr20
	s_branch .LBB138_191
.LBB138_178:                            ;   in Loop: Header=BB138_21 Depth=1
	s_mov_b32 s19, -1
	s_mov_b32 s81, 0
                                        ; implicit-def: $sgpr20
                                        ; implicit-def: $vgpr27
	s_mov_b32 s77, s19
	s_cbranch_execnz .LBB138_181
	s_branch .LBB138_191
.LBB138_179:                            ;   in Loop: Header=BB138_21 Depth=1
	s_or_b32 exec_lo, exec_lo, s78
	v_lshrrev_b32_e32 v27, 16, v3
	s_and_b32 s81, s81, exec_lo
.LBB138_180:                            ;   in Loop: Header=BB138_21 Depth=1
	s_or_b32 exec_lo, exec_lo, s20
	s_mov_b32 s20, -1
	s_mov_b32 s19, 0
	s_delay_alu instid0(SALU_CYCLE_1)
	s_mov_b32 s77, s19
	s_branch .LBB138_191
.LBB138_181:                            ;   in Loop: Header=BB138_21 Depth=1
	s_mov_b32 s81, 0
                                        ; implicit-def: $vgpr27
	s_and_saveexec_b32 s19, s6
	s_cbranch_execz .LBB138_190
; %bb.182:                              ;   in Loop: Header=BB138_21 Depth=1
	v_dual_mov_b32 v6, v5 :: v_dual_mov_b32 v1, v0
	s_mov_b32 s20, 0
                                        ; implicit-def: $sgpr77
	s_branch .LBB138_184
.LBB138_183:                            ;   in Loop: Header=BB138_184 Depth=2
	s_or_b32 exec_lo, exec_lo, s7
	s_waitcnt vmcnt(0) lgkmcnt(0)
	s_barrier
	buffer_gl0_inv
	ds_load_b32 v2, v7 offset:3072
	v_add_nc_u32_e32 v1, s27, v1
	v_add_nc_u32_e32 v6, s49, v6
	s_waitcnt lgkmcnt(0)
	s_barrier
	buffer_gl0_inv
	v_cmp_le_u32_e32 vcc_lo, s63, v1
	v_and_b32_e32 v3, 0x7fff, v2
	s_delay_alu instid0(VALU_DEP_1) | instskip(NEXT) | instid1(VALU_DEP_1)
	v_cmp_ne_u16_e64 s7, 0, v3
	s_or_b32 s78, vcc_lo, s7
	s_delay_alu instid0(SALU_CYCLE_1) | instskip(NEXT) | instid1(SALU_CYCLE_1)
	s_and_b32 s78, exec_lo, s78
	s_or_b32 s20, s78, s20
	s_and_not1_b32 s77, s77, exec_lo
	s_and_b32 s7, s7, exec_lo
	s_delay_alu instid0(SALU_CYCLE_1)
	s_or_b32 s77, s77, s7
	s_and_not1_b32 exec_lo, exec_lo, s20
	s_cbranch_execz .LBB138_189
.LBB138_184:                            ;   Parent Loop BB138_21 Depth=1
                                        ; =>  This Inner Loop Header: Depth=2
	s_delay_alu instid0(VALU_DEP_1)
	v_cmp_gt_u32_e32 vcc_lo, s24, v1
	v_mov_b32_e32 v2, 0
	s_and_saveexec_b32 s78, vcc_lo
	s_cbranch_execz .LBB138_186
; %bb.185:                              ;   in Loop: Header=BB138_184 Depth=2
	v_lshlrev_b64 v[2:3], 1, v[6:7]
	s_delay_alu instid0(VALU_DEP_1) | instskip(NEXT) | instid1(VALU_DEP_1)
	v_add_co_u32 v2, s7, s33, v2
	v_add_co_ci_u32_e64 v3, s7, s39, v3, s7
	global_load_u16 v2, v[2:3], off
.LBB138_186:                            ;   in Loop: Header=BB138_184 Depth=2
	s_or_b32 exec_lo, exec_lo, s78
	s_and_saveexec_b32 s7, vcc_lo
	s_cbranch_execz .LBB138_183
; %bb.187:                              ;   in Loop: Header=BB138_184 Depth=2
	s_waitcnt vmcnt(0)
	v_cmp_lt_i16_e32 vcc_lo, -1, v2
	v_and_b32_e32 v3, 0xffff, v2
	v_lshlrev_b32_e32 v27, 16, v2
	v_cndmask_b32_e32 v4, 0xffff, v26, vcc_lo
	s_delay_alu instid0(VALU_DEP_2) | instskip(NEXT) | instid1(VALU_DEP_2)
	v_cmp_o_f32_e32 vcc_lo, v27, v27
	v_xor_b32_e32 v3, v4, v3
	s_delay_alu instid0(VALU_DEP_1) | instskip(NEXT) | instid1(VALU_DEP_1)
	v_cndmask_b32_e32 v3, 0xffff, v3, vcc_lo
	v_and_b32_e32 v3, s76, v3
	s_delay_alu instid0(VALU_DEP_1)
	v_cmp_eq_u32_e32 vcc_lo, s75, v3
	s_and_b32 exec_lo, exec_lo, vcc_lo
	s_cbranch_execz .LBB138_183
; %bb.188:                              ;   in Loop: Header=BB138_184 Depth=2
	v_perm_b32 v2, v2, s66, 0x5040100
	ds_store_b32 v7, v2 offset:3072
	s_branch .LBB138_183
.LBB138_189:                            ;   in Loop: Header=BB138_21 Depth=1
	s_or_b32 exec_lo, exec_lo, s20
	v_lshrrev_b32_e32 v27, 16, v2
	s_and_b32 s81, s77, exec_lo
.LBB138_190:                            ;   in Loop: Header=BB138_21 Depth=1
	s_or_b32 exec_lo, exec_lo, s19
	s_mov_b32 s77, -1
	s_mov_b32 s19, 0
	s_mov_b32 s20, 0
.LBB138_191:                            ;   in Loop: Header=BB138_21 Depth=1
	s_mov_b32 s82, 0
                                        ; implicit-def: $sgpr7
	s_and_saveexec_b32 s78, s81
	s_cbranch_execz .LBB138_246
; %bb.192:                              ;   in Loop: Header=BB138_21 Depth=1
	s_xor_b32 s7, s79, -1
	s_mov_b32 s81, 0
	s_and_not1_b32 vcc_lo, exec_lo, s7
	s_mov_b32 s79, 1
	s_cbranch_vccnz .LBB138_203
; %bb.193:                              ;   in Loop: Header=BB138_21 Depth=1
	s_cmp_gt_u32 s80, s14
	s_mov_b32 s81, -1
                                        ; implicit-def: $sgpr7
                                        ; implicit-def: $sgpr79
                                        ; implicit-def: $sgpr82
	s_cbranch_scc1 .LBB138_199
; %bb.194:                              ;   in Loop: Header=BB138_21 Depth=1
	ds_load_b32 v1, v7 offset:4104
	s_waitcnt lgkmcnt(0)
	v_cmp_ne_u32_e32 vcc_lo, 0, v1
	s_cbranch_vccnz .LBB138_198
; %bb.195:                              ;   in Loop: Header=BB138_21 Depth=1
	s_and_saveexec_b32 s7, s1
	s_cbranch_execz .LBB138_197
; %bb.196:                              ;   in Loop: Header=BB138_21 Depth=1
	v_mov_b32_e32 v1, s14
	ds_store_b32 v7, v1 offset:4108
.LBB138_197:                            ;   in Loop: Header=BB138_21 Depth=1
	s_or_b32 exec_lo, exec_lo, s7
	s_waitcnt lgkmcnt(0)
	s_barrier
	buffer_gl0_inv
.LBB138_198:                            ;   in Loop: Header=BB138_21 Depth=1
	s_lshl_b32 s7, 2, s16
	s_and_b32 s16, s75, s17
	s_or_b32 s82, s76, s9
	s_or_b32 s79, s16, s7
	s_mov_b32 s81, 0
	s_mov_b32 s7, 8
.LBB138_199:                            ;   in Loop: Header=BB138_21 Depth=1
	s_and_not1_b32 vcc_lo, exec_lo, s81
	s_cbranch_vccnz .LBB138_201
; %bb.200:                              ;   in Loop: Header=BB138_21 Depth=1
	s_sub_i32 s80, s80, s14
	s_mov_b32 s81, -1
	s_mov_b32 s7, 0
	s_mov_b32 s79, s75
	;; [unrolled: 1-line block ×3, first 2 shown]
.LBB138_201:                            ;   in Loop: Header=BB138_21 Depth=1
	s_delay_alu instid0(SALU_CYCLE_1)
	s_mov_b32 s76, s82
	s_mov_b32 s75, s79
	;; [unrolled: 1-line block ×3, first 2 shown]
	s_and_not1_b32 vcc_lo, exec_lo, s81
	s_mov_b32 s83, -1
	s_cbranch_vccz .LBB138_204
.LBB138_202:                            ;   in Loop: Header=BB138_21 Depth=1
                                        ; implicit-def: $sgpr16
                                        ; implicit-def: $sgpr80
                                        ; implicit-def: $sgpr17
	s_branch .LBB138_245
.LBB138_203:                            ;   in Loop: Header=BB138_21 Depth=1
	s_mov_b32 s7, 1
	s_and_not1_b32 vcc_lo, exec_lo, s81
	s_mov_b32 s83, -1
	s_cbranch_vccnz .LBB138_202
.LBB138_204:                            ;   in Loop: Header=BB138_21 Depth=1
	s_cmp_eq_u32 s8, 1
	s_mov_b32 s81, -1
	s_cselect_b32 s7, -1, 0
	s_cmp_eq_u32 s79, 1
	s_cselect_b32 s14, -1, 0
	s_delay_alu instid0(SALU_CYCLE_1) | instskip(NEXT) | instid1(SALU_CYCLE_1)
	s_and_b32 s14, s7, s14
	s_and_b32 vcc_lo, exec_lo, s14
	s_cbranch_vccz .LBB138_216
; %bb.205:                              ;   in Loop: Header=BB138_21 Depth=1
	ds_load_b32 v1, v7 offset:4104
	s_waitcnt lgkmcnt(0)
	s_barrier
	buffer_gl0_inv
	v_readfirstlane_b32 s16, v1
	s_and_saveexec_b32 s7, s2
	s_cbranch_execz .LBB138_207
; %bb.206:                              ;   in Loop: Header=BB138_21 Depth=1
	ds_store_b16 v16, v7
.LBB138_207:                            ;   in Loop: Header=BB138_21 Depth=1
	s_or_b32 exec_lo, exec_lo, s7
	s_or_b32 s75, s75, s9
	s_or_b32 s76, s76, s9
	s_cmp_eq_u32 s16, 0
	s_waitcnt lgkmcnt(0)
	s_barrier
	buffer_gl0_inv
	s_cbranch_scc1 .LBB138_217
; %bb.208:                              ;   in Loop: Header=BB138_21 Depth=1
	s_add_i32 s7, s16, s52
	s_mov_b32 s81, 0
	s_mul_hi_u32 s17, s7, s61
                                        ; implicit-def: $vgpr27
	s_delay_alu instid0(SALU_CYCLE_1) | instskip(NEXT) | instid1(SALU_CYCLE_1)
	s_mul_i32 s17, s17, s27
	s_sub_i32 s17, s7, s17
	s_delay_alu instid0(SALU_CYCLE_1) | instskip(SKIP_2) | instid1(SALU_CYCLE_1)
	s_sub_i32 s80, s17, s27
	s_cmp_ge_u32 s17, s27
	s_cselect_b32 s17, s80, s17
	s_sub_i32 s80, s17, s27
	s_cmp_ge_u32 s17, s27
	s_cselect_b32 s17, s80, s17
	s_delay_alu instid0(SALU_CYCLE_1)
	s_sub_i32 s80, s7, s17
	s_mov_b32 s17, exec_lo
	v_cmpx_gt_u32_e64 s80, v0
	s_cbranch_execz .LBB138_219
; %bb.209:                              ;   in Loop: Header=BB138_21 Depth=1
	v_dual_mov_b32 v1, v15 :: v_dual_mov_b32 v2, v0
                                        ; implicit-def: $sgpr82
	s_branch .LBB138_211
.LBB138_210:                            ;   in Loop: Header=BB138_211 Depth=2
	s_or_b32 exec_lo, exec_lo, s7
	s_waitcnt lgkmcnt(0)
	s_barrier
	buffer_gl0_inv
	ds_load_b32 v3, v7 offset:3072
	v_add_nc_u32_e32 v2, s27, v2
	v_add_nc_u32_e32 v1, s65, v1
	s_waitcnt lgkmcnt(0)
	s_barrier
	buffer_gl0_inv
	v_cmp_le_u32_e32 vcc_lo, s80, v2
	v_and_b32_e32 v4, 0x7fff, v3
	s_delay_alu instid0(VALU_DEP_1) | instskip(NEXT) | instid1(VALU_DEP_1)
	v_cmp_ne_u16_e64 s7, 0, v4
	s_or_b32 s83, vcc_lo, s7
	s_delay_alu instid0(SALU_CYCLE_1) | instskip(NEXT) | instid1(SALU_CYCLE_1)
	s_and_b32 s83, exec_lo, s83
	s_or_b32 s81, s83, s81
	s_and_not1_b32 s82, s82, exec_lo
	s_and_b32 s7, s7, exec_lo
	s_delay_alu instid0(SALU_CYCLE_1)
	s_or_b32 s82, s82, s7
	s_and_not1_b32 exec_lo, exec_lo, s81
	s_cbranch_execz .LBB138_218
.LBB138_211:                            ;   Parent Loop BB138_21 Depth=1
                                        ; =>  This Inner Loop Header: Depth=2
	s_delay_alu instid0(VALU_DEP_1)
	v_cmp_gt_u32_e32 vcc_lo, s16, v2
	v_mov_b32_e32 v3, 0
	s_and_saveexec_b32 s7, vcc_lo
	s_cbranch_execz .LBB138_213
; %bb.212:                              ;   in Loop: Header=BB138_211 Depth=2
	ds_load_u16 v3, v1
.LBB138_213:                            ;   in Loop: Header=BB138_211 Depth=2
	s_or_b32 exec_lo, exec_lo, s7
	s_and_saveexec_b32 s7, vcc_lo
	s_cbranch_execz .LBB138_210
; %bb.214:                              ;   in Loop: Header=BB138_211 Depth=2
	s_waitcnt lgkmcnt(0)
	v_cmp_lt_i16_e32 vcc_lo, -1, v3
	v_and_b32_e32 v4, 0xffff, v3
	v_dual_cndmask_b32 v6, 0xffff, v26 :: v_dual_lshlrev_b32 v27, 16, v3
	s_delay_alu instid0(VALU_DEP_1) | instskip(NEXT) | instid1(VALU_DEP_2)
	v_cmp_o_f32_e32 vcc_lo, v27, v27
	v_xor_b32_e32 v4, v6, v4
	s_delay_alu instid0(VALU_DEP_1) | instskip(NEXT) | instid1(VALU_DEP_1)
	v_cndmask_b32_e32 v4, 0xffff, v4, vcc_lo
	v_and_b32_e32 v4, s76, v4
	s_delay_alu instid0(VALU_DEP_1)
	v_cmp_eq_u32_e32 vcc_lo, s75, v4
	s_and_b32 exec_lo, exec_lo, vcc_lo
	s_cbranch_execz .LBB138_210
; %bb.215:                              ;   in Loop: Header=BB138_211 Depth=2
	v_perm_b32 v3, v3, s66, 0x5040100
	ds_store_b32 v7, v3 offset:3072
	s_branch .LBB138_210
.LBB138_216:                            ;   in Loop: Header=BB138_21 Depth=1
                                        ; implicit-def: $sgpr16
                                        ; implicit-def: $sgpr80
                                        ; implicit-def: $sgpr17
	s_branch .LBB138_230
.LBB138_217:                            ;   in Loop: Header=BB138_21 Depth=1
	s_mov_b32 s16, -1
	s_mov_b32 s81, 0
                                        ; implicit-def: $sgpr17
                                        ; implicit-def: $vgpr27
	s_mov_b32 s80, s16
	s_cbranch_execnz .LBB138_220
	s_branch .LBB138_230
.LBB138_218:                            ;   in Loop: Header=BB138_21 Depth=1
	s_or_b32 exec_lo, exec_lo, s81
	v_lshrrev_b32_e32 v27, 16, v3
	s_and_b32 s81, s82, exec_lo
.LBB138_219:                            ;   in Loop: Header=BB138_21 Depth=1
	s_or_b32 exec_lo, exec_lo, s17
	s_mov_b32 s17, -1
	s_mov_b32 s16, 0
	s_delay_alu instid0(SALU_CYCLE_1)
	s_mov_b32 s80, s16
	s_branch .LBB138_230
.LBB138_220:                            ;   in Loop: Header=BB138_21 Depth=1
	s_mov_b32 s81, 0
                                        ; implicit-def: $vgpr27
	s_and_saveexec_b32 s16, s6
	s_cbranch_execz .LBB138_229
; %bb.221:                              ;   in Loop: Header=BB138_21 Depth=1
	v_dual_mov_b32 v6, v5 :: v_dual_mov_b32 v1, v0
	s_mov_b32 s17, 0
                                        ; implicit-def: $sgpr80
	s_branch .LBB138_223
.LBB138_222:                            ;   in Loop: Header=BB138_223 Depth=2
	s_or_b32 exec_lo, exec_lo, s7
	s_waitcnt vmcnt(0) lgkmcnt(0)
	s_barrier
	buffer_gl0_inv
	ds_load_b32 v2, v7 offset:3072
	v_add_nc_u32_e32 v1, s27, v1
	v_add_nc_u32_e32 v6, s49, v6
	s_waitcnt lgkmcnt(0)
	s_barrier
	buffer_gl0_inv
	v_cmp_le_u32_e32 vcc_lo, s63, v1
	v_and_b32_e32 v3, 0x7fff, v2
	s_delay_alu instid0(VALU_DEP_1) | instskip(NEXT) | instid1(VALU_DEP_1)
	v_cmp_ne_u16_e64 s7, 0, v3
	s_or_b32 s81, vcc_lo, s7
	s_delay_alu instid0(SALU_CYCLE_1) | instskip(NEXT) | instid1(SALU_CYCLE_1)
	s_and_b32 s81, exec_lo, s81
	s_or_b32 s17, s81, s17
	s_and_not1_b32 s80, s80, exec_lo
	s_and_b32 s7, s7, exec_lo
	s_delay_alu instid0(SALU_CYCLE_1)
	s_or_b32 s80, s80, s7
	s_and_not1_b32 exec_lo, exec_lo, s17
	s_cbranch_execz .LBB138_228
.LBB138_223:                            ;   Parent Loop BB138_21 Depth=1
                                        ; =>  This Inner Loop Header: Depth=2
	s_delay_alu instid0(VALU_DEP_1)
	v_cmp_gt_u32_e32 vcc_lo, s24, v1
	v_mov_b32_e32 v2, 0
	s_and_saveexec_b32 s81, vcc_lo
	s_cbranch_execz .LBB138_225
; %bb.224:                              ;   in Loop: Header=BB138_223 Depth=2
	v_lshlrev_b64 v[2:3], 1, v[6:7]
	s_delay_alu instid0(VALU_DEP_1) | instskip(NEXT) | instid1(VALU_DEP_1)
	v_add_co_u32 v2, s7, s33, v2
	v_add_co_ci_u32_e64 v3, s7, s39, v3, s7
	global_load_u16 v2, v[2:3], off
.LBB138_225:                            ;   in Loop: Header=BB138_223 Depth=2
	s_or_b32 exec_lo, exec_lo, s81
	s_and_saveexec_b32 s7, vcc_lo
	s_cbranch_execz .LBB138_222
; %bb.226:                              ;   in Loop: Header=BB138_223 Depth=2
	s_waitcnt vmcnt(0)
	v_cmp_lt_i16_e32 vcc_lo, -1, v2
	v_and_b32_e32 v3, 0xffff, v2
	v_lshlrev_b32_e32 v27, 16, v2
	v_cndmask_b32_e32 v4, 0xffff, v26, vcc_lo
	s_delay_alu instid0(VALU_DEP_2) | instskip(NEXT) | instid1(VALU_DEP_2)
	v_cmp_o_f32_e32 vcc_lo, v27, v27
	v_xor_b32_e32 v3, v4, v3
	s_delay_alu instid0(VALU_DEP_1) | instskip(NEXT) | instid1(VALU_DEP_1)
	v_cndmask_b32_e32 v3, 0xffff, v3, vcc_lo
	v_and_b32_e32 v3, s76, v3
	s_delay_alu instid0(VALU_DEP_1)
	v_cmp_eq_u32_e32 vcc_lo, s75, v3
	s_and_b32 exec_lo, exec_lo, vcc_lo
	s_cbranch_execz .LBB138_222
; %bb.227:                              ;   in Loop: Header=BB138_223 Depth=2
	v_perm_b32 v2, v2, s66, 0x5040100
	ds_store_b32 v7, v2 offset:3072
	s_branch .LBB138_222
.LBB138_228:                            ;   in Loop: Header=BB138_21 Depth=1
	s_or_b32 exec_lo, exec_lo, s17
	v_lshrrev_b32_e32 v27, 16, v2
	s_and_b32 s81, s80, exec_lo
.LBB138_229:                            ;   in Loop: Header=BB138_21 Depth=1
	s_or_b32 exec_lo, exec_lo, s16
	s_mov_b32 s80, -1
	s_mov_b32 s16, 0
	s_mov_b32 s17, 0
.LBB138_230:                            ;   in Loop: Header=BB138_21 Depth=1
	s_mov_b32 s83, 0
                                        ; implicit-def: $sgpr7
	s_and_saveexec_b32 s82, s81
	s_cbranch_execz .LBB138_244
; %bb.231:                              ;   in Loop: Header=BB138_21 Depth=1
	s_xor_b32 s7, s14, -1
	s_delay_alu instid0(SALU_CYCLE_1)
	s_and_not1_b32 vcc_lo, exec_lo, s7
	s_mov_b32 s7, 1
	s_cbranch_vccnz .LBB138_238
; %bb.232:                              ;   in Loop: Header=BB138_21 Depth=1
	s_cmp_gt_u32 s79, s8
	s_cbranch_scc1 .LBB138_239
; %bb.233:                              ;   in Loop: Header=BB138_21 Depth=1
	ds_load_b32 v1, v7 offset:4104
	s_waitcnt lgkmcnt(0)
	v_cmp_ne_u32_e32 vcc_lo, 0, v1
	s_cbranch_vccnz .LBB138_237
; %bb.234:                              ;   in Loop: Header=BB138_21 Depth=1
	s_and_saveexec_b32 s7, s1
	s_cbranch_execz .LBB138_236
; %bb.235:                              ;   in Loop: Header=BB138_21 Depth=1
	v_mov_b32_e32 v1, s8
	ds_store_b32 v7, v1 offset:4108
.LBB138_236:                            ;   in Loop: Header=BB138_21 Depth=1
	s_or_b32 exec_lo, exec_lo, s7
	s_waitcnt lgkmcnt(0)
	s_barrier
	buffer_gl0_inv
.LBB138_237:                            ;   in Loop: Header=BB138_21 Depth=1
	s_or_b32 s14, s75, s9
	s_or_b32 s9, s76, s9
	s_mov_b32 s81, 0
	s_mov_b32 s7, 8
	s_branch .LBB138_240
.LBB138_238:                            ;   in Loop: Header=BB138_21 Depth=1
	s_mov_b32 s79, 1
	s_branch .LBB138_243
.LBB138_239:                            ;   in Loop: Header=BB138_21 Depth=1
	s_mov_b32 s81, -1
                                        ; implicit-def: $sgpr7
                                        ; implicit-def: $sgpr14
                                        ; implicit-def: $sgpr9
.LBB138_240:                            ;   in Loop: Header=BB138_21 Depth=1
	s_delay_alu instid0(SALU_CYCLE_1)
	s_and_not1_b32 vcc_lo, exec_lo, s81
	s_cbranch_vccnz .LBB138_242
; %bb.241:                              ;   in Loop: Header=BB138_21 Depth=1
	s_sub_i32 s79, s79, s8
	s_mov_b32 s7, 8
	s_mov_b32 s14, s75
	;; [unrolled: 1-line block ×3, first 2 shown]
.LBB138_242:                            ;   in Loop: Header=BB138_21 Depth=1
	s_mov_b32 s75, s14
	s_mov_b32 s76, s9
.LBB138_243:                            ;   in Loop: Header=BB138_21 Depth=1
	s_mov_b32 s83, exec_lo
.LBB138_244:                            ;   in Loop: Header=BB138_21 Depth=1
	s_or_b32 exec_lo, exec_lo, s82
.LBB138_245:                            ;   in Loop: Header=BB138_21 Depth=1
	s_delay_alu instid0(SALU_CYCLE_1)
	s_and_not1_b32 s8, s19, exec_lo
	s_and_b32 s9, s16, exec_lo
	s_and_not1_b32 s14, s20, exec_lo
	s_or_b32 s19, s8, s9
	s_and_not1_b32 s8, s77, exec_lo
	s_and_b32 s9, s80, exec_lo
	s_and_b32 s16, s17, exec_lo
	s_or_b32 s77, s8, s9
	s_or_b32 s20, s14, s16
	s_and_b32 s82, s83, exec_lo
	s_mov_b32 s80, s79
.LBB138_246:                            ;   in Loop: Header=BB138_21 Depth=1
	s_or_b32 exec_lo, exec_lo, s78
.LBB138_247:                            ;   in Loop: Header=BB138_21 Depth=1
	s_delay_alu instid0(SALU_CYCLE_1)
	s_and_not1_b32 s8, s13, exec_lo
	s_and_b32 s9, s19, exec_lo
	s_and_not1_b32 s12, s12, exec_lo
	s_or_b32 s13, s8, s9
	s_and_not1_b32 s8, s15, exec_lo
	s_and_b32 s9, s77, exec_lo
	s_and_b32 s14, s20, exec_lo
	s_or_b32 s15, s8, s9
	s_or_b32 s12, s12, s14
	s_and_b32 s79, s82, exec_lo
	s_mov_b32 s20, s80
.LBB138_248:                            ;   in Loop: Header=BB138_21 Depth=1
	s_or_b32 exec_lo, exec_lo, s18
                                        ; implicit-def: $sgpr77
	s_and_saveexec_b32 s8, s79
	s_delay_alu instid0(SALU_CYCLE_1)
	s_xor_b32 s8, exec_lo, s8
	s_cbranch_execz .LBB138_19
.LBB138_249:                            ;   in Loop: Header=BB138_21 Depth=1
	s_and_b32 s7, s7, -9
	s_delay_alu instid0(SALU_CYCLE_1)
	s_cmp_eq_u32 s7, 0
	s_cbranch_scc1 .LBB138_17
; %bb.250:                              ;   in Loop: Header=BB138_21 Depth=1
	s_mov_b32 s7, -1
	s_mov_b32 s9, -1
                                        ; implicit-def: $sgpr76
                                        ; implicit-def: $sgpr20
                                        ; implicit-def: $sgpr70
                                        ; implicit-def: $sgpr73
	s_branch .LBB138_18
.LBB138_251:
	s_or_b32 exec_lo, exec_lo, s48
	s_xor_b32 s4, s69, -1
	s_xor_b32 s1, s67, -1
	s_xor_b32 s3, s68, -1
	s_mov_b32 s2, 0
	s_and_saveexec_b32 s5, s1
	s_delay_alu instid0(SALU_CYCLE_1)
	s_xor_b32 s1, exec_lo, s5
	s_cbranch_execz .LBB138_265
; %bb.252:
	s_and_saveexec_b32 s2, s4
	s_delay_alu instid0(SALU_CYCLE_1)
	s_xor_b32 s4, exec_lo, s2
	s_cbranch_execz .LBB138_263
; %bb.253:
	s_and_saveexec_b32 s2, s3
	s_delay_alu instid0(SALU_CYCLE_1)
	s_xor_b32 s2, exec_lo, s2
; %bb.254:
	v_and_b32_e32 v2, 0x8000, v1
	v_mov_b32_e32 v3, 0xffff
	s_delay_alu instid0(VALU_DEP_2) | instskip(NEXT) | instid1(VALU_DEP_2)
	v_cmp_eq_u32_e32 vcc_lo, 0, v2
	v_cndmask_b32_e32 v2, 0x8000, v3, vcc_lo
	s_delay_alu instid0(VALU_DEP_1)
	v_xor_b32_e32 v27, v2, v1
; %bb.255:
	s_or_b32 exec_lo, exec_lo, s2
	s_mul_i32 s3, s47, s34
	s_mul_i32 s2, s46, s35
	s_sub_i32 s3, s46, s3
	s_sub_i32 s2, s21, s2
	s_add_i32 s5, s47, 1
	s_sub_i32 s6, s3, s34
	s_cmp_ge_u32 s3, s34
	s_mul_i32 s2, s2, s38
	s_cselect_b32 s5, s5, s47
	s_cselect_b32 s3, s6, s3
	s_add_i32 s6, s5, 1
	s_cmp_ge_u32 s3, s34
	v_mov_b32_e32 v6, 0
	s_cselect_b32 s3, s6, s5
	s_delay_alu instid0(SALU_CYCLE_1) | instskip(SKIP_4) | instid1(SALU_CYCLE_1)
	s_mul_i32 s5, s3, s34
	s_mul_i32 s6, s3, s36
	s_sub_i32 s5, s46, s5
	s_mov_b32 s3, 0
	s_mul_i32 s5, s5, s37
	s_add_i32 s2, s5, s2
	s_delay_alu instid0(SALU_CYCLE_1) | instskip(NEXT) | instid1(SALU_CYCLE_1)
	s_add_i32 s2, s2, s6
	s_lshl_b64 s[6:7], s[2:3], 1
	s_delay_alu instid0(SALU_CYCLE_1)
	s_add_u32 s6, s42, s6
	s_addc_u32 s7, s43, s7
	global_store_b16 v6, v27, s[6:7]
	s_and_saveexec_b32 s2, s0
	s_cbranch_execz .LBB138_262
; %bb.256:
	v_lshlrev_b32_e32 v2, 16, v27
                                        ; implicit-def: $sgpr5
                                        ; implicit-def: $sgpr8
                                        ; implicit-def: $sgpr7
	s_delay_alu instid0(VALU_DEP_1)
	v_cmp_u_f32_e32 vcc_lo, v2, v2
	s_xor_b32 s6, vcc_lo, -1
	s_set_inst_prefetch_distance 0x1
	s_branch .LBB138_258
	.p2align	6
.LBB138_257:                            ;   in Loop: Header=BB138_258 Depth=1
	s_or_b32 exec_lo, exec_lo, s0
	s_delay_alu instid0(SALU_CYCLE_1) | instskip(NEXT) | instid1(SALU_CYCLE_1)
	s_and_b32 s0, exec_lo, s8
	s_or_b32 s3, s0, s3
	s_and_not1_b32 s0, s5, exec_lo
	s_and_b32 s5, s7, exec_lo
	s_delay_alu instid0(SALU_CYCLE_1)
	s_or_b32 s5, s0, s5
	s_and_not1_b32 exec_lo, exec_lo, s3
	s_cbranch_execz .LBB138_260
.LBB138_258:                            ; =>This Inner Loop Header: Depth=1
	v_lshlrev_b64 v[3:4], 1, v[5:6]
	s_or_b32 s7, s7, exec_lo
	s_or_b32 s8, s8, exec_lo
	s_delay_alu instid0(VALU_DEP_1) | instskip(NEXT) | instid1(VALU_DEP_2)
	v_add_co_u32 v3, vcc_lo, s33, v3
	v_add_co_ci_u32_e32 v4, vcc_lo, s39, v4, vcc_lo
	global_load_u16 v1, v[3:4], off
	s_waitcnt vmcnt(0)
	v_lshlrev_b32_e32 v1, 16, v1
	s_delay_alu instid0(VALU_DEP_1)
	v_cmp_o_f32_e32 vcc_lo, v1, v1
	v_cmp_neq_f32_e64 s0, v1, v2
	v_mov_b32_e32 v1, v0
                                        ; implicit-def: $vgpr0
	s_or_b32 s9, s6, vcc_lo
	s_delay_alu instid0(VALU_DEP_2) | instid1(SALU_CYCLE_1)
	s_and_b32 s9, s0, s9
	s_delay_alu instid0(SALU_CYCLE_1)
	s_and_saveexec_b32 s0, s9
	s_cbranch_execz .LBB138_257
; %bb.259:                              ;   in Loop: Header=BB138_258 Depth=1
	v_add_nc_u32_e32 v0, s27, v1
	s_and_not1_b32 s8, s8, exec_lo
	v_add_nc_u32_e32 v5, s49, v5
	s_and_not1_b32 s7, s7, exec_lo
	s_delay_alu instid0(VALU_DEP_2) | instskip(SKIP_1) | instid1(SALU_CYCLE_1)
	v_cmp_le_u32_e32 vcc_lo, s24, v0
	s_and_b32 s9, vcc_lo, exec_lo
	s_or_b32 s8, s8, s9
	s_branch .LBB138_257
.LBB138_260:
	s_set_inst_prefetch_distance 0x2
	s_or_b32 exec_lo, exec_lo, s3
	s_and_saveexec_b32 s0, s5
	s_delay_alu instid0(SALU_CYCLE_1)
	s_xor_b32 s0, exec_lo, s0
	s_cbranch_execz .LBB138_262
; %bb.261:
	s_mul_i32 s3, s31, s22
	s_mul_i32 s0, s25, s23
	s_sub_i32 s3, s25, s3
	s_sub_i32 s0, s21, s0
	s_add_i32 s5, s31, 1
	s_sub_i32 s6, s3, s22
	s_cmp_ge_u32 s3, s22
	s_mul_i32 s0, s0, s30
	s_cselect_b32 s5, s5, s31
	s_cselect_b32 s3, s6, s3
	s_add_i32 s6, s5, 1
	s_cmp_ge_u32 s3, s22
	s_mov_b32 s7, 0
	s_cselect_b32 s3, s6, s5
	v_mov_b32_e32 v2, 0
	s_mul_i32 s5, s3, s22
	s_mul_i32 s3, s3, s28
	s_sub_i32 s5, s25, s5
	s_delay_alu instid0(SALU_CYCLE_1) | instskip(NEXT) | instid1(SALU_CYCLE_1)
	s_mul_i32 s5, s5, s29
	s_add_i32 s0, s5, s0
	s_delay_alu instid0(SALU_CYCLE_1) | instskip(NEXT) | instid1(SALU_CYCLE_1)
	s_add_i32 s6, s0, s3
	s_lshl_b64 s[6:7], s[6:7], 3
	s_delay_alu instid0(SALU_CYCLE_1)
	s_add_u32 s6, s40, s6
	s_addc_u32 s7, s41, s7
	global_store_b64 v2, v[1:2], s[6:7]
.LBB138_262:
	s_or_b32 exec_lo, exec_lo, s2
.LBB138_263:
	s_or_saveexec_b32 s0, s4
	s_mov_b32 s2, 0
	s_xor_b32 exec_lo, exec_lo, s0
	s_cbranch_execnz .LBB138_271
.LBB138_264:
	s_or_b32 exec_lo, exec_lo, s0
	s_delay_alu instid0(SALU_CYCLE_1)
	s_and_b32 s2, s2, exec_lo
.LBB138_265:
	s_and_not1_saveexec_b32 s0, s1
	s_cbranch_execnz .LBB138_269
; %bb.266:
	s_or_b32 exec_lo, exec_lo, s0
	s_and_saveexec_b32 s0, s2
.LBB138_267:
	; divergent unreachable
.LBB138_268:
	s_nop 0
	s_sendmsg sendmsg(MSG_DEALLOC_VGPRS)
	s_endpgm
.LBB138_269:
	s_cbranch_execnz .LBB138_273
; %bb.270:
	s_or_b32 s2, s2, exec_lo
	s_or_b32 exec_lo, exec_lo, s0
	s_and_saveexec_b32 s0, s2
	s_cbranch_execnz .LBB138_267
	s_branch .LBB138_268
.LBB138_271:
	s_cbranch_execnz .LBB138_275
; %bb.272:
	s_mov_b32 s2, exec_lo
	s_branch .LBB138_264
.LBB138_273:
	s_trap 2
	s_sendmsg_rtn_b32 s0, sendmsg(MSG_RTN_GET_DOORBELL)
	s_mov_b32 ttmp2, m0
	s_waitcnt lgkmcnt(0)
	s_and_b32 s0, s0, 0x3ff
	s_delay_alu instid0(SALU_CYCLE_1) | instskip(NEXT) | instid1(SALU_CYCLE_1)
	s_bitset1_b32 s0, 10
	s_mov_b32 m0, s0
	s_sendmsg sendmsg(MSG_INTERRUPT)
	s_mov_b32 m0, ttmp2
.LBB138_274:                            ; =>This Inner Loop Header: Depth=1
	s_sethalt 5
	s_branch .LBB138_274
.LBB138_275:
	s_trap 2
	s_sendmsg_rtn_b32 s0, sendmsg(MSG_RTN_GET_DOORBELL)
	s_mov_b32 ttmp2, m0
	s_waitcnt lgkmcnt(0)
	s_and_b32 s0, s0, 0x3ff
	s_delay_alu instid0(SALU_CYCLE_1) | instskip(NEXT) | instid1(SALU_CYCLE_1)
	s_bitset1_b32 s0, 10
	s_mov_b32 m0, s0
	s_sendmsg sendmsg(MSG_INTERRUPT)
	s_mov_b32 m0, ttmp2
.LBB138_276:                            ; =>This Inner Loop Header: Depth=1
	s_sethalt 5
	s_branch .LBB138_276
	.section	.rodata,"a",@progbits
	.p2align	6, 0x0
	.amdhsa_kernel _ZN2at6native12_GLOBAL__N_112gatherMedianIN3c108BFloat16EjLi3EEEvNS_4cuda6detail10TensorInfoIT_T0_EENS7_IlS9_EENS7_IKS8_S9_EES9_S9_S9_b
		.amdhsa_group_segment_fixed_size 4120
		.amdhsa_private_segment_fixed_size 0
		.amdhsa_kernarg_size 920
		.amdhsa_user_sgpr_count 13
		.amdhsa_user_sgpr_dispatch_ptr 0
		.amdhsa_user_sgpr_queue_ptr 0
		.amdhsa_user_sgpr_kernarg_segment_ptr 1
		.amdhsa_user_sgpr_dispatch_id 0
		.amdhsa_user_sgpr_private_segment_size 0
		.amdhsa_wavefront_size32 1
		.amdhsa_uses_dynamic_stack 0
		.amdhsa_enable_private_segment 0
		.amdhsa_system_sgpr_workgroup_id_x 1
		.amdhsa_system_sgpr_workgroup_id_y 1
		.amdhsa_system_sgpr_workgroup_id_z 1
		.amdhsa_system_sgpr_workgroup_info 0
		.amdhsa_system_vgpr_workitem_id 0
		.amdhsa_next_free_vgpr 35
		.amdhsa_next_free_sgpr 89
		.amdhsa_reserve_vcc 1
		.amdhsa_float_round_mode_32 0
		.amdhsa_float_round_mode_16_64 0
		.amdhsa_float_denorm_mode_32 3
		.amdhsa_float_denorm_mode_16_64 3
		.amdhsa_dx10_clamp 1
		.amdhsa_ieee_mode 1
		.amdhsa_fp16_overflow 0
		.amdhsa_workgroup_processor_mode 1
		.amdhsa_memory_ordered 1
		.amdhsa_forward_progress 0
		.amdhsa_shared_vgpr_count 0
		.amdhsa_exception_fp_ieee_invalid_op 0
		.amdhsa_exception_fp_denorm_src 0
		.amdhsa_exception_fp_ieee_div_zero 0
		.amdhsa_exception_fp_ieee_overflow 0
		.amdhsa_exception_fp_ieee_underflow 0
		.amdhsa_exception_fp_ieee_inexact 0
		.amdhsa_exception_int_div_zero 0
	.end_amdhsa_kernel
	.section	.text._ZN2at6native12_GLOBAL__N_112gatherMedianIN3c108BFloat16EjLi3EEEvNS_4cuda6detail10TensorInfoIT_T0_EENS7_IlS9_EENS7_IKS8_S9_EES9_S9_S9_b,"axG",@progbits,_ZN2at6native12_GLOBAL__N_112gatherMedianIN3c108BFloat16EjLi3EEEvNS_4cuda6detail10TensorInfoIT_T0_EENS7_IlS9_EENS7_IKS8_S9_EES9_S9_S9_b,comdat
.Lfunc_end138:
	.size	_ZN2at6native12_GLOBAL__N_112gatherMedianIN3c108BFloat16EjLi3EEEvNS_4cuda6detail10TensorInfoIT_T0_EENS7_IlS9_EENS7_IKS8_S9_EES9_S9_S9_b, .Lfunc_end138-_ZN2at6native12_GLOBAL__N_112gatherMedianIN3c108BFloat16EjLi3EEEvNS_4cuda6detail10TensorInfoIT_T0_EENS7_IlS9_EENS7_IKS8_S9_EES9_S9_S9_b
                                        ; -- End function
	.section	.AMDGPU.csdata,"",@progbits
; Kernel info:
; codeLenInByte = 11452
; NumSgprs: 91
; NumVgprs: 35
; ScratchSize: 0
; MemoryBound: 0
; FloatMode: 240
; IeeeMode: 1
; LDSByteSize: 4120 bytes/workgroup (compile time only)
; SGPRBlocks: 11
; VGPRBlocks: 4
; NumSGPRsForWavesPerEU: 91
; NumVGPRsForWavesPerEU: 35
; Occupancy: 16
; WaveLimiterHint : 1
; COMPUTE_PGM_RSRC2:SCRATCH_EN: 0
; COMPUTE_PGM_RSRC2:USER_SGPR: 13
; COMPUTE_PGM_RSRC2:TRAP_HANDLER: 0
; COMPUTE_PGM_RSRC2:TGID_X_EN: 1
; COMPUTE_PGM_RSRC2:TGID_Y_EN: 1
; COMPUTE_PGM_RSRC2:TGID_Z_EN: 1
; COMPUTE_PGM_RSRC2:TIDIG_COMP_CNT: 0
	.section	.text._ZN2at6native12_GLOBAL__N_112gatherMedianIN3c108BFloat16EjLin1EEEvNS_4cuda6detail10TensorInfoIT_T0_EENS7_IlS9_EENS7_IKS8_S9_EES9_S9_S9_b,"axG",@progbits,_ZN2at6native12_GLOBAL__N_112gatherMedianIN3c108BFloat16EjLin1EEEvNS_4cuda6detail10TensorInfoIT_T0_EENS7_IlS9_EENS7_IKS8_S9_EES9_S9_S9_b,comdat
	.globl	_ZN2at6native12_GLOBAL__N_112gatherMedianIN3c108BFloat16EjLin1EEEvNS_4cuda6detail10TensorInfoIT_T0_EENS7_IlS9_EENS7_IKS8_S9_EES9_S9_S9_b ; -- Begin function _ZN2at6native12_GLOBAL__N_112gatherMedianIN3c108BFloat16EjLin1EEEvNS_4cuda6detail10TensorInfoIT_T0_EENS7_IlS9_EENS7_IKS8_S9_EES9_S9_S9_b
	.p2align	8
	.type	_ZN2at6native12_GLOBAL__N_112gatherMedianIN3c108BFloat16EjLin1EEEvNS_4cuda6detail10TensorInfoIT_T0_EENS7_IlS9_EENS7_IKS8_S9_EES9_S9_S9_b,@function
_ZN2at6native12_GLOBAL__N_112gatherMedianIN3c108BFloat16EjLin1EEEvNS_4cuda6detail10TensorInfoIT_T0_EENS7_IlS9_EENS7_IKS8_S9_EES9_S9_S9_b: ; @_ZN2at6native12_GLOBAL__N_112gatherMedianIN3c108BFloat16EjLin1EEEvNS_4cuda6detail10TensorInfoIT_T0_EENS7_IlS9_EENS7_IKS8_S9_EES9_S9_S9_b
; %bb.0:
	s_clause 0x1
	s_load_b64 s[6:7], s[0:1], 0x298
	s_load_b128 s[24:27], s[0:1], 0x288
	s_add_u32 s4, s0, 0x298
	s_addc_u32 s5, s1, 0
	s_waitcnt lgkmcnt(0)
	s_mul_i32 s2, s7, s15
	s_delay_alu instid0(SALU_CYCLE_1) | instskip(NEXT) | instid1(SALU_CYCLE_1)
	s_add_i32 s2, s2, s14
	s_mul_i32 s2, s2, s6
	s_delay_alu instid0(SALU_CYCLE_1) | instskip(NEXT) | instid1(SALU_CYCLE_1)
	s_add_i32 s7, s2, s13
	s_cmp_ge_u32 s7, s25
	s_cbranch_scc1 .LBB139_277
; %bb.1:
	s_load_b32 s2, s[0:1], 0xd0
	s_mov_b32 s21, 0
	s_mov_b32 s25, s7
	s_waitcnt lgkmcnt(0)
	s_cmp_lt_i32 s2, 2
	s_cbranch_scc1 .LBB139_4
; %bb.2:
	s_add_i32 s20, s2, -1
	s_add_i32 s8, s2, 1
	s_lshl_b64 s[10:11], s[20:21], 2
	s_mov_b32 s25, s7
	s_add_u32 s2, s10, s0
	s_addc_u32 s3, s11, s1
	s_add_u32 s2, s2, 8
	s_addc_u32 s3, s3, 0
	s_set_inst_prefetch_distance 0x1
	.p2align	6
.LBB139_3:                              ; =>This Inner Loop Header: Depth=1
	s_clause 0x1
	s_load_b32 s9, s[2:3], 0x0
	s_load_b32 s10, s[2:3], 0x64
	s_mov_b32 s14, s25
	s_waitcnt lgkmcnt(0)
	v_cvt_f32_u32_e32 v1, s9
	s_sub_i32 s12, 0, s9
	s_waitcnt_depctr 0xfff
	v_rcp_iflag_f32_e32 v1, v1
	s_waitcnt_depctr 0xfff
	v_mul_f32_e32 v1, 0x4f7ffffe, v1
	s_delay_alu instid0(VALU_DEP_1) | instskip(NEXT) | instid1(VALU_DEP_1)
	v_cvt_u32_f32_e32 v1, v1
	v_readfirstlane_b32 s11, v1
	s_delay_alu instid0(VALU_DEP_1) | instskip(NEXT) | instid1(SALU_CYCLE_1)
	s_mul_i32 s12, s12, s11
	s_mul_hi_u32 s12, s11, s12
	s_delay_alu instid0(SALU_CYCLE_1) | instskip(NEXT) | instid1(SALU_CYCLE_1)
	s_add_i32 s11, s11, s12
	s_mul_hi_u32 s11, s25, s11
	s_delay_alu instid0(SALU_CYCLE_1) | instskip(SKIP_2) | instid1(SALU_CYCLE_1)
	s_mul_i32 s12, s11, s9
	s_add_i32 s15, s11, 1
	s_sub_i32 s12, s25, s12
	s_sub_i32 s16, s12, s9
	s_cmp_ge_u32 s12, s9
	s_cselect_b32 s11, s15, s11
	s_cselect_b32 s12, s16, s12
	s_add_i32 s15, s11, 1
	s_cmp_ge_u32 s12, s9
	s_cselect_b32 s25, s15, s11
	s_add_i32 s8, s8, -1
	s_mul_i32 s9, s25, s9
	s_delay_alu instid0(SALU_CYCLE_1) | instskip(NEXT) | instid1(SALU_CYCLE_1)
	s_sub_i32 s9, s14, s9
	s_mul_i32 s9, s10, s9
	s_delay_alu instid0(SALU_CYCLE_1)
	s_add_i32 s21, s9, s21
	s_add_u32 s2, s2, -4
	s_addc_u32 s3, s3, -1
	s_cmp_gt_u32 s8, 2
	s_cbranch_scc1 .LBB139_3
.LBB139_4:
	s_set_inst_prefetch_distance 0x2
	s_load_b32 s8, s[0:1], 0x1a8
	s_add_u32 s2, s0, 0xd8
	s_addc_u32 s3, s1, 0
	s_mov_b32 s23, 0
	s_mov_b32 s22, s7
	s_waitcnt lgkmcnt(0)
	s_cmp_lt_i32 s8, 2
	s_cbranch_scc1 .LBB139_7
; %bb.5:
	s_add_i32 s22, s8, -1
	s_add_i32 s10, s8, 1
	s_lshl_b64 s[14:15], s[22:23], 2
	s_mov_b32 s22, s7
	s_add_u32 s8, s14, s2
	s_addc_u32 s9, s15, s3
	s_add_u32 s8, s8, 8
	s_addc_u32 s9, s9, 0
	s_set_inst_prefetch_distance 0x1
	.p2align	6
.LBB139_6:                              ; =>This Inner Loop Header: Depth=1
	s_clause 0x1
	s_load_b32 s11, s[8:9], 0x0
	s_load_b32 s12, s[8:9], 0x64
	s_mov_b32 s16, s22
	s_waitcnt lgkmcnt(0)
	v_cvt_f32_u32_e32 v1, s11
	s_sub_i32 s15, 0, s11
	s_waitcnt_depctr 0xfff
	v_rcp_iflag_f32_e32 v1, v1
	s_waitcnt_depctr 0xfff
	v_mul_f32_e32 v1, 0x4f7ffffe, v1
	s_delay_alu instid0(VALU_DEP_1) | instskip(NEXT) | instid1(VALU_DEP_1)
	v_cvt_u32_f32_e32 v1, v1
	v_readfirstlane_b32 s14, v1
	s_delay_alu instid0(VALU_DEP_1) | instskip(NEXT) | instid1(SALU_CYCLE_1)
	s_mul_i32 s15, s15, s14
	s_mul_hi_u32 s15, s14, s15
	s_delay_alu instid0(SALU_CYCLE_1) | instskip(NEXT) | instid1(SALU_CYCLE_1)
	s_add_i32 s14, s14, s15
	s_mul_hi_u32 s14, s22, s14
	s_delay_alu instid0(SALU_CYCLE_1) | instskip(SKIP_2) | instid1(SALU_CYCLE_1)
	s_mul_i32 s15, s14, s11
	s_add_i32 s17, s14, 1
	s_sub_i32 s15, s22, s15
	s_sub_i32 s18, s15, s11
	s_cmp_ge_u32 s15, s11
	s_cselect_b32 s14, s17, s14
	s_cselect_b32 s15, s18, s15
	s_add_i32 s17, s14, 1
	s_cmp_ge_u32 s15, s11
	s_cselect_b32 s22, s17, s14
	s_add_i32 s10, s10, -1
	s_mul_i32 s11, s22, s11
	s_delay_alu instid0(SALU_CYCLE_1) | instskip(NEXT) | instid1(SALU_CYCLE_1)
	s_sub_i32 s11, s16, s11
	s_mul_i32 s11, s12, s11
	s_delay_alu instid0(SALU_CYCLE_1)
	s_add_i32 s23, s11, s23
	s_add_u32 s8, s8, -4
	s_addc_u32 s9, s9, -1
	s_cmp_gt_u32 s10, 2
	s_cbranch_scc1 .LBB139_6
.LBB139_7:
	s_set_inst_prefetch_distance 0x2
	s_clause 0x1
	s_load_b32 s36, s[0:1], 0x6c
	s_load_b32 s10, s[0:1], 0x280
	s_add_u32 s11, s0, 0x1b0
	s_addc_u32 s12, s1, 0
	s_mov_b32 s9, 0
	s_waitcnt lgkmcnt(0)
	s_cmp_lt_i32 s10, 2
	s_cbranch_scc1 .LBB139_10
; %bb.8:
	s_add_i32 s8, s10, -1
	s_delay_alu instid0(SALU_CYCLE_1)
	s_lshl_b64 s[14:15], s[8:9], 2
	s_add_i32 s8, s10, 1
	s_add_u32 s10, s14, s11
	s_addc_u32 s11, s15, s12
	s_add_u32 s10, s10, 8
	s_addc_u32 s11, s11, 0
	s_set_inst_prefetch_distance 0x1
	.p2align	6
.LBB139_9:                              ; =>This Inner Loop Header: Depth=1
	s_clause 0x1
	s_load_b32 s12, s[10:11], 0x0
	s_load_b32 s14, s[10:11], 0x64
	s_mov_b32 s17, s7
	s_waitcnt lgkmcnt(0)
	v_cvt_f32_u32_e32 v1, s12
	s_sub_i32 s16, 0, s12
	s_waitcnt_depctr 0xfff
	v_rcp_iflag_f32_e32 v1, v1
	s_waitcnt_depctr 0xfff
	v_mul_f32_e32 v1, 0x4f7ffffe, v1
	s_delay_alu instid0(VALU_DEP_1) | instskip(NEXT) | instid1(VALU_DEP_1)
	v_cvt_u32_f32_e32 v1, v1
	v_readfirstlane_b32 s15, v1
	s_delay_alu instid0(VALU_DEP_1) | instskip(NEXT) | instid1(SALU_CYCLE_1)
	s_mul_i32 s16, s16, s15
	s_mul_hi_u32 s16, s15, s16
	s_delay_alu instid0(SALU_CYCLE_1) | instskip(NEXT) | instid1(SALU_CYCLE_1)
	s_add_i32 s15, s15, s16
	s_mul_hi_u32 s7, s7, s15
	s_delay_alu instid0(SALU_CYCLE_1) | instskip(SKIP_2) | instid1(SALU_CYCLE_1)
	s_mul_i32 s15, s7, s12
	s_add_i32 s16, s7, 1
	s_sub_i32 s15, s17, s15
	s_sub_i32 s18, s15, s12
	s_cmp_ge_u32 s15, s12
	s_cselect_b32 s7, s16, s7
	s_cselect_b32 s15, s18, s15
	s_add_i32 s16, s7, 1
	s_cmp_ge_u32 s15, s12
	s_cselect_b32 s7, s16, s7
	s_add_i32 s8, s8, -1
	s_mul_i32 s12, s7, s12
	s_delay_alu instid0(SALU_CYCLE_1) | instskip(NEXT) | instid1(SALU_CYCLE_1)
	s_sub_i32 s12, s17, s12
	s_mul_i32 s12, s14, s12
	s_delay_alu instid0(SALU_CYCLE_1)
	s_add_i32 s9, s12, s9
	s_add_u32 s10, s10, -4
	s_addc_u32 s11, s11, -1
	s_cmp_gt_u32 s8, 2
	s_cbranch_scc1 .LBB139_9
.LBB139_10:
	s_set_inst_prefetch_distance 0x2
	s_clause 0x4
	s_load_b32 s33, s[2:3], 0x6c
	s_load_b32 s2, s[0:1], 0x21c
	s_load_b64 s[10:11], s[0:1], 0x1b0
	s_load_b64 s[30:31], s[0:1], 0x0
	;; [unrolled: 1-line block ×3, first 2 shown]
	v_mul_lo_u32 v5, v0, s26
	s_mov_b32 s3, 0
	v_mov_b32_e32 v3, 0
	s_waitcnt lgkmcnt(0)
	s_mul_i32 s0, s2, s7
	s_delay_alu instid0(SALU_CYCLE_1) | instskip(SKIP_2) | instid1(SALU_CYCLE_1)
	s_add_i32 s2, s0, s9
	v_cmp_gt_u32_e64 s0, s24, v0
	s_lshl_b64 s[8:9], s[2:3], 1
	s_add_u32 s37, s10, s8
	s_addc_u32 s38, s11, s9
	s_delay_alu instid0(VALU_DEP_1)
	s_and_saveexec_b32 s2, s0
	s_cbranch_execz .LBB139_14
; %bb.11:
	s_load_b32 s1, s[4:5], 0xc
	v_mul_lo_u32 v1, v0, s26
	v_dual_mov_b32 v3, 0 :: v_dual_mov_b32 v2, 0
	v_mov_b32_e32 v4, v0
	s_waitcnt lgkmcnt(0)
	s_and_b32 s7, s1, 0xffff
	s_delay_alu instid0(SALU_CYCLE_1)
	s_mul_i32 s8, s26, s7
	.p2align	6
.LBB139_12:                             ; =>This Inner Loop Header: Depth=1
	s_delay_alu instid0(VALU_DEP_3) | instskip(SKIP_2) | instid1(VALU_DEP_3)
	v_lshlrev_b64 v[6:7], 1, v[1:2]
	v_add_nc_u32_e32 v4, s7, v4
	v_add_nc_u32_e32 v1, s8, v1
	v_add_co_u32 v6, vcc_lo, s37, v6
	s_delay_alu instid0(VALU_DEP_4) | instskip(NEXT) | instid1(VALU_DEP_4)
	v_add_co_ci_u32_e32 v7, vcc_lo, s38, v7, vcc_lo
	v_cmp_le_u32_e32 vcc_lo, s24, v4
	global_load_u16 v6, v[6:7], off
	s_or_b32 s3, vcc_lo, s3
	s_waitcnt vmcnt(0)
	v_lshlrev_b32_e32 v6, 16, v6
	s_delay_alu instid0(VALU_DEP_1) | instskip(NEXT) | instid1(VALU_DEP_1)
	v_cmp_u_f32_e64 s1, v6, v6
	v_add_co_ci_u32_e64 v3, s1, 0, v3, s1
	s_and_not1_b32 exec_lo, exec_lo, s3
	s_cbranch_execnz .LBB139_12
; %bb.13:
	s_or_b32 exec_lo, exec_lo, s3
.LBB139_14:
	s_delay_alu instid0(SALU_CYCLE_1) | instskip(SKIP_1) | instid1(VALU_DEP_1)
	s_or_b32 exec_lo, exec_lo, s2
	v_cmp_eq_u32_e64 s1, 0, v0
	s_and_saveexec_b32 s2, s1
	s_cbranch_execz .LBB139_16
; %bb.15:
	v_mov_b32_e32 v1, 0
	s_delay_alu instid0(VALU_DEP_1)
	v_mov_b32_e32 v2, v1
	ds_store_b64 v1, v[1:2] offset:4096
.LBB139_16:
	s_or_b32 exec_lo, exec_lo, s2
	s_delay_alu instid0(SALU_CYCLE_1)
	s_mov_b32 s7, exec_lo
	s_waitcnt lgkmcnt(0)
	s_barrier
	buffer_gl0_inv
	v_cmpx_ne_u32_e32 0, v3
	s_cbranch_execz .LBB139_21
; %bb.17:
	v_mov_b32_e32 v1, 0
	s_mov_b32 s8, exec_lo
	s_mov_b64 s[2:3], 0
.LBB139_18:                             ; =>This Inner Loop Header: Depth=1
	s_ctz_i32_b32 s9, s8
	s_delay_alu instid0(SALU_CYCLE_1) | instskip(SKIP_1) | instid1(VALU_DEP_2)
	v_readlane_b32 s10, v3, s9
	v_readlane_b32 s11, v1, s9
	s_add_u32 s2, s2, s10
	s_delay_alu instid0(VALU_DEP_1) | instskip(SKIP_1) | instid1(SALU_CYCLE_1)
	s_addc_u32 s3, s3, s11
	s_lshl_b32 s9, 1, s9
	s_and_not1_b32 s8, s8, s9
	s_delay_alu instid0(SALU_CYCLE_1)
	s_cmp_lg_u32 s8, 0
	s_cbranch_scc1 .LBB139_18
; %bb.19:
	v_mbcnt_lo_u32_b32 v1, exec_lo, 0
	s_mov_b32 s8, exec_lo
	s_delay_alu instid0(VALU_DEP_1)
	v_cmpx_eq_u32_e32 0, v1
	s_xor_b32 s8, exec_lo, s8
	s_cbranch_execz .LBB139_21
; %bb.20:
	v_mov_b32_e32 v1, s2
	v_dual_mov_b32 v3, 0 :: v_dual_mov_b32 v2, s3
	ds_add_u64 v3, v[1:2] offset:4096
.LBB139_21:
	s_or_b32 exec_lo, exec_lo, s7
	v_mov_b32_e32 v1, 0
	s_waitcnt lgkmcnt(0)
	s_barrier
	buffer_gl0_inv
	s_bitcmp1_b32 s27, 0
	ds_load_b64 v[1:2], v1 offset:4096
	s_cselect_b32 s2, -1, 0
	s_mov_b32 s68, s24
	s_waitcnt lgkmcnt(0)
	v_cmp_gt_i64_e32 vcc_lo, 1, v[1:2]
	s_or_b32 s2, s2, vcc_lo
	s_delay_alu instid0(SALU_CYCLE_1)
	s_and_not1_b32 vcc_lo, exec_lo, s2
	s_cbranch_vccnz .LBB139_23
; %bb.22:
	v_not_b32_e32 v1, v1
	v_not_b32_e32 v2, v2
	s_delay_alu instid0(VALU_DEP_2) | instskip(NEXT) | instid1(VALU_DEP_2)
	v_add_co_u32 v1, vcc_lo, v1, s24
	v_add_co_ci_u32_e32 v2, vcc_lo, 0, v2, vcc_lo
	s_delay_alu instid0(VALU_DEP_1) | instskip(NEXT) | instid1(VALU_DEP_1)
	v_lshrrev_b32_e32 v3, 31, v2
	v_add_co_u32 v1, vcc_lo, v1, v3
	v_add_co_ci_u32_e32 v2, vcc_lo, 0, v2, vcc_lo
	s_delay_alu instid0(VALU_DEP_1) | instskip(NEXT) | instid1(VALU_DEP_1)
	v_alignbit_b32 v1, v2, v1, 1
	v_readfirstlane_b32 s2, v1
	s_delay_alu instid0(VALU_DEP_1)
	s_add_i32 s68, s2, 1
.LBB139_23:
	s_and_saveexec_b32 s2, s1
	s_cbranch_execz .LBB139_25
; %bb.24:
	v_dual_mov_b32 v1, 0 :: v_dual_mov_b32 v2, s24
	ds_store_b32 v1, v1 offset:4112
	ds_store_b64 v1, v[1:2] offset:4104
.LBB139_25:
	s_or_b32 exec_lo, exec_lo, s2
	s_waitcnt lgkmcnt(0)
	s_barrier
	buffer_gl0_inv
	s_load_b32 s7, s[4:5], 0xc
	v_mbcnt_lo_u32_b32 v13, -1, 0
	v_cmp_gt_u32_e32 vcc_lo, 32, v0
	v_lshrrev_b32_e32 v1, 3, v0
	v_dual_mov_b32 v7, 0 :: v_dual_lshlrev_b32 v14, 2, v0
	s_delay_alu instid0(VALU_DEP_4) | instskip(SKIP_1) | instid1(VALU_DEP_4)
	v_cmp_gt_i32_e64 s3, 4, v13
	v_lshlrev_b32_e32 v15, 1, v0
	v_and_b32_e32 v17, 0x7c, v1
	s_delay_alu instid0(VALU_DEP_4)
	v_or_b32_e32 v4, 2, v14
	v_mov_b32_e32 v6, v7
	s_and_b32 s42, vcc_lo, s3
	v_or_b32_e32 v21, 3, v14
	v_cmp_gt_u32_e64 s2, 2, v0
	v_mul_lo_u32 v20, s26, v4
	v_cmp_eq_u32_e64 s3, 0, v13
	v_dual_mov_b32 v27, 0 :: v_dual_add_nc_u32 v16, 0xc00, v15
	v_mul_lo_u32 v21, s26, v21
	v_lshlrev_b32_e32 v22, 2, v5
	s_waitcnt lgkmcnt(0)
	s_and_b32 s27, s7, 0xffff
	s_bfe_u32 s7, s7, 0xb0005
	s_lshl_b32 s41, s27, 2
	s_add_i32 s43, s27, -1
	v_cvt_f32_u32_e32 v2, s41
	s_add_i32 s8, s43, s24
	s_cmpk_gt_u32 s24, 0x600
	v_cvt_f32_u32_e32 v3, s27
	s_cselect_b32 s44, -1, 0
	v_rcp_iflag_f32_e32 v2, v2
	s_cmp_gt_u32 s27, 31
	v_mad_u64_u32 v[8:9], null, s26, v14, s[26:27]
	s_cselect_b32 s45, -1, 0
	s_cmp_lt_u32 s13, s6
	v_rcp_iflag_f32_e32 v3, v3
	s_cselect_b32 s6, 12, 18
	v_lshlrev_b32_e32 v24, 3, v0
	s_add_u32 s34, s4, s6
	s_waitcnt_depctr 0xfff
	v_mul_f32_e32 v2, 0x4f7ffffe, v2
	s_addc_u32 s35, s5, 0
	s_add_i32 s4, s7, -1
	s_bfe_u32 s46, s27, 0x30005
	s_cmp_gt_u32 s4, 6
	v_cvt_u32_f32_e32 v2, v2
	s_cselect_b32 s47, -1, 0
	s_and_b32 s48, s7, 0x7f8
	s_cmp_lg_u32 s46, 0
	v_lshl_or_b32 v25, v13, 2, 0xc00
	v_readfirstlane_b32 s4, v2
	s_cselect_b32 s49, -1, 0
	s_sub_i32 s5, 0, s41
	v_lshlrev_b64 v[1:2], v13, -1
	v_mul_f32_e32 v2, 0x4f7ffffe, v3
	s_mul_i32 s5, s5, s4
	v_mov_b32_e32 v26, 0x8000
	s_mul_hi_u32 s5, s4, s5
	s_mul_i32 s40, s26, s27
	s_add_i32 s50, s4, s5
	v_cvt_u32_f32_e32 v9, v2
	s_mul_hi_u32 s4, s24, s50
	v_lshlrev_b64 v[2:3], 1, v[5:6]
	s_mul_i32 s4, s4, s41
	v_not_b32_e32 v18, v1
	s_sub_i32 s4, s24, s4
	v_add3_u32 v1, s27, s24, v0
	s_sub_i32 s5, s4, s41
	s_cmp_ge_u32 s4, s41
	s_mov_b32 s39, 0
	s_cselect_b32 s4, s5, s4
	v_readfirstlane_b32 s5, v9
	s_sub_i32 s6, s4, s41
	s_cmp_ge_u32 s4, s41
	v_add_co_u32 v9, vcc_lo, s37, v2
	s_cselect_b32 s4, s6, s4
	s_sub_i32 s6, 0, s27
	s_sub_i32 s51, s24, s4
	s_mul_i32 s6, s6, s5
	v_add_nc_u32_e32 v19, s51, v0
	s_mul_hi_u32 s6, s5, s6
	v_add_co_ci_u32_e32 v10, vcc_lo, s38, v3, vcc_lo
	s_add_i32 s52, s5, s6
	s_delay_alu instid0(VALU_DEP_2)
	v_mul_lo_u32 v6, v19, s26
	s_mul_hi_u32 s5, s8, s52
	v_subrev_nc_u32_e32 v3, s4, v1
	s_mul_i32 s5, s5, s27
	v_cmp_gt_u32_e64 s4, s51, v14
	s_sub_i32 s5, s8, s5
	s_mov_b32 s61, 14
	s_sub_i32 s6, s5, s27
	s_cmp_ge_u32 s5, s27
	v_lshlrev_b64 v[1:2], 1, v[6:7]
	s_cselect_b32 s6, s6, s5
	v_mul_lo_u32 v23, s26, v3
	s_sub_i32 s7, s6, s27
	s_cmp_ge_u32 s6, s27
	v_cmp_gt_u32_e64 s5, s24, v19
	s_cselect_b32 s6, s7, s6
	v_add_co_u32 v11, vcc_lo, s37, v1
	s_sub_i32 s54, s8, s6
	v_add_co_ci_u32_e32 v12, vcc_lo, s38, v2, vcc_lo
	v_cmp_gt_u32_e64 s6, s54, v0
	s_lshl_b32 s53, s40, 2
	s_lshl_b32 s55, s27, 3
	;; [unrolled: 1-line block ×3, first 2 shown]
	s_movk_i32 s57, 0x3f80
	s_mov_b32 s64, 0
	s_mov_b32 s66, 0
	;; [unrolled: 1-line block ×3, first 2 shown]
                                        ; implicit-def: $sgpr58
                                        ; implicit-def: $sgpr60
                                        ; implicit-def: $sgpr59
                                        ; implicit-def: $sgpr63
                                        ; implicit-def: $sgpr65
                                        ; implicit-def: $sgpr62
	s_branch .LBB139_30
.LBB139_26:                             ;   in Loop: Header=BB139_30 Depth=1
	s_xor_b32 s64, s64, 1
	s_add_i32 s11, s61, -2
	s_cmp_eq_u32 s61, 0
	s_mov_b32 s7, 0
	s_cselect_b32 s9, -1, 0
	s_mov_b32 s61, s11
.LBB139_27:                             ;   in Loop: Header=BB139_30 Depth=1
	s_and_not1_b32 s11, s13, exec_lo
	s_and_b32 s7, s7, exec_lo
	s_and_not1_b32 s15, s15, exec_lo
	s_or_b32 s13, s11, s7
	s_and_not1_b32 s12, s12, exec_lo
	s_or_not1_b32 s11, s9, exec_lo
	s_mov_b32 s68, s20
.LBB139_28:                             ;   in Loop: Header=BB139_30 Depth=1
	s_or_b32 exec_lo, exec_lo, s8
	s_delay_alu instid0(SALU_CYCLE_1)
	s_and_not1_b32 s7, s62, exec_lo
	s_and_b32 s8, s13, exec_lo
	s_and_not1_b32 s9, s63, exec_lo
	s_or_b32 s62, s7, s8
	s_and_not1_b32 s7, s65, exec_lo
	s_and_b32 s8, s15, exec_lo
	s_and_b32 s12, s12, exec_lo
	s_or_b32 s65, s7, s8
	s_or_b32 s63, s9, s12
	s_or_not1_b32 s12, s11, exec_lo
.LBB139_29:                             ;   in Loop: Header=BB139_30 Depth=1
	s_or_b32 exec_lo, exec_lo, s10
	s_delay_alu instid0(SALU_CYCLE_1)
	s_and_b32 s7, exec_lo, s12
	v_mov_b32_e32 v1, s66
	s_or_b32 s39, s7, s39
	s_and_not1_b32 s7, s59, exec_lo
	s_and_b32 s8, s62, exec_lo
	s_and_not1_b32 s9, s58, exec_lo
	s_or_b32 s59, s7, s8
	s_and_not1_b32 s7, s60, exec_lo
	s_and_b32 s8, s65, exec_lo
	s_and_b32 s10, s63, exec_lo
	s_or_b32 s60, s7, s8
	s_or_b32 s58, s9, s10
	s_and_not1_b32 exec_lo, exec_lo, s39
	s_cbranch_execz .LBB139_260
.LBB139_30:                             ; =>This Loop Header: Depth=1
                                        ;     Child Loop BB139_35 Depth 2
                                        ;     Child Loop BB139_50 Depth 2
	;; [unrolled: 1-line block ×16, first 2 shown]
	ds_load_b64 v[1:2], v7 offset:4104
	s_waitcnt lgkmcnt(0)
	v_readfirstlane_b32 s69, v1
	s_delay_alu instid0(VALU_DEP_1)
	s_cmp_lg_u32 s69, 0
	s_cbranch_scc1 .LBB139_57
; %bb.31:                               ;   in Loop: Header=BB139_30 Depth=1
	s_and_b32 vcc_lo, exec_lo, s44
	s_cbranch_vccz .LBB139_43
; %bb.32:                               ;   in Loop: Header=BB139_30 Depth=1
	v_cmp_gt_u32_e32 vcc_lo, 0x601, v2
	s_mov_b32 s69, 0
	s_mov_b32 s7, 0
	s_cbranch_vccz .LBB139_44
; %bb.33:                               ;   in Loop: Header=BB139_30 Depth=1
	global_load_u16 v1, v7, s[34:35]
	global_load_u16 v4, v[9:10], off
	v_mov_b32_e32 v3, v0
	s_mov_b32 s9, 0
	s_waitcnt vmcnt(1)
	v_add_nc_u32_e32 v2, v0, v1
	s_delay_alu instid0(VALU_DEP_1)
	v_mul_lo_u32 v6, s26, v2
	v_mul_lo_u32 v2, s26, v1
	s_branch .LBB139_35
.LBB139_34:                             ;   in Loop: Header=BB139_35 Depth=2
	s_or_b32 exec_lo, exec_lo, s8
	v_add_nc_u32_e32 v6, v6, v2
	v_mov_b32_e32 v4, v28
	s_and_not1_b32 exec_lo, exec_lo, s9
	s_cbranch_execz .LBB139_145
.LBB139_35:                             ;   Parent Loop BB139_30 Depth=1
                                        ; =>  This Inner Loop Header: Depth=2
	v_dual_mov_b32 v28, 0 :: v_dual_add_nc_u32 v3, v3, v1
	s_waitcnt lgkmcnt(0)
	v_mov_b32_e32 v29, 0
	s_mov_b32 s8, exec_lo
	s_delay_alu instid0(VALU_DEP_2)
	v_cmp_le_u32_e32 vcc_lo, s24, v3
	v_cmpx_gt_u32_e64 s24, v3
	s_cbranch_execz .LBB139_37
; %bb.36:                               ;   in Loop: Header=BB139_35 Depth=2
	v_lshlrev_b64 v[30:31], 1, v[6:7]
	s_delay_alu instid0(VALU_DEP_1) | instskip(NEXT) | instid1(VALU_DEP_1)
	v_add_co_u32 v30, s7, s37, v30
	v_add_co_ci_u32_e64 v31, s7, s38, v31, s7
	global_load_u16 v28, v[30:31], off
.LBB139_37:                             ;   in Loop: Header=BB139_35 Depth=2
	s_or_b32 exec_lo, exec_lo, s8
	s_waitcnt vmcnt(0)
	v_cmp_lt_i16_e64 s7, -1, v4
	v_and_b32_e32 v30, 0xffff, v4
	v_lshlrev_b32_e32 v32, 16, v4
	s_delay_alu instid0(VALU_DEP_3) | instskip(NEXT) | instid1(VALU_DEP_2)
	v_cndmask_b32_e64 v31, 0xffff, v26, s7
	v_cmp_o_f32_e64 s7, v32, v32
	s_delay_alu instid0(VALU_DEP_2) | instskip(NEXT) | instid1(VALU_DEP_1)
	v_xor_b32_e32 v30, v31, v30
	v_cndmask_b32_e64 v30, 0xffff, v30, s7
	s_delay_alu instid0(VALU_DEP_1) | instskip(NEXT) | instid1(VALU_DEP_1)
	v_and_b32_e32 v30, s67, v30
	v_cmp_eq_u32_e64 s7, s66, v30
	s_delay_alu instid0(VALU_DEP_1) | instskip(SKIP_1) | instid1(SALU_CYCLE_1)
	s_cmp_lg_u32 s7, 0
	s_cselect_b32 s8, -1, 0
	s_and_b32 s8, s3, s8
	s_delay_alu instid0(SALU_CYCLE_1)
	s_and_saveexec_b32 s10, s8
	s_cbranch_execz .LBB139_41
; %bb.38:                               ;   in Loop: Header=BB139_35 Depth=2
	s_mov_b32 s13, exec_lo
	s_bcnt1_i32_b32 s11, s7
	v_mbcnt_lo_u32_b32 v29, s13, 0
	s_mov_b32 s12, exec_lo
                                        ; implicit-def: $vgpr30
	s_delay_alu instid0(VALU_DEP_1)
	v_cmpx_eq_u32_e32 0, v29
	s_cbranch_execz .LBB139_40
; %bb.39:                               ;   in Loop: Header=BB139_35 Depth=2
	s_bcnt1_i32_b32 s8, s13
	s_delay_alu instid0(SALU_CYCLE_1) | instskip(NEXT) | instid1(SALU_CYCLE_1)
	s_mul_i32 s8, s11, s8
	v_mov_b32_e32 v30, s8
	ds_add_rtn_u32 v30, v7, v30 offset:4112
.LBB139_40:                             ;   in Loop: Header=BB139_35 Depth=2
	s_or_b32 exec_lo, exec_lo, s12
	s_waitcnt lgkmcnt(0)
	v_readfirstlane_b32 s8, v30
	s_delay_alu instid0(VALU_DEP_1)
	v_mad_u32_u24 v29, s11, v29, s8
.LBB139_41:                             ;   in Loop: Header=BB139_35 Depth=2
	s_or_b32 exec_lo, exec_lo, s10
	ds_bpermute_b32 v29, v7, v29
	s_and_b32 s8, exec_lo, vcc_lo
	s_delay_alu instid0(SALU_CYCLE_1)
	s_or_b32 s9, s8, s9
	s_and_saveexec_b32 s8, s7
	s_cbranch_execz .LBB139_34
; %bb.42:                               ;   in Loop: Header=BB139_35 Depth=2
	v_and_b32_e32 v30, s7, v18
	s_delay_alu instid0(VALU_DEP_1) | instskip(NEXT) | instid1(VALU_DEP_1)
	v_bcnt_u32_b32 v30, v30, 0
	v_lshlrev_b32_e32 v30, 1, v30
	s_waitcnt lgkmcnt(0)
	s_delay_alu instid0(VALU_DEP_1)
	v_lshl_add_u32 v29, v29, 1, v30
	ds_store_b16 v29, v4
	s_branch .LBB139_34
.LBB139_43:                             ;   in Loop: Header=BB139_30 Depth=1
	s_mov_b32 s69, -1
	s_mov_b32 s7, 0
.LBB139_44:                             ;   in Loop: Header=BB139_30 Depth=1
	s_and_b32 vcc_lo, exec_lo, s69
	s_cbranch_vccz .LBB139_55
.LBB139_45:                             ;   in Loop: Header=BB139_30 Depth=1
	v_mov_b32_e32 v1, 0
	s_and_saveexec_b32 s7, s0
	s_cbranch_execz .LBB139_47
; %bb.46:                               ;   in Loop: Header=BB139_30 Depth=1
	global_load_u16 v1, v[9:10], off
.LBB139_47:                             ;   in Loop: Header=BB139_30 Depth=1
	s_or_b32 exec_lo, exec_lo, s7
	s_and_saveexec_b32 s8, s0
	s_cbranch_execz .LBB139_52
; %bb.48:                               ;   in Loop: Header=BB139_30 Depth=1
	global_load_u16 v2, v7, s[34:35]
	s_mov_b32 s9, 0
	v_dual_mov_b32 v28, v15 :: v_dual_mov_b32 v29, v0
	s_waitcnt vmcnt(0)
	v_add_nc_u32_e32 v3, v0, v2
	v_lshlrev_b32_e32 v4, 1, v2
	s_delay_alu instid0(VALU_DEP_2)
	v_mul_lo_u32 v6, s26, v3
	v_mul_lo_u32 v3, s26, v2
	s_set_inst_prefetch_distance 0x1
	s_branch .LBB139_50
	.p2align	6
.LBB139_49:                             ;   in Loop: Header=BB139_50 Depth=2
	s_or_b32 exec_lo, exec_lo, s10
	ds_store_b16 v28, v1
	s_waitcnt vmcnt(0)
	v_dual_mov_b32 v1, v30 :: v_dual_add_nc_u32 v28, v28, v4
	v_add_nc_u32_e32 v6, v6, v3
	s_and_b32 s7, exec_lo, vcc_lo
	s_delay_alu instid0(SALU_CYCLE_1) | instskip(NEXT) | instid1(SALU_CYCLE_1)
	s_or_b32 s9, s7, s9
	s_and_not1_b32 exec_lo, exec_lo, s9
	s_cbranch_execz .LBB139_52
.LBB139_50:                             ;   Parent Loop BB139_30 Depth=1
                                        ; =>  This Inner Loop Header: Depth=2
	v_dual_mov_b32 v30, 0 :: v_dual_add_nc_u32 v29, v29, v2
	s_mov_b32 s10, exec_lo
	s_delay_alu instid0(VALU_DEP_1)
	v_cmp_le_u32_e32 vcc_lo, s24, v29
	v_cmpx_gt_u32_e64 s24, v29
	s_cbranch_execz .LBB139_49
; %bb.51:                               ;   in Loop: Header=BB139_50 Depth=2
	v_lshlrev_b64 v[30:31], 1, v[6:7]
	s_delay_alu instid0(VALU_DEP_1) | instskip(NEXT) | instid1(VALU_DEP_1)
	v_add_co_u32 v30, s7, s37, v30
	v_add_co_ci_u32_e64 v31, s7, s38, v31, s7
	global_load_u16 v30, v[30:31], off
	s_branch .LBB139_49
.LBB139_52:                             ;   in Loop: Header=BB139_30 Depth=1
	s_set_inst_prefetch_distance 0x2
	s_or_b32 exec_lo, exec_lo, s8
	s_waitcnt vmcnt(0) lgkmcnt(0)
	s_barrier
	buffer_gl0_inv
	s_and_saveexec_b32 s7, s1
	s_cbranch_execz .LBB139_54
; %bb.53:                               ;   in Loop: Header=BB139_30 Depth=1
	v_mov_b32_e32 v1, s24
	ds_store_b32 v7, v1 offset:4104
.LBB139_54:                             ;   in Loop: Header=BB139_30 Depth=1
	s_or_b32 exec_lo, exec_lo, s7
	s_mov_b32 s7, -1
	s_waitcnt lgkmcnt(0)
	s_barrier
                                        ; implicit-def: $sgpr69
.LBB139_55:                             ;   in Loop: Header=BB139_30 Depth=1
	s_and_b32 vcc_lo, exec_lo, s7
	s_cbranch_vccz .LBB139_57
; %bb.56:                               ;   in Loop: Header=BB139_30 Depth=1
	buffer_gl0_inv
	ds_load_b32 v1, v7 offset:4104
	s_waitcnt lgkmcnt(0)
	v_readfirstlane_b32 s69, v1
.LBB139_57:                             ;   in Loop: Header=BB139_30 Depth=1
	s_delay_alu instid0(VALU_DEP_1)
	s_cmp_lt_i32 s69, 1
	s_cbranch_scc0 .LBB139_61
; %bb.58:                               ;   in Loop: Header=BB139_30 Depth=1
	v_dual_mov_b32 v1, 0 :: v_dual_mov_b32 v2, 0
	v_dual_mov_b32 v3, 0 :: v_dual_mov_b32 v4, 0
	s_mov_b32 s19, 0
	s_and_saveexec_b32 s18, s4
	s_cbranch_execnz .LBB139_62
; %bb.59:                               ;   in Loop: Header=BB139_30 Depth=1
	s_or_b32 exec_lo, exec_lo, s18
	v_mov_b32_e32 v29, 0
	s_and_saveexec_b32 s7, s5
	s_cbranch_execnz .LBB139_65
.LBB139_60:                             ;   in Loop: Header=BB139_30 Depth=1
	s_or_b32 exec_lo, exec_lo, s7
	s_and_saveexec_b32 s11, s5
	s_cbranch_execnz .LBB139_66
	s_branch .LBB139_71
.LBB139_61:                             ;   in Loop: Header=BB139_30 Depth=1
                                        ; implicit-def: $vgpr4
	s_cbranch_execnz .LBB139_72
	s_branch .LBB139_81
.LBB139_62:                             ;   in Loop: Header=BB139_30 Depth=1
	v_mov_b32_e32 v28, v14
	s_and_b32 s20, s61, 0xfe
	s_mov_b32 s70, 0
	s_mov_b32 s71, 0
	s_mov_b32 s72, 0
	s_mov_b32 s73, 0
	s_mov_b32 s74, 0
.LBB139_63:                             ;   Parent Loop BB139_30 Depth=1
                                        ; =>  This Inner Loop Header: Depth=2
	v_add_nc_u32_e32 v6, s70, v22
	v_add_nc_u32_e32 v28, s41, v28
	s_delay_alu instid0(VALU_DEP_2) | instskip(SKIP_1) | instid1(VALU_DEP_1)
	v_lshlrev_b64 v[1:2], 1, v[6:7]
	v_add_nc_u32_e32 v6, s70, v8
	v_lshlrev_b64 v[3:4], 1, v[6:7]
	s_delay_alu instid0(VALU_DEP_3) | instskip(SKIP_2) | instid1(VALU_DEP_4)
	v_add_co_u32 v1, vcc_lo, s37, v1
	v_add_nc_u32_e32 v6, s70, v20
	v_add_co_ci_u32_e32 v2, vcc_lo, s38, v2, vcc_lo
	v_add_co_u32 v3, vcc_lo, s37, v3
	s_delay_alu instid0(VALU_DEP_3)
	v_lshlrev_b64 v[29:30], 1, v[6:7]
	v_add_nc_u32_e32 v6, s70, v21
	v_add_co_ci_u32_e32 v4, vcc_lo, s38, v4, vcc_lo
	global_load_u16 v31, v[1:2], off
	s_add_i32 s70, s70, s53
	v_lshlrev_b64 v[1:2], 1, v[6:7]
	global_load_u16 v6, v[3:4], off
	v_add_co_u32 v3, vcc_lo, s37, v29
	v_add_co_ci_u32_e32 v4, vcc_lo, s38, v30, vcc_lo
	v_add_co_u32 v1, vcc_lo, s37, v1
	v_add_co_ci_u32_e32 v2, vcc_lo, s38, v2, vcc_lo
	global_load_u16 v3, v[3:4], off
	v_cmp_le_u32_e32 vcc_lo, s51, v28
	global_load_u16 v1, v[1:2], off
	s_waitcnt vmcnt(3)
	v_cmp_lt_i16_e64 s7, -1, v31
	v_and_b32_e32 v2, 0xffff, v31
	v_lshlrev_b32_e32 v29, 16, v31
	s_waitcnt vmcnt(2)
	v_and_b32_e32 v30, 0xffff, v6
	v_cndmask_b32_e64 v4, 0xffff, v26, s7
	v_cmp_lt_i16_e64 s7, -1, v6
	s_delay_alu instid0(VALU_DEP_2) | instskip(NEXT) | instid1(VALU_DEP_2)
	v_xor_b32_e32 v2, v4, v2
	v_cndmask_b32_e64 v31, 0xffff, v26, s7
	v_cmp_o_f32_e64 s7, v29, v29
	v_lshlrev_b32_e32 v4, 16, v6
	s_waitcnt vmcnt(1)
	v_cmp_lt_i16_e64 s8, -1, v3
	v_and_b32_e32 v29, 0xffff, v3
	v_xor_b32_e32 v6, v31, v30
	v_cndmask_b32_e64 v2, 0xffff, v2, s7
	v_cmp_o_f32_e64 s7, v4, v4
	v_cndmask_b32_e64 v30, 0xffff, v26, s8
	v_lshlrev_b32_e32 v3, 16, v3
	s_delay_alu instid0(VALU_DEP_4) | instskip(NEXT) | instid1(VALU_DEP_4)
	v_and_b32_e32 v31, s67, v2
	v_cndmask_b32_e64 v4, 0xffff, v6, s7
	s_waitcnt vmcnt(0)
	v_cmp_lt_i16_e64 s7, -1, v1
	v_xor_b32_e32 v6, v30, v29
	v_bfe_u32 v2, v2, s20, 2
	v_and_b32_e32 v29, 0xffff, v1
	v_lshlrev_b32_e32 v1, 16, v1
	v_cndmask_b32_e64 v30, 0xffff, v26, s7
	v_cmp_o_f32_e64 s7, v3, v3
	v_cmp_eq_u32_e64 s8, 0, v2
	v_cmp_eq_u32_e64 s9, 1, v2
	v_cmp_o_f32_e64 s12, v1, v1
	v_cmp_eq_u32_e64 s10, 2, v2
	v_cndmask_b32_e64 v3, 0xffff, v6, s7
	v_cmp_eq_u32_e64 s7, s66, v31
	v_xor_b32_e32 v6, v30, v29
	v_and_b32_e32 v29, s67, v4
	v_bfe_u32 v4, v4, s20, 2
	v_cmp_eq_u32_e64 s11, 3, v2
	s_and_b32 s8, s7, s8
	v_cndmask_b32_e64 v1, 0xffff, v6, s12
	v_cmp_eq_u32_e64 s12, s66, v29
	v_cmp_eq_u32_e64 s13, 0, v4
	v_cndmask_b32_e64 v6, 0, 1, s8
	v_cmp_eq_u32_e64 s8, 1, v4
	s_and_b32 s9, s7, s9
	v_and_b32_e32 v2, s67, v3
	v_bfe_u32 v3, v3, s20, 2
	v_cndmask_b32_e64 v29, 0, 1, s9
	v_cmp_eq_u32_e64 s9, 2, v4
	s_and_b32 s10, s7, s10
	s_and_b32 s7, s7, s11
	v_cndmask_b32_e64 v30, 0, 1, s10
	s_and_b32 s13, s12, s13
	s_and_b32 s8, s12, s8
	v_cmp_eq_u32_e64 s10, 3, v4
	v_cndmask_b32_e64 v4, 0, 1, s7
	v_cmp_eq_u32_e64 s7, s66, v2
	v_cmp_eq_u32_e64 s11, 0, v3
	v_cmp_ne_u32_e64 s14, 0, v6
	v_cndmask_b32_e64 v6, 0, 1, s13
	v_cmp_eq_u32_e64 s13, 1, v3
	v_cmp_ne_u32_e64 s15, 0, v29
	v_cndmask_b32_e64 v29, 0, 1, s8
	v_cmp_eq_u32_e64 s8, 2, v3
	s_and_b32 s9, s12, s9
	v_and_b32_e32 v2, s67, v1
	v_bfe_u32 v1, v1, s20, 2
	v_cmp_ne_u32_e64 s16, 0, v30
	v_cndmask_b32_e64 v30, 0, 1, s9
	v_cmp_eq_u32_e64 s9, 3, v3
	s_and_b32 s10, s12, s10
	s_and_b32 s11, s7, s11
	;; [unrolled: 1-line block ×4, first 2 shown]
	v_cmp_ne_u32_e64 s17, 0, v4
	v_cndmask_b32_e64 v3, 0, 1, s10
	v_cmp_eq_u32_e64 s10, s66, v2
	v_cmp_eq_u32_e64 s12, 0, v1
	s_bcnt1_i32_b32 s75, s14
	v_cmp_ne_u32_e64 s14, 0, v6
	v_cndmask_b32_e64 v2, 0, 1, s11
	v_cmp_eq_u32_e64 s11, 1, v1
	v_cndmask_b32_e64 v4, 0, 1, s13
	v_cmp_eq_u32_e64 s13, 2, v1
	;; [unrolled: 2-line block ×3, first 2 shown]
	s_and_b32 s7, s7, s9
	s_bcnt1_i32_b32 s78, s17
	v_cndmask_b32_e64 v1, 0, 1, s7
	v_cmp_ne_u32_e64 s17, 0, v3
	s_and_b32 s9, s10, s12
	s_and_b32 s11, s10, s11
	;; [unrolled: 1-line block ×4, first 2 shown]
	v_cmp_ne_u32_e64 s7, 0, v2
	v_cndmask_b32_e64 v2, 0, 1, s9
	v_cmp_ne_u32_e64 s9, 0, v4
	v_cndmask_b32_e64 v3, 0, 1, s11
	v_cndmask_b32_e64 v4, 0, 1, s12
	v_cmp_ne_u32_e64 s12, 0, v1
	v_cndmask_b32_e64 v1, 0, 1, s8
	s_bcnt1_i32_b32 s76, s15
	v_cmp_ne_u32_e64 s15, 0, v29
	s_bcnt1_i32_b32 s77, s16
	v_cmp_ne_u32_e64 s16, 0, v30
	s_add_i32 s71, s78, s71
	v_cmp_ne_u32_e64 s11, 0, v6
	s_bcnt1_i32_b32 s13, s17
	s_bcnt1_i32_b32 s17, s7
	s_add_i32 s13, s71, s13
	v_cmp_ne_u32_e64 s7, 0, v2
	s_bcnt1_i32_b32 s71, s9
	v_cmp_ne_u32_e64 s8, 0, v3
	v_cmp_ne_u32_e64 s9, 0, v4
	;; [unrolled: 1-line block ×3, first 2 shown]
	s_add_i32 s74, s75, s74
	s_add_i32 s73, s76, s73
	;; [unrolled: 1-line block ×3, first 2 shown]
	s_bcnt1_i32_b32 s14, s14
	s_bcnt1_i32_b32 s15, s15
	;; [unrolled: 1-line block ×3, first 2 shown]
	s_add_i32 s14, s74, s14
	s_add_i32 s15, s73, s15
	s_add_i32 s16, s72, s16
	s_bcnt1_i32_b32 s11, s11
	s_bcnt1_i32_b32 s12, s12
	s_add_i32 s14, s14, s17
	s_add_i32 s15, s15, s71
	s_add_i32 s11, s16, s11
	s_add_i32 s12, s13, s12
	s_bcnt1_i32_b32 s7, s7
	s_bcnt1_i32_b32 s8, s8
	;; [unrolled: 1-line block ×4, first 2 shown]
	s_add_i32 s74, s14, s7
	s_add_i32 s73, s15, s8
	s_add_i32 s72, s11, s9
	s_add_i32 s71, s12, s10
	s_delay_alu instid0(SALU_CYCLE_1) | instskip(SKIP_2) | instid1(SALU_CYCLE_1)
	v_dual_mov_b32 v1, s74 :: v_dual_mov_b32 v4, s71
	v_dual_mov_b32 v2, s73 :: v_dual_mov_b32 v3, s72
	s_or_b32 s19, vcc_lo, s19
	s_and_not1_b32 exec_lo, exec_lo, s19
	s_cbranch_execnz .LBB139_63
; %bb.64:                               ;   in Loop: Header=BB139_30 Depth=1
	s_or_b32 exec_lo, exec_lo, s19
	s_delay_alu instid0(SALU_CYCLE_1)
	s_or_b32 exec_lo, exec_lo, s18
	v_mov_b32_e32 v29, 0
	s_and_saveexec_b32 s7, s5
	s_cbranch_execz .LBB139_60
.LBB139_65:                             ;   in Loop: Header=BB139_30 Depth=1
	global_load_u16 v29, v[11:12], off
	s_or_b32 exec_lo, exec_lo, s7
	s_and_saveexec_b32 s11, s5
	s_cbranch_execz .LBB139_71
.LBB139_66:                             ;   in Loop: Header=BB139_30 Depth=1
	v_mov_b32_e32 v6, v23
	v_mov_b32_e32 v28, v19
	s_and_b32 s13, s61, 0xfe
	s_mov_b32 s12, 0
	s_branch .LBB139_68
.LBB139_67:                             ;   in Loop: Header=BB139_68 Depth=2
	s_or_b32 exec_lo, exec_lo, s8
	s_waitcnt vmcnt(0)
	v_cmp_lt_i16_e64 s7, -1, v29
	v_and_b32_e32 v31, 0xffff, v29
	v_lshlrev_b32_e32 v29, 16, v29
	s_and_b32 s8, exec_lo, vcc_lo
	v_add_nc_u32_e32 v6, s40, v6
	v_cndmask_b32_e64 v32, 0xffff, v26, s7
	s_or_b32 s12, s8, s12
	v_cmp_o_f32_e64 s7, v29, v29
	s_delay_alu instid0(VALU_DEP_2) | instskip(NEXT) | instid1(VALU_DEP_1)
	v_xor_b32_e32 v31, v32, v31
	v_cndmask_b32_e64 v29, 0xffff, v31, s7
	s_delay_alu instid0(VALU_DEP_1) | instskip(SKIP_1) | instid1(VALU_DEP_2)
	v_and_b32_e32 v31, s67, v29
	v_bfe_u32 v29, v29, s13, 2
	v_cmp_eq_u32_e32 vcc_lo, s66, v31
	s_delay_alu instid0(VALU_DEP_2) | instskip(SKIP_3) | instid1(VALU_DEP_4)
	v_cmp_eq_u32_e64 s7, 0, v29
	v_cmp_eq_u32_e64 s8, 1, v29
	;; [unrolled: 1-line block ×4, first 2 shown]
	s_and_b32 s7, vcc_lo, s7
	s_delay_alu instid0(SALU_CYCLE_1) | instskip(SKIP_1) | instid1(SALU_CYCLE_1)
	v_cndmask_b32_e64 v29, 0, 1, s7
	s_and_b32 s7, vcc_lo, s8
	v_cndmask_b32_e64 v31, 0, 1, s7
	s_and_b32 s7, vcc_lo, s9
	s_delay_alu instid0(SALU_CYCLE_1)
	v_cndmask_b32_e64 v32, 0, 1, s7
	s_and_b32 s7, vcc_lo, s10
	v_cmp_ne_u32_e32 vcc_lo, 0, v29
	v_mov_b32_e32 v29, v30
	v_cndmask_b32_e64 v33, 0, 1, s7
	v_cmp_ne_u32_e64 s7, 0, v31
	v_cmp_ne_u32_e64 s8, 0, v32
	s_bcnt1_i32_b32 s10, vcc_lo
	s_delay_alu instid0(VALU_DEP_3) | instskip(NEXT) | instid1(VALU_DEP_3)
	v_cmp_ne_u32_e64 s9, 0, v33
	s_bcnt1_i32_b32 s7, s7
	s_delay_alu instid0(VALU_DEP_2)
	s_bcnt1_i32_b32 s8, s8
	v_add_nc_u32_e32 v1, s10, v1
	v_add_nc_u32_e32 v2, s7, v2
	s_bcnt1_i32_b32 s9, s9
	v_add_nc_u32_e32 v3, s8, v3
	v_add_nc_u32_e32 v4, s9, v4
	s_and_not1_b32 exec_lo, exec_lo, s12
	s_cbranch_execz .LBB139_70
.LBB139_68:                             ;   Parent Loop BB139_30 Depth=1
                                        ; =>  This Inner Loop Header: Depth=2
	s_delay_alu instid0(VALU_DEP_1) | instskip(SKIP_2) | instid1(VALU_DEP_2)
	v_add_nc_u32_e32 v28, s27, v28
	v_mov_b32_e32 v30, 0
	s_mov_b32 s8, exec_lo
	v_cmp_le_u32_e32 vcc_lo, s24, v28
	v_cmpx_gt_u32_e64 s24, v28
	s_cbranch_execz .LBB139_67
; %bb.69:                               ;   in Loop: Header=BB139_68 Depth=2
	v_lshlrev_b64 v[30:31], 1, v[6:7]
	s_delay_alu instid0(VALU_DEP_1) | instskip(NEXT) | instid1(VALU_DEP_1)
	v_add_co_u32 v30, s7, s37, v30
	v_add_co_ci_u32_e64 v31, s7, s38, v31, s7
	global_load_u16 v30, v[30:31], off
	s_branch .LBB139_67
.LBB139_70:                             ;   in Loop: Header=BB139_30 Depth=1
	s_or_b32 exec_lo, exec_lo, s12
.LBB139_71:                             ;   in Loop: Header=BB139_30 Depth=1
	s_delay_alu instid0(SALU_CYCLE_1)
	s_or_b32 exec_lo, exec_lo, s11
	s_branch .LBB139_81
.LBB139_72:                             ;   in Loop: Header=BB139_30 Depth=1
	s_mul_hi_u32 s7, s69, s50
	v_dual_mov_b32 v1, 0 :: v_dual_mov_b32 v2, 0
	s_mul_i32 s7, s7, s41
	v_dual_mov_b32 v3, 0 :: v_dual_mov_b32 v4, 0
	s_sub_i32 s7, s69, s7
	s_mov_b32 s72, 0
	s_sub_i32 s8, s7, s41
	s_cmp_ge_u32 s7, s41
	s_mov_b32 s71, exec_lo
	s_cselect_b32 s7, s8, s7
	s_delay_alu instid0(SALU_CYCLE_1) | instskip(SKIP_2) | instid1(SALU_CYCLE_1)
	s_sub_i32 s8, s7, s41
	s_cmp_ge_u32 s7, s41
	s_cselect_b32 s7, s8, s7
	s_sub_i32 s70, s69, s7
	s_delay_alu instid0(SALU_CYCLE_1)
	v_cmpx_gt_u32_e64 s70, v14
	s_cbranch_execz .LBB139_76
; %bb.73:                               ;   in Loop: Header=BB139_30 Depth=1
	v_mov_b32_e32 v6, v24
	v_mov_b32_e32 v28, v14
	s_and_b32 s73, s61, 0xfe
	s_mov_b32 s74, 0
	s_mov_b32 s75, 0
	;; [unrolled: 1-line block ×4, first 2 shown]
.LBB139_74:                             ;   Parent Loop BB139_30 Depth=1
                                        ; =>  This Inner Loop Header: Depth=2
	ds_load_b64 v[1:2], v6
	s_waitcnt lgkmcnt(0)
	v_cmp_lt_i16_e64 s7, -1, v1
	v_lshrrev_b32_e32 v3, 16, v1
	v_lshrrev_b32_e32 v4, 16, v2
	s_waitcnt vmcnt(0)
	v_and_b32_e32 v29, 0xffff, v1
	v_lshlrev_b32_e32 v31, 16, v1
	v_cndmask_b32_e64 v30, 0xffff, v26, s7
	v_cmp_lt_i16_e64 s7, -1, v2
	v_and_b32_e32 v32, 0xffff, v2
	v_cmp_lt_i16_e64 s8, -1, v4
	v_lshlrev_b32_e32 v34, 16, v2
	v_and_b32_e32 v1, 0xffff0000, v1
	v_cndmask_b32_e64 v33, 0xffff, v26, s7
	v_cmp_lt_i16_e64 s7, -1, v3
	v_xor_b32_e32 v29, v30, v29
	v_and_b32_e32 v2, 0xffff0000, v2
	s_delay_alu instid0(VALU_DEP_4) | instskip(NEXT) | instid1(VALU_DEP_4)
	v_xor_b32_e32 v32, v33, v32
	v_cndmask_b32_e64 v30, 0xffff, v26, s7
	v_cndmask_b32_e64 v33, 0xffff, v26, s8
	v_cmp_o_f32_e64 s8, v31, v31
	v_cmp_o_f32_e64 s7, v34, v34
	s_delay_alu instid0(VALU_DEP_4) | instskip(NEXT) | instid1(VALU_DEP_4)
	v_xor_b32_e32 v3, v30, v3
	v_xor_b32_e32 v4, v33, v4
	s_delay_alu instid0(VALU_DEP_4) | instskip(SKIP_3) | instid1(VALU_DEP_4)
	v_cndmask_b32_e64 v29, 0xffff, v29, s8
	v_cmp_o_f32_e64 s8, v1, v1
	v_cndmask_b32_e64 v30, 0xffff, v32, s7
	v_cmp_o_f32_e64 s7, v2, v2
	v_and_b32_e32 v2, s67, v29
	s_delay_alu instid0(VALU_DEP_4) | instskip(SKIP_1) | instid1(VALU_DEP_4)
	v_cndmask_b32_e64 v1, 0xffff, v3, s8
	v_bfe_u32 v29, v29, s73, 2
	v_cndmask_b32_e64 v3, 0xffff, v4, s7
	v_and_b32_e32 v4, s67, v30
	v_bfe_u32 v30, v30, s73, 2
	v_cmp_eq_u32_e64 s7, s66, v2
	v_and_b32_e32 v2, s67, v1
	v_bfe_u32 v1, v1, s73, 2
	v_cmp_eq_u32_e64 s9, 0, v29
	v_cmp_eq_u32_e64 s11, 1, v29
	v_cmp_eq_u32_e64 s13, 2, v29
	v_cmp_eq_u32_e64 s8, s66, v4
	v_cmp_eq_u32_e64 s10, 0, v30
	v_cmp_eq_u32_e64 s12, 1, v30
	v_cmp_eq_u32_e64 s14, 2, v30
	v_cmp_eq_u32_e64 s15, 3, v29
	v_and_b32_e32 v4, s67, v3
	v_bfe_u32 v3, v3, s73, 2
	v_cmp_eq_u32_e64 s16, 3, v30
	v_cmp_eq_u32_e64 s17, s66, v2
	;; [unrolled: 1-line block ×3, first 2 shown]
	s_and_b32 s9, s7, s9
	s_and_b32 s11, s7, s11
	;; [unrolled: 1-line block ×3, first 2 shown]
	v_cndmask_b32_e64 v2, 0, 1, s9
	s_and_b32 s9, s8, s10
	v_cndmask_b32_e64 v29, 0, 1, s11
	s_and_b32 s11, s8, s12
	;; [unrolled: 2-line block ×3, first 2 shown]
	s_and_b32 s7, s7, s15
	v_cmp_eq_u32_e64 s18, s66, v4
	v_cmp_eq_u32_e64 s20, 0, v3
	v_cndmask_b32_e64 v4, 0, 1, s9
	v_cmp_eq_u32_e64 s9, 1, v1
	v_cmp_eq_u32_e64 s10, 1, v3
	v_cndmask_b32_e64 v30, 0, 1, s11
	v_cmp_eq_u32_e64 s11, 2, v1
	v_cmp_eq_u32_e64 s12, 2, v3
	v_cndmask_b32_e64 v32, 0, 1, s13
	v_cmp_eq_u32_e64 s13, 3, v1
	v_cndmask_b32_e64 v1, 0, 1, s7
	s_and_b32 s7, s8, s16
	s_and_b32 s8, s17, s19
	v_cmp_eq_u32_e64 s14, 3, v3
	v_cndmask_b32_e64 v3, 0, 1, s7
	v_cmp_ne_u32_e64 s7, 0, v2
	v_cndmask_b32_e64 v2, 0, 1, s8
	s_and_b32 s15, s18, s20
	s_and_b32 s9, s17, s9
	s_and_b32 s10, s18, s10
	s_and_b32 s11, s17, s11
	s_and_b32 s12, s18, s12
	s_and_b32 s13, s17, s13
	v_cmp_ne_u32_e64 s8, 0, v4
	v_cndmask_b32_e64 v4, 0, 1, s15
	v_cmp_ne_u32_e64 s15, 0, v29
	v_cndmask_b32_e64 v29, 0, 1, s9
	;; [unrolled: 2-line block ×6, first 2 shown]
	s_bcnt1_i32_b32 s16, s7
	v_cmp_ne_u32_e64 s7, 0, v2
	s_and_b32 s14, s18, s14
	v_cmp_ne_u32_e64 s13, 0, v3
	v_cndmask_b32_e64 v3, 0, 1, s14
	s_bcnt1_i32_b32 s17, s8
	v_cmp_ne_u32_e64 s8, 0, v4
	v_cmp_ne_u32_e64 s14, 0, v29
	s_bcnt1_i32_b32 s19, s10
	v_cmp_ne_u32_e64 s10, 0, v31
	s_bcnt1_i32_b32 s78, s12
	v_cmp_ne_u32_e64 s12, 0, v1
	s_add_i32 s16, s16, s77
	s_bcnt1_i32_b32 s7, s7
	s_bcnt1_i32_b32 s15, s15
	s_add_i32 s7, s16, s7
	s_bcnt1_i32_b32 s18, s9
	v_cmp_ne_u32_e64 s9, 0, v30
	s_bcnt1_i32_b32 s20, s11
	v_cmp_ne_u32_e64 s11, 0, v32
	;; [unrolled: 2-line block ×3, first 2 shown]
	s_bcnt1_i32_b32 s8, s8
	s_add_i32 s7, s7, s17
	s_add_i32 s15, s15, s76
	;; [unrolled: 1-line block ×4, first 2 shown]
	s_bcnt1_i32_b32 s14, s14
	s_bcnt1_i32_b32 s10, s10
	;; [unrolled: 1-line block ×3, first 2 shown]
	s_add_i32 s77, s7, s8
	s_delay_alu instid0(SALU_CYCLE_1)
	v_dual_mov_b32 v1, s77 :: v_dual_add_nc_u32 v28, s41, v28
	s_add_i32 s14, s15, s14
	s_add_i32 s10, s19, s10
	;; [unrolled: 1-line block ×3, first 2 shown]
	s_bcnt1_i32_b32 s9, s9
	s_bcnt1_i32_b32 s11, s11
	;; [unrolled: 1-line block ×3, first 2 shown]
	s_add_i32 s14, s14, s18
	s_add_i32 s10, s10, s20
	;; [unrolled: 1-line block ×3, first 2 shown]
	v_cmp_le_u32_e32 vcc_lo, s70, v28
	s_add_i32 s76, s14, s9
	s_add_i32 s75, s10, s11
	;; [unrolled: 1-line block ×3, first 2 shown]
	v_dual_mov_b32 v3, s75 :: v_dual_add_nc_u32 v6, s55, v6
	v_mov_b32_e32 v2, s76
	v_mov_b32_e32 v4, s74
	s_or_b32 s72, vcc_lo, s72
	s_delay_alu instid0(SALU_CYCLE_1)
	s_and_not1_b32 exec_lo, exec_lo, s72
	s_cbranch_execnz .LBB139_74
; %bb.75:                               ;   in Loop: Header=BB139_30 Depth=1
	s_or_b32 exec_lo, exec_lo, s72
.LBB139_76:                             ;   in Loop: Header=BB139_30 Depth=1
	s_delay_alu instid0(SALU_CYCLE_1) | instskip(SKIP_2) | instid1(VALU_DEP_1)
	s_or_b32 exec_lo, exec_lo, s71
	v_add_nc_u32_e32 v6, s70, v0
	s_mov_b32 s12, exec_lo
	v_cmpx_gt_u32_e64 s69, v6
	s_cbranch_execz .LBB139_80
; %bb.77:                               ;   in Loop: Header=BB139_30 Depth=1
	v_lshlrev_b32_e32 v28, 1, v6
	s_and_b32 s14, s61, 0xfe
	s_mov_b32 s13, 0
.LBB139_78:                             ;   Parent Loop BB139_30 Depth=1
                                        ; =>  This Inner Loop Header: Depth=2
	s_waitcnt vmcnt(0)
	ds_load_u16 v29, v28
	v_add_nc_u32_e32 v6, s27, v6
	v_add_nc_u32_e32 v28, s56, v28
	s_delay_alu instid0(VALU_DEP_2) | instskip(SKIP_4) | instid1(VALU_DEP_3)
	v_cmp_le_u32_e32 vcc_lo, s69, v6
	s_waitcnt lgkmcnt(0)
	v_cmp_lt_i16_e64 s7, -1, v29
	v_and_b32_e32 v30, 0xffff, v29
	v_lshlrev_b32_e32 v29, 16, v29
	v_cndmask_b32_e64 v31, 0xffff, v26, s7
	s_delay_alu instid0(VALU_DEP_2) | instskip(NEXT) | instid1(VALU_DEP_2)
	v_cmp_o_f32_e64 s7, v29, v29
	v_xor_b32_e32 v30, v31, v30
	s_delay_alu instid0(VALU_DEP_1) | instskip(NEXT) | instid1(VALU_DEP_1)
	v_cndmask_b32_e64 v29, 0xffff, v30, s7
	v_and_b32_e32 v30, s67, v29
	v_bfe_u32 v29, v29, s14, 2
	s_delay_alu instid0(VALU_DEP_2) | instskip(NEXT) | instid1(VALU_DEP_2)
	v_cmp_eq_u32_e64 s7, s66, v30
	v_cmp_eq_u32_e64 s8, 0, v29
	;; [unrolled: 1-line block ×5, first 2 shown]
	s_delay_alu instid0(VALU_DEP_4) | instskip(NEXT) | instid1(SALU_CYCLE_1)
	s_and_b32 s8, s7, s8
	v_cndmask_b32_e64 v29, 0, 1, s8
	s_and_b32 s8, s7, s9
	s_delay_alu instid0(SALU_CYCLE_1)
	v_cndmask_b32_e64 v30, 0, 1, s8
	s_and_b32 s8, s7, s10
	s_and_b32 s7, s7, s11
	v_cndmask_b32_e64 v31, 0, 1, s8
	v_cndmask_b32_e64 v32, 0, 1, s7
	v_cmp_ne_u32_e64 s7, 0, v29
	v_cmp_ne_u32_e64 s8, 0, v30
	s_delay_alu instid0(VALU_DEP_4) | instskip(NEXT) | instid1(VALU_DEP_4)
	v_cmp_ne_u32_e64 s9, 0, v31
	v_cmp_ne_u32_e64 s10, 0, v32
	s_delay_alu instid0(VALU_DEP_4) | instskip(NEXT) | instid1(VALU_DEP_3)
	s_bcnt1_i32_b32 s7, s7
	s_bcnt1_i32_b32 s8, s8
	v_add_nc_u32_e32 v1, s7, v1
	s_bcnt1_i32_b32 s9, s9
	s_bcnt1_i32_b32 s10, s10
	v_add_nc_u32_e32 v2, s8, v2
	v_add_nc_u32_e32 v3, s9, v3
	v_add_nc_u32_e32 v4, s10, v4
	s_or_b32 s13, vcc_lo, s13
	s_delay_alu instid0(SALU_CYCLE_1)
	s_and_not1_b32 exec_lo, exec_lo, s13
	s_cbranch_execnz .LBB139_78
; %bb.79:                               ;   in Loop: Header=BB139_30 Depth=1
	s_or_b32 exec_lo, exec_lo, s13
.LBB139_80:                             ;   in Loop: Header=BB139_30 Depth=1
	s_delay_alu instid0(SALU_CYCLE_1)
	s_or_b32 exec_lo, exec_lo, s12
.LBB139_81:                             ;   in Loop: Header=BB139_30 Depth=1
	s_lshl_b32 s7, s64, 7
	s_and_saveexec_b32 s8, s3
	s_cbranch_execz .LBB139_83
; %bb.82:                               ;   in Loop: Header=BB139_30 Depth=1
	v_or_b32_e32 v6, s7, v17
	s_delay_alu instid0(VALU_DEP_1)
	v_lshlrev_b32_e32 v6, 2, v6
	ds_store_b128 v6, v[1:4] offset:3072
.LBB139_83:                             ;   in Loop: Header=BB139_30 Depth=1
	s_or_b32 exec_lo, exec_lo, s8
	s_waitcnt vmcnt(0) lgkmcnt(0)
	s_barrier
	buffer_gl0_inv
	s_and_saveexec_b32 s8, s42
	s_cbranch_execz .LBB139_93
; %bb.84:                               ;   in Loop: Header=BB139_30 Depth=1
	v_mov_b32_e32 v1, 0
	s_and_not1_b32 vcc_lo, exec_lo, s45
	s_cbranch_vccnz .LBB139_92
; %bb.85:                               ;   in Loop: Header=BB139_30 Depth=1
	v_mov_b32_e32 v1, 0
	s_and_not1_b32 vcc_lo, exec_lo, s47
	s_mov_b32 s9, 0
	s_cbranch_vccnz .LBB139_89
; %bb.86:                               ;   in Loop: Header=BB139_30 Depth=1
	v_lshl_add_u32 v2, s64, 9, v25
	v_mov_b32_e32 v1, 0
	.p2align	6
.LBB139_87:                             ;   Parent Loop BB139_30 Depth=1
                                        ; =>  This Inner Loop Header: Depth=2
	ds_load_2addr_b32 v[3:4], v2 offset1:4
	ds_load_2addr_b32 v[28:29], v2 offset0:8 offset1:12
	ds_load_2addr_b32 v[30:31], v2 offset0:16 offset1:20
	;; [unrolled: 1-line block ×3, first 2 shown]
	v_add_nc_u32_e32 v2, 0x80, v2
	s_add_i32 s9, s9, 8
	s_delay_alu instid0(SALU_CYCLE_1) | instskip(SKIP_3) | instid1(VALU_DEP_1)
	s_cmp_eq_u32 s48, s9
	s_waitcnt lgkmcnt(3)
	v_add3_u32 v1, v3, v1, v4
	s_waitcnt lgkmcnt(2)
	v_add3_u32 v1, v28, v1, v29
	s_waitcnt lgkmcnt(1)
	s_delay_alu instid0(VALU_DEP_1) | instskip(SKIP_1) | instid1(VALU_DEP_1)
	v_add3_u32 v1, v30, v1, v31
	s_waitcnt lgkmcnt(0)
	v_add3_u32 v1, v32, v1, v33
	s_cbranch_scc0 .LBB139_87
; %bb.88:                               ;   in Loop: Header=BB139_30 Depth=1
	s_mov_b32 s9, s48
.LBB139_89:                             ;   in Loop: Header=BB139_30 Depth=1
	s_and_not1_b32 vcc_lo, exec_lo, s49
	s_cbranch_vccnz .LBB139_92
; %bb.90:                               ;   in Loop: Header=BB139_30 Depth=1
	s_lshl_b32 s10, s64, 9
	s_lshl_b32 s9, s9, 4
	s_delay_alu instid0(SALU_CYCLE_1)
	v_add3_u32 v2, s10, s9, v25
	s_mov_b32 s9, s46
.LBB139_91:                             ;   Parent Loop BB139_30 Depth=1
                                        ; =>  This Inner Loop Header: Depth=2
	ds_load_b32 v3, v2
	v_add_nc_u32_e32 v2, 16, v2
	s_add_i32 s9, s9, -1
	s_delay_alu instid0(SALU_CYCLE_1)
	s_cmp_lg_u32 s9, 0
	s_waitcnt lgkmcnt(0)
	v_add_nc_u32_e32 v1, v3, v1
	s_cbranch_scc1 .LBB139_91
.LBB139_92:                             ;   in Loop: Header=BB139_30 Depth=1
	v_add_lshl_u32 v2, s7, v13, 2
	ds_store_b32 v2, v1 offset:3072
.LBB139_93:                             ;   in Loop: Header=BB139_30 Depth=1
	s_or_b32 exec_lo, exec_lo, s8
	s_lshl_b32 s7, s7, 2
	s_waitcnt lgkmcnt(0)
	v_mov_b32_e32 v1, s7
	s_barrier
	buffer_gl0_inv
	s_and_b32 s16, s61, 0xfe
	s_mov_b32 s12, -1
	ds_load_b128 v[1:4], v1 offset:3072
	s_lshl_b32 s9, 3, s16
	s_delay_alu instid0(SALU_CYCLE_1) | instskip(SKIP_4) | instid1(VALU_DEP_3)
	s_not_b32 s17, s9
	s_waitcnt lgkmcnt(0)
	v_readfirstlane_b32 s11, v1
	v_readfirstlane_b32 s19, v2
	;; [unrolled: 1-line block ×3, first 2 shown]
	s_cmp_eq_u32 s11, 1
	s_cselect_b32 s7, -1, 0
	s_cmp_eq_u32 s68, 1
	s_cselect_b32 s8, -1, 0
	s_delay_alu instid0(SALU_CYCLE_1)
	s_and_b32 s13, s7, s8
	v_readfirstlane_b32 s8, v4
	s_and_b32 vcc_lo, exec_lo, s13
	s_cbranch_vccz .LBB139_105
; %bb.94:                               ;   in Loop: Header=BB139_30 Depth=1
	ds_load_b32 v1, v7 offset:4104
	s_waitcnt lgkmcnt(0)
	s_barrier
	buffer_gl0_inv
	v_readfirstlane_b32 s10, v1
	s_and_saveexec_b32 s7, s2
	s_cbranch_execz .LBB139_96
; %bb.95:                               ;   in Loop: Header=BB139_30 Depth=1
	ds_store_b16 v16, v7
.LBB139_96:                             ;   in Loop: Header=BB139_30 Depth=1
	s_or_b32 exec_lo, exec_lo, s7
	s_and_b32 s66, s66, s17
	s_or_b32 s67, s67, s9
	s_cmp_eq_u32 s10, 0
	s_waitcnt lgkmcnt(0)
	s_barrier
	buffer_gl0_inv
	s_cbranch_scc1 .LBB139_106
; %bb.97:                               ;   in Loop: Header=BB139_30 Depth=1
	s_add_i32 s7, s10, s43
                                        ; implicit-def: $vgpr27
	s_delay_alu instid0(SALU_CYCLE_1) | instskip(NEXT) | instid1(SALU_CYCLE_1)
	s_mul_hi_u32 s15, s7, s52
	s_mul_i32 s15, s15, s27
	s_delay_alu instid0(SALU_CYCLE_1) | instskip(NEXT) | instid1(SALU_CYCLE_1)
	s_sub_i32 s15, s7, s15
	s_sub_i32 s18, s15, s27
	s_cmp_ge_u32 s15, s27
	s_cselect_b32 s15, s18, s15
	s_delay_alu instid0(SALU_CYCLE_1) | instskip(SKIP_2) | instid1(SALU_CYCLE_1)
	s_sub_i32 s18, s15, s27
	s_cmp_ge_u32 s15, s27
	s_cselect_b32 s15, s18, s15
	s_sub_i32 s18, s7, s15
	s_mov_b32 s7, 0
	s_mov_b32 s15, exec_lo
	v_cmpx_gt_u32_e64 s18, v0
	s_cbranch_execz .LBB139_108
; %bb.98:                               ;   in Loop: Header=BB139_30 Depth=1
	v_dual_mov_b32 v1, v15 :: v_dual_mov_b32 v2, v0
	s_mov_b32 s20, 0
                                        ; implicit-def: $sgpr69
	s_branch .LBB139_100
.LBB139_99:                             ;   in Loop: Header=BB139_100 Depth=2
	s_or_b32 exec_lo, exec_lo, s7
	s_waitcnt lgkmcnt(0)
	s_barrier
	buffer_gl0_inv
	ds_load_b32 v3, v7 offset:3072
	v_add_nc_u32_e32 v2, s27, v2
	v_add_nc_u32_e32 v1, s56, v1
	s_waitcnt lgkmcnt(0)
	s_barrier
	buffer_gl0_inv
	v_cmp_le_u32_e32 vcc_lo, s18, v2
	v_and_b32_e32 v4, 0x7fff, v3
	s_delay_alu instid0(VALU_DEP_1) | instskip(NEXT) | instid1(VALU_DEP_1)
	v_cmp_ne_u16_e64 s7, 0, v4
	s_or_b32 s70, vcc_lo, s7
	s_delay_alu instid0(SALU_CYCLE_1) | instskip(NEXT) | instid1(SALU_CYCLE_1)
	s_and_b32 s70, exec_lo, s70
	s_or_b32 s20, s70, s20
	s_and_not1_b32 s69, s69, exec_lo
	s_and_b32 s7, s7, exec_lo
	s_delay_alu instid0(SALU_CYCLE_1)
	s_or_b32 s69, s69, s7
	s_and_not1_b32 exec_lo, exec_lo, s20
	s_cbranch_execz .LBB139_107
.LBB139_100:                            ;   Parent Loop BB139_30 Depth=1
                                        ; =>  This Inner Loop Header: Depth=2
	s_delay_alu instid0(VALU_DEP_1)
	v_cmp_gt_u32_e32 vcc_lo, s10, v2
	v_mov_b32_e32 v3, 0
	s_and_saveexec_b32 s7, vcc_lo
	s_cbranch_execz .LBB139_102
; %bb.101:                              ;   in Loop: Header=BB139_100 Depth=2
	ds_load_u16 v3, v1
.LBB139_102:                            ;   in Loop: Header=BB139_100 Depth=2
	s_or_b32 exec_lo, exec_lo, s7
	s_and_saveexec_b32 s7, vcc_lo
	s_cbranch_execz .LBB139_99
; %bb.103:                              ;   in Loop: Header=BB139_100 Depth=2
	s_waitcnt lgkmcnt(0)
	v_cmp_lt_i16_e32 vcc_lo, -1, v3
	v_and_b32_e32 v4, 0xffff, v3
	v_dual_cndmask_b32 v6, 0xffff, v26 :: v_dual_lshlrev_b32 v27, 16, v3
	s_delay_alu instid0(VALU_DEP_1) | instskip(NEXT) | instid1(VALU_DEP_2)
	v_cmp_o_f32_e32 vcc_lo, v27, v27
	v_xor_b32_e32 v4, v6, v4
	s_delay_alu instid0(VALU_DEP_1) | instskip(NEXT) | instid1(VALU_DEP_1)
	v_cndmask_b32_e32 v4, 0xffff, v4, vcc_lo
	v_and_b32_e32 v4, s67, v4
	s_delay_alu instid0(VALU_DEP_1)
	v_cmp_eq_u32_e32 vcc_lo, s66, v4
	s_and_b32 exec_lo, exec_lo, vcc_lo
	s_cbranch_execz .LBB139_99
; %bb.104:                              ;   in Loop: Header=BB139_100 Depth=2
	v_perm_b32 v3, v3, s57, 0x5040100
	ds_store_b32 v7, v3 offset:3072
	s_branch .LBB139_99
.LBB139_105:                            ;   in Loop: Header=BB139_30 Depth=1
	s_mov_b32 s7, -1
                                        ; implicit-def: $sgpr10
                                        ; implicit-def: $sgpr18
                                        ; implicit-def: $sgpr15
	s_branch .LBB139_119
.LBB139_106:                            ;   in Loop: Header=BB139_30 Depth=1
	s_mov_b32 s10, -1
	s_mov_b32 s7, 0
                                        ; implicit-def: $sgpr15
                                        ; implicit-def: $vgpr27
	s_mov_b32 s18, s10
	s_cbranch_execnz .LBB139_109
	s_branch .LBB139_119
.LBB139_107:                            ;   in Loop: Header=BB139_30 Depth=1
	s_or_b32 exec_lo, exec_lo, s20
	v_lshrrev_b32_e32 v27, 16, v3
	s_and_b32 s7, s69, exec_lo
.LBB139_108:                            ;   in Loop: Header=BB139_30 Depth=1
	s_or_b32 exec_lo, exec_lo, s15
	s_mov_b32 s15, -1
	s_mov_b32 s10, 0
	s_delay_alu instid0(SALU_CYCLE_1)
	s_mov_b32 s18, s10
	s_branch .LBB139_119
.LBB139_109:                            ;   in Loop: Header=BB139_30 Depth=1
	s_mov_b32 s7, 0
                                        ; implicit-def: $vgpr27
	s_and_saveexec_b32 s10, s6
	s_cbranch_execz .LBB139_118
; %bb.110:                              ;   in Loop: Header=BB139_30 Depth=1
	v_dual_mov_b32 v6, v5 :: v_dual_mov_b32 v1, v0
	s_mov_b32 s15, 0
                                        ; implicit-def: $sgpr18
	s_branch .LBB139_112
.LBB139_111:                            ;   in Loop: Header=BB139_112 Depth=2
	s_or_b32 exec_lo, exec_lo, s7
	s_waitcnt vmcnt(0) lgkmcnt(0)
	s_barrier
	buffer_gl0_inv
	ds_load_b32 v2, v7 offset:3072
	v_add_nc_u32_e32 v1, s27, v1
	v_add_nc_u32_e32 v6, s40, v6
	s_waitcnt lgkmcnt(0)
	s_barrier
	buffer_gl0_inv
	v_cmp_le_u32_e32 vcc_lo, s54, v1
	v_and_b32_e32 v3, 0x7fff, v2
	s_delay_alu instid0(VALU_DEP_1) | instskip(NEXT) | instid1(VALU_DEP_1)
	v_cmp_ne_u16_e64 s7, 0, v3
	s_or_b32 s20, vcc_lo, s7
	s_delay_alu instid0(SALU_CYCLE_1) | instskip(NEXT) | instid1(SALU_CYCLE_1)
	s_and_b32 s20, exec_lo, s20
	s_or_b32 s15, s20, s15
	s_and_not1_b32 s18, s18, exec_lo
	s_and_b32 s7, s7, exec_lo
	s_delay_alu instid0(SALU_CYCLE_1)
	s_or_b32 s18, s18, s7
	s_and_not1_b32 exec_lo, exec_lo, s15
	s_cbranch_execz .LBB139_117
.LBB139_112:                            ;   Parent Loop BB139_30 Depth=1
                                        ; =>  This Inner Loop Header: Depth=2
	s_delay_alu instid0(VALU_DEP_1)
	v_cmp_gt_u32_e32 vcc_lo, s24, v1
	v_mov_b32_e32 v2, 0
	s_and_saveexec_b32 s20, vcc_lo
	s_cbranch_execz .LBB139_114
; %bb.113:                              ;   in Loop: Header=BB139_112 Depth=2
	v_lshlrev_b64 v[2:3], 1, v[6:7]
	s_delay_alu instid0(VALU_DEP_1) | instskip(NEXT) | instid1(VALU_DEP_1)
	v_add_co_u32 v2, s7, s37, v2
	v_add_co_ci_u32_e64 v3, s7, s38, v3, s7
	global_load_u16 v2, v[2:3], off
.LBB139_114:                            ;   in Loop: Header=BB139_112 Depth=2
	s_or_b32 exec_lo, exec_lo, s20
	s_and_saveexec_b32 s7, vcc_lo
	s_cbranch_execz .LBB139_111
; %bb.115:                              ;   in Loop: Header=BB139_112 Depth=2
	s_waitcnt vmcnt(0)
	v_cmp_lt_i16_e32 vcc_lo, -1, v2
	v_and_b32_e32 v3, 0xffff, v2
	v_lshlrev_b32_e32 v27, 16, v2
	v_cndmask_b32_e32 v4, 0xffff, v26, vcc_lo
	s_delay_alu instid0(VALU_DEP_2) | instskip(NEXT) | instid1(VALU_DEP_2)
	v_cmp_o_f32_e32 vcc_lo, v27, v27
	v_xor_b32_e32 v3, v4, v3
	s_delay_alu instid0(VALU_DEP_1) | instskip(NEXT) | instid1(VALU_DEP_1)
	v_cndmask_b32_e32 v3, 0xffff, v3, vcc_lo
	v_and_b32_e32 v3, s67, v3
	s_delay_alu instid0(VALU_DEP_1)
	v_cmp_eq_u32_e32 vcc_lo, s66, v3
	s_and_b32 exec_lo, exec_lo, vcc_lo
	s_cbranch_execz .LBB139_111
; %bb.116:                              ;   in Loop: Header=BB139_112 Depth=2
	v_perm_b32 v2, v2, s57, 0x5040100
	ds_store_b32 v7, v2 offset:3072
	s_branch .LBB139_111
.LBB139_117:                            ;   in Loop: Header=BB139_30 Depth=1
	s_or_b32 exec_lo, exec_lo, s15
	v_lshrrev_b32_e32 v27, 16, v2
	s_and_b32 s7, s18, exec_lo
.LBB139_118:                            ;   in Loop: Header=BB139_30 Depth=1
	s_or_b32 exec_lo, exec_lo, s10
	s_mov_b32 s18, -1
	s_mov_b32 s10, 0
	s_mov_b32 s15, 0
.LBB139_119:                            ;   in Loop: Header=BB139_30 Depth=1
	s_and_not1_b32 s20, s62, exec_lo
	s_and_b32 s10, s10, exec_lo
	s_and_b32 s18, s18, exec_lo
	s_or_b32 s62, s20, s10
	s_and_not1_b32 s10, s65, exec_lo
	s_and_not1_b32 s20, s63, exec_lo
	s_and_b32 s15, s15, exec_lo
	s_or_b32 s65, s10, s18
	s_or_b32 s63, s20, s15
	s_and_saveexec_b32 s10, s7
	s_cbranch_execz .LBB139_29
; %bb.120:                              ;   in Loop: Header=BB139_30 Depth=1
	s_xor_b32 s7, s13, -1
	s_mov_b32 s12, 0
	s_and_not1_b32 vcc_lo, exec_lo, s7
	s_mov_b32 s20, 1
	s_cbranch_vccnz .LBB139_131
; %bb.121:                              ;   in Loop: Header=BB139_30 Depth=1
	s_cmp_gt_u32 s68, s11
	s_mov_b32 s12, -1
                                        ; implicit-def: $sgpr7
                                        ; implicit-def: $sgpr13
                                        ; implicit-def: $sgpr15
	s_cbranch_scc1 .LBB139_127
; %bb.122:                              ;   in Loop: Header=BB139_30 Depth=1
	ds_load_b32 v1, v7 offset:4104
	s_waitcnt lgkmcnt(0)
	v_cmp_ne_u32_e32 vcc_lo, 0, v1
	s_cbranch_vccnz .LBB139_126
; %bb.123:                              ;   in Loop: Header=BB139_30 Depth=1
	s_and_saveexec_b32 s7, s1
	s_cbranch_execz .LBB139_125
; %bb.124:                              ;   in Loop: Header=BB139_30 Depth=1
	v_mov_b32_e32 v1, s11
	ds_store_b32 v7, v1 offset:4108
.LBB139_125:                            ;   in Loop: Header=BB139_30 Depth=1
	s_or_b32 exec_lo, exec_lo, s7
	s_waitcnt lgkmcnt(0)
	s_barrier
	buffer_gl0_inv
.LBB139_126:                            ;   in Loop: Header=BB139_30 Depth=1
	s_and_b32 s13, s66, s17
	s_or_b32 s15, s67, s9
	s_mov_b32 s12, 0
	s_mov_b32 s7, 8
.LBB139_127:                            ;   in Loop: Header=BB139_30 Depth=1
	s_and_not1_b32 vcc_lo, exec_lo, s12
	s_cbranch_vccnz .LBB139_129
; %bb.128:                              ;   in Loop: Header=BB139_30 Depth=1
	s_sub_i32 s68, s68, s11
	s_mov_b32 s12, -1
	s_mov_b32 s7, 0
	s_mov_b32 s13, s66
	;; [unrolled: 1-line block ×3, first 2 shown]
.LBB139_129:                            ;   in Loop: Header=BB139_30 Depth=1
	s_delay_alu instid0(SALU_CYCLE_1)
	s_mov_b32 s67, s15
	s_mov_b32 s66, s13
	s_mov_b32 s20, s68
	s_and_b32 vcc_lo, exec_lo, s12
	s_mov_b32 s11, -1
	s_cbranch_vccnz .LBB139_132
.LBB139_130:                            ;   in Loop: Header=BB139_30 Depth=1
	s_mov_b32 s70, -1
                                        ; implicit-def: $sgpr12
                                        ; implicit-def: $sgpr15
                                        ; implicit-def: $sgpr13
                                        ; implicit-def: $sgpr68
	s_delay_alu instid0(SALU_CYCLE_1) | instskip(NEXT) | instid1(SALU_CYCLE_1)
	s_and_saveexec_b32 s8, s70
	s_xor_b32 s8, exec_lo, s8
	s_cbranch_execz .LBB139_28
	s_branch .LBB139_258
.LBB139_131:                            ;   in Loop: Header=BB139_30 Depth=1
	s_mov_b32 s7, 1
	s_and_b32 vcc_lo, exec_lo, s12
	s_mov_b32 s11, -1
	s_cbranch_vccz .LBB139_130
.LBB139_132:                            ;   in Loop: Header=BB139_30 Depth=1
	s_cmp_eq_u32 s19, 1
	s_mov_b32 s69, -1
	s_cselect_b32 s7, -1, 0
	s_cmp_eq_u32 s20, 1
	s_cselect_b32 s12, -1, 0
	s_delay_alu instid0(SALU_CYCLE_1) | instskip(NEXT) | instid1(SALU_CYCLE_1)
	s_and_b32 s68, s7, s12
	s_and_b32 vcc_lo, exec_lo, s68
	s_cbranch_vccz .LBB139_144
; %bb.133:                              ;   in Loop: Header=BB139_30 Depth=1
	ds_load_b32 v1, v7 offset:4104
	s_waitcnt lgkmcnt(0)
	s_barrier
	buffer_gl0_inv
	v_readfirstlane_b32 s12, v1
	s_and_saveexec_b32 s7, s2
	s_cbranch_execz .LBB139_135
; %bb.134:                              ;   in Loop: Header=BB139_30 Depth=1
	ds_store_b16 v16, v7
.LBB139_135:                            ;   in Loop: Header=BB139_30 Depth=1
	s_or_b32 exec_lo, exec_lo, s7
	s_lshl_b32 s7, 1, s16
	s_and_b32 s13, s66, s17
	s_or_b32 s67, s67, s9
	s_or_b32 s66, s13, s7
	s_cmp_eq_u32 s12, 0
	s_waitcnt lgkmcnt(0)
	s_barrier
	buffer_gl0_inv
	s_cbranch_scc1 .LBB139_148
; %bb.136:                              ;   in Loop: Header=BB139_30 Depth=1
	s_add_i32 s7, s12, s43
	s_mov_b32 s69, 0
	s_mul_hi_u32 s13, s7, s52
                                        ; implicit-def: $vgpr27
	s_delay_alu instid0(SALU_CYCLE_1) | instskip(NEXT) | instid1(SALU_CYCLE_1)
	s_mul_i32 s13, s13, s27
	s_sub_i32 s13, s7, s13
	s_delay_alu instid0(SALU_CYCLE_1) | instskip(SKIP_2) | instid1(SALU_CYCLE_1)
	s_sub_i32 s15, s13, s27
	s_cmp_ge_u32 s13, s27
	s_cselect_b32 s13, s15, s13
	s_sub_i32 s15, s13, s27
	s_cmp_ge_u32 s13, s27
	s_cselect_b32 s13, s15, s13
	s_delay_alu instid0(SALU_CYCLE_1)
	s_sub_i32 s15, s7, s13
	s_mov_b32 s13, exec_lo
	v_cmpx_gt_u32_e64 s15, v0
	s_cbranch_execz .LBB139_150
; %bb.137:                              ;   in Loop: Header=BB139_30 Depth=1
	v_dual_mov_b32 v1, v15 :: v_dual_mov_b32 v2, v0
	s_mov_b32 s18, 0
                                        ; implicit-def: $sgpr69
	s_branch .LBB139_139
.LBB139_138:                            ;   in Loop: Header=BB139_139 Depth=2
	s_or_b32 exec_lo, exec_lo, s7
	s_waitcnt lgkmcnt(0)
	s_barrier
	buffer_gl0_inv
	ds_load_b32 v3, v7 offset:3072
	v_add_nc_u32_e32 v2, s27, v2
	v_add_nc_u32_e32 v1, s56, v1
	s_waitcnt lgkmcnt(0)
	s_barrier
	buffer_gl0_inv
	v_cmp_le_u32_e32 vcc_lo, s15, v2
	v_and_b32_e32 v4, 0x7fff, v3
	s_delay_alu instid0(VALU_DEP_1) | instskip(NEXT) | instid1(VALU_DEP_1)
	v_cmp_ne_u16_e64 s7, 0, v4
	s_or_b32 s70, vcc_lo, s7
	s_delay_alu instid0(SALU_CYCLE_1) | instskip(NEXT) | instid1(SALU_CYCLE_1)
	s_and_b32 s70, exec_lo, s70
	s_or_b32 s18, s70, s18
	s_and_not1_b32 s69, s69, exec_lo
	s_and_b32 s7, s7, exec_lo
	s_delay_alu instid0(SALU_CYCLE_1)
	s_or_b32 s69, s69, s7
	s_and_not1_b32 exec_lo, exec_lo, s18
	s_cbranch_execz .LBB139_149
.LBB139_139:                            ;   Parent Loop BB139_30 Depth=1
                                        ; =>  This Inner Loop Header: Depth=2
	s_delay_alu instid0(VALU_DEP_1)
	v_cmp_gt_u32_e32 vcc_lo, s12, v2
	v_mov_b32_e32 v3, 0
	s_and_saveexec_b32 s7, vcc_lo
	s_cbranch_execz .LBB139_141
; %bb.140:                              ;   in Loop: Header=BB139_139 Depth=2
	ds_load_u16 v3, v1
.LBB139_141:                            ;   in Loop: Header=BB139_139 Depth=2
	s_or_b32 exec_lo, exec_lo, s7
	s_and_saveexec_b32 s7, vcc_lo
	s_cbranch_execz .LBB139_138
; %bb.142:                              ;   in Loop: Header=BB139_139 Depth=2
	s_waitcnt lgkmcnt(0)
	v_cmp_lt_i16_e32 vcc_lo, -1, v3
	v_and_b32_e32 v4, 0xffff, v3
	v_dual_cndmask_b32 v6, 0xffff, v26 :: v_dual_lshlrev_b32 v27, 16, v3
	s_delay_alu instid0(VALU_DEP_1) | instskip(NEXT) | instid1(VALU_DEP_2)
	v_cmp_o_f32_e32 vcc_lo, v27, v27
	v_xor_b32_e32 v4, v6, v4
	s_delay_alu instid0(VALU_DEP_1) | instskip(NEXT) | instid1(VALU_DEP_1)
	v_cndmask_b32_e32 v4, 0xffff, v4, vcc_lo
	v_and_b32_e32 v4, s67, v4
	s_delay_alu instid0(VALU_DEP_1)
	v_cmp_eq_u32_e32 vcc_lo, s66, v4
	s_and_b32 exec_lo, exec_lo, vcc_lo
	s_cbranch_execz .LBB139_138
; %bb.143:                              ;   in Loop: Header=BB139_139 Depth=2
	v_perm_b32 v3, v3, s57, 0x5040100
	ds_store_b32 v7, v3 offset:3072
	s_branch .LBB139_138
.LBB139_144:                            ;   in Loop: Header=BB139_30 Depth=1
                                        ; implicit-def: $sgpr13
                                        ; implicit-def: $sgpr15
                                        ; implicit-def: $sgpr12
	s_branch .LBB139_161
.LBB139_145:                            ;   in Loop: Header=BB139_30 Depth=1
	s_or_b32 exec_lo, exec_lo, s9
	s_waitcnt lgkmcnt(0)
	s_barrier
	buffer_gl0_inv
	s_and_saveexec_b32 s7, s1
	s_cbranch_execz .LBB139_147
; %bb.146:                              ;   in Loop: Header=BB139_30 Depth=1
	ds_load_b32 v1, v7 offset:4112
	s_waitcnt lgkmcnt(0)
	ds_store_b32 v7, v1 offset:4104
.LBB139_147:                            ;   in Loop: Header=BB139_30 Depth=1
	s_or_b32 exec_lo, exec_lo, s7
	s_waitcnt lgkmcnt(0)
	s_mov_b32 s7, -1
	s_barrier
	s_and_b32 vcc_lo, exec_lo, s69
	s_cbranch_vccnz .LBB139_45
	s_branch .LBB139_55
.LBB139_148:                            ;   in Loop: Header=BB139_30 Depth=1
	s_mov_b32 s13, -1
	s_mov_b32 s69, 0
                                        ; implicit-def: $sgpr12
                                        ; implicit-def: $vgpr27
	s_mov_b32 s15, s13
	s_cbranch_execnz .LBB139_151
	s_branch .LBB139_161
.LBB139_149:                            ;   in Loop: Header=BB139_30 Depth=1
	s_or_b32 exec_lo, exec_lo, s18
	v_lshrrev_b32_e32 v27, 16, v3
	s_and_b32 s69, s69, exec_lo
.LBB139_150:                            ;   in Loop: Header=BB139_30 Depth=1
	s_or_b32 exec_lo, exec_lo, s13
	s_mov_b32 s12, -1
	s_mov_b32 s13, 0
	s_delay_alu instid0(SALU_CYCLE_1)
	s_mov_b32 s15, s13
	s_branch .LBB139_161
.LBB139_151:                            ;   in Loop: Header=BB139_30 Depth=1
	s_mov_b32 s69, 0
                                        ; implicit-def: $vgpr27
	s_and_saveexec_b32 s12, s6
	s_cbranch_execz .LBB139_160
; %bb.152:                              ;   in Loop: Header=BB139_30 Depth=1
	v_dual_mov_b32 v6, v5 :: v_dual_mov_b32 v1, v0
	s_mov_b32 s13, 0
                                        ; implicit-def: $sgpr15
	s_branch .LBB139_154
.LBB139_153:                            ;   in Loop: Header=BB139_154 Depth=2
	s_or_b32 exec_lo, exec_lo, s7
	s_waitcnt vmcnt(0) lgkmcnt(0)
	s_barrier
	buffer_gl0_inv
	ds_load_b32 v2, v7 offset:3072
	v_add_nc_u32_e32 v1, s27, v1
	v_add_nc_u32_e32 v6, s40, v6
	s_waitcnt lgkmcnt(0)
	s_barrier
	buffer_gl0_inv
	v_cmp_le_u32_e32 vcc_lo, s54, v1
	v_and_b32_e32 v3, 0x7fff, v2
	s_delay_alu instid0(VALU_DEP_1) | instskip(NEXT) | instid1(VALU_DEP_1)
	v_cmp_ne_u16_e64 s7, 0, v3
	s_or_b32 s18, vcc_lo, s7
	s_delay_alu instid0(SALU_CYCLE_1) | instskip(NEXT) | instid1(SALU_CYCLE_1)
	s_and_b32 s18, exec_lo, s18
	s_or_b32 s13, s18, s13
	s_and_not1_b32 s15, s15, exec_lo
	s_and_b32 s7, s7, exec_lo
	s_delay_alu instid0(SALU_CYCLE_1)
	s_or_b32 s15, s15, s7
	s_and_not1_b32 exec_lo, exec_lo, s13
	s_cbranch_execz .LBB139_159
.LBB139_154:                            ;   Parent Loop BB139_30 Depth=1
                                        ; =>  This Inner Loop Header: Depth=2
	s_delay_alu instid0(VALU_DEP_1)
	v_cmp_gt_u32_e32 vcc_lo, s24, v1
	v_mov_b32_e32 v2, 0
	s_and_saveexec_b32 s18, vcc_lo
	s_cbranch_execz .LBB139_156
; %bb.155:                              ;   in Loop: Header=BB139_154 Depth=2
	v_lshlrev_b64 v[2:3], 1, v[6:7]
	s_delay_alu instid0(VALU_DEP_1) | instskip(NEXT) | instid1(VALU_DEP_1)
	v_add_co_u32 v2, s7, s37, v2
	v_add_co_ci_u32_e64 v3, s7, s38, v3, s7
	global_load_u16 v2, v[2:3], off
.LBB139_156:                            ;   in Loop: Header=BB139_154 Depth=2
	s_or_b32 exec_lo, exec_lo, s18
	s_and_saveexec_b32 s7, vcc_lo
	s_cbranch_execz .LBB139_153
; %bb.157:                              ;   in Loop: Header=BB139_154 Depth=2
	s_waitcnt vmcnt(0)
	v_cmp_lt_i16_e32 vcc_lo, -1, v2
	v_and_b32_e32 v3, 0xffff, v2
	v_lshlrev_b32_e32 v27, 16, v2
	v_cndmask_b32_e32 v4, 0xffff, v26, vcc_lo
	s_delay_alu instid0(VALU_DEP_2) | instskip(NEXT) | instid1(VALU_DEP_2)
	v_cmp_o_f32_e32 vcc_lo, v27, v27
	v_xor_b32_e32 v3, v4, v3
	s_delay_alu instid0(VALU_DEP_1) | instskip(NEXT) | instid1(VALU_DEP_1)
	v_cndmask_b32_e32 v3, 0xffff, v3, vcc_lo
	v_and_b32_e32 v3, s67, v3
	s_delay_alu instid0(VALU_DEP_1)
	v_cmp_eq_u32_e32 vcc_lo, s66, v3
	s_and_b32 exec_lo, exec_lo, vcc_lo
	s_cbranch_execz .LBB139_153
; %bb.158:                              ;   in Loop: Header=BB139_154 Depth=2
	v_perm_b32 v2, v2, s57, 0x5040100
	ds_store_b32 v7, v2 offset:3072
	s_branch .LBB139_153
.LBB139_159:                            ;   in Loop: Header=BB139_30 Depth=1
	s_or_b32 exec_lo, exec_lo, s13
	v_lshrrev_b32_e32 v27, 16, v2
	s_and_b32 s69, s15, exec_lo
.LBB139_160:                            ;   in Loop: Header=BB139_30 Depth=1
	s_or_b32 exec_lo, exec_lo, s12
	s_mov_b32 s15, -1
	s_mov_b32 s13, 0
	s_mov_b32 s12, 0
.LBB139_161:                            ;   in Loop: Header=BB139_30 Depth=1
	s_mov_b32 s70, 0
                                        ; implicit-def: $sgpr7
	s_and_saveexec_b32 s18, s69
	s_cbranch_execz .LBB139_257
; %bb.162:                              ;   in Loop: Header=BB139_30 Depth=1
	s_xor_b32 s7, s68, -1
	s_mov_b32 s68, 0
	s_and_not1_b32 vcc_lo, exec_lo, s7
	s_mov_b32 s71, 1
	s_cbranch_vccnz .LBB139_173
; %bb.163:                              ;   in Loop: Header=BB139_30 Depth=1
	s_cmp_gt_u32 s20, s19
	s_mov_b32 s68, -1
                                        ; implicit-def: $sgpr7
                                        ; implicit-def: $sgpr69
                                        ; implicit-def: $sgpr70
	s_cbranch_scc1 .LBB139_169
; %bb.164:                              ;   in Loop: Header=BB139_30 Depth=1
	ds_load_b32 v1, v7 offset:4104
	s_waitcnt lgkmcnt(0)
	v_cmp_ne_u32_e32 vcc_lo, 0, v1
	s_cbranch_vccnz .LBB139_168
; %bb.165:                              ;   in Loop: Header=BB139_30 Depth=1
	s_and_saveexec_b32 s7, s1
	s_cbranch_execz .LBB139_167
; %bb.166:                              ;   in Loop: Header=BB139_30 Depth=1
	v_mov_b32_e32 v1, s19
	ds_store_b32 v7, v1 offset:4108
.LBB139_167:                            ;   in Loop: Header=BB139_30 Depth=1
	s_or_b32 exec_lo, exec_lo, s7
	s_waitcnt lgkmcnt(0)
	s_barrier
	buffer_gl0_inv
.LBB139_168:                            ;   in Loop: Header=BB139_30 Depth=1
	s_lshl_b32 s7, 1, s16
	s_and_b32 s68, s66, s17
	s_or_b32 s70, s67, s9
	s_or_b32 s69, s68, s7
	s_mov_b32 s68, 0
	s_mov_b32 s7, 8
.LBB139_169:                            ;   in Loop: Header=BB139_30 Depth=1
	s_and_not1_b32 vcc_lo, exec_lo, s68
	s_cbranch_vccnz .LBB139_171
; %bb.170:                              ;   in Loop: Header=BB139_30 Depth=1
	s_sub_i32 s20, s20, s19
	s_mov_b32 s68, -1
	s_mov_b32 s7, 0
	s_mov_b32 s69, s66
	;; [unrolled: 1-line block ×3, first 2 shown]
.LBB139_171:                            ;   in Loop: Header=BB139_30 Depth=1
	s_delay_alu instid0(SALU_CYCLE_1)
	s_mov_b32 s67, s70
	s_mov_b32 s66, s69
	;; [unrolled: 1-line block ×3, first 2 shown]
	s_and_not1_b32 vcc_lo, exec_lo, s68
	s_mov_b32 s73, -1
	s_cbranch_vccz .LBB139_174
.LBB139_172:                            ;   in Loop: Header=BB139_30 Depth=1
                                        ; implicit-def: $sgpr20
                                        ; implicit-def: $sgpr68
                                        ; implicit-def: $sgpr19
	s_branch .LBB139_256
.LBB139_173:                            ;   in Loop: Header=BB139_30 Depth=1
	s_mov_b32 s7, 1
	s_and_not1_b32 vcc_lo, exec_lo, s68
	s_mov_b32 s73, -1
	s_cbranch_vccnz .LBB139_172
.LBB139_174:                            ;   in Loop: Header=BB139_30 Depth=1
	s_cmp_eq_u32 s14, 1
	s_mov_b32 s72, -1
	s_cselect_b32 s7, -1, 0
	s_cmp_eq_u32 s71, 1
	s_cselect_b32 s19, -1, 0
	s_delay_alu instid0(SALU_CYCLE_1) | instskip(NEXT) | instid1(SALU_CYCLE_1)
	s_and_b32 s70, s7, s19
	s_and_b32 vcc_lo, exec_lo, s70
	s_cbranch_vccz .LBB139_186
; %bb.175:                              ;   in Loop: Header=BB139_30 Depth=1
	ds_load_b32 v1, v7 offset:4104
	s_waitcnt lgkmcnt(0)
	s_barrier
	buffer_gl0_inv
	v_readfirstlane_b32 s19, v1
	s_and_saveexec_b32 s7, s2
	s_cbranch_execz .LBB139_177
; %bb.176:                              ;   in Loop: Header=BB139_30 Depth=1
	ds_store_b16 v16, v7
.LBB139_177:                            ;   in Loop: Header=BB139_30 Depth=1
	s_or_b32 exec_lo, exec_lo, s7
	s_lshl_b32 s7, 2, s16
	s_and_b32 s20, s66, s17
	s_or_b32 s67, s67, s9
	s_or_b32 s66, s20, s7
	s_cmp_eq_u32 s19, 0
	s_waitcnt lgkmcnt(0)
	s_barrier
	buffer_gl0_inv
	s_cbranch_scc1 .LBB139_187
; %bb.178:                              ;   in Loop: Header=BB139_30 Depth=1
	s_add_i32 s7, s19, s43
	s_mov_b32 s72, 0
	s_mul_hi_u32 s20, s7, s52
                                        ; implicit-def: $vgpr27
	s_delay_alu instid0(SALU_CYCLE_1) | instskip(NEXT) | instid1(SALU_CYCLE_1)
	s_mul_i32 s20, s20, s27
	s_sub_i32 s20, s7, s20
	s_delay_alu instid0(SALU_CYCLE_1) | instskip(SKIP_2) | instid1(SALU_CYCLE_1)
	s_sub_i32 s68, s20, s27
	s_cmp_ge_u32 s20, s27
	s_cselect_b32 s20, s68, s20
	s_sub_i32 s68, s20, s27
	s_cmp_ge_u32 s20, s27
	s_cselect_b32 s20, s68, s20
	s_delay_alu instid0(SALU_CYCLE_1)
	s_sub_i32 s68, s7, s20
	s_mov_b32 s20, exec_lo
	v_cmpx_gt_u32_e64 s68, v0
	s_cbranch_execz .LBB139_189
; %bb.179:                              ;   in Loop: Header=BB139_30 Depth=1
	v_dual_mov_b32 v1, v15 :: v_dual_mov_b32 v2, v0
	s_mov_b32 s69, 0
                                        ; implicit-def: $sgpr72
	s_branch .LBB139_181
.LBB139_180:                            ;   in Loop: Header=BB139_181 Depth=2
	s_or_b32 exec_lo, exec_lo, s7
	s_waitcnt lgkmcnt(0)
	s_barrier
	buffer_gl0_inv
	ds_load_b32 v3, v7 offset:3072
	v_add_nc_u32_e32 v2, s27, v2
	v_add_nc_u32_e32 v1, s56, v1
	s_waitcnt lgkmcnt(0)
	s_barrier
	buffer_gl0_inv
	v_cmp_le_u32_e32 vcc_lo, s68, v2
	v_and_b32_e32 v4, 0x7fff, v3
	s_delay_alu instid0(VALU_DEP_1) | instskip(NEXT) | instid1(VALU_DEP_1)
	v_cmp_ne_u16_e64 s7, 0, v4
	s_or_b32 s73, vcc_lo, s7
	s_delay_alu instid0(SALU_CYCLE_1) | instskip(NEXT) | instid1(SALU_CYCLE_1)
	s_and_b32 s73, exec_lo, s73
	s_or_b32 s69, s73, s69
	s_and_not1_b32 s72, s72, exec_lo
	s_and_b32 s7, s7, exec_lo
	s_delay_alu instid0(SALU_CYCLE_1)
	s_or_b32 s72, s72, s7
	s_and_not1_b32 exec_lo, exec_lo, s69
	s_cbranch_execz .LBB139_188
.LBB139_181:                            ;   Parent Loop BB139_30 Depth=1
                                        ; =>  This Inner Loop Header: Depth=2
	s_delay_alu instid0(VALU_DEP_1)
	v_cmp_gt_u32_e32 vcc_lo, s19, v2
	v_mov_b32_e32 v3, 0
	s_and_saveexec_b32 s7, vcc_lo
	s_cbranch_execz .LBB139_183
; %bb.182:                              ;   in Loop: Header=BB139_181 Depth=2
	ds_load_u16 v3, v1
.LBB139_183:                            ;   in Loop: Header=BB139_181 Depth=2
	s_or_b32 exec_lo, exec_lo, s7
	s_and_saveexec_b32 s7, vcc_lo
	s_cbranch_execz .LBB139_180
; %bb.184:                              ;   in Loop: Header=BB139_181 Depth=2
	s_waitcnt lgkmcnt(0)
	v_cmp_lt_i16_e32 vcc_lo, -1, v3
	v_and_b32_e32 v4, 0xffff, v3
	v_dual_cndmask_b32 v6, 0xffff, v26 :: v_dual_lshlrev_b32 v27, 16, v3
	s_delay_alu instid0(VALU_DEP_1) | instskip(NEXT) | instid1(VALU_DEP_2)
	v_cmp_o_f32_e32 vcc_lo, v27, v27
	v_xor_b32_e32 v4, v6, v4
	s_delay_alu instid0(VALU_DEP_1) | instskip(NEXT) | instid1(VALU_DEP_1)
	v_cndmask_b32_e32 v4, 0xffff, v4, vcc_lo
	v_and_b32_e32 v4, s67, v4
	s_delay_alu instid0(VALU_DEP_1)
	v_cmp_eq_u32_e32 vcc_lo, s66, v4
	s_and_b32 exec_lo, exec_lo, vcc_lo
	s_cbranch_execz .LBB139_180
; %bb.185:                              ;   in Loop: Header=BB139_181 Depth=2
	v_perm_b32 v3, v3, s57, 0x5040100
	ds_store_b32 v7, v3 offset:3072
	s_branch .LBB139_180
.LBB139_186:                            ;   in Loop: Header=BB139_30 Depth=1
                                        ; implicit-def: $sgpr19
                                        ; implicit-def: $sgpr68
                                        ; implicit-def: $sgpr20
	s_branch .LBB139_200
.LBB139_187:                            ;   in Loop: Header=BB139_30 Depth=1
	s_mov_b32 s19, -1
	s_mov_b32 s72, 0
                                        ; implicit-def: $sgpr20
                                        ; implicit-def: $vgpr27
	s_mov_b32 s68, s19
	s_cbranch_execnz .LBB139_190
	s_branch .LBB139_200
.LBB139_188:                            ;   in Loop: Header=BB139_30 Depth=1
	s_or_b32 exec_lo, exec_lo, s69
	v_lshrrev_b32_e32 v27, 16, v3
	s_and_b32 s72, s72, exec_lo
.LBB139_189:                            ;   in Loop: Header=BB139_30 Depth=1
	s_or_b32 exec_lo, exec_lo, s20
	s_mov_b32 s20, -1
	s_mov_b32 s19, 0
	s_delay_alu instid0(SALU_CYCLE_1)
	s_mov_b32 s68, s19
	s_branch .LBB139_200
.LBB139_190:                            ;   in Loop: Header=BB139_30 Depth=1
	s_mov_b32 s72, 0
                                        ; implicit-def: $vgpr27
	s_and_saveexec_b32 s19, s6
	s_cbranch_execz .LBB139_199
; %bb.191:                              ;   in Loop: Header=BB139_30 Depth=1
	v_dual_mov_b32 v6, v5 :: v_dual_mov_b32 v1, v0
	s_mov_b32 s20, 0
                                        ; implicit-def: $sgpr68
	s_branch .LBB139_193
.LBB139_192:                            ;   in Loop: Header=BB139_193 Depth=2
	s_or_b32 exec_lo, exec_lo, s7
	s_waitcnt vmcnt(0) lgkmcnt(0)
	s_barrier
	buffer_gl0_inv
	ds_load_b32 v2, v7 offset:3072
	v_add_nc_u32_e32 v1, s27, v1
	v_add_nc_u32_e32 v6, s40, v6
	s_waitcnt lgkmcnt(0)
	s_barrier
	buffer_gl0_inv
	v_cmp_le_u32_e32 vcc_lo, s54, v1
	v_and_b32_e32 v3, 0x7fff, v2
	s_delay_alu instid0(VALU_DEP_1) | instskip(NEXT) | instid1(VALU_DEP_1)
	v_cmp_ne_u16_e64 s7, 0, v3
	s_or_b32 s69, vcc_lo, s7
	s_delay_alu instid0(SALU_CYCLE_1) | instskip(NEXT) | instid1(SALU_CYCLE_1)
	s_and_b32 s69, exec_lo, s69
	s_or_b32 s20, s69, s20
	s_and_not1_b32 s68, s68, exec_lo
	s_and_b32 s7, s7, exec_lo
	s_delay_alu instid0(SALU_CYCLE_1)
	s_or_b32 s68, s68, s7
	s_and_not1_b32 exec_lo, exec_lo, s20
	s_cbranch_execz .LBB139_198
.LBB139_193:                            ;   Parent Loop BB139_30 Depth=1
                                        ; =>  This Inner Loop Header: Depth=2
	s_delay_alu instid0(VALU_DEP_1)
	v_cmp_gt_u32_e32 vcc_lo, s24, v1
	v_mov_b32_e32 v2, 0
	s_and_saveexec_b32 s69, vcc_lo
	s_cbranch_execz .LBB139_195
; %bb.194:                              ;   in Loop: Header=BB139_193 Depth=2
	v_lshlrev_b64 v[2:3], 1, v[6:7]
	s_delay_alu instid0(VALU_DEP_1) | instskip(NEXT) | instid1(VALU_DEP_1)
	v_add_co_u32 v2, s7, s37, v2
	v_add_co_ci_u32_e64 v3, s7, s38, v3, s7
	global_load_u16 v2, v[2:3], off
.LBB139_195:                            ;   in Loop: Header=BB139_193 Depth=2
	s_or_b32 exec_lo, exec_lo, s69
	s_and_saveexec_b32 s7, vcc_lo
	s_cbranch_execz .LBB139_192
; %bb.196:                              ;   in Loop: Header=BB139_193 Depth=2
	s_waitcnt vmcnt(0)
	v_cmp_lt_i16_e32 vcc_lo, -1, v2
	v_and_b32_e32 v3, 0xffff, v2
	v_lshlrev_b32_e32 v27, 16, v2
	v_cndmask_b32_e32 v4, 0xffff, v26, vcc_lo
	s_delay_alu instid0(VALU_DEP_2) | instskip(NEXT) | instid1(VALU_DEP_2)
	v_cmp_o_f32_e32 vcc_lo, v27, v27
	v_xor_b32_e32 v3, v4, v3
	s_delay_alu instid0(VALU_DEP_1) | instskip(NEXT) | instid1(VALU_DEP_1)
	v_cndmask_b32_e32 v3, 0xffff, v3, vcc_lo
	v_and_b32_e32 v3, s67, v3
	s_delay_alu instid0(VALU_DEP_1)
	v_cmp_eq_u32_e32 vcc_lo, s66, v3
	s_and_b32 exec_lo, exec_lo, vcc_lo
	s_cbranch_execz .LBB139_192
; %bb.197:                              ;   in Loop: Header=BB139_193 Depth=2
	v_perm_b32 v2, v2, s57, 0x5040100
	ds_store_b32 v7, v2 offset:3072
	s_branch .LBB139_192
.LBB139_198:                            ;   in Loop: Header=BB139_30 Depth=1
	s_or_b32 exec_lo, exec_lo, s20
	v_lshrrev_b32_e32 v27, 16, v2
	s_and_b32 s72, s68, exec_lo
.LBB139_199:                            ;   in Loop: Header=BB139_30 Depth=1
	s_or_b32 exec_lo, exec_lo, s19
	s_mov_b32 s68, -1
	s_mov_b32 s19, 0
	s_mov_b32 s20, 0
.LBB139_200:                            ;   in Loop: Header=BB139_30 Depth=1
	s_mov_b32 s73, 0
                                        ; implicit-def: $sgpr7
	s_and_saveexec_b32 s69, s72
	s_cbranch_execz .LBB139_255
; %bb.201:                              ;   in Loop: Header=BB139_30 Depth=1
	s_xor_b32 s7, s70, -1
	s_mov_b32 s72, 0
	s_and_not1_b32 vcc_lo, exec_lo, s7
	s_mov_b32 s70, 1
	s_cbranch_vccnz .LBB139_212
; %bb.202:                              ;   in Loop: Header=BB139_30 Depth=1
	s_cmp_gt_u32 s71, s14
	s_mov_b32 s72, -1
                                        ; implicit-def: $sgpr7
                                        ; implicit-def: $sgpr70
                                        ; implicit-def: $sgpr73
	s_cbranch_scc1 .LBB139_208
; %bb.203:                              ;   in Loop: Header=BB139_30 Depth=1
	ds_load_b32 v1, v7 offset:4104
	s_waitcnt lgkmcnt(0)
	v_cmp_ne_u32_e32 vcc_lo, 0, v1
	s_cbranch_vccnz .LBB139_207
; %bb.204:                              ;   in Loop: Header=BB139_30 Depth=1
	s_and_saveexec_b32 s7, s1
	s_cbranch_execz .LBB139_206
; %bb.205:                              ;   in Loop: Header=BB139_30 Depth=1
	v_mov_b32_e32 v1, s14
	ds_store_b32 v7, v1 offset:4108
.LBB139_206:                            ;   in Loop: Header=BB139_30 Depth=1
	s_or_b32 exec_lo, exec_lo, s7
	s_waitcnt lgkmcnt(0)
	s_barrier
	buffer_gl0_inv
.LBB139_207:                            ;   in Loop: Header=BB139_30 Depth=1
	s_lshl_b32 s7, 2, s16
	s_and_b32 s16, s66, s17
	s_or_b32 s73, s67, s9
	s_or_b32 s70, s16, s7
	s_mov_b32 s72, 0
	s_mov_b32 s7, 8
.LBB139_208:                            ;   in Loop: Header=BB139_30 Depth=1
	s_and_not1_b32 vcc_lo, exec_lo, s72
	s_cbranch_vccnz .LBB139_210
; %bb.209:                              ;   in Loop: Header=BB139_30 Depth=1
	s_sub_i32 s71, s71, s14
	s_mov_b32 s72, -1
	s_mov_b32 s7, 0
	s_mov_b32 s70, s66
	;; [unrolled: 1-line block ×3, first 2 shown]
.LBB139_210:                            ;   in Loop: Header=BB139_30 Depth=1
	s_delay_alu instid0(SALU_CYCLE_1)
	s_mov_b32 s67, s73
	s_mov_b32 s66, s70
	;; [unrolled: 1-line block ×3, first 2 shown]
	s_and_not1_b32 vcc_lo, exec_lo, s72
	s_mov_b32 s74, -1
	s_cbranch_vccz .LBB139_213
.LBB139_211:                            ;   in Loop: Header=BB139_30 Depth=1
                                        ; implicit-def: $sgpr16
                                        ; implicit-def: $sgpr71
                                        ; implicit-def: $sgpr17
	s_branch .LBB139_254
.LBB139_212:                            ;   in Loop: Header=BB139_30 Depth=1
	s_mov_b32 s7, 1
	s_and_not1_b32 vcc_lo, exec_lo, s72
	s_mov_b32 s74, -1
	s_cbranch_vccnz .LBB139_211
.LBB139_213:                            ;   in Loop: Header=BB139_30 Depth=1
	s_cmp_eq_u32 s8, 1
	s_mov_b32 s72, -1
	s_cselect_b32 s7, -1, 0
	s_cmp_eq_u32 s70, 1
	s_cselect_b32 s14, -1, 0
	s_delay_alu instid0(SALU_CYCLE_1) | instskip(NEXT) | instid1(SALU_CYCLE_1)
	s_and_b32 s14, s7, s14
	s_and_b32 vcc_lo, exec_lo, s14
	s_cbranch_vccz .LBB139_225
; %bb.214:                              ;   in Loop: Header=BB139_30 Depth=1
	ds_load_b32 v1, v7 offset:4104
	s_waitcnt lgkmcnt(0)
	s_barrier
	buffer_gl0_inv
	v_readfirstlane_b32 s16, v1
	s_and_saveexec_b32 s7, s2
	s_cbranch_execz .LBB139_216
; %bb.215:                              ;   in Loop: Header=BB139_30 Depth=1
	ds_store_b16 v16, v7
.LBB139_216:                            ;   in Loop: Header=BB139_30 Depth=1
	s_or_b32 exec_lo, exec_lo, s7
	s_or_b32 s66, s66, s9
	s_or_b32 s67, s67, s9
	s_cmp_eq_u32 s16, 0
	s_waitcnt lgkmcnt(0)
	s_barrier
	buffer_gl0_inv
	s_cbranch_scc1 .LBB139_226
; %bb.217:                              ;   in Loop: Header=BB139_30 Depth=1
	s_add_i32 s7, s16, s43
	s_mov_b32 s72, 0
	s_mul_hi_u32 s17, s7, s52
                                        ; implicit-def: $vgpr27
	s_delay_alu instid0(SALU_CYCLE_1) | instskip(NEXT) | instid1(SALU_CYCLE_1)
	s_mul_i32 s17, s17, s27
	s_sub_i32 s17, s7, s17
	s_delay_alu instid0(SALU_CYCLE_1) | instskip(SKIP_2) | instid1(SALU_CYCLE_1)
	s_sub_i32 s71, s17, s27
	s_cmp_ge_u32 s17, s27
	s_cselect_b32 s17, s71, s17
	s_sub_i32 s71, s17, s27
	s_cmp_ge_u32 s17, s27
	s_cselect_b32 s17, s71, s17
	s_delay_alu instid0(SALU_CYCLE_1)
	s_sub_i32 s71, s7, s17
	s_mov_b32 s17, exec_lo
	v_cmpx_gt_u32_e64 s71, v0
	s_cbranch_execz .LBB139_228
; %bb.218:                              ;   in Loop: Header=BB139_30 Depth=1
	v_dual_mov_b32 v1, v15 :: v_dual_mov_b32 v2, v0
                                        ; implicit-def: $sgpr73
	s_branch .LBB139_220
.LBB139_219:                            ;   in Loop: Header=BB139_220 Depth=2
	s_or_b32 exec_lo, exec_lo, s7
	s_waitcnt lgkmcnt(0)
	s_barrier
	buffer_gl0_inv
	ds_load_b32 v3, v7 offset:3072
	v_add_nc_u32_e32 v2, s27, v2
	v_add_nc_u32_e32 v1, s56, v1
	s_waitcnt lgkmcnt(0)
	s_barrier
	buffer_gl0_inv
	v_cmp_le_u32_e32 vcc_lo, s71, v2
	v_and_b32_e32 v4, 0x7fff, v3
	s_delay_alu instid0(VALU_DEP_1) | instskip(NEXT) | instid1(VALU_DEP_1)
	v_cmp_ne_u16_e64 s7, 0, v4
	s_or_b32 s74, vcc_lo, s7
	s_delay_alu instid0(SALU_CYCLE_1) | instskip(NEXT) | instid1(SALU_CYCLE_1)
	s_and_b32 s74, exec_lo, s74
	s_or_b32 s72, s74, s72
	s_and_not1_b32 s73, s73, exec_lo
	s_and_b32 s7, s7, exec_lo
	s_delay_alu instid0(SALU_CYCLE_1)
	s_or_b32 s73, s73, s7
	s_and_not1_b32 exec_lo, exec_lo, s72
	s_cbranch_execz .LBB139_227
.LBB139_220:                            ;   Parent Loop BB139_30 Depth=1
                                        ; =>  This Inner Loop Header: Depth=2
	s_delay_alu instid0(VALU_DEP_1)
	v_cmp_gt_u32_e32 vcc_lo, s16, v2
	v_mov_b32_e32 v3, 0
	s_and_saveexec_b32 s7, vcc_lo
	s_cbranch_execz .LBB139_222
; %bb.221:                              ;   in Loop: Header=BB139_220 Depth=2
	ds_load_u16 v3, v1
.LBB139_222:                            ;   in Loop: Header=BB139_220 Depth=2
	s_or_b32 exec_lo, exec_lo, s7
	s_and_saveexec_b32 s7, vcc_lo
	s_cbranch_execz .LBB139_219
; %bb.223:                              ;   in Loop: Header=BB139_220 Depth=2
	s_waitcnt lgkmcnt(0)
	v_cmp_lt_i16_e32 vcc_lo, -1, v3
	v_and_b32_e32 v4, 0xffff, v3
	v_dual_cndmask_b32 v6, 0xffff, v26 :: v_dual_lshlrev_b32 v27, 16, v3
	s_delay_alu instid0(VALU_DEP_1) | instskip(NEXT) | instid1(VALU_DEP_2)
	v_cmp_o_f32_e32 vcc_lo, v27, v27
	v_xor_b32_e32 v4, v6, v4
	s_delay_alu instid0(VALU_DEP_1) | instskip(NEXT) | instid1(VALU_DEP_1)
	v_cndmask_b32_e32 v4, 0xffff, v4, vcc_lo
	v_and_b32_e32 v4, s67, v4
	s_delay_alu instid0(VALU_DEP_1)
	v_cmp_eq_u32_e32 vcc_lo, s66, v4
	s_and_b32 exec_lo, exec_lo, vcc_lo
	s_cbranch_execz .LBB139_219
; %bb.224:                              ;   in Loop: Header=BB139_220 Depth=2
	v_perm_b32 v3, v3, s57, 0x5040100
	ds_store_b32 v7, v3 offset:3072
	s_branch .LBB139_219
.LBB139_225:                            ;   in Loop: Header=BB139_30 Depth=1
                                        ; implicit-def: $sgpr16
                                        ; implicit-def: $sgpr71
                                        ; implicit-def: $sgpr17
	s_branch .LBB139_239
.LBB139_226:                            ;   in Loop: Header=BB139_30 Depth=1
	s_mov_b32 s16, -1
	s_mov_b32 s72, 0
                                        ; implicit-def: $sgpr17
                                        ; implicit-def: $vgpr27
	s_mov_b32 s71, s16
	s_cbranch_execnz .LBB139_229
	s_branch .LBB139_239
.LBB139_227:                            ;   in Loop: Header=BB139_30 Depth=1
	s_or_b32 exec_lo, exec_lo, s72
	v_lshrrev_b32_e32 v27, 16, v3
	s_and_b32 s72, s73, exec_lo
.LBB139_228:                            ;   in Loop: Header=BB139_30 Depth=1
	s_or_b32 exec_lo, exec_lo, s17
	s_mov_b32 s17, -1
	s_mov_b32 s16, 0
	s_delay_alu instid0(SALU_CYCLE_1)
	s_mov_b32 s71, s16
	s_branch .LBB139_239
.LBB139_229:                            ;   in Loop: Header=BB139_30 Depth=1
	s_mov_b32 s72, 0
                                        ; implicit-def: $vgpr27
	s_and_saveexec_b32 s16, s6
	s_cbranch_execz .LBB139_238
; %bb.230:                              ;   in Loop: Header=BB139_30 Depth=1
	v_dual_mov_b32 v6, v5 :: v_dual_mov_b32 v1, v0
	s_mov_b32 s17, 0
                                        ; implicit-def: $sgpr71
	s_branch .LBB139_232
.LBB139_231:                            ;   in Loop: Header=BB139_232 Depth=2
	s_or_b32 exec_lo, exec_lo, s7
	s_waitcnt vmcnt(0) lgkmcnt(0)
	s_barrier
	buffer_gl0_inv
	ds_load_b32 v2, v7 offset:3072
	v_add_nc_u32_e32 v1, s27, v1
	v_add_nc_u32_e32 v6, s40, v6
	s_waitcnt lgkmcnt(0)
	s_barrier
	buffer_gl0_inv
	v_cmp_le_u32_e32 vcc_lo, s54, v1
	v_and_b32_e32 v3, 0x7fff, v2
	s_delay_alu instid0(VALU_DEP_1) | instskip(NEXT) | instid1(VALU_DEP_1)
	v_cmp_ne_u16_e64 s7, 0, v3
	s_or_b32 s72, vcc_lo, s7
	s_delay_alu instid0(SALU_CYCLE_1) | instskip(NEXT) | instid1(SALU_CYCLE_1)
	s_and_b32 s72, exec_lo, s72
	s_or_b32 s17, s72, s17
	s_and_not1_b32 s71, s71, exec_lo
	s_and_b32 s7, s7, exec_lo
	s_delay_alu instid0(SALU_CYCLE_1)
	s_or_b32 s71, s71, s7
	s_and_not1_b32 exec_lo, exec_lo, s17
	s_cbranch_execz .LBB139_237
.LBB139_232:                            ;   Parent Loop BB139_30 Depth=1
                                        ; =>  This Inner Loop Header: Depth=2
	s_delay_alu instid0(VALU_DEP_1)
	v_cmp_gt_u32_e32 vcc_lo, s24, v1
	v_mov_b32_e32 v2, 0
	s_and_saveexec_b32 s72, vcc_lo
	s_cbranch_execz .LBB139_234
; %bb.233:                              ;   in Loop: Header=BB139_232 Depth=2
	v_lshlrev_b64 v[2:3], 1, v[6:7]
	s_delay_alu instid0(VALU_DEP_1) | instskip(NEXT) | instid1(VALU_DEP_1)
	v_add_co_u32 v2, s7, s37, v2
	v_add_co_ci_u32_e64 v3, s7, s38, v3, s7
	global_load_u16 v2, v[2:3], off
.LBB139_234:                            ;   in Loop: Header=BB139_232 Depth=2
	s_or_b32 exec_lo, exec_lo, s72
	s_and_saveexec_b32 s7, vcc_lo
	s_cbranch_execz .LBB139_231
; %bb.235:                              ;   in Loop: Header=BB139_232 Depth=2
	s_waitcnt vmcnt(0)
	v_cmp_lt_i16_e32 vcc_lo, -1, v2
	v_and_b32_e32 v3, 0xffff, v2
	v_lshlrev_b32_e32 v27, 16, v2
	v_cndmask_b32_e32 v4, 0xffff, v26, vcc_lo
	s_delay_alu instid0(VALU_DEP_2) | instskip(NEXT) | instid1(VALU_DEP_2)
	v_cmp_o_f32_e32 vcc_lo, v27, v27
	v_xor_b32_e32 v3, v4, v3
	s_delay_alu instid0(VALU_DEP_1) | instskip(NEXT) | instid1(VALU_DEP_1)
	v_cndmask_b32_e32 v3, 0xffff, v3, vcc_lo
	v_and_b32_e32 v3, s67, v3
	s_delay_alu instid0(VALU_DEP_1)
	v_cmp_eq_u32_e32 vcc_lo, s66, v3
	s_and_b32 exec_lo, exec_lo, vcc_lo
	s_cbranch_execz .LBB139_231
; %bb.236:                              ;   in Loop: Header=BB139_232 Depth=2
	v_perm_b32 v2, v2, s57, 0x5040100
	ds_store_b32 v7, v2 offset:3072
	s_branch .LBB139_231
.LBB139_237:                            ;   in Loop: Header=BB139_30 Depth=1
	s_or_b32 exec_lo, exec_lo, s17
	v_lshrrev_b32_e32 v27, 16, v2
	s_and_b32 s72, s71, exec_lo
.LBB139_238:                            ;   in Loop: Header=BB139_30 Depth=1
	s_or_b32 exec_lo, exec_lo, s16
	s_mov_b32 s71, -1
	s_mov_b32 s16, 0
	s_mov_b32 s17, 0
.LBB139_239:                            ;   in Loop: Header=BB139_30 Depth=1
	s_mov_b32 s74, 0
                                        ; implicit-def: $sgpr7
	s_and_saveexec_b32 s73, s72
	s_cbranch_execz .LBB139_253
; %bb.240:                              ;   in Loop: Header=BB139_30 Depth=1
	s_xor_b32 s7, s14, -1
	s_delay_alu instid0(SALU_CYCLE_1)
	s_and_not1_b32 vcc_lo, exec_lo, s7
	s_mov_b32 s7, 1
	s_cbranch_vccnz .LBB139_247
; %bb.241:                              ;   in Loop: Header=BB139_30 Depth=1
	s_cmp_gt_u32 s70, s8
	s_cbranch_scc1 .LBB139_248
; %bb.242:                              ;   in Loop: Header=BB139_30 Depth=1
	ds_load_b32 v1, v7 offset:4104
	s_waitcnt lgkmcnt(0)
	v_cmp_ne_u32_e32 vcc_lo, 0, v1
	s_cbranch_vccnz .LBB139_246
; %bb.243:                              ;   in Loop: Header=BB139_30 Depth=1
	s_and_saveexec_b32 s7, s1
	s_cbranch_execz .LBB139_245
; %bb.244:                              ;   in Loop: Header=BB139_30 Depth=1
	v_mov_b32_e32 v1, s8
	ds_store_b32 v7, v1 offset:4108
.LBB139_245:                            ;   in Loop: Header=BB139_30 Depth=1
	s_or_b32 exec_lo, exec_lo, s7
	s_waitcnt lgkmcnt(0)
	s_barrier
	buffer_gl0_inv
.LBB139_246:                            ;   in Loop: Header=BB139_30 Depth=1
	s_or_b32 s14, s66, s9
	s_or_b32 s9, s67, s9
	s_mov_b32 s72, 0
	s_mov_b32 s7, 8
	s_branch .LBB139_249
.LBB139_247:                            ;   in Loop: Header=BB139_30 Depth=1
	s_mov_b32 s70, 1
	s_branch .LBB139_252
.LBB139_248:                            ;   in Loop: Header=BB139_30 Depth=1
	s_mov_b32 s72, -1
                                        ; implicit-def: $sgpr7
                                        ; implicit-def: $sgpr14
                                        ; implicit-def: $sgpr9
.LBB139_249:                            ;   in Loop: Header=BB139_30 Depth=1
	s_delay_alu instid0(SALU_CYCLE_1)
	s_and_not1_b32 vcc_lo, exec_lo, s72
	s_cbranch_vccnz .LBB139_251
; %bb.250:                              ;   in Loop: Header=BB139_30 Depth=1
	s_sub_i32 s70, s70, s8
	s_mov_b32 s7, 8
	s_mov_b32 s14, s66
	;; [unrolled: 1-line block ×3, first 2 shown]
.LBB139_251:                            ;   in Loop: Header=BB139_30 Depth=1
	s_mov_b32 s66, s14
	s_mov_b32 s67, s9
.LBB139_252:                            ;   in Loop: Header=BB139_30 Depth=1
	s_mov_b32 s74, exec_lo
.LBB139_253:                            ;   in Loop: Header=BB139_30 Depth=1
	s_or_b32 exec_lo, exec_lo, s73
.LBB139_254:                            ;   in Loop: Header=BB139_30 Depth=1
	s_delay_alu instid0(SALU_CYCLE_1)
	s_and_not1_b32 s8, s19, exec_lo
	s_and_b32 s9, s16, exec_lo
	s_and_not1_b32 s14, s20, exec_lo
	s_or_b32 s19, s8, s9
	s_and_not1_b32 s8, s68, exec_lo
	s_and_b32 s9, s71, exec_lo
	s_and_b32 s16, s17, exec_lo
	s_or_b32 s68, s8, s9
	s_or_b32 s20, s14, s16
	s_and_b32 s73, s74, exec_lo
	s_mov_b32 s71, s70
.LBB139_255:                            ;   in Loop: Header=BB139_30 Depth=1
	s_or_b32 exec_lo, exec_lo, s69
.LBB139_256:                            ;   in Loop: Header=BB139_30 Depth=1
	s_delay_alu instid0(SALU_CYCLE_1)
	s_and_not1_b32 s8, s13, exec_lo
	s_and_b32 s9, s19, exec_lo
	s_and_not1_b32 s12, s12, exec_lo
	s_or_b32 s13, s8, s9
	s_and_not1_b32 s8, s15, exec_lo
	s_and_b32 s9, s68, exec_lo
	s_and_b32 s14, s20, exec_lo
	s_or_b32 s15, s8, s9
	s_or_b32 s12, s12, s14
	s_and_b32 s70, s73, exec_lo
	s_mov_b32 s20, s71
.LBB139_257:                            ;   in Loop: Header=BB139_30 Depth=1
	s_or_b32 exec_lo, exec_lo, s18
                                        ; implicit-def: $sgpr68
	s_and_saveexec_b32 s8, s70
	s_delay_alu instid0(SALU_CYCLE_1)
	s_xor_b32 s8, exec_lo, s8
	s_cbranch_execz .LBB139_28
.LBB139_258:                            ;   in Loop: Header=BB139_30 Depth=1
	s_and_b32 s7, s7, -9
	s_delay_alu instid0(SALU_CYCLE_1)
	s_cmp_eq_u32 s7, 0
	s_cbranch_scc1 .LBB139_26
; %bb.259:                              ;   in Loop: Header=BB139_30 Depth=1
	s_mov_b32 s7, -1
	s_mov_b32 s9, -1
                                        ; implicit-def: $sgpr67
                                        ; implicit-def: $sgpr20
                                        ; implicit-def: $sgpr61
                                        ; implicit-def: $sgpr64
	s_branch .LBB139_27
.LBB139_260:
	s_or_b32 exec_lo, exec_lo, s39
	s_xor_b32 s4, s60, -1
	s_xor_b32 s1, s58, -1
	;; [unrolled: 1-line block ×3, first 2 shown]
	s_mov_b32 s2, 0
	s_and_saveexec_b32 s5, s1
	s_delay_alu instid0(SALU_CYCLE_1)
	s_xor_b32 s1, exec_lo, s5
	s_cbranch_execz .LBB139_274
; %bb.261:
	s_and_saveexec_b32 s2, s4
	s_delay_alu instid0(SALU_CYCLE_1)
	s_xor_b32 s4, exec_lo, s2
	s_cbranch_execz .LBB139_272
; %bb.262:
	s_and_saveexec_b32 s2, s3
	s_delay_alu instid0(SALU_CYCLE_1)
	s_xor_b32 s2, exec_lo, s2
; %bb.263:
	v_and_b32_e32 v2, 0x8000, v1
	v_mov_b32_e32 v3, 0xffff
	s_delay_alu instid0(VALU_DEP_2) | instskip(NEXT) | instid1(VALU_DEP_2)
	v_cmp_eq_u32_e32 vcc_lo, 0, v2
	v_cndmask_b32_e32 v2, 0x8000, v3, vcc_lo
	s_delay_alu instid0(VALU_DEP_1)
	v_xor_b32_e32 v27, v2, v1
; %bb.264:
	s_or_b32 exec_lo, exec_lo, s2
	s_mul_i32 s2, s36, s25
	s_mov_b32 s3, 0
	s_add_i32 s2, s2, s21
	v_mov_b32_e32 v6, 0
	s_lshl_b64 s[6:7], s[2:3], 1
	s_delay_alu instid0(SALU_CYCLE_1)
	s_add_u32 s6, s30, s6
	s_addc_u32 s7, s31, s7
	global_store_b16 v6, v27, s[6:7]
	s_and_saveexec_b32 s2, s0
	s_cbranch_execz .LBB139_271
; %bb.265:
	v_lshlrev_b32_e32 v2, 16, v27
                                        ; implicit-def: $sgpr5
                                        ; implicit-def: $sgpr8
                                        ; implicit-def: $sgpr7
	s_delay_alu instid0(VALU_DEP_1)
	v_cmp_u_f32_e32 vcc_lo, v2, v2
	s_xor_b32 s6, vcc_lo, -1
	s_set_inst_prefetch_distance 0x1
	s_branch .LBB139_267
	.p2align	6
.LBB139_266:                            ;   in Loop: Header=BB139_267 Depth=1
	s_or_b32 exec_lo, exec_lo, s0
	s_delay_alu instid0(SALU_CYCLE_1) | instskip(NEXT) | instid1(SALU_CYCLE_1)
	s_and_b32 s0, exec_lo, s8
	s_or_b32 s3, s0, s3
	s_and_not1_b32 s0, s5, exec_lo
	s_and_b32 s5, s7, exec_lo
	s_delay_alu instid0(SALU_CYCLE_1)
	s_or_b32 s5, s0, s5
	s_and_not1_b32 exec_lo, exec_lo, s3
	s_cbranch_execz .LBB139_269
.LBB139_267:                            ; =>This Inner Loop Header: Depth=1
	v_lshlrev_b64 v[3:4], 1, v[5:6]
	s_or_b32 s7, s7, exec_lo
	s_or_b32 s8, s8, exec_lo
	s_delay_alu instid0(VALU_DEP_1) | instskip(NEXT) | instid1(VALU_DEP_2)
	v_add_co_u32 v3, vcc_lo, s37, v3
	v_add_co_ci_u32_e32 v4, vcc_lo, s38, v4, vcc_lo
	global_load_u16 v1, v[3:4], off
	s_waitcnt vmcnt(0)
	v_lshlrev_b32_e32 v1, 16, v1
	s_delay_alu instid0(VALU_DEP_1)
	v_cmp_o_f32_e32 vcc_lo, v1, v1
	v_cmp_neq_f32_e64 s0, v1, v2
	v_mov_b32_e32 v1, v0
                                        ; implicit-def: $vgpr0
	s_or_b32 s9, s6, vcc_lo
	s_delay_alu instid0(VALU_DEP_2) | instid1(SALU_CYCLE_1)
	s_and_b32 s9, s0, s9
	s_delay_alu instid0(SALU_CYCLE_1)
	s_and_saveexec_b32 s0, s9
	s_cbranch_execz .LBB139_266
; %bb.268:                              ;   in Loop: Header=BB139_267 Depth=1
	v_add_nc_u32_e32 v0, s27, v1
	s_and_not1_b32 s8, s8, exec_lo
	v_add_nc_u32_e32 v5, s40, v5
	s_and_not1_b32 s7, s7, exec_lo
	s_delay_alu instid0(VALU_DEP_2) | instskip(SKIP_1) | instid1(SALU_CYCLE_1)
	v_cmp_le_u32_e32 vcc_lo, s24, v0
	s_and_b32 s9, vcc_lo, exec_lo
	s_or_b32 s8, s8, s9
	s_branch .LBB139_266
.LBB139_269:
	s_set_inst_prefetch_distance 0x2
	s_or_b32 exec_lo, exec_lo, s3
	s_and_saveexec_b32 s0, s5
	s_delay_alu instid0(SALU_CYCLE_1)
	s_xor_b32 s0, exec_lo, s0
	s_cbranch_execz .LBB139_271
; %bb.270:
	s_mul_i32 s0, s33, s22
	s_mov_b32 s7, 0
	s_add_i32 s6, s0, s23
	v_mov_b32_e32 v2, 0
	s_lshl_b64 s[6:7], s[6:7], 3
	s_delay_alu instid0(SALU_CYCLE_1)
	s_add_u32 s6, s28, s6
	s_addc_u32 s7, s29, s7
	global_store_b64 v2, v[1:2], s[6:7]
.LBB139_271:
	s_or_b32 exec_lo, exec_lo, s2
.LBB139_272:
	s_or_saveexec_b32 s0, s4
	s_mov_b32 s2, 0
	s_xor_b32 exec_lo, exec_lo, s0
	s_cbranch_execnz .LBB139_280
.LBB139_273:
	s_or_b32 exec_lo, exec_lo, s0
	s_delay_alu instid0(SALU_CYCLE_1)
	s_and_b32 s2, s2, exec_lo
.LBB139_274:
	s_and_not1_saveexec_b32 s0, s1
	s_cbranch_execnz .LBB139_278
; %bb.275:
	s_or_b32 exec_lo, exec_lo, s0
	s_and_saveexec_b32 s0, s2
.LBB139_276:
	; divergent unreachable
.LBB139_277:
	s_nop 0
	s_sendmsg sendmsg(MSG_DEALLOC_VGPRS)
	s_endpgm
.LBB139_278:
	s_cbranch_execnz .LBB139_282
; %bb.279:
	s_or_b32 s2, s2, exec_lo
	s_or_b32 exec_lo, exec_lo, s0
	s_and_saveexec_b32 s0, s2
	s_cbranch_execnz .LBB139_276
	s_branch .LBB139_277
.LBB139_280:
	s_cbranch_execnz .LBB139_284
; %bb.281:
	s_mov_b32 s2, exec_lo
	s_branch .LBB139_273
.LBB139_282:
	s_trap 2
	s_sendmsg_rtn_b32 s0, sendmsg(MSG_RTN_GET_DOORBELL)
	s_mov_b32 ttmp2, m0
	s_waitcnt lgkmcnt(0)
	s_and_b32 s0, s0, 0x3ff
	s_delay_alu instid0(SALU_CYCLE_1) | instskip(NEXT) | instid1(SALU_CYCLE_1)
	s_bitset1_b32 s0, 10
	s_mov_b32 m0, s0
	s_sendmsg sendmsg(MSG_INTERRUPT)
	s_mov_b32 m0, ttmp2
.LBB139_283:                            ; =>This Inner Loop Header: Depth=1
	s_sethalt 5
	s_branch .LBB139_283
.LBB139_284:
	s_trap 2
	s_sendmsg_rtn_b32 s0, sendmsg(MSG_RTN_GET_DOORBELL)
	s_mov_b32 ttmp2, m0
	s_waitcnt lgkmcnt(0)
	s_and_b32 s0, s0, 0x3ff
	s_delay_alu instid0(SALU_CYCLE_1) | instskip(NEXT) | instid1(SALU_CYCLE_1)
	s_bitset1_b32 s0, 10
	s_mov_b32 m0, s0
	s_sendmsg sendmsg(MSG_INTERRUPT)
	s_mov_b32 m0, ttmp2
.LBB139_285:                            ; =>This Inner Loop Header: Depth=1
	s_sethalt 5
	s_branch .LBB139_285
	.section	.rodata,"a",@progbits
	.p2align	6, 0x0
	.amdhsa_kernel _ZN2at6native12_GLOBAL__N_112gatherMedianIN3c108BFloat16EjLin1EEEvNS_4cuda6detail10TensorInfoIT_T0_EENS7_IlS9_EENS7_IKS8_S9_EES9_S9_S9_b
		.amdhsa_group_segment_fixed_size 4120
		.amdhsa_private_segment_fixed_size 0
		.amdhsa_kernarg_size 920
		.amdhsa_user_sgpr_count 13
		.amdhsa_user_sgpr_dispatch_ptr 0
		.amdhsa_user_sgpr_queue_ptr 0
		.amdhsa_user_sgpr_kernarg_segment_ptr 1
		.amdhsa_user_sgpr_dispatch_id 0
		.amdhsa_user_sgpr_private_segment_size 0
		.amdhsa_wavefront_size32 1
		.amdhsa_uses_dynamic_stack 0
		.amdhsa_enable_private_segment 0
		.amdhsa_system_sgpr_workgroup_id_x 1
		.amdhsa_system_sgpr_workgroup_id_y 1
		.amdhsa_system_sgpr_workgroup_id_z 1
		.amdhsa_system_sgpr_workgroup_info 0
		.amdhsa_system_vgpr_workitem_id 0
		.amdhsa_next_free_vgpr 35
		.amdhsa_next_free_sgpr 80
		.amdhsa_reserve_vcc 1
		.amdhsa_float_round_mode_32 0
		.amdhsa_float_round_mode_16_64 0
		.amdhsa_float_denorm_mode_32 3
		.amdhsa_float_denorm_mode_16_64 3
		.amdhsa_dx10_clamp 1
		.amdhsa_ieee_mode 1
		.amdhsa_fp16_overflow 0
		.amdhsa_workgroup_processor_mode 1
		.amdhsa_memory_ordered 1
		.amdhsa_forward_progress 0
		.amdhsa_shared_vgpr_count 0
		.amdhsa_exception_fp_ieee_invalid_op 0
		.amdhsa_exception_fp_denorm_src 0
		.amdhsa_exception_fp_ieee_div_zero 0
		.amdhsa_exception_fp_ieee_overflow 0
		.amdhsa_exception_fp_ieee_underflow 0
		.amdhsa_exception_fp_ieee_inexact 0
		.amdhsa_exception_int_div_zero 0
	.end_amdhsa_kernel
	.section	.text._ZN2at6native12_GLOBAL__N_112gatherMedianIN3c108BFloat16EjLin1EEEvNS_4cuda6detail10TensorInfoIT_T0_EENS7_IlS9_EENS7_IKS8_S9_EES9_S9_S9_b,"axG",@progbits,_ZN2at6native12_GLOBAL__N_112gatherMedianIN3c108BFloat16EjLin1EEEvNS_4cuda6detail10TensorInfoIT_T0_EENS7_IlS9_EENS7_IKS8_S9_EES9_S9_S9_b,comdat
.Lfunc_end139:
	.size	_ZN2at6native12_GLOBAL__N_112gatherMedianIN3c108BFloat16EjLin1EEEvNS_4cuda6detail10TensorInfoIT_T0_EENS7_IlS9_EENS7_IKS8_S9_EES9_S9_S9_b, .Lfunc_end139-_ZN2at6native12_GLOBAL__N_112gatherMedianIN3c108BFloat16EjLin1EEEvNS_4cuda6detail10TensorInfoIT_T0_EENS7_IlS9_EENS7_IKS8_S9_EES9_S9_S9_b
                                        ; -- End function
	.section	.AMDGPU.csdata,"",@progbits
; Kernel info:
; codeLenInByte = 11560
; NumSgprs: 82
; NumVgprs: 35
; ScratchSize: 0
; MemoryBound: 0
; FloatMode: 240
; IeeeMode: 1
; LDSByteSize: 4120 bytes/workgroup (compile time only)
; SGPRBlocks: 10
; VGPRBlocks: 4
; NumSGPRsForWavesPerEU: 82
; NumVGPRsForWavesPerEU: 35
; Occupancy: 16
; WaveLimiterHint : 1
; COMPUTE_PGM_RSRC2:SCRATCH_EN: 0
; COMPUTE_PGM_RSRC2:USER_SGPR: 13
; COMPUTE_PGM_RSRC2:TRAP_HANDLER: 0
; COMPUTE_PGM_RSRC2:TGID_X_EN: 1
; COMPUTE_PGM_RSRC2:TGID_Y_EN: 1
; COMPUTE_PGM_RSRC2:TGID_Z_EN: 1
; COMPUTE_PGM_RSRC2:TIDIG_COMP_CNT: 0
	.section	.text._ZN2at6native12_GLOBAL__N_112gatherMedianIN3c108BFloat16EmLi1EEEvNS_4cuda6detail10TensorInfoIT_T0_EENS7_IlS9_EENS7_IKS8_S9_EES9_S9_S9_b,"axG",@progbits,_ZN2at6native12_GLOBAL__N_112gatherMedianIN3c108BFloat16EmLi1EEEvNS_4cuda6detail10TensorInfoIT_T0_EENS7_IlS9_EENS7_IKS8_S9_EES9_S9_S9_b,comdat
	.globl	_ZN2at6native12_GLOBAL__N_112gatherMedianIN3c108BFloat16EmLi1EEEvNS_4cuda6detail10TensorInfoIT_T0_EENS7_IlS9_EENS7_IKS8_S9_EES9_S9_S9_b ; -- Begin function _ZN2at6native12_GLOBAL__N_112gatherMedianIN3c108BFloat16EmLi1EEEvNS_4cuda6detail10TensorInfoIT_T0_EENS7_IlS9_EENS7_IKS8_S9_EES9_S9_S9_b
	.p2align	8
	.type	_ZN2at6native12_GLOBAL__N_112gatherMedianIN3c108BFloat16EmLi1EEEvNS_4cuda6detail10TensorInfoIT_T0_EENS7_IlS9_EENS7_IKS8_S9_EES9_S9_S9_b,@function
_ZN2at6native12_GLOBAL__N_112gatherMedianIN3c108BFloat16EmLi1EEEvNS_4cuda6detail10TensorInfoIT_T0_EENS7_IlS9_EENS7_IKS8_S9_EES9_S9_S9_b: ; @_ZN2at6native12_GLOBAL__N_112gatherMedianIN3c108BFloat16EmLi1EEEvNS_4cuda6detail10TensorInfoIT_T0_EENS7_IlS9_EENS7_IKS8_S9_EES9_S9_S9_b
; %bb.0:
	s_clause 0x1
	s_load_b64 s[8:9], s[0:1], 0x500
	s_load_b128 s[24:27], s[0:1], 0x4e0
	s_add_u32 s6, s0, 0x500
	s_addc_u32 s7, s1, 0
	s_mov_b32 s29, 0
	s_waitcnt lgkmcnt(0)
	s_mul_i32 s2, s9, s15
	s_delay_alu instid0(SALU_CYCLE_1) | instskip(NEXT) | instid1(SALU_CYCLE_1)
	s_add_i32 s2, s2, s14
	s_mul_i32 s2, s2, s8
	s_delay_alu instid0(SALU_CYCLE_1) | instskip(NEXT) | instid1(SALU_CYCLE_1)
	s_add_i32 s28, s2, s13
	v_cmp_ge_u64_e64 s2, s[28:29], s[26:27]
	s_delay_alu instid0(VALU_DEP_1)
	s_and_b32 vcc_lo, exec_lo, s2
	s_cbranch_vccnz .LBB140_303
; %bb.1:
	s_clause 0x6
	s_load_b64 s[10:11], s[0:1], 0x410
	s_load_b64 s[38:39], s[0:1], 0x4f0
	;; [unrolled: 1-line block ×7, first 2 shown]
	v_dual_mov_b32 v1, 0 :: v_dual_mov_b32 v2, 0
	v_mov_b32_e32 v3, 0
	s_delay_alu instid0(VALU_DEP_2)
	v_cmp_gt_u64_e64 s2, s[24:25], v[0:1]
	s_waitcnt lgkmcnt(0)
	s_mul_i32 s3, s11, s28
	s_mul_hi_u32 s9, s10, s28
	s_mul_i32 s10, s10, s28
	s_add_i32 s11, s9, s3
	s_and_saveexec_b32 s9, s2
	s_cbranch_execz .LBB140_5
; %bb.2:
	v_mad_u64_u32 v[4:5], null, s38, v0, 0
	s_load_b32 s3, s[6:7], 0xc
	s_lshl_b64 s[14:15], s[10:11], 1
	s_delay_alu instid0(VALU_DEP_1) | instskip(NEXT) | instid1(VALU_DEP_1)
	v_mov_b32_e32 v2, v5
	v_mad_u64_u32 v[5:6], null, s39, v0, v[2:3]
	v_dual_mov_b32 v2, 0 :: v_dual_mov_b32 v7, v1
	v_dual_mov_b32 v3, 0 :: v_dual_mov_b32 v6, v0
	s_delay_alu instid0(VALU_DEP_3)
	v_lshlrev_b64 v[4:5], 1, v[4:5]
	s_waitcnt lgkmcnt(0)
	s_and_b32 s12, s3, 0xffff
	s_add_u32 s3, s4, s14
	s_addc_u32 s17, s5, s15
	s_mul_i32 s14, s39, s12
	s_mul_hi_u32 s16, s38, s12
	v_add_co_u32 v4, vcc_lo, s3, v4
	v_add_co_ci_u32_e32 v5, vcc_lo, s17, v5, vcc_lo
	s_add_i32 s15, s16, s14
	s_mul_i32 s14, s38, s12
	s_mov_b32 s16, 0
	s_lshl_b64 s[14:15], s[14:15], 1
	.p2align	6
.LBB140_3:                              ; =>This Inner Loop Header: Depth=1
	global_load_u16 v8, v[4:5], off
	v_add_co_u32 v6, vcc_lo, v6, s12
	v_add_co_ci_u32_e32 v7, vcc_lo, 0, v7, vcc_lo
	v_add_co_u32 v4, vcc_lo, v4, s14
	v_add_co_ci_u32_e32 v5, vcc_lo, s15, v5, vcc_lo
	s_waitcnt vmcnt(0)
	v_lshlrev_b32_e32 v8, 16, v8
	s_delay_alu instid0(VALU_DEP_1) | instskip(SKIP_2) | instid1(VALU_DEP_2)
	v_cmp_u_f32_e32 vcc_lo, v8, v8
	v_cndmask_b32_e64 v8, 0, 1, vcc_lo
	v_cmp_le_u64_e32 vcc_lo, s[24:25], v[6:7]
	v_add_co_u32 v2, s3, v2, v8
	s_delay_alu instid0(VALU_DEP_1) | instskip(SKIP_1) | instid1(SALU_CYCLE_1)
	v_add_co_ci_u32_e64 v3, s3, 0, v3, s3
	s_or_b32 s16, vcc_lo, s16
	s_and_not1_b32 exec_lo, exec_lo, s16
	s_cbranch_execnz .LBB140_3
; %bb.4:
	s_or_b32 exec_lo, exec_lo, s16
.LBB140_5:
	s_delay_alu instid0(SALU_CYCLE_1) | instskip(SKIP_1) | instid1(VALU_DEP_1)
	s_or_b32 exec_lo, exec_lo, s9
	v_cmp_eq_u32_e64 s3, 0, v0
	s_and_saveexec_b32 s9, s3
	s_cbranch_execz .LBB140_7
; %bb.6:
	v_mov_b32_e32 v4, 0
	s_delay_alu instid0(VALU_DEP_1)
	v_mov_b32_e32 v5, v4
	ds_store_b64 v4, v[4:5] offset:5136
.LBB140_7:
	s_or_b32 exec_lo, exec_lo, s9
	s_mov_b64 s[14:15], 0
	s_mov_b32 s9, exec_lo
	s_waitcnt lgkmcnt(0)
	s_barrier
	buffer_gl0_inv
	v_cmpx_ne_u64_e32 0, v[2:3]
	s_cbranch_execz .LBB140_12
; %bb.8:
	s_mov_b32 s12, exec_lo
.LBB140_9:                              ; =>This Inner Loop Header: Depth=1
	s_delay_alu instid0(SALU_CYCLE_1) | instskip(NEXT) | instid1(SALU_CYCLE_1)
	s_ctz_i32_b32 s16, s12
	v_readlane_b32 s17, v2, s16
	v_readlane_b32 s18, v3, s16
	s_delay_alu instid0(VALU_DEP_2) | instskip(NEXT) | instid1(VALU_DEP_1)
	s_add_u32 s14, s14, s17
	s_addc_u32 s15, s15, s18
	s_lshl_b32 s16, 1, s16
	s_delay_alu instid0(SALU_CYCLE_1) | instskip(NEXT) | instid1(SALU_CYCLE_1)
	s_and_not1_b32 s12, s12, s16
	s_cmp_lg_u32 s12, 0
	s_cbranch_scc1 .LBB140_9
; %bb.10:
	v_mbcnt_lo_u32_b32 v2, exec_lo, 0
	s_mov_b32 s12, exec_lo
	s_delay_alu instid0(VALU_DEP_1)
	v_cmpx_eq_u32_e32 0, v2
	s_xor_b32 s12, exec_lo, s12
	s_cbranch_execz .LBB140_12
; %bb.11:
	v_mov_b32_e32 v2, s14
	v_dual_mov_b32 v4, 0 :: v_dual_mov_b32 v3, s15
	ds_add_u64 v4, v[2:3] offset:5136
.LBB140_12:
	s_or_b32 exec_lo, exec_lo, s9
	v_mov_b32_e32 v2, 0
	s_waitcnt lgkmcnt(0)
	s_barrier
	buffer_gl0_inv
	s_load_b32 s9, s[0:1], 0x4f8
	ds_load_b64 v[2:3], v2 offset:5136
	s_mov_b64 s[44:45], s[24:25]
	s_waitcnt lgkmcnt(0)
	s_bitcmp1_b32 s9, 0
	v_readfirstlane_b32 s0, v2
	v_readfirstlane_b32 s1, v3
	s_cselect_b32 s9, -1, 0
	s_delay_alu instid0(VALU_DEP_1) | instskip(NEXT) | instid1(VALU_DEP_1)
	v_cmp_lt_i64_e64 s12, s[0:1], 1
	s_or_b32 s9, s9, s12
	s_delay_alu instid0(SALU_CYCLE_1)
	s_and_not1_b32 vcc_lo, exec_lo, s9
	s_cbranch_vccnz .LBB140_14
; %bb.13:
	s_not_b64 s[0:1], s[0:1]
	s_delay_alu instid0(SALU_CYCLE_1) | instskip(SKIP_1) | instid1(SALU_CYCLE_1)
	s_add_u32 s0, s0, s24
	s_addc_u32 s1, s1, s25
	s_lshr_b64 s[0:1], s[0:1], 1
	s_delay_alu instid0(SALU_CYCLE_1)
	s_add_u32 s44, s0, 1
	s_addc_u32 s45, s1, 0
.LBB140_14:
	s_and_saveexec_b32 s0, s3
	s_cbranch_execz .LBB140_16
; %bb.15:
	v_dual_mov_b32 v2, 0 :: v_dual_mov_b32 v5, s25
	s_delay_alu instid0(VALU_DEP_1)
	v_dual_mov_b32 v4, s24 :: v_dual_mov_b32 v3, v2
	ds_store_b32 v2, v2 offset:5144
	ds_store_b128 v2, v[2:5] offset:5120
.LBB140_16:
	s_or_b32 exec_lo, exec_lo, s0
	v_mad_u64_u32 v[2:3], null, v0, s38, 0
	v_lshlrev_b32_e32 v31, 3, v0
	v_mbcnt_lo_u32_b32 v27, -1, 0
	v_dual_mov_b32 v15, 0 :: v_dual_lshlrev_b32 v28, 1, v0
	v_lshrrev_b32_e32 v6, 3, v0
	s_delay_alu instid0(VALU_DEP_4) | instskip(SKIP_3) | instid1(VALU_DEP_3)
	v_or_b32_e32 v22, 2, v31
	v_mad_u64_u32 v[4:5], null, v0, s39, v[3:4]
	v_lshlrev_b32_e32 v12, 2, v0
	s_waitcnt lgkmcnt(0)
	v_mad_u64_u32 v[20:21], null, s38, v22, 0
	s_barrier
	buffer_gl0_inv
	v_mov_b32_e32 v3, v4
	s_load_b32 s9, s[6:7], 0xc
	s_lshl_b64 s[10:11], s[10:11], 1
	v_cmp_gt_u32_e32 vcc_lo, 32, v0
	s_add_u32 s46, s4, s10
	v_lshlrev_b64 v[4:5], 1, v[2:3]
	v_cmp_gt_i32_e64 s4, 4, v27
	v_dual_mov_b32 v13, v15 :: v_dual_and_b32 v30, 0x7c, v6
	v_mov_b32_e32 v6, v21
	v_or_b32_e32 v9, 6, v31
	v_or_b32_e32 v14, 4, v31
	s_addc_u32 s47, s5, s11
	s_and_b32 s68, vcc_lo, s4
	v_add_co_u32 v10, vcc_lo, s46, v4
	v_mad_u64_u32 v[16:17], null, s38, v9, 0
	v_mad_u64_u32 v[18:19], null, s38, v14, 0
	v_add_co_ci_u32_e32 v11, vcc_lo, s47, v5, vcc_lo
	v_lshlrev_b64 v[4:5], v27, -1
	v_add_nc_u32_e32 v29, 0xc00, v28
	s_waitcnt lgkmcnt(0)
	s_and_b32 s29, s9, 0xffff
	s_bfe_u32 s4, s9, 0xb0005
	s_delay_alu instid0(VALU_DEP_4)
	v_dual_mov_b32 v5, v19 :: v_dual_mov_b32 v36, 0
	v_not_b32_e32 v32, v4
	v_mov_b32_e32 v4, v17
	s_add_u32 s69, s29, -1
	s_addc_u32 s70, 0, -1
	s_add_u32 s71, s69, s24
	s_addc_u32 s49, s70, s25
	v_mad_u64_u32 v[7:8], null, s39, v9, v[4:5]
	s_cmp_lt_u32 s13, s8
	v_mad_u64_u32 v[8:9], null, s39, v14, v[5:6]
	s_cselect_b32 s5, 12, 18
	v_cmp_lt_u64_e64 s33, 0x600, s[24:25]
	s_add_u32 s50, s6, s5
	s_delay_alu instid0(VALU_DEP_3)
	v_mad_u64_u32 v[4:5], null, s39, v22, v[6:7]
	s_addc_u32 s51, s7, 0
	s_add_i32 s5, s4, -1
	s_bfe_u32 s72, s29, 0x30005
	s_cmp_gt_u32 s5, 6
	v_lshlrev_b64 v[21:22], 3, v[2:3]
	s_cselect_b32 s73, -1, 0
	s_and_b32 s74, s4, 0x7f8
	s_cmp_lg_u32 s72, 0
	s_mul_i32 s4, s39, s29
	s_mul_hi_u32 s5, s38, s29
	v_cmp_gt_u32_e64 s0, 2, v0
	v_cmp_eq_u32_e64 s1, 0, v27
	v_cmp_gt_u16_e64 s75, s9, 31
	v_mov_b32_e32 v17, v7
	v_mov_b32_e32 v19, v8
	;; [unrolled: 1-line block ×3, first 2 shown]
	v_lshl_or_b32 v34, v27, 3, 0xc00
	v_mov_b32_e32 v35, 0x8000
	s_cselect_b32 s76, -1, 0
	s_add_i32 s5, s5, s4
	s_mul_i32 s4, s38, s29
	s_mov_b32 s43, 0
	s_lshl_b64 s[52:53], s[38:39], 1
	s_lshl_b64 s[54:55], s[38:39], 3
	s_lshl_b32 s77, s29, 1
	s_lshl_b64 s[40:41], s[4:5], 1
	s_mov_b32 s83, 14
	s_movk_i32 s78, 0x3f80
	s_mov_b32 s79, 0
	s_mov_b32 s86, 0
	;; [unrolled: 1-line block ×4, first 2 shown]
                                        ; implicit-def: $sgpr80
                                        ; implicit-def: $sgpr82
                                        ; implicit-def: $sgpr81
                                        ; implicit-def: $sgpr85
                                        ; implicit-def: $sgpr87
                                        ; implicit-def: $sgpr84
	s_branch .LBB140_21
.LBB140_17:                             ;   in Loop: Header=BB140_21 Depth=1
	s_xor_b32 s86, s86, 1
	s_add_i32 s7, s83, -2
	s_cmp_eq_u32 s83, 0
	s_mov_b32 s5, 0
	s_cselect_b32 s6, -1, 0
	s_mov_b32 s83, s7
.LBB140_18:                             ;   in Loop: Header=BB140_21 Depth=1
	s_and_not1_b32 s7, s13, exec_lo
	s_and_b32 s5, s5, exec_lo
	s_and_not1_b32 s19, s19, exec_lo
	s_or_b32 s13, s7, s5
	s_and_not1_b32 s12, s12, exec_lo
	s_or_not1_b32 s15, s6, exec_lo
.LBB140_19:                             ;   in Loop: Header=BB140_21 Depth=1
	s_or_b32 exec_lo, exec_lo, s4
	s_delay_alu instid0(SALU_CYCLE_1)
	s_and_not1_b32 s4, s84, exec_lo
	s_and_b32 s5, s13, exec_lo
	s_and_not1_b32 s6, s85, exec_lo
	s_or_b32 s84, s4, s5
	s_and_not1_b32 s4, s87, exec_lo
	s_and_b32 s5, s19, exec_lo
	s_and_b32 s7, s12, exec_lo
	s_or_b32 s87, s4, s5
	s_or_b32 s85, s6, s7
	s_or_not1_b32 s19, s15, exec_lo
.LBB140_20:                             ;   in Loop: Header=BB140_21 Depth=1
	s_or_b32 exec_lo, exec_lo, s14
	s_delay_alu instid0(SALU_CYCLE_1)
	s_and_b32 s4, exec_lo, s19
	v_mov_b32_e32 v2, s88
	s_or_b32 s79, s4, s79
	s_and_not1_b32 s4, s81, exec_lo
	s_and_b32 s5, s84, exec_lo
	s_and_not1_b32 s6, s80, exec_lo
	s_or_b32 s81, s4, s5
	s_and_not1_b32 s4, s82, exec_lo
	s_and_b32 s5, s87, exec_lo
	s_and_b32 s7, s85, exec_lo
	s_or_b32 s82, s4, s5
	s_or_b32 s80, s6, s7
	s_and_not1_b32 exec_lo, exec_lo, s79
	s_cbranch_execz .LBB140_286
.LBB140_21:                             ; =>This Loop Header: Depth=1
                                        ;     Child Loop BB140_26 Depth 2
                                        ;     Child Loop BB140_44 Depth 2
	;; [unrolled: 1-line block ×16, first 2 shown]
	ds_load_b128 v[2:5], v15 offset:5120
	s_waitcnt lgkmcnt(0)
	v_readfirstlane_b32 s57, v3
	v_readfirstlane_b32 s56, v2
	s_delay_alu instid0(VALU_DEP_1)
	s_cmp_lg_u64 s[56:57], 0
	s_cbranch_scc1 .LBB140_51
; %bb.22:                               ;   in Loop: Header=BB140_21 Depth=1
	s_and_b32 vcc_lo, exec_lo, s33
	s_cbranch_vccz .LBB140_34
; %bb.23:                               ;   in Loop: Header=BB140_21 Depth=1
	v_cmp_gt_u64_e32 vcc_lo, 0x601, v[4:5]
	s_mov_b32 s6, 0
	s_mov_b32 s4, 0
	s_cbranch_vccz .LBB140_35
; %bb.24:                               ;   in Loop: Header=BB140_21 Depth=1
	global_load_u16 v6, v15, s[50:51]
	global_load_u16 v7, v[10:11], off
	s_mov_b32 s8, 0
	s_waitcnt vmcnt(1)
	v_readfirstlane_b32 s4, v6
	v_and_b32_e32 v6, 0xffff, v6
	s_delay_alu instid0(VALU_DEP_2) | instskip(NEXT) | instid1(SALU_CYCLE_1)
	s_and_b32 s4, 0xffff, s4
	v_add_nc_u32_e32 v8, s4, v0
	s_mul_i32 s5, s53, s4
	s_mul_hi_u32 s7, s52, s4
	s_mul_i32 s9, s52, s4
	s_add_i32 s7, s7, s5
	v_mad_u64_u32 v[2:3], null, s52, v8, s[46:47]
	s_delay_alu instid0(VALU_DEP_1) | instskip(NEXT) | instid1(VALU_DEP_1)
	v_mad_u64_u32 v[4:5], null, s53, v8, v[3:4]
	v_mov_b32_e32 v3, v4
	v_dual_mov_b32 v5, v1 :: v_dual_mov_b32 v4, v0
	s_branch .LBB140_26
.LBB140_25:                             ;   in Loop: Header=BB140_26 Depth=2
	s_or_b32 exec_lo, exec_lo, s5
	v_add_co_u32 v2, vcc_lo, v2, s9
	v_add_co_ci_u32_e32 v3, vcc_lo, s7, v3, vcc_lo
	v_mov_b32_e32 v7, v8
	s_and_not1_b32 exec_lo, exec_lo, s8
	s_cbranch_execz .LBB140_36
.LBB140_26:                             ;   Parent Loop BB140_21 Depth=1
                                        ; =>  This Inner Loop Header: Depth=2
	s_delay_alu instid0(VALU_DEP_1) | instskip(NEXT) | instid1(VALU_DEP_2)
	v_add_co_u32 v4, vcc_lo, v4, v6
	v_add_co_ci_u32_e32 v5, vcc_lo, 0, v5, vcc_lo
	s_waitcnt lgkmcnt(0)
	v_dual_mov_b32 v9, 0 :: v_dual_mov_b32 v8, 0
	s_mov_b32 s5, exec_lo
	s_delay_alu instid0(VALU_DEP_2)
	v_cmp_le_u64_e32 vcc_lo, s[24:25], v[4:5]
	v_cmpx_gt_u64_e64 s[24:25], v[4:5]
	s_cbranch_execz .LBB140_28
; %bb.27:                               ;   in Loop: Header=BB140_26 Depth=2
	global_load_u16 v8, v[2:3], off
.LBB140_28:                             ;   in Loop: Header=BB140_26 Depth=2
	s_or_b32 exec_lo, exec_lo, s5
	s_waitcnt vmcnt(0)
	v_cmp_lt_i16_e64 s4, -1, v7
	v_and_b32_e32 v14, 0xffff, v7
	v_lshlrev_b32_e32 v24, 16, v7
	s_delay_alu instid0(VALU_DEP_3) | instskip(NEXT) | instid1(VALU_DEP_2)
	v_cndmask_b32_e64 v23, 0xffff, v35, s4
	v_cmp_o_f32_e64 s4, v24, v24
	s_delay_alu instid0(VALU_DEP_2) | instskip(NEXT) | instid1(VALU_DEP_1)
	v_xor_b32_e32 v14, v23, v14
	v_cndmask_b32_e64 v14, 0xffff, v14, s4
	s_delay_alu instid0(VALU_DEP_1) | instskip(NEXT) | instid1(VALU_DEP_1)
	v_and_b32_e32 v14, s89, v14
	v_cmp_eq_u32_e64 s4, s88, v14
	s_delay_alu instid0(VALU_DEP_1) | instskip(SKIP_1) | instid1(SALU_CYCLE_1)
	s_cmp_lg_u32 s4, 0
	s_cselect_b32 s5, -1, 0
	s_and_b32 s5, s1, s5
	s_delay_alu instid0(SALU_CYCLE_1)
	s_and_saveexec_b32 s10, s5
	s_cbranch_execz .LBB140_32
; %bb.29:                               ;   in Loop: Header=BB140_26 Depth=2
	s_mov_b32 s13, exec_lo
	s_bcnt1_i32_b32 s11, s4
	v_mbcnt_lo_u32_b32 v9, s13, 0
	s_mov_b32 s12, exec_lo
                                        ; implicit-def: $vgpr14
	s_delay_alu instid0(VALU_DEP_1)
	v_cmpx_eq_u32_e32 0, v9
	s_cbranch_execz .LBB140_31
; %bb.30:                               ;   in Loop: Header=BB140_26 Depth=2
	s_bcnt1_i32_b32 s5, s13
	s_delay_alu instid0(SALU_CYCLE_1) | instskip(NEXT) | instid1(SALU_CYCLE_1)
	s_mul_i32 s5, s11, s5
	v_mov_b32_e32 v14, s5
	ds_add_rtn_u32 v14, v15, v14 offset:5144
.LBB140_31:                             ;   in Loop: Header=BB140_26 Depth=2
	s_or_b32 exec_lo, exec_lo, s12
	s_waitcnt lgkmcnt(0)
	v_readfirstlane_b32 s5, v14
	s_delay_alu instid0(VALU_DEP_1)
	v_mad_u32_u24 v9, s11, v9, s5
.LBB140_32:                             ;   in Loop: Header=BB140_26 Depth=2
	s_or_b32 exec_lo, exec_lo, s10
	ds_bpermute_b32 v9, v15, v9
	s_and_b32 s5, exec_lo, vcc_lo
	s_delay_alu instid0(SALU_CYCLE_1)
	s_or_b32 s8, s5, s8
	s_and_saveexec_b32 s5, s4
	s_cbranch_execz .LBB140_25
; %bb.33:                               ;   in Loop: Header=BB140_26 Depth=2
	v_and_b32_e32 v14, s4, v32
	s_delay_alu instid0(VALU_DEP_1) | instskip(NEXT) | instid1(VALU_DEP_1)
	v_bcnt_u32_b32 v14, v14, 0
	v_lshlrev_b32_e32 v14, 1, v14
	s_waitcnt lgkmcnt(0)
	s_delay_alu instid0(VALU_DEP_1)
	v_lshl_add_u32 v9, v9, 1, v14
	ds_store_b16 v9, v7
	s_branch .LBB140_25
.LBB140_34:                             ;   in Loop: Header=BB140_21 Depth=1
	s_mov_b32 s4, 0
                                        ; implicit-def: $sgpr56_sgpr57
	s_cbranch_execnz .LBB140_39
	s_branch .LBB140_49
.LBB140_35:                             ;   in Loop: Header=BB140_21 Depth=1
	s_mov_b64 s[56:57], 0
	s_and_b32 vcc_lo, exec_lo, s6
	s_cbranch_vccnz .LBB140_39
	s_branch .LBB140_49
.LBB140_36:                             ;   in Loop: Header=BB140_21 Depth=1
	s_or_b32 exec_lo, exec_lo, s8
	s_waitcnt lgkmcnt(0)
	s_barrier
	buffer_gl0_inv
	s_and_saveexec_b32 s4, s3
	s_cbranch_execz .LBB140_38
; %bb.37:                               ;   in Loop: Header=BB140_21 Depth=1
	ds_load_b32 v2, v15 offset:5144
	s_waitcnt lgkmcnt(0)
	v_ashrrev_i32_e32 v3, 31, v2
	ds_store_b64 v15, v[2:3] offset:5120
.LBB140_38:                             ;   in Loop: Header=BB140_21 Depth=1
	s_or_b32 exec_lo, exec_lo, s4
	s_waitcnt lgkmcnt(0)
	s_mov_b32 s4, -1
	s_barrier
	s_mov_b64 s[56:57], 0
	s_and_b32 vcc_lo, exec_lo, s6
	s_cbranch_vccz .LBB140_49
.LBB140_39:                             ;   in Loop: Header=BB140_21 Depth=1
	v_mov_b32_e32 v6, 0
	s_and_saveexec_b32 s4, s2
	s_cbranch_execz .LBB140_41
; %bb.40:                               ;   in Loop: Header=BB140_21 Depth=1
	global_load_u16 v6, v[10:11], off
.LBB140_41:                             ;   in Loop: Header=BB140_21 Depth=1
	s_or_b32 exec_lo, exec_lo, s4
	s_and_saveexec_b32 s5, s2
	s_cbranch_execz .LBB140_46
; %bb.42:                               ;   in Loop: Header=BB140_21 Depth=1
	global_load_u16 v8, v15, s[50:51]
	s_mov_b32 s9, 0
	s_waitcnt vmcnt(0)
	v_readfirstlane_b32 s4, v8
	v_and_b32_e32 v8, 0xffff, v8
	s_delay_alu instid0(VALU_DEP_2) | instskip(NEXT) | instid1(SALU_CYCLE_1)
	s_and_b32 s4, 0xffff, s4
	v_add_nc_u32_e32 v7, s4, v0
	s_mul_i32 s7, s53, s4
	s_mul_hi_u32 s8, s52, s4
	s_lshl_b32 s6, s4, 1
	s_add_i32 s7, s8, s7
	v_mad_u64_u32 v[2:3], null, s52, v7, s[46:47]
	s_mul_i32 s8, s52, s4
	s_delay_alu instid0(VALU_DEP_1) | instskip(SKIP_1) | instid1(VALU_DEP_2)
	v_mad_u64_u32 v[4:5], null, s53, v7, v[3:4]
	v_mov_b32_e32 v7, v28
	v_mov_b32_e32 v3, v4
	v_dual_mov_b32 v5, v1 :: v_dual_mov_b32 v4, v0
	s_branch .LBB140_44
	.p2align	6
.LBB140_43:                             ;   in Loop: Header=BB140_44 Depth=2
	s_or_b32 exec_lo, exec_lo, s10
	s_delay_alu instid0(SALU_CYCLE_1)
	s_and_b32 s4, exec_lo, vcc_lo
	v_add_co_u32 v2, vcc_lo, v2, s8
	ds_store_b16 v7, v6
	s_waitcnt vmcnt(0)
	v_dual_mov_b32 v6, v9 :: v_dual_add_nc_u32 v7, s6, v7
	v_add_co_ci_u32_e32 v3, vcc_lo, s7, v3, vcc_lo
	s_or_b32 s9, s4, s9
	s_delay_alu instid0(SALU_CYCLE_1)
	s_and_not1_b32 exec_lo, exec_lo, s9
	s_cbranch_execz .LBB140_46
.LBB140_44:                             ;   Parent Loop BB140_21 Depth=1
                                        ; =>  This Inner Loop Header: Depth=2
	s_delay_alu instid0(VALU_DEP_1) | instskip(NEXT) | instid1(VALU_DEP_2)
	v_add_co_u32 v4, vcc_lo, v4, v8
	v_add_co_ci_u32_e32 v5, vcc_lo, 0, v5, vcc_lo
	v_mov_b32_e32 v9, 0
	s_mov_b32 s10, exec_lo
	s_delay_alu instid0(VALU_DEP_2)
	v_cmp_le_u64_e32 vcc_lo, s[24:25], v[4:5]
	v_cmpx_gt_u64_e64 s[24:25], v[4:5]
	s_cbranch_execz .LBB140_43
; %bb.45:                               ;   in Loop: Header=BB140_44 Depth=2
	global_load_u16 v9, v[2:3], off
	s_branch .LBB140_43
.LBB140_46:                             ;   in Loop: Header=BB140_21 Depth=1
	s_or_b32 exec_lo, exec_lo, s5
	s_waitcnt vmcnt(0) lgkmcnt(0)
	s_barrier
	buffer_gl0_inv
	s_and_saveexec_b32 s4, s3
	s_cbranch_execz .LBB140_48
; %bb.47:                               ;   in Loop: Header=BB140_21 Depth=1
	v_dual_mov_b32 v2, s24 :: v_dual_mov_b32 v3, s25
	ds_store_b64 v15, v[2:3] offset:5120
.LBB140_48:                             ;   in Loop: Header=BB140_21 Depth=1
	s_or_b32 exec_lo, exec_lo, s4
	s_mov_b32 s4, -1
	s_waitcnt lgkmcnt(0)
	s_barrier
                                        ; implicit-def: $sgpr56_sgpr57
.LBB140_49:                             ;   in Loop: Header=BB140_21 Depth=1
	s_and_b32 vcc_lo, exec_lo, s4
	s_cbranch_vccz .LBB140_51
; %bb.50:                               ;   in Loop: Header=BB140_21 Depth=1
	buffer_gl0_inv
	ds_load_b64 v[2:3], v15 offset:5120
	s_waitcnt lgkmcnt(0)
	v_readfirstlane_b32 s56, v2
.LBB140_51:                             ;   in Loop: Header=BB140_21 Depth=1
	s_delay_alu instid0(VALU_DEP_1)
	s_cmp_lt_i32 s56, 1
	s_cbranch_scc0 .LBB140_66
; %bb.52:                               ;   in Loop: Header=BB140_21 Depth=1
	global_load_u16 v2, v15, s[50:51]
	s_mov_b32 s5, s25
	s_waitcnt vmcnt(0)
	v_readfirstlane_b32 s4, v2
	s_delay_alu instid0(VALU_DEP_1)
	s_and_b32 s42, s4, 0xffff
	s_mov_b32 s4, s43
	s_lshl_b32 s48, s42, 2
	s_cmp_lg_u64 s[4:5], 0
	s_cbranch_scc0 .LBB140_86
; %bb.53:                               ;   in Loop: Header=BB140_21 Depth=1
	v_cvt_f32_u32_e32 v2, s48
	s_sub_u32 s6, 0, s48
	s_subb_u32 s7, 0, 0
	s_delay_alu instid0(VALU_DEP_1) | instskip(NEXT) | instid1(VALU_DEP_1)
	v_fmac_f32_e64 v2, 0, 0x4f800000
	v_rcp_f32_e32 v2, v2
	s_waitcnt_depctr 0xfff
	v_mul_f32_e32 v2, 0x5f7ffffc, v2
	s_delay_alu instid0(VALU_DEP_1) | instskip(NEXT) | instid1(VALU_DEP_1)
	v_mul_f32_e32 v3, 0x2f800000, v2
	v_trunc_f32_e32 v3, v3
	s_delay_alu instid0(VALU_DEP_1) | instskip(SKIP_1) | instid1(VALU_DEP_2)
	v_fmac_f32_e32 v2, 0xcf800000, v3
	v_cvt_u32_f32_e32 v3, v3
	v_cvt_u32_f32_e32 v2, v2
	s_delay_alu instid0(VALU_DEP_2) | instskip(NEXT) | instid1(VALU_DEP_2)
	v_readfirstlane_b32 s4, v3
	v_readfirstlane_b32 s5, v2
	s_delay_alu instid0(VALU_DEP_2) | instskip(NEXT) | instid1(VALU_DEP_1)
	s_mul_i32 s8, s6, s4
	s_mul_hi_u32 s10, s6, s5
	s_mul_i32 s9, s7, s5
	s_add_i32 s8, s10, s8
	s_mul_i32 s11, s6, s5
	s_add_i32 s8, s8, s9
	s_mul_hi_u32 s10, s5, s11
	s_mul_hi_u32 s12, s4, s11
	s_mul_i32 s9, s4, s11
	s_mul_hi_u32 s11, s5, s8
	s_mul_i32 s5, s5, s8
	s_mul_hi_u32 s13, s4, s8
	s_add_u32 s5, s10, s5
	s_addc_u32 s10, 0, s11
	s_add_u32 s5, s5, s9
	s_mul_i32 s8, s4, s8
	s_addc_u32 s5, s10, s12
	s_addc_u32 s9, s13, 0
	s_add_u32 s5, s5, s8
	s_addc_u32 s8, 0, s9
	v_add_co_u32 v2, s5, v2, s5
	s_delay_alu instid0(VALU_DEP_1) | instskip(SKIP_1) | instid1(VALU_DEP_1)
	s_cmp_lg_u32 s5, 0
	s_addc_u32 s4, s4, s8
	v_readfirstlane_b32 s5, v2
	s_mul_i32 s8, s6, s4
	s_delay_alu instid0(VALU_DEP_1)
	s_mul_hi_u32 s9, s6, s5
	s_mul_i32 s7, s7, s5
	s_add_i32 s8, s9, s8
	s_mul_i32 s6, s6, s5
	s_add_i32 s8, s8, s7
	s_mul_hi_u32 s9, s4, s6
	s_mul_i32 s10, s4, s6
	s_mul_hi_u32 s6, s5, s6
	s_mul_hi_u32 s11, s5, s8
	s_mul_i32 s5, s5, s8
	s_mul_hi_u32 s7, s4, s8
	s_add_u32 s5, s6, s5
	s_addc_u32 s6, 0, s11
	s_add_u32 s5, s5, s10
	s_mul_i32 s8, s4, s8
	s_addc_u32 s5, s6, s9
	s_addc_u32 s6, s7, 0
	s_add_u32 s5, s5, s8
	s_addc_u32 s6, 0, s6
	v_add_co_u32 v2, s5, v2, s5
	s_delay_alu instid0(VALU_DEP_1) | instskip(SKIP_1) | instid1(VALU_DEP_1)
	s_cmp_lg_u32 s5, 0
	s_addc_u32 s4, s4, s6
	v_readfirstlane_b32 s5, v2
	s_mul_i32 s7, s24, s4
	s_mul_hi_u32 s6, s24, s4
	s_mul_hi_u32 s8, s25, s4
	s_mul_i32 s4, s25, s4
	s_mul_hi_u32 s9, s24, s5
	s_mul_hi_u32 s10, s25, s5
	s_mul_i32 s5, s25, s5
	s_add_u32 s7, s9, s7
	s_addc_u32 s6, 0, s6
	s_add_u32 s5, s7, s5
	s_addc_u32 s5, s6, s10
	s_addc_u32 s6, s8, 0
	s_add_u32 s4, s5, s4
	s_addc_u32 s5, 0, s6
	s_mul_hi_u32 s6, s48, s4
	s_mul_i32 s4, s48, s4
	s_mul_i32 s5, s48, s5
	v_sub_co_u32 v2, s4, s24, s4
	s_add_i32 s6, s6, s5
	s_cmp_lg_u32 s4, 0
	s_delay_alu instid0(VALU_DEP_1) | instskip(SKIP_2) | instid1(VALU_DEP_1)
	v_sub_co_u32 v3, s4, v2, s48
	s_subb_u32 s5, s25, s6
	s_cmp_lg_u32 s4, 0
	v_cmp_le_u32_e32 vcc_lo, s48, v3
	v_sub_co_u32 v4, s4, v3, s48
	s_subb_u32 s6, s5, 0
	s_cmp_lg_u32 s4, 0
	v_cndmask_b32_e64 v5, 0, -1, vcc_lo
	s_subb_u32 s4, s6, 0
	s_cmp_eq_u32 s6, 0
	v_mov_b32_e32 v7, s4
	s_cselect_b32 vcc_lo, -1, 0
	s_cmp_eq_u32 s5, 0
	v_cndmask_b32_e32 v5, -1, v5, vcc_lo
	v_cmp_le_u32_e32 vcc_lo, s48, v2
	s_cselect_b32 s4, -1, 0
	v_cndmask_b32_e64 v6, 0, -1, vcc_lo
	s_delay_alu instid0(VALU_DEP_3) | instskip(NEXT) | instid1(VALU_DEP_2)
	v_cmp_ne_u32_e32 vcc_lo, 0, v5
	v_cndmask_b32_e64 v5, -1, v6, s4
	v_cndmask_b32_e32 v6, s6, v7, vcc_lo
	v_cndmask_b32_e32 v4, v3, v4, vcc_lo
	s_delay_alu instid0(VALU_DEP_3) | instskip(NEXT) | instid1(VALU_DEP_3)
	v_cmp_ne_u32_e32 vcc_lo, 0, v5
	v_cndmask_b32_e32 v3, s5, v6, vcc_lo
	s_delay_alu instid0(VALU_DEP_3)
	v_cndmask_b32_e32 v2, v2, v4, vcc_lo
	s_cbranch_execnz .LBB140_55
.LBB140_54:                             ;   in Loop: Header=BB140_21 Depth=1
	v_cvt_f32_u32_e32 v2, s48
	s_sub_i32 s4, 0, s48
	s_delay_alu instid0(VALU_DEP_1) | instskip(SKIP_2) | instid1(VALU_DEP_1)
	v_rcp_iflag_f32_e32 v2, v2
	s_waitcnt_depctr 0xfff
	v_mul_f32_e32 v2, 0x4f7ffffe, v2
	v_cvt_u32_f32_e32 v2, v2
	s_delay_alu instid0(VALU_DEP_1) | instskip(NEXT) | instid1(VALU_DEP_1)
	v_mul_lo_u32 v3, s4, v2
	v_mul_hi_u32 v3, v2, v3
	s_delay_alu instid0(VALU_DEP_1) | instskip(NEXT) | instid1(VALU_DEP_1)
	v_add_nc_u32_e32 v2, v2, v3
	v_mul_hi_u32 v2, s24, v2
	s_delay_alu instid0(VALU_DEP_1) | instskip(NEXT) | instid1(VALU_DEP_1)
	v_mul_lo_u32 v2, v2, s48
	v_sub_nc_u32_e32 v2, s24, v2
	s_delay_alu instid0(VALU_DEP_1) | instskip(SKIP_1) | instid1(VALU_DEP_2)
	v_subrev_nc_u32_e32 v3, s48, v2
	v_cmp_le_u32_e32 vcc_lo, s48, v2
	v_cndmask_b32_e32 v2, v2, v3, vcc_lo
	s_delay_alu instid0(VALU_DEP_1) | instskip(SKIP_1) | instid1(VALU_DEP_2)
	v_subrev_nc_u32_e32 v3, s48, v2
	v_cmp_le_u32_e32 vcc_lo, s48, v2
	v_cndmask_b32_e32 v14, v2, v3, vcc_lo
	s_delay_alu instid0(VALU_DEP_1)
	v_dual_mov_b32 v2, v14 :: v_dual_mov_b32 v3, v15
.LBB140_55:                             ;   in Loop: Header=BB140_21 Depth=1
	s_delay_alu instid0(VALU_DEP_1) | instskip(NEXT) | instid1(VALU_DEP_2)
	v_sub_co_u32 v23, vcc_lo, s24, v2
	v_sub_co_ci_u32_e32 v24, vcc_lo, s25, v3, vcc_lo
	v_mov_b32_e32 v2, 0
	v_mov_b32_e32 v3, 0
	s_mov_b64 s[58:59], 0
	s_mov_b32 s57, exec_lo
	s_delay_alu instid0(VALU_DEP_1)
	v_dual_mov_b32 v5, v3 :: v_dual_mov_b32 v4, v2
	v_dual_mov_b32 v7, v3 :: v_dual_mov_b32 v6, v2
	;; [unrolled: 1-line block ×3, first 2 shown]
	v_cmpx_gt_u64_e64 v[23:24], v[12:13]
	s_cbranch_execz .LBB140_59
; %bb.56:                               ;   in Loop: Header=BB140_21 Depth=1
	v_dual_mov_b32 v26, v13 :: v_dual_mov_b32 v25, v12
	s_mul_i32 s4, s55, s42
	s_mul_hi_u32 s5, s54, s42
	s_and_b32 s90, s83, 0xfe
	s_add_i32 s91, s5, s4
	s_mul_i32 s92, s54, s42
	s_mov_b32 s93, 0
	s_mov_b64 s[60:61], s[46:47]
	s_mov_b64 s[62:63], 0
	;; [unrolled: 1-line block ×4, first 2 shown]
.LBB140_57:                             ;   Parent Loop BB140_21 Depth=1
                                        ; =>  This Inner Loop Header: Depth=2
	v_add_co_u32 v2, vcc_lo, s60, v21
	v_add_co_ci_u32_e32 v3, vcc_lo, s61, v22, vcc_lo
	v_add_co_u32 v4, vcc_lo, s60, v20
	v_add_co_ci_u32_e32 v5, vcc_lo, s61, v33, vcc_lo
	;; [unrolled: 2-line block ×4, first 2 shown]
	s_clause 0x3
	global_load_u16 v2, v[2:3], off
	global_load_u16 v3, v[4:5], off
	;; [unrolled: 1-line block ×4, first 2 shown]
	v_add_co_u32 v25, vcc_lo, v25, s48
	v_add_co_ci_u32_e32 v26, vcc_lo, 0, v26, vcc_lo
	s_delay_alu instid0(VALU_DEP_1)
	v_cmp_ge_u64_e32 vcc_lo, v[25:26], v[23:24]
	s_waitcnt vmcnt(3)
	v_cmp_lt_i16_e64 s4, -1, v2
	v_and_b32_e32 v6, 0xffff, v2
	v_lshlrev_b32_e32 v2, 16, v2
	s_waitcnt vmcnt(2)
	v_and_b32_e32 v8, 0xffff, v3
	s_waitcnt vmcnt(1)
	v_and_b32_e32 v14, 0xffff, v4
	v_cndmask_b32_e64 v7, 0xffff, v35, s4
	v_cmp_lt_i16_e64 s4, -1, v3
	v_lshlrev_b32_e32 v3, 16, v3
	v_cmp_o_f32_e64 s7, v2, v2
	s_waitcnt vmcnt(0)
	v_and_b32_e32 v38, 0xffff, v5
	v_xor_b32_e32 v6, v7, v6
	v_cndmask_b32_e64 v9, 0xffff, v35, s4
	v_cmp_lt_i16_e64 s4, -1, v4
	v_lshlrev_b32_e32 v4, 16, v4
	s_delay_alu instid0(VALU_DEP_4) | instskip(NEXT) | instid1(VALU_DEP_4)
	v_cndmask_b32_e64 v2, 0xffff, v6, s7
	v_xor_b32_e32 v7, v9, v8
	s_delay_alu instid0(VALU_DEP_4)
	v_cndmask_b32_e64 v37, 0xffff, v35, s4
	v_cmp_lt_i16_e64 s4, -1, v5
	v_lshlrev_b32_e32 v5, 16, v5
	v_cmp_o_f32_e64 s5, v4, v4
	v_and_b32_e32 v6, s89, v2
	v_bfe_u32 v2, v2, s90, 2
	v_cndmask_b32_e64 v39, 0xffff, v35, s4
	v_cmp_o_f32_e64 s4, v3, v3
	v_xor_b32_e32 v3, v37, v14
	v_cmp_o_f32_e64 s6, v5, v5
	v_cmp_eq_u32_e64 s8, 0, v2
	v_xor_b32_e32 v4, v39, v38
	v_cndmask_b32_e64 v5, 0xffff, v7, s4
	v_cndmask_b32_e64 v3, 0xffff, v3, s5
	v_cmp_eq_u32_e64 s4, s88, v6
	v_cmp_eq_u32_e64 s12, 1, v2
	v_cndmask_b32_e64 v4, 0xffff, v4, s6
	v_and_b32_e32 v7, s89, v5
	v_bfe_u32 v5, v5, s90, 2
	v_and_b32_e32 v8, s89, v3
	v_bfe_u32 v3, v3, s90, 2
	;; [unrolled: 2-line block ×3, first 2 shown]
	v_cmp_eq_u32_e64 s5, s88, v7
	v_cmp_eq_u32_e64 s9, 0, v5
	;; [unrolled: 1-line block ×4, first 2 shown]
	s_and_b32 s8, s4, s8
	v_cmp_eq_u32_e64 s7, s88, v9
	v_cmp_eq_u32_e64 s11, 0, v4
	;; [unrolled: 1-line block ×4, first 2 shown]
	v_cndmask_b32_e64 v2, 0, 1, s8
	s_and_b32 s8, s5, s9
	v_cmp_eq_u32_e64 s14, 1, v3
	v_cmp_eq_u32_e64 s18, 2, v3
	v_cmp_eq_u32_e64 s22, 3, v3
	v_cndmask_b32_e64 v3, 0, 1, s8
	s_and_b32 s8, s6, s10
	v_cmp_eq_u32_e64 s15, 1, v4
	v_cmp_eq_u32_e64 s19, 2, v4
	v_cmp_eq_u32_e64 s23, 3, v4
	;; [unrolled: 5-line block ×3, first 2 shown]
	v_cndmask_b32_e64 v5, 0, 1, s8
	v_cmp_ne_u32_e64 s8, 0, v2
	v_cmp_ne_u32_e64 s9, 0, v3
	;; [unrolled: 1-line block ×3, first 2 shown]
	s_delay_alu instid0(VALU_DEP_4) | instskip(NEXT) | instid1(VALU_DEP_4)
	v_cmp_ne_u32_e64 s11, 0, v5
	s_bcnt1_i32_b32 s8, s8
	s_delay_alu instid0(VALU_DEP_3) | instskip(NEXT) | instid1(VALU_DEP_2)
	s_bcnt1_i32_b32 s9, s9
	s_bcnt1_i32_b32 s10, s10
	s_add_i32 s8, s9, s8
	s_bcnt1_i32_b32 s11, s11
	s_add_i32 s8, s8, s10
	s_delay_alu instid0(SALU_CYCLE_1) | instskip(NEXT) | instid1(SALU_CYCLE_1)
	s_add_i32 s8, s8, s11
	s_add_u32 s66, s66, s8
	s_addc_u32 s67, s67, 0
	s_and_b32 s8, s4, s12
	v_mov_b32_e32 v2, s66
	v_cndmask_b32_e64 v4, 0, 1, s8
	s_and_b32 s8, s5, s13
	v_mov_b32_e32 v3, s67
	v_cndmask_b32_e64 v5, 0, 1, s8
	s_and_b32 s8, s6, s14
	s_delay_alu instid0(SALU_CYCLE_1) | instskip(SKIP_1) | instid1(VALU_DEP_2)
	v_cndmask_b32_e64 v6, 0, 1, s8
	s_and_b32 s8, s7, s15
	v_cmp_ne_u32_e64 s9, 0, v5
	v_cndmask_b32_e64 v7, 0, 1, s8
	v_cmp_ne_u32_e64 s8, 0, v4
	v_cmp_ne_u32_e64 s10, 0, v6
	s_delay_alu instid0(VALU_DEP_4) | instskip(NEXT) | instid1(VALU_DEP_3)
	s_bcnt1_i32_b32 s9, s9
	v_cmp_ne_u32_e64 s11, 0, v7
	s_delay_alu instid0(VALU_DEP_3) | instskip(NEXT) | instid1(VALU_DEP_2)
	s_bcnt1_i32_b32 s8, s8
	s_bcnt1_i32_b32 s10, s10
	s_add_i32 s8, s9, s8
	s_delay_alu instid0(VALU_DEP_1) | instskip(SKIP_1) | instid1(SALU_CYCLE_1)
	s_bcnt1_i32_b32 s11, s11
	s_add_i32 s8, s8, s10
	s_add_i32 s8, s8, s11
	s_delay_alu instid0(SALU_CYCLE_1) | instskip(SKIP_2) | instid1(SALU_CYCLE_1)
	s_add_u32 s64, s64, s8
	s_addc_u32 s65, s65, 0
	s_and_b32 s8, s4, s16
	v_cndmask_b32_e64 v4, 0, 1, s8
	s_and_b32 s8, s5, s17
	s_delay_alu instid0(SALU_CYCLE_1) | instskip(SKIP_1) | instid1(SALU_CYCLE_1)
	v_cndmask_b32_e64 v5, 0, 1, s8
	s_and_b32 s8, s6, s18
	v_cndmask_b32_e64 v6, 0, 1, s8
	s_and_b32 s8, s7, s19
	s_delay_alu instid0(VALU_DEP_2) | instskip(SKIP_3) | instid1(VALU_DEP_4)
	v_cmp_ne_u32_e64 s9, 0, v5
	v_cndmask_b32_e64 v7, 0, 1, s8
	v_cmp_ne_u32_e64 s8, 0, v4
	v_cmp_ne_u32_e64 s10, 0, v6
	s_bcnt1_i32_b32 s9, s9
	s_delay_alu instid0(VALU_DEP_3) | instskip(NEXT) | instid1(VALU_DEP_3)
	v_cmp_ne_u32_e64 s11, 0, v7
	s_bcnt1_i32_b32 s8, s8
	s_delay_alu instid0(VALU_DEP_2) | instskip(SKIP_1) | instid1(VALU_DEP_1)
	s_bcnt1_i32_b32 s10, s10
	s_add_i32 s8, s9, s8
	s_bcnt1_i32_b32 s11, s11
	s_add_i32 s8, s8, s10
	s_delay_alu instid0(SALU_CYCLE_1) | instskip(NEXT) | instid1(SALU_CYCLE_1)
	s_add_i32 s8, s8, s11
	s_add_u32 s62, s62, s8
	s_addc_u32 s63, s63, 0
	s_and_b32 s4, s4, s20
	s_delay_alu instid0(SALU_CYCLE_1) | instskip(SKIP_1) | instid1(SALU_CYCLE_1)
	v_cndmask_b32_e64 v4, 0, 1, s4
	s_and_b32 s4, s5, s21
	v_cndmask_b32_e64 v5, 0, 1, s4
	s_and_b32 s4, s6, s22
	s_delay_alu instid0(SALU_CYCLE_1) | instskip(SKIP_1) | instid1(VALU_DEP_2)
	v_cndmask_b32_e64 v6, 0, 1, s4
	s_and_b32 s4, s7, s23
	v_cmp_ne_u32_e64 s5, 0, v5
	v_cndmask_b32_e64 v7, 0, 1, s4
	v_cmp_ne_u32_e64 s4, 0, v4
	v_cmp_ne_u32_e64 s6, 0, v6
	v_mov_b32_e32 v4, s64
	s_bcnt1_i32_b32 s5, s5
	v_cmp_ne_u32_e64 s7, 0, v7
	v_mov_b32_e32 v6, s62
	s_bcnt1_i32_b32 s4, s4
	s_bcnt1_i32_b32 s6, s6
	s_add_i32 s4, s5, s4
	s_bcnt1_i32_b32 s5, s7
	s_add_i32 s4, s4, s6
	v_mov_b32_e32 v5, s65
	s_add_i32 s4, s4, s5
	v_mov_b32_e32 v7, s63
	s_add_u32 s58, s58, s4
	s_addc_u32 s59, s59, 0
	s_delay_alu instid0(SALU_CYCLE_1) | instskip(SKIP_3) | instid1(SALU_CYCLE_1)
	v_dual_mov_b32 v8, s58 :: v_dual_mov_b32 v9, s59
	s_add_u32 s60, s60, s92
	s_addc_u32 s61, s61, s91
	s_or_b32 s93, vcc_lo, s93
	s_and_not1_b32 exec_lo, exec_lo, s93
	s_cbranch_execnz .LBB140_57
; %bb.58:                               ;   in Loop: Header=BB140_21 Depth=1
	s_or_b32 exec_lo, exec_lo, s93
.LBB140_59:                             ;   in Loop: Header=BB140_21 Depth=1
	s_delay_alu instid0(SALU_CYCLE_1) | instskip(SKIP_3) | instid1(VALU_DEP_2)
	s_or_b32 exec_lo, exec_lo, s57
	v_add_co_u32 v23, vcc_lo, v23, v0
	v_add_co_ci_u32_e32 v24, vcc_lo, 0, v24, vcc_lo
	v_mov_b32_e32 v25, 0
	v_cmp_gt_u64_e32 vcc_lo, s[24:25], v[23:24]
	s_and_saveexec_b32 s5, vcc_lo
	s_cbranch_execz .LBB140_61
; %bb.60:                               ;   in Loop: Header=BB140_21 Depth=1
	v_mul_lo_u32 v14, v24, s38
	v_mul_lo_u32 v37, v23, s39
	v_mad_u64_u32 v[25:26], null, v23, s38, 0
	s_delay_alu instid0(VALU_DEP_1) | instskip(NEXT) | instid1(VALU_DEP_1)
	v_add3_u32 v26, v26, v37, v14
	v_lshlrev_b64 v[25:26], 1, v[25:26]
	s_delay_alu instid0(VALU_DEP_1) | instskip(NEXT) | instid1(VALU_DEP_1)
	v_add_co_u32 v25, s4, s46, v25
	v_add_co_ci_u32_e64 v26, s4, s47, v26, s4
	global_load_u16 v25, v[25:26], off
.LBB140_61:                             ;   in Loop: Header=BB140_21 Depth=1
	s_or_b32 exec_lo, exec_lo, s5
	s_and_saveexec_b32 s8, vcc_lo
	s_cbranch_execz .LBB140_68
; %bb.62:                               ;   in Loop: Header=BB140_21 Depth=1
	s_and_b32 s10, s83, 0xfe
	s_mov_b32 s9, 0
	s_branch .LBB140_64
.LBB140_63:                             ;   in Loop: Header=BB140_64 Depth=2
	s_or_b32 exec_lo, exec_lo, s5
	s_waitcnt vmcnt(0)
	v_cmp_lt_i16_e64 s4, -1, v25
	v_and_b32_e32 v26, 0xffff, v25
	v_lshlrev_b32_e32 v25, 16, v25
	s_and_b32 s6, exec_lo, vcc_lo
	s_delay_alu instid0(SALU_CYCLE_1) | instskip(SKIP_1) | instid1(VALU_DEP_2)
	s_or_b32 s9, s6, s9
	v_cndmask_b32_e64 v37, 0xffff, v35, s4
	v_cmp_o_f32_e64 s4, v25, v25
	s_delay_alu instid0(VALU_DEP_2) | instskip(NEXT) | instid1(VALU_DEP_1)
	v_xor_b32_e32 v26, v37, v26
	v_cndmask_b32_e64 v25, 0xffff, v26, s4
	s_delay_alu instid0(VALU_DEP_1) | instskip(SKIP_1) | instid1(VALU_DEP_2)
	v_and_b32_e32 v26, s89, v25
	v_bfe_u32 v25, v25, s10, 2
	v_cmp_eq_u32_e64 s4, s88, v26
	s_delay_alu instid0(VALU_DEP_2) | instskip(SKIP_2) | instid1(VALU_DEP_3)
	v_cmp_eq_u32_e64 s5, 0, v25
	v_cmp_eq_u32_e32 vcc_lo, 1, v25
	v_cmp_eq_u32_e64 s6, 2, v25
	s_and_b32 s5, s4, s5
	s_delay_alu instid0(SALU_CYCLE_1) | instskip(SKIP_4) | instid1(SALU_CYCLE_1)
	v_cndmask_b32_e64 v26, 0, 1, s5
	s_and_b32 s5, s4, vcc_lo
	v_cmp_eq_u32_e32 vcc_lo, 3, v25
	v_cndmask_b32_e64 v37, 0, 1, s5
	s_and_b32 s5, s4, s6
	v_cndmask_b32_e64 v38, 0, 1, s5
	v_cmp_ne_u32_e64 s5, 0, v26
	s_delay_alu instid0(VALU_DEP_3) | instskip(SKIP_1) | instid1(SALU_CYCLE_1)
	v_cmp_ne_u32_e64 s6, 0, v37
	s_and_b32 s4, s4, vcc_lo
	v_cndmask_b32_e64 v25, 0, 1, s4
	s_delay_alu instid0(VALU_DEP_3)
	s_bcnt1_i32_b32 s4, s5
	v_cmp_ne_u32_e64 s7, 0, v38
	v_add_co_u32 v2, vcc_lo, v2, s4
	s_bcnt1_i32_b32 s5, s6
	v_add_co_ci_u32_e32 v3, vcc_lo, 0, v3, vcc_lo
	v_add_co_u32 v4, vcc_lo, v4, s5
	v_add_co_ci_u32_e32 v5, vcc_lo, 0, v5, vcc_lo
	s_bcnt1_i32_b32 s6, s7
	v_cmp_ne_u32_e32 vcc_lo, 0, v25
	v_mov_b32_e32 v25, v14
	v_add_co_u32 v6, s4, v6, s6
	s_delay_alu instid0(VALU_DEP_1) | instskip(SKIP_1) | instid1(SALU_CYCLE_1)
	v_add_co_ci_u32_e64 v7, s4, 0, v7, s4
	s_bcnt1_i32_b32 s4, vcc_lo
	v_add_co_u32 v8, vcc_lo, v8, s4
	v_add_co_ci_u32_e32 v9, vcc_lo, 0, v9, vcc_lo
	s_and_not1_b32 exec_lo, exec_lo, s9
	s_cbranch_execz .LBB140_67
.LBB140_64:                             ;   Parent Loop BB140_21 Depth=1
                                        ; =>  This Inner Loop Header: Depth=2
	v_add_co_u32 v23, vcc_lo, v23, s42
	v_add_co_ci_u32_e32 v24, vcc_lo, 0, v24, vcc_lo
	v_mov_b32_e32 v14, 0
	s_mov_b32 s5, exec_lo
	s_delay_alu instid0(VALU_DEP_2)
	v_cmp_le_u64_e32 vcc_lo, s[24:25], v[23:24]
	v_cmpx_gt_u64_e64 s[24:25], v[23:24]
	s_cbranch_execz .LBB140_63
; %bb.65:                               ;   in Loop: Header=BB140_64 Depth=2
	v_mul_lo_u32 v14, v24, s38
	v_mul_lo_u32 v26, v23, s39
	v_mad_u64_u32 v[37:38], null, v23, s38, 0
	s_delay_alu instid0(VALU_DEP_1) | instskip(NEXT) | instid1(VALU_DEP_1)
	v_add3_u32 v38, v38, v26, v14
	v_lshlrev_b64 v[37:38], 1, v[37:38]
	s_delay_alu instid0(VALU_DEP_1) | instskip(NEXT) | instid1(VALU_DEP_1)
	v_add_co_u32 v37, s4, s46, v37
	v_add_co_ci_u32_e64 v38, s4, s47, v38, s4
	global_load_u16 v14, v[37:38], off
	s_branch .LBB140_63
.LBB140_66:                             ;   in Loop: Header=BB140_21 Depth=1
                                        ; implicit-def: $vgpr8_vgpr9
                                        ; implicit-def: $vgpr4_vgpr5
	s_cbranch_execnz .LBB140_69
	s_branch .LBB140_78
.LBB140_67:                             ;   in Loop: Header=BB140_21 Depth=1
	s_or_b32 exec_lo, exec_lo, s9
.LBB140_68:                             ;   in Loop: Header=BB140_21 Depth=1
	s_delay_alu instid0(SALU_CYCLE_1)
	s_or_b32 exec_lo, exec_lo, s8
	s_branch .LBB140_78
.LBB140_69:                             ;   in Loop: Header=BB140_21 Depth=1
	global_load_u16 v8, v15, s[50:51]
	s_mov_b64 s[58:59], 0
	s_mov_b32 s57, exec_lo
	s_waitcnt vmcnt(0)
	v_readfirstlane_b32 s4, v8
	v_and_b32_e32 v25, 0xffff, v8
	s_delay_alu instid0(VALU_DEP_2) | instskip(NEXT) | instid1(SALU_CYCLE_1)
	s_and_b32 s4, 0xffff, s4
	s_lshl_b32 s48, s4, 2
	s_delay_alu instid0(SALU_CYCLE_1) | instskip(SKIP_1) | instid1(VALU_DEP_1)
	v_cvt_f32_u32_e32 v2, s48
	s_sub_i32 s5, 0, s48
	v_rcp_iflag_f32_e32 v2, v2
	s_waitcnt_depctr 0xfff
	v_mul_f32_e32 v2, 0x4f7ffffe, v2
	s_delay_alu instid0(VALU_DEP_1) | instskip(NEXT) | instid1(VALU_DEP_1)
	v_cvt_u32_f32_e32 v2, v2
	v_readfirstlane_b32 s4, v2
	v_mov_b32_e32 v2, 0
	v_mov_b32_e32 v3, 0
	s_delay_alu instid0(VALU_DEP_3) | instskip(NEXT) | instid1(VALU_DEP_1)
	s_mul_i32 s5, s5, s4
	v_dual_mov_b32 v5, v3 :: v_dual_mov_b32 v4, v2
	s_mul_hi_u32 s5, s4, s5
	v_dual_mov_b32 v7, v3 :: v_dual_mov_b32 v6, v2
	s_add_i32 s4, s4, s5
	v_dual_mov_b32 v9, v3 :: v_dual_mov_b32 v8, v2
	s_mul_hi_u32 s4, s56, s4
	s_delay_alu instid0(SALU_CYCLE_1) | instskip(NEXT) | instid1(SALU_CYCLE_1)
	s_mul_i32 s4, s4, s48
	s_sub_i32 s4, s56, s4
	s_delay_alu instid0(SALU_CYCLE_1) | instskip(SKIP_2) | instid1(SALU_CYCLE_1)
	s_sub_i32 s5, s4, s48
	s_cmp_ge_u32 s4, s48
	s_cselect_b32 s4, s5, s4
	s_sub_i32 s5, s4, s48
	s_cmp_ge_u32 s4, s48
	s_cselect_b32 s4, s5, s4
	s_delay_alu instid0(SALU_CYCLE_1) | instskip(NEXT) | instid1(SALU_CYCLE_1)
	s_sub_i32 s42, s56, s4
	v_cmpx_gt_u32_e64 s42, v12
	s_cbranch_execz .LBB140_73
; %bb.70:                               ;   in Loop: Header=BB140_21 Depth=1
	v_mov_b32_e32 v24, v13
	v_dual_mov_b32 v23, v12 :: v_dual_lshlrev_b32 v14, 3, v25
	v_mov_b32_e32 v26, v31
	s_and_b32 s66, s83, 0xfe
	s_mov_b32 s67, 0
	s_mov_b64 s[60:61], 0
	s_mov_b64 s[62:63], 0
	;; [unrolled: 1-line block ×3, first 2 shown]
.LBB140_71:                             ;   Parent Loop BB140_21 Depth=1
                                        ; =>  This Inner Loop Header: Depth=2
	ds_load_b64 v[2:3], v26
	v_add_co_u32 v23, vcc_lo, v23, s48
	v_add_co_ci_u32_e32 v24, vcc_lo, 0, v24, vcc_lo
	s_delay_alu instid0(VALU_DEP_1)
	v_cmp_le_u64_e32 vcc_lo, s[42:43], v[23:24]
	s_waitcnt lgkmcnt(0)
	v_cmp_lt_i16_e64 s4, -1, v2
	v_lshrrev_b32_e32 v4, 16, v2
	v_lshrrev_b32_e32 v5, 16, v3
	v_and_b32_e32 v6, 0xffff, v2
	v_lshlrev_b32_e32 v8, 16, v2
	v_cndmask_b32_e64 v7, 0xffff, v35, s4
	v_cmp_lt_i16_e64 s4, -1, v3
	v_and_b32_e32 v9, 0xffff, v3
	v_cmp_lt_i16_e64 s5, -1, v5
	v_lshlrev_b32_e32 v38, 16, v3
	v_and_b32_e32 v2, 0xffff0000, v2
	v_cndmask_b32_e64 v37, 0xffff, v35, s4
	v_cmp_lt_i16_e64 s4, -1, v4
	v_xor_b32_e32 v6, v7, v6
	v_and_b32_e32 v3, 0xffff0000, v3
	s_delay_alu instid0(VALU_DEP_4) | instskip(NEXT) | instid1(VALU_DEP_4)
	v_xor_b32_e32 v9, v37, v9
	v_cndmask_b32_e64 v7, 0xffff, v35, s4
	v_cndmask_b32_e64 v37, 0xffff, v35, s5
	v_cmp_o_f32_e64 s5, v8, v8
	v_cmp_o_f32_e64 s4, v38, v38
	s_delay_alu instid0(VALU_DEP_4) | instskip(NEXT) | instid1(VALU_DEP_4)
	v_xor_b32_e32 v4, v7, v4
	v_xor_b32_e32 v5, v37, v5
	s_delay_alu instid0(VALU_DEP_4) | instskip(SKIP_3) | instid1(VALU_DEP_4)
	v_cndmask_b32_e64 v6, 0xffff, v6, s5
	v_cmp_o_f32_e64 s5, v2, v2
	v_cndmask_b32_e64 v7, 0xffff, v9, s4
	v_cmp_o_f32_e64 s4, v3, v3
	v_and_b32_e32 v3, s89, v6
	s_delay_alu instid0(VALU_DEP_4) | instskip(SKIP_1) | instid1(VALU_DEP_4)
	v_cndmask_b32_e64 v2, 0xffff, v4, s5
	v_bfe_u32 v6, v6, s66, 2
	v_cndmask_b32_e64 v4, 0xffff, v5, s4
	v_and_b32_e32 v5, s89, v7
	v_bfe_u32 v7, v7, s66, 2
	v_cmp_eq_u32_e64 s4, s88, v3
	v_and_b32_e32 v3, s89, v2
	v_bfe_u32 v2, v2, s66, 2
	v_cmp_eq_u32_e64 s6, 0, v6
	v_cmp_eq_u32_e64 s5, s88, v5
	v_and_b32_e32 v5, s89, v4
	v_bfe_u32 v4, v4, s66, 2
	v_cmp_eq_u32_e64 s7, 0, v7
	v_cmp_eq_u32_e64 s14, s88, v3
	;; [unrolled: 1-line block ×3, first 2 shown]
	s_and_b32 s6, s4, s6
	v_cmp_eq_u32_e64 s15, s88, v5
	v_cmp_eq_u32_e64 s17, 0, v4
	v_cndmask_b32_e64 v3, 0, 1, s6
	s_and_b32 s6, s5, s7
	s_and_b32 s16, s14, s16
	v_cndmask_b32_e64 v5, 0, 1, s6
	v_cmp_eq_u32_e64 s6, 1, v2
	v_cmp_eq_u32_e64 s18, 2, v2
	;; [unrolled: 1-line block ×3, first 2 shown]
	v_cndmask_b32_e64 v2, 0, 1, s16
	s_and_b32 s16, s15, s17
	v_cmp_eq_u32_e64 s7, 1, v4
	v_cmp_eq_u32_e64 s19, 2, v4
	;; [unrolled: 1-line block ×3, first 2 shown]
	v_cndmask_b32_e64 v4, 0, 1, s16
	v_cmp_ne_u32_e64 s16, 0, v3
	v_cmp_ne_u32_e64 s22, 0, v2
	;; [unrolled: 1-line block ×3, first 2 shown]
	v_cmp_eq_u32_e64 s8, 1, v6
	v_cmp_ne_u32_e64 s23, 0, v4
	s_bcnt1_i32_b32 s16, s16
	s_bcnt1_i32_b32 s22, s22
	;; [unrolled: 1-line block ×3, first 2 shown]
	s_add_i32 s16, s22, s16
	s_bcnt1_i32_b32 s23, s23
	s_add_i32 s16, s16, s17
	v_cmp_eq_u32_e64 s9, 1, v7
	s_add_i32 s16, s16, s23
	v_cmp_eq_u32_e64 s10, 2, v6
	s_add_u32 s64, s64, s16
	s_addc_u32 s65, s65, 0
	s_and_b32 s8, s4, s8
	s_and_b32 s6, s14, s6
	v_cndmask_b32_e64 v2, 0, 1, s8
	v_cndmask_b32_e64 v3, 0, 1, s6
	s_and_b32 s6, s5, s9
	v_cmp_eq_u32_e64 s11, 2, v7
	v_cndmask_b32_e64 v4, 0, 1, s6
	s_and_b32 s6, s15, s7
	v_cmp_ne_u32_e64 s7, 0, v3
	v_cndmask_b32_e64 v5, 0, 1, s6
	v_cmp_ne_u32_e64 s6, 0, v2
	v_cmp_ne_u32_e64 s8, 0, v4
	v_cmp_eq_u32_e64 s12, 3, v6
	s_bcnt1_i32_b32 s7, s7
	v_cmp_ne_u32_e64 s9, 0, v5
	s_bcnt1_i32_b32 s6, s6
	s_bcnt1_i32_b32 s8, s8
	s_add_i32 s6, s7, s6
	v_cmp_eq_u32_e64 s13, 3, v7
	s_bcnt1_i32_b32 s9, s9
	s_add_i32 s6, s6, s8
	v_add_nc_u32_e32 v26, v26, v14
	s_add_i32 s6, s6, s9
	s_delay_alu instid0(SALU_CYCLE_1) | instskip(SKIP_2) | instid1(SALU_CYCLE_1)
	s_add_u32 s62, s62, s6
	s_addc_u32 s63, s63, 0
	s_and_b32 s6, s4, s10
	v_cndmask_b32_e64 v2, 0, 1, s6
	s_and_b32 s6, s14, s18
	s_delay_alu instid0(SALU_CYCLE_1) | instskip(SKIP_1) | instid1(SALU_CYCLE_1)
	v_cndmask_b32_e64 v3, 0, 1, s6
	s_and_b32 s6, s5, s11
	v_cndmask_b32_e64 v4, 0, 1, s6
	s_and_b32 s6, s15, s19
	s_delay_alu instid0(VALU_DEP_2) | instskip(SKIP_3) | instid1(VALU_DEP_4)
	v_cmp_ne_u32_e64 s7, 0, v3
	v_cndmask_b32_e64 v5, 0, 1, s6
	v_cmp_ne_u32_e64 s6, 0, v2
	v_cmp_ne_u32_e64 s8, 0, v4
	s_bcnt1_i32_b32 s7, s7
	s_delay_alu instid0(VALU_DEP_3) | instskip(NEXT) | instid1(VALU_DEP_3)
	v_cmp_ne_u32_e64 s9, 0, v5
	s_bcnt1_i32_b32 s6, s6
	s_delay_alu instid0(VALU_DEP_2) | instskip(SKIP_1) | instid1(VALU_DEP_1)
	s_bcnt1_i32_b32 s8, s8
	s_add_i32 s6, s7, s6
	s_bcnt1_i32_b32 s9, s9
	s_add_i32 s6, s6, s8
	s_delay_alu instid0(SALU_CYCLE_1) | instskip(NEXT) | instid1(SALU_CYCLE_1)
	s_add_i32 s6, s6, s9
	s_add_u32 s60, s60, s6
	s_addc_u32 s61, s61, 0
	s_and_b32 s4, s4, s12
	v_mov_b32_e32 v6, s60
	v_cndmask_b32_e64 v2, 0, 1, s4
	s_and_b32 s4, s14, s20
	v_mov_b32_e32 v7, s61
	v_cndmask_b32_e64 v3, 0, 1, s4
	s_and_b32 s4, s5, s13
	s_delay_alu instid0(SALU_CYCLE_1) | instskip(SKIP_1) | instid1(VALU_DEP_2)
	v_cndmask_b32_e64 v4, 0, 1, s4
	s_and_b32 s4, s15, s21
	v_cmp_ne_u32_e64 s5, 0, v3
	v_cndmask_b32_e64 v5, 0, 1, s4
	v_cmp_ne_u32_e64 s4, 0, v2
	v_cmp_ne_u32_e64 s6, 0, v4
	v_dual_mov_b32 v2, s64 :: v_dual_mov_b32 v3, s65
	s_delay_alu instid0(VALU_DEP_4) | instskip(NEXT) | instid1(VALU_DEP_4)
	v_cmp_ne_u32_e64 s7, 0, v5
	s_bcnt1_i32_b32 s4, s4
	s_bcnt1_i32_b32 s5, s5
	;; [unrolled: 1-line block ×3, first 2 shown]
	s_add_i32 s4, s5, s4
	s_bcnt1_i32_b32 s5, s7
	s_add_i32 s4, s4, s6
	v_mov_b32_e32 v4, s62
	s_add_i32 s4, s4, s5
	v_mov_b32_e32 v5, s63
	s_add_u32 s58, s58, s4
	s_addc_u32 s59, s59, 0
	s_delay_alu instid0(SALU_CYCLE_1) | instskip(SKIP_1) | instid1(SALU_CYCLE_1)
	v_dual_mov_b32 v8, s58 :: v_dual_mov_b32 v9, s59
	s_or_b32 s67, vcc_lo, s67
	s_and_not1_b32 exec_lo, exec_lo, s67
	s_cbranch_execnz .LBB140_71
; %bb.72:                               ;   in Loop: Header=BB140_21 Depth=1
	s_or_b32 exec_lo, exec_lo, s67
.LBB140_73:                             ;   in Loop: Header=BB140_21 Depth=1
	s_delay_alu instid0(SALU_CYCLE_1) | instskip(SKIP_2) | instid1(VALU_DEP_1)
	s_or_b32 exec_lo, exec_lo, s57
	v_add_nc_u32_e32 v14, s42, v0
	s_mov_b32 s9, exec_lo
	v_cmpx_gt_u32_e64 s56, v14
	s_cbranch_execz .LBB140_77
; %bb.74:                               ;   in Loop: Header=BB140_21 Depth=1
	v_dual_mov_b32 v24, v15 :: v_dual_lshlrev_b32 v37, 1, v25
	v_dual_mov_b32 v23, v14 :: v_dual_lshlrev_b32 v26, 1, v14
	s_mov_b32 s11, 0
	s_and_b32 s10, s56, 0x7fffffff
	s_and_b32 s13, s83, 0xfe
	s_mov_b32 s12, s11
.LBB140_75:                             ;   Parent Loop BB140_21 Depth=1
                                        ; =>  This Inner Loop Header: Depth=2
	ds_load_u16 v14, v26
	v_add_co_u32 v23, vcc_lo, v23, v25
	v_add_co_ci_u32_e32 v24, vcc_lo, 0, v24, vcc_lo
	v_add_nc_u32_e32 v26, v26, v37
	s_delay_alu instid0(VALU_DEP_2) | instskip(SKIP_4) | instid1(VALU_DEP_3)
	v_cmp_le_u64_e32 vcc_lo, s[10:11], v[23:24]
	s_waitcnt lgkmcnt(0)
	v_cmp_lt_i16_e64 s4, -1, v14
	v_and_b32_e32 v38, 0xffff, v14
	v_lshlrev_b32_e32 v14, 16, v14
	v_cndmask_b32_e64 v39, 0xffff, v35, s4
	s_delay_alu instid0(VALU_DEP_2) | instskip(NEXT) | instid1(VALU_DEP_2)
	v_cmp_o_f32_e64 s4, v14, v14
	v_xor_b32_e32 v38, v39, v38
	s_delay_alu instid0(VALU_DEP_1) | instskip(NEXT) | instid1(VALU_DEP_1)
	v_cndmask_b32_e64 v14, 0xffff, v38, s4
	v_and_b32_e32 v38, s89, v14
	v_bfe_u32 v14, v14, s13, 2
	s_delay_alu instid0(VALU_DEP_2) | instskip(NEXT) | instid1(VALU_DEP_2)
	v_cmp_eq_u32_e64 s4, s88, v38
	v_cmp_eq_u32_e64 s5, 0, v14
	v_cmp_eq_u32_e64 s6, 1, v14
	v_cmp_eq_u32_e64 s7, 2, v14
	v_cmp_eq_u32_e64 s8, 3, v14
	s_delay_alu instid0(VALU_DEP_4) | instskip(NEXT) | instid1(SALU_CYCLE_1)
	s_and_b32 s5, s4, s5
	v_cndmask_b32_e64 v14, 0, 1, s5
	s_and_b32 s5, s4, s6
	s_delay_alu instid0(SALU_CYCLE_1)
	v_cndmask_b32_e64 v38, 0, 1, s5
	s_and_b32 s5, s4, s7
	s_and_b32 s4, s4, s8
	v_cndmask_b32_e64 v39, 0, 1, s5
	v_cndmask_b32_e64 v40, 0, 1, s4
	v_cmp_ne_u32_e64 s4, 0, v14
	v_cmp_ne_u32_e64 s5, 0, v38
	s_delay_alu instid0(VALU_DEP_4) | instskip(NEXT) | instid1(VALU_DEP_4)
	v_cmp_ne_u32_e64 s6, 0, v39
	v_cmp_ne_u32_e64 s7, 0, v40
	s_delay_alu instid0(VALU_DEP_4) | instskip(NEXT) | instid1(VALU_DEP_3)
	s_bcnt1_i32_b32 s4, s4
	s_bcnt1_i32_b32 s5, s5
	v_add_co_u32 v2, s4, v2, s4
	s_delay_alu instid0(VALU_DEP_1)
	v_add_co_ci_u32_e64 v3, s4, 0, v3, s4
	v_add_co_u32 v4, s4, v4, s5
	s_bcnt1_i32_b32 s6, s6
	v_add_co_ci_u32_e64 v5, s4, 0, v5, s4
	v_add_co_u32 v6, s4, v6, s6
	s_bcnt1_i32_b32 s7, s7
	v_add_co_ci_u32_e64 v7, s4, 0, v7, s4
	v_add_co_u32 v8, s4, v8, s7
	s_delay_alu instid0(VALU_DEP_1) | instskip(SKIP_1) | instid1(SALU_CYCLE_1)
	v_add_co_ci_u32_e64 v9, s4, 0, v9, s4
	s_or_b32 s12, vcc_lo, s12
	s_and_not1_b32 exec_lo, exec_lo, s12
	s_cbranch_execnz .LBB140_75
; %bb.76:                               ;   in Loop: Header=BB140_21 Depth=1
	s_or_b32 exec_lo, exec_lo, s12
.LBB140_77:                             ;   in Loop: Header=BB140_21 Depth=1
	s_delay_alu instid0(SALU_CYCLE_1)
	s_or_b32 exec_lo, exec_lo, s9
.LBB140_78:                             ;   in Loop: Header=BB140_21 Depth=1
	s_lshl_b32 s4, s86, 7
	s_and_saveexec_b32 s5, s1
	s_cbranch_execz .LBB140_80
; %bb.79:                               ;   in Loop: Header=BB140_21 Depth=1
	v_or_b32_e32 v14, s4, v30
	s_delay_alu instid0(VALU_DEP_1)
	v_lshlrev_b32_e32 v14, 3, v14
	ds_store_b128 v14, v[2:5] offset:3072
	ds_store_b128 v14, v[6:9] offset:3088
.LBB140_80:                             ;   in Loop: Header=BB140_21 Depth=1
	s_or_b32 exec_lo, exec_lo, s5
	s_waitcnt vmcnt(0) lgkmcnt(0)
	s_barrier
	buffer_gl0_inv
	s_and_saveexec_b32 s5, s68
	s_cbranch_execz .LBB140_91
; %bb.81:                               ;   in Loop: Header=BB140_21 Depth=1
	v_mov_b32_e32 v2, 0
	v_mov_b32_e32 v3, 0
	s_and_not1_b32 vcc_lo, exec_lo, s75
	s_cbranch_vccnz .LBB140_90
; %bb.82:                               ;   in Loop: Header=BB140_21 Depth=1
	v_mov_b32_e32 v2, 0
	v_mov_b32_e32 v3, 0
	s_and_not1_b32 vcc_lo, exec_lo, s73
	s_cbranch_vccnz .LBB140_87
; %bb.83:                               ;   in Loop: Header=BB140_21 Depth=1
	v_lshl_add_u32 v4, s86, 10, v34
	s_mov_b32 s6, 0
	s_set_inst_prefetch_distance 0x1
	.p2align	6
.LBB140_84:                             ;   Parent Loop BB140_21 Depth=1
                                        ; =>  This Inner Loop Header: Depth=2
	ds_load_2addr_b64 v[5:8], v4 offset1:4
	ds_load_2addr_b64 v[23:26], v4 offset0:8 offset1:12
	ds_load_2addr_b64 v[37:40], v4 offset0:16 offset1:20
	s_add_i32 s6, s6, 8
	s_delay_alu instid0(SALU_CYCLE_1) | instskip(SKIP_3) | instid1(VALU_DEP_2)
	s_cmp_eq_u32 s74, s6
	s_waitcnt lgkmcnt(2)
	v_add_co_u32 v2, vcc_lo, v5, v2
	v_add_co_ci_u32_e32 v3, vcc_lo, v6, v3, vcc_lo
	v_add_co_u32 v2, vcc_lo, v7, v2
	s_delay_alu instid0(VALU_DEP_2)
	v_add_co_ci_u32_e32 v3, vcc_lo, v8, v3, vcc_lo
	ds_load_2addr_b64 v[5:8], v4 offset0:24 offset1:28
	s_waitcnt lgkmcnt(2)
	v_add_co_u32 v2, vcc_lo, v23, v2
	v_add_co_ci_u32_e32 v3, vcc_lo, v24, v3, vcc_lo
	v_add_nc_u32_e32 v4, 0x100, v4
	s_delay_alu instid0(VALU_DEP_3) | instskip(NEXT) | instid1(VALU_DEP_3)
	v_add_co_u32 v2, vcc_lo, v25, v2
	v_add_co_ci_u32_e32 v3, vcc_lo, v26, v3, vcc_lo
	s_waitcnt lgkmcnt(1)
	s_delay_alu instid0(VALU_DEP_2) | instskip(NEXT) | instid1(VALU_DEP_2)
	v_add_co_u32 v2, vcc_lo, v37, v2
	v_add_co_ci_u32_e32 v3, vcc_lo, v38, v3, vcc_lo
	s_delay_alu instid0(VALU_DEP_2) | instskip(NEXT) | instid1(VALU_DEP_2)
	v_add_co_u32 v2, vcc_lo, v39, v2
	v_add_co_ci_u32_e32 v3, vcc_lo, v40, v3, vcc_lo
	s_waitcnt lgkmcnt(0)
	s_delay_alu instid0(VALU_DEP_2) | instskip(NEXT) | instid1(VALU_DEP_2)
	v_add_co_u32 v2, vcc_lo, v5, v2
	v_add_co_ci_u32_e32 v3, vcc_lo, v6, v3, vcc_lo
	s_delay_alu instid0(VALU_DEP_2) | instskip(NEXT) | instid1(VALU_DEP_2)
	v_add_co_u32 v2, vcc_lo, v7, v2
	v_add_co_ci_u32_e32 v3, vcc_lo, v8, v3, vcc_lo
	s_cbranch_scc0 .LBB140_84
; %bb.85:                               ;   in Loop: Header=BB140_21 Depth=1
	s_set_inst_prefetch_distance 0x2
	s_mov_b32 s6, s74
	s_and_not1_b32 vcc_lo, exec_lo, s76
	s_cbranch_vccz .LBB140_88
	s_branch .LBB140_90
.LBB140_86:                             ;   in Loop: Header=BB140_21 Depth=1
                                        ; implicit-def: $vgpr2_vgpr3
	s_branch .LBB140_54
.LBB140_87:                             ;   in Loop: Header=BB140_21 Depth=1
	s_mov_b32 s6, 0
	s_and_not1_b32 vcc_lo, exec_lo, s76
	s_cbranch_vccnz .LBB140_90
.LBB140_88:                             ;   in Loop: Header=BB140_21 Depth=1
	s_lshl_b32 s7, s86, 10
	s_lshl_b32 s6, s6, 5
	s_delay_alu instid0(SALU_CYCLE_1)
	v_add3_u32 v4, s7, s6, v34
	s_mov_b32 s6, s72
.LBB140_89:                             ;   Parent Loop BB140_21 Depth=1
                                        ; =>  This Inner Loop Header: Depth=2
	ds_load_b64 v[5:6], v4
	v_add_nc_u32_e32 v4, 32, v4
	s_add_i32 s6, s6, -1
	s_delay_alu instid0(SALU_CYCLE_1)
	s_cmp_lg_u32 s6, 0
	s_waitcnt lgkmcnt(0)
	v_add_co_u32 v2, vcc_lo, v5, v2
	v_add_co_ci_u32_e32 v3, vcc_lo, v6, v3, vcc_lo
	s_cbranch_scc1 .LBB140_89
.LBB140_90:                             ;   in Loop: Header=BB140_21 Depth=1
	v_add_lshl_u32 v4, s4, v27, 3
	ds_store_b64 v4, v[2:3] offset:3072
.LBB140_91:                             ;   in Loop: Header=BB140_21 Depth=1
	s_or_b32 exec_lo, exec_lo, s5
	s_lshl_b32 s4, s4, 3
	s_waitcnt lgkmcnt(0)
	v_mov_b32_e32 v6, s4
	s_barrier
	buffer_gl0_inv
	s_and_b32 s17, s83, 0xfe
	s_mov_b32 s19, -1
	ds_load_b128 v[2:5], v6 offset:3072
	ds_load_b128 v[6:9], v6 offset:3088
	s_lshl_b32 s16, 3, s17
	s_delay_alu instid0(SALU_CYCLE_1)
	s_not_b32 s18, s16
	s_waitcnt lgkmcnt(1)
	v_readfirstlane_b32 s13, v3
	v_readfirstlane_b32 s12, v2
	;; [unrolled: 1-line block ×4, first 2 shown]
	s_waitcnt lgkmcnt(0)
	v_readfirstlane_b32 s8, v6
	v_readfirstlane_b32 s9, v7
	s_cmp_eq_u64 s[12:13], 1
	v_readfirstlane_b32 s6, v8
	s_cselect_b32 s4, -1, 0
	s_cmp_eq_u64 s[44:45], 1
	v_readfirstlane_b32 s7, v9
	s_cselect_b32 s5, -1, 0
	s_delay_alu instid0(SALU_CYCLE_1) | instskip(NEXT) | instid1(SALU_CYCLE_1)
	s_and_b32 s20, s4, s5
	s_and_b32 vcc_lo, exec_lo, s20
	s_cbranch_vccz .LBB140_106
; %bb.92:                               ;   in Loop: Header=BB140_21 Depth=1
	ds_load_b64 v[2:3], v15 offset:5120
	s_waitcnt lgkmcnt(0)
	s_barrier
	buffer_gl0_inv
	v_readfirstlane_b32 s14, v2
	v_readfirstlane_b32 s15, v3
	s_and_saveexec_b32 s4, s0
	s_cbranch_execz .LBB140_94
; %bb.93:                               ;   in Loop: Header=BB140_21 Depth=1
	ds_store_b16 v29, v15
.LBB140_94:                             ;   in Loop: Header=BB140_21 Depth=1
	s_or_b32 exec_lo, exec_lo, s4
	s_and_b32 s88, s88, s18
	s_or_b32 s89, s89, s16
	s_cmp_eq_u64 s[14:15], 0
	s_waitcnt lgkmcnt(0)
	s_barrier
	buffer_gl0_inv
	s_cbranch_scc1 .LBB140_107
; %bb.95:                               ;   in Loop: Header=BB140_21 Depth=1
	s_add_u32 s21, s69, s14
	s_addc_u32 s5, s70, s15
	s_mov_b32 s4, s43
	s_delay_alu instid0(SALU_CYCLE_1)
	s_cmp_lg_u64 s[4:5], 0
	s_cbranch_scc0 .LBB140_152
; %bb.96:                               ;   in Loop: Header=BB140_21 Depth=1
	v_cvt_f32_u32_e32 v2, s29
	s_sub_u32 s23, 0, s29
	s_subb_u32 s42, 0, 0
	s_delay_alu instid0(VALU_DEP_1) | instskip(NEXT) | instid1(VALU_DEP_1)
	v_fmac_f32_e64 v2, 0, 0x4f800000
	v_rcp_f32_e32 v2, v2
	s_waitcnt_depctr 0xfff
	v_mul_f32_e32 v2, 0x5f7ffffc, v2
	s_delay_alu instid0(VALU_DEP_1) | instskip(NEXT) | instid1(VALU_DEP_1)
	v_mul_f32_e32 v3, 0x2f800000, v2
	v_trunc_f32_e32 v3, v3
	s_delay_alu instid0(VALU_DEP_1) | instskip(SKIP_1) | instid1(VALU_DEP_2)
	v_fmac_f32_e32 v2, 0xcf800000, v3
	v_cvt_u32_f32_e32 v3, v3
	v_cvt_u32_f32_e32 v2, v2
	s_delay_alu instid0(VALU_DEP_2) | instskip(NEXT) | instid1(VALU_DEP_2)
	v_readfirstlane_b32 s4, v3
	v_readfirstlane_b32 s22, v2
	s_delay_alu instid0(VALU_DEP_2) | instskip(NEXT) | instid1(VALU_DEP_1)
	s_mul_i32 s48, s23, s4
	s_mul_hi_u32 s57, s23, s22
	s_mul_i32 s56, s42, s22
	s_add_i32 s48, s57, s48
	s_mul_i32 s58, s23, s22
	s_add_i32 s48, s48, s56
	s_mul_hi_u32 s57, s22, s58
	s_mul_hi_u32 s59, s4, s58
	s_mul_i32 s56, s4, s58
	s_mul_hi_u32 s58, s22, s48
	s_mul_i32 s22, s22, s48
	s_mul_hi_u32 s60, s4, s48
	s_add_u32 s22, s57, s22
	s_addc_u32 s57, 0, s58
	s_add_u32 s22, s22, s56
	s_mul_i32 s48, s4, s48
	s_addc_u32 s22, s57, s59
	s_addc_u32 s56, s60, 0
	s_add_u32 s22, s22, s48
	s_addc_u32 s48, 0, s56
	v_add_co_u32 v2, s22, v2, s22
	s_delay_alu instid0(VALU_DEP_1) | instskip(SKIP_1) | instid1(VALU_DEP_1)
	s_cmp_lg_u32 s22, 0
	s_addc_u32 s4, s4, s48
	v_readfirstlane_b32 s22, v2
	s_mul_i32 s48, s23, s4
	s_delay_alu instid0(VALU_DEP_1)
	s_mul_hi_u32 s56, s23, s22
	s_mul_i32 s42, s42, s22
	s_add_i32 s48, s56, s48
	s_mul_i32 s23, s23, s22
	s_add_i32 s48, s48, s42
	s_mul_hi_u32 s56, s4, s23
	s_mul_i32 s57, s4, s23
	s_mul_hi_u32 s23, s22, s23
	s_mul_hi_u32 s58, s22, s48
	s_mul_i32 s22, s22, s48
	s_mul_hi_u32 s42, s4, s48
	s_add_u32 s22, s23, s22
	s_addc_u32 s23, 0, s58
	s_add_u32 s22, s22, s57
	s_mul_i32 s48, s4, s48
	s_addc_u32 s22, s23, s56
	s_addc_u32 s23, s42, 0
	s_add_u32 s22, s22, s48
	s_addc_u32 s23, 0, s23
	v_add_co_u32 v2, s22, v2, s22
	s_delay_alu instid0(VALU_DEP_1) | instskip(SKIP_1) | instid1(VALU_DEP_1)
	s_cmp_lg_u32 s22, 0
	s_addc_u32 s4, s4, s23
	v_readfirstlane_b32 s22, v2
	s_mul_i32 s42, s21, s4
	s_mul_hi_u32 s23, s21, s4
	s_mul_hi_u32 s48, s5, s4
	s_mul_i32 s4, s5, s4
	s_mul_hi_u32 s56, s21, s22
	s_mul_hi_u32 s57, s5, s22
	s_mul_i32 s22, s5, s22
	s_add_u32 s42, s56, s42
	s_addc_u32 s23, 0, s23
	s_add_u32 s22, s42, s22
	s_addc_u32 s22, s23, s57
	s_addc_u32 s23, s48, 0
	s_add_u32 s4, s22, s4
	s_addc_u32 s22, 0, s23
	s_mul_hi_u32 s23, s29, s4
	s_mul_i32 s4, s29, s4
	s_mul_i32 s22, s29, s22
	v_sub_co_u32 v2, s4, s21, s4
	s_add_i32 s23, s23, s22
	s_cmp_lg_u32 s4, 0
	s_delay_alu instid0(VALU_DEP_1) | instskip(SKIP_2) | instid1(VALU_DEP_1)
	v_sub_co_u32 v3, s4, v2, s29
	s_subb_u32 s22, s5, s23
	s_cmp_lg_u32 s4, 0
	v_cmp_le_u32_e32 vcc_lo, s29, v3
	v_sub_co_u32 v4, s4, v3, s29
	s_subb_u32 s23, s22, 0
	s_cmp_lg_u32 s4, 0
	v_cndmask_b32_e64 v5, 0, -1, vcc_lo
	s_subb_u32 s4, s23, 0
	s_cmp_eq_u32 s23, 0
	v_mov_b32_e32 v7, s4
	s_cselect_b32 vcc_lo, -1, 0
	s_cmp_eq_u32 s22, 0
	v_cndmask_b32_e32 v5, -1, v5, vcc_lo
	v_cmp_le_u32_e32 vcc_lo, s29, v2
	s_cselect_b32 s4, -1, 0
	v_cndmask_b32_e64 v6, 0, -1, vcc_lo
	s_delay_alu instid0(VALU_DEP_3) | instskip(NEXT) | instid1(VALU_DEP_2)
	v_cmp_ne_u32_e32 vcc_lo, 0, v5
	v_cndmask_b32_e64 v5, -1, v6, s4
	v_cndmask_b32_e32 v6, s23, v7, vcc_lo
	v_cndmask_b32_e32 v4, v3, v4, vcc_lo
	s_delay_alu instid0(VALU_DEP_3) | instskip(NEXT) | instid1(VALU_DEP_3)
	v_cmp_ne_u32_e32 vcc_lo, 0, v5
	v_cndmask_b32_e32 v3, s22, v6, vcc_lo
	s_delay_alu instid0(VALU_DEP_3)
	v_cndmask_b32_e32 v2, v2, v4, vcc_lo
	s_cbranch_execnz .LBB140_98
.LBB140_97:                             ;   in Loop: Header=BB140_21 Depth=1
	v_cvt_f32_u32_e32 v2, s29
	s_sub_i32 s4, 0, s29
	s_delay_alu instid0(VALU_DEP_1) | instskip(SKIP_2) | instid1(VALU_DEP_1)
	v_rcp_iflag_f32_e32 v2, v2
	s_waitcnt_depctr 0xfff
	v_mul_f32_e32 v2, 0x4f7ffffe, v2
	v_cvt_u32_f32_e32 v2, v2
	s_delay_alu instid0(VALU_DEP_1) | instskip(NEXT) | instid1(VALU_DEP_1)
	v_mul_lo_u32 v3, s4, v2
	v_mul_hi_u32 v3, v2, v3
	s_delay_alu instid0(VALU_DEP_1) | instskip(NEXT) | instid1(VALU_DEP_1)
	v_add_nc_u32_e32 v2, v2, v3
	v_mul_hi_u32 v2, s21, v2
	s_delay_alu instid0(VALU_DEP_1) | instskip(NEXT) | instid1(VALU_DEP_1)
	v_mul_lo_u32 v2, v2, s29
	v_sub_nc_u32_e32 v2, s21, v2
	s_delay_alu instid0(VALU_DEP_1) | instskip(SKIP_1) | instid1(VALU_DEP_2)
	v_subrev_nc_u32_e32 v3, s29, v2
	v_cmp_le_u32_e32 vcc_lo, s29, v2
	v_cndmask_b32_e32 v2, v2, v3, vcc_lo
	s_delay_alu instid0(VALU_DEP_1) | instskip(SKIP_1) | instid1(VALU_DEP_2)
	v_subrev_nc_u32_e32 v3, s29, v2
	v_cmp_le_u32_e32 vcc_lo, s29, v2
	v_cndmask_b32_e32 v14, v2, v3, vcc_lo
	s_delay_alu instid0(VALU_DEP_1)
	v_dual_mov_b32 v2, v14 :: v_dual_mov_b32 v3, v15
.LBB140_98:                             ;   in Loop: Header=BB140_21 Depth=1
	s_delay_alu instid0(VALU_DEP_1) | instskip(NEXT) | instid1(VALU_DEP_2)
	v_sub_co_u32 v2, vcc_lo, s21, v2
	v_sub_co_ci_u32_e32 v3, vcc_lo, s5, v3, vcc_lo
	s_mov_b32 s4, 0
	s_mov_b32 s5, exec_lo
                                        ; implicit-def: $vgpr36
	s_delay_alu instid0(VALU_DEP_1)
	v_cmpx_gt_u64_e64 v[2:3], v[0:1]
	s_cbranch_execz .LBB140_109
; %bb.99:                               ;   in Loop: Header=BB140_21 Depth=1
	v_dual_mov_b32 v6, v28 :: v_dual_mov_b32 v5, v1
	v_mov_b32_e32 v4, v0
	s_mov_b32 s21, 0
                                        ; implicit-def: $sgpr22
	s_branch .LBB140_101
.LBB140_100:                            ;   in Loop: Header=BB140_101 Depth=2
	s_or_b32 exec_lo, exec_lo, s4
	s_waitcnt lgkmcnt(0)
	s_barrier
	buffer_gl0_inv
	ds_load_b32 v7, v15 offset:3072
	v_add_co_u32 v4, vcc_lo, v4, s29
	v_add_co_ci_u32_e32 v5, vcc_lo, 0, v5, vcc_lo
	v_add_nc_u32_e32 v6, s77, v6
	s_waitcnt lgkmcnt(0)
	s_barrier
	s_delay_alu instid0(VALU_DEP_2) | instskip(SKIP_2) | instid1(VALU_DEP_1)
	v_cmp_ge_u64_e32 vcc_lo, v[4:5], v[2:3]
	buffer_gl0_inv
	v_and_b32_e32 v8, 0x7fff, v7
	v_cmp_ne_u16_e64 s4, 0, v8
	s_delay_alu instid0(VALU_DEP_1) | instskip(NEXT) | instid1(SALU_CYCLE_1)
	s_or_b32 s23, vcc_lo, s4
	s_and_b32 s23, exec_lo, s23
	s_delay_alu instid0(SALU_CYCLE_1) | instskip(SKIP_2) | instid1(SALU_CYCLE_1)
	s_or_b32 s21, s23, s21
	s_and_not1_b32 s22, s22, exec_lo
	s_and_b32 s4, s4, exec_lo
	s_or_b32 s22, s22, s4
	s_and_not1_b32 exec_lo, exec_lo, s21
	s_cbranch_execz .LBB140_108
.LBB140_101:                            ;   Parent Loop BB140_21 Depth=1
                                        ; =>  This Inner Loop Header: Depth=2
	s_delay_alu instid0(VALU_DEP_1)
	v_cmp_gt_u64_e32 vcc_lo, s[14:15], v[4:5]
	v_mov_b32_e32 v7, 0
	s_and_saveexec_b32 s4, vcc_lo
	s_cbranch_execz .LBB140_103
; %bb.102:                              ;   in Loop: Header=BB140_101 Depth=2
	ds_load_u16 v7, v6
.LBB140_103:                            ;   in Loop: Header=BB140_101 Depth=2
	s_or_b32 exec_lo, exec_lo, s4
	s_and_saveexec_b32 s4, vcc_lo
	s_cbranch_execz .LBB140_100
; %bb.104:                              ;   in Loop: Header=BB140_101 Depth=2
	s_waitcnt lgkmcnt(0)
	v_cmp_lt_i16_e32 vcc_lo, -1, v7
	v_and_b32_e32 v8, 0xffff, v7
	v_lshlrev_b32_e32 v14, 16, v7
	v_cndmask_b32_e32 v9, 0xffff, v35, vcc_lo
	s_delay_alu instid0(VALU_DEP_2) | instskip(NEXT) | instid1(VALU_DEP_2)
	v_cmp_o_f32_e32 vcc_lo, v14, v14
	v_xor_b32_e32 v8, v9, v8
	s_delay_alu instid0(VALU_DEP_1) | instskip(NEXT) | instid1(VALU_DEP_1)
	v_cndmask_b32_e32 v8, 0xffff, v8, vcc_lo
	v_and_b32_e32 v8, s89, v8
	s_delay_alu instid0(VALU_DEP_1)
	v_cmp_eq_u32_e32 vcc_lo, s88, v8
	s_and_b32 exec_lo, exec_lo, vcc_lo
	s_cbranch_execz .LBB140_100
; %bb.105:                              ;   in Loop: Header=BB140_101 Depth=2
	v_perm_b32 v7, v7, s78, 0x5040100
	ds_store_b32 v15, v7 offset:3072
	s_branch .LBB140_100
.LBB140_106:                            ;   in Loop: Header=BB140_21 Depth=1
	s_mov_b32 s4, -1
                                        ; implicit-def: $sgpr5
                                        ; implicit-def: $sgpr15
                                        ; implicit-def: $sgpr14
	s_branch .LBB140_123
.LBB140_107:                            ;   in Loop: Header=BB140_21 Depth=1
	s_mov_b32 s5, -1
	s_mov_b32 s4, 0
                                        ; implicit-def: $sgpr14
                                        ; implicit-def: $vgpr36
	s_mov_b32 s15, s5
	s_cbranch_execnz .LBB140_110
	s_branch .LBB140_123
.LBB140_108:                            ;   in Loop: Header=BB140_21 Depth=1
	s_or_b32 exec_lo, exec_lo, s21
	v_lshrrev_b32_e32 v36, 16, v7
	s_and_b32 s4, s22, exec_lo
.LBB140_109:                            ;   in Loop: Header=BB140_21 Depth=1
	s_or_b32 exec_lo, exec_lo, s5
	s_mov_b32 s14, -1
	s_mov_b32 s5, 0
	s_delay_alu instid0(SALU_CYCLE_1)
	s_mov_b32 s15, s5
	s_branch .LBB140_123
.LBB140_110:                            ;   in Loop: Header=BB140_21 Depth=1
	s_mov_b32 s48, s43
	s_delay_alu instid0(SALU_CYCLE_1)
	s_cmp_lg_u64 s[48:49], 0
	s_cbranch_scc0 .LBB140_153
; %bb.111:                              ;   in Loop: Header=BB140_21 Depth=1
	v_cvt_f32_u32_e32 v2, s29
	s_sub_u32 s14, 0, s29
	s_subb_u32 s15, 0, 0
	s_delay_alu instid0(VALU_DEP_1) | instskip(NEXT) | instid1(VALU_DEP_1)
	v_fmac_f32_e64 v2, 0, 0x4f800000
	v_rcp_f32_e32 v2, v2
	s_waitcnt_depctr 0xfff
	v_mul_f32_e32 v2, 0x5f7ffffc, v2
	s_delay_alu instid0(VALU_DEP_1) | instskip(NEXT) | instid1(VALU_DEP_1)
	v_mul_f32_e32 v3, 0x2f800000, v2
	v_trunc_f32_e32 v3, v3
	s_delay_alu instid0(VALU_DEP_1) | instskip(SKIP_1) | instid1(VALU_DEP_2)
	v_fmac_f32_e32 v2, 0xcf800000, v3
	v_cvt_u32_f32_e32 v3, v3
	v_cvt_u32_f32_e32 v2, v2
	s_delay_alu instid0(VALU_DEP_2) | instskip(NEXT) | instid1(VALU_DEP_2)
	v_readfirstlane_b32 s4, v3
	v_readfirstlane_b32 s5, v2
	s_delay_alu instid0(VALU_DEP_2) | instskip(NEXT) | instid1(VALU_DEP_1)
	s_mul_i32 s21, s14, s4
	s_mul_hi_u32 s23, s14, s5
	s_mul_i32 s22, s15, s5
	s_add_i32 s21, s23, s21
	s_mul_i32 s42, s14, s5
	s_add_i32 s21, s21, s22
	s_mul_hi_u32 s23, s5, s42
	s_mul_hi_u32 s48, s4, s42
	s_mul_i32 s22, s4, s42
	s_mul_hi_u32 s42, s5, s21
	s_mul_i32 s5, s5, s21
	s_mul_hi_u32 s56, s4, s21
	s_add_u32 s5, s23, s5
	s_addc_u32 s23, 0, s42
	s_add_u32 s5, s5, s22
	s_mul_i32 s21, s4, s21
	s_addc_u32 s5, s23, s48
	s_addc_u32 s22, s56, 0
	s_add_u32 s5, s5, s21
	s_addc_u32 s21, 0, s22
	v_add_co_u32 v2, s5, v2, s5
	s_delay_alu instid0(VALU_DEP_1) | instskip(SKIP_1) | instid1(VALU_DEP_1)
	s_cmp_lg_u32 s5, 0
	s_addc_u32 s4, s4, s21
	v_readfirstlane_b32 s5, v2
	s_mul_i32 s21, s14, s4
	s_delay_alu instid0(VALU_DEP_1)
	s_mul_hi_u32 s22, s14, s5
	s_mul_i32 s15, s15, s5
	s_add_i32 s21, s22, s21
	s_mul_i32 s14, s14, s5
	s_add_i32 s21, s21, s15
	s_mul_hi_u32 s22, s4, s14
	s_mul_i32 s23, s4, s14
	s_mul_hi_u32 s14, s5, s14
	s_mul_hi_u32 s42, s5, s21
	s_mul_i32 s5, s5, s21
	s_mul_hi_u32 s15, s4, s21
	s_add_u32 s5, s14, s5
	s_addc_u32 s14, 0, s42
	s_add_u32 s5, s5, s23
	s_mul_i32 s21, s4, s21
	s_addc_u32 s5, s14, s22
	s_addc_u32 s14, s15, 0
	s_add_u32 s5, s5, s21
	s_addc_u32 s14, 0, s14
	v_add_co_u32 v2, s5, v2, s5
	s_delay_alu instid0(VALU_DEP_1) | instskip(SKIP_1) | instid1(VALU_DEP_1)
	s_cmp_lg_u32 s5, 0
	s_addc_u32 s4, s4, s14
	v_readfirstlane_b32 s5, v2
	s_mul_i32 s15, s71, s4
	s_mul_hi_u32 s14, s71, s4
	s_mul_hi_u32 s21, s49, s4
	s_mul_i32 s4, s49, s4
	s_mul_hi_u32 s22, s71, s5
	s_mul_hi_u32 s23, s49, s5
	s_mul_i32 s5, s49, s5
	s_add_u32 s15, s22, s15
	s_addc_u32 s14, 0, s14
	s_add_u32 s5, s15, s5
	s_addc_u32 s5, s14, s23
	s_addc_u32 s14, s21, 0
	s_add_u32 s4, s5, s4
	s_addc_u32 s5, 0, s14
	s_mul_hi_u32 s14, s29, s4
	s_mul_i32 s4, s29, s4
	s_mul_i32 s5, s29, s5
	v_sub_co_u32 v2, s4, s71, s4
	s_add_i32 s14, s14, s5
	s_cmp_lg_u32 s4, 0
	s_delay_alu instid0(VALU_DEP_1) | instskip(SKIP_2) | instid1(VALU_DEP_1)
	v_sub_co_u32 v3, s4, v2, s29
	s_subb_u32 s5, s49, s14
	s_cmp_lg_u32 s4, 0
	v_cmp_le_u32_e32 vcc_lo, s29, v3
	v_sub_co_u32 v4, s4, v3, s29
	s_subb_u32 s14, s5, 0
	s_cmp_lg_u32 s4, 0
	v_cndmask_b32_e64 v5, 0, -1, vcc_lo
	s_subb_u32 s4, s14, 0
	s_cmp_eq_u32 s14, 0
	v_mov_b32_e32 v7, s4
	s_cselect_b32 vcc_lo, -1, 0
	s_cmp_eq_u32 s5, 0
	v_cndmask_b32_e32 v5, -1, v5, vcc_lo
	v_cmp_le_u32_e32 vcc_lo, s29, v2
	s_cselect_b32 s4, -1, 0
	v_cndmask_b32_e64 v6, 0, -1, vcc_lo
	s_delay_alu instid0(VALU_DEP_3) | instskip(NEXT) | instid1(VALU_DEP_2)
	v_cmp_ne_u32_e32 vcc_lo, 0, v5
	v_cndmask_b32_e64 v5, -1, v6, s4
	v_cndmask_b32_e32 v6, s14, v7, vcc_lo
	v_cndmask_b32_e32 v4, v3, v4, vcc_lo
	s_delay_alu instid0(VALU_DEP_3) | instskip(NEXT) | instid1(VALU_DEP_3)
	v_cmp_ne_u32_e32 vcc_lo, 0, v5
	v_cndmask_b32_e32 v3, s5, v6, vcc_lo
	s_delay_alu instid0(VALU_DEP_3)
	v_cndmask_b32_e32 v2, v2, v4, vcc_lo
	s_cbranch_execnz .LBB140_113
.LBB140_112:                            ;   in Loop: Header=BB140_21 Depth=1
	v_cvt_f32_u32_e32 v2, s29
	s_sub_i32 s4, 0, s29
	s_delay_alu instid0(VALU_DEP_1) | instskip(SKIP_2) | instid1(VALU_DEP_1)
	v_rcp_iflag_f32_e32 v2, v2
	s_waitcnt_depctr 0xfff
	v_mul_f32_e32 v2, 0x4f7ffffe, v2
	v_cvt_u32_f32_e32 v2, v2
	s_delay_alu instid0(VALU_DEP_1) | instskip(NEXT) | instid1(VALU_DEP_1)
	v_mul_lo_u32 v3, s4, v2
	v_mul_hi_u32 v3, v2, v3
	s_delay_alu instid0(VALU_DEP_1) | instskip(NEXT) | instid1(VALU_DEP_1)
	v_add_nc_u32_e32 v2, v2, v3
	v_mul_hi_u32 v2, s71, v2
	s_delay_alu instid0(VALU_DEP_1) | instskip(NEXT) | instid1(VALU_DEP_1)
	v_mul_lo_u32 v2, v2, s29
	v_sub_nc_u32_e32 v2, s71, v2
	s_delay_alu instid0(VALU_DEP_1) | instskip(SKIP_1) | instid1(VALU_DEP_2)
	v_subrev_nc_u32_e32 v3, s29, v2
	v_cmp_le_u32_e32 vcc_lo, s29, v2
	v_cndmask_b32_e32 v2, v2, v3, vcc_lo
	s_delay_alu instid0(VALU_DEP_1) | instskip(SKIP_1) | instid1(VALU_DEP_2)
	v_subrev_nc_u32_e32 v3, s29, v2
	v_cmp_le_u32_e32 vcc_lo, s29, v2
	v_cndmask_b32_e32 v14, v2, v3, vcc_lo
	s_delay_alu instid0(VALU_DEP_1)
	v_dual_mov_b32 v2, v14 :: v_dual_mov_b32 v3, v15
.LBB140_113:                            ;   in Loop: Header=BB140_21 Depth=1
	s_delay_alu instid0(VALU_DEP_1) | instskip(NEXT) | instid1(VALU_DEP_2)
	v_sub_co_u32 v2, vcc_lo, s71, v2
	v_sub_co_ci_u32_e32 v3, vcc_lo, s49, v3, vcc_lo
	s_mov_b32 s4, 0
	s_mov_b32 s5, exec_lo
                                        ; implicit-def: $vgpr36
	s_delay_alu instid0(VALU_DEP_1)
	v_cmpx_gt_u64_e64 v[2:3], v[0:1]
	s_cbranch_execz .LBB140_122
; %bb.114:                              ;   in Loop: Header=BB140_21 Depth=1
	v_dual_mov_b32 v4, v10 :: v_dual_mov_b32 v5, v11
	v_dual_mov_b32 v7, v1 :: v_dual_mov_b32 v6, v0
	s_mov_b32 s14, 0
                                        ; implicit-def: $sgpr15
	s_branch .LBB140_116
.LBB140_115:                            ;   in Loop: Header=BB140_116 Depth=2
	s_or_b32 exec_lo, exec_lo, s4
	s_waitcnt vmcnt(0) lgkmcnt(0)
	s_barrier
	buffer_gl0_inv
	ds_load_b32 v8, v15 offset:3072
	v_add_co_u32 v6, vcc_lo, v6, s29
	v_add_co_ci_u32_e32 v7, vcc_lo, 0, v7, vcc_lo
	s_waitcnt lgkmcnt(0)
	s_barrier
	buffer_gl0_inv
	v_cmp_ge_u64_e32 vcc_lo, v[6:7], v[2:3]
	v_and_b32_e32 v9, 0x7fff, v8
	s_delay_alu instid0(VALU_DEP_1) | instskip(NEXT) | instid1(VALU_DEP_1)
	v_cmp_ne_u16_e64 s4, 0, v9
	s_or_b32 s21, vcc_lo, s4
	v_add_co_u32 v4, vcc_lo, v4, s40
	s_and_b32 s21, exec_lo, s21
	v_add_co_ci_u32_e32 v5, vcc_lo, s41, v5, vcc_lo
	s_or_b32 s14, s21, s14
	s_and_not1_b32 s15, s15, exec_lo
	s_and_b32 s4, s4, exec_lo
	s_delay_alu instid0(SALU_CYCLE_1)
	s_or_b32 s15, s15, s4
	s_and_not1_b32 exec_lo, exec_lo, s14
	s_cbranch_execz .LBB140_121
.LBB140_116:                            ;   Parent Loop BB140_21 Depth=1
                                        ; =>  This Inner Loop Header: Depth=2
	s_delay_alu instid0(VALU_DEP_1)
	v_cmp_gt_u64_e32 vcc_lo, s[24:25], v[6:7]
	v_mov_b32_e32 v8, 0
	s_and_saveexec_b32 s4, vcc_lo
	s_cbranch_execz .LBB140_118
; %bb.117:                              ;   in Loop: Header=BB140_116 Depth=2
	global_load_u16 v8, v[4:5], off
.LBB140_118:                            ;   in Loop: Header=BB140_116 Depth=2
	s_or_b32 exec_lo, exec_lo, s4
	s_and_saveexec_b32 s4, vcc_lo
	s_cbranch_execz .LBB140_115
; %bb.119:                              ;   in Loop: Header=BB140_116 Depth=2
	s_waitcnt vmcnt(0)
	v_cmp_lt_i16_e32 vcc_lo, -1, v8
	v_and_b32_e32 v9, 0xffff, v8
	v_dual_cndmask_b32 v14, 0xffff, v35 :: v_dual_lshlrev_b32 v23, 16, v8
	s_delay_alu instid0(VALU_DEP_1) | instskip(NEXT) | instid1(VALU_DEP_2)
	v_cmp_o_f32_e32 vcc_lo, v23, v23
	v_xor_b32_e32 v9, v14, v9
	s_delay_alu instid0(VALU_DEP_1) | instskip(NEXT) | instid1(VALU_DEP_1)
	v_cndmask_b32_e32 v9, 0xffff, v9, vcc_lo
	v_and_b32_e32 v9, s89, v9
	s_delay_alu instid0(VALU_DEP_1)
	v_cmp_eq_u32_e32 vcc_lo, s88, v9
	s_and_b32 exec_lo, exec_lo, vcc_lo
	s_cbranch_execz .LBB140_115
; %bb.120:                              ;   in Loop: Header=BB140_116 Depth=2
	v_perm_b32 v8, v8, s78, 0x5040100
	ds_store_b32 v15, v8 offset:3072
	s_branch .LBB140_115
.LBB140_121:                            ;   in Loop: Header=BB140_21 Depth=1
	s_or_b32 exec_lo, exec_lo, s14
	v_lshrrev_b32_e32 v36, 16, v8
	s_and_b32 s4, s15, exec_lo
.LBB140_122:                            ;   in Loop: Header=BB140_21 Depth=1
	s_or_b32 exec_lo, exec_lo, s5
	s_mov_b32 s15, -1
	s_mov_b32 s5, 0
	s_mov_b32 s14, 0
.LBB140_123:                            ;   in Loop: Header=BB140_21 Depth=1
	s_and_not1_b32 s21, s84, exec_lo
	s_and_b32 s5, s5, exec_lo
	s_and_b32 s15, s15, exec_lo
	s_or_b32 s84, s21, s5
	s_and_not1_b32 s5, s87, exec_lo
	s_and_not1_b32 s21, s85, exec_lo
	s_and_b32 s14, s14, exec_lo
	s_or_b32 s87, s5, s15
	s_or_b32 s85, s21, s14
	s_and_saveexec_b32 s14, s4
	s_cbranch_execz .LBB140_20
; %bb.124:                              ;   in Loop: Header=BB140_21 Depth=1
	s_xor_b32 s4, s20, -1
	s_mov_b32 s42, 1
	s_and_not1_b32 vcc_lo, exec_lo, s4
	s_cbranch_vccnz .LBB140_135
; %bb.125:                              ;   in Loop: Header=BB140_21 Depth=1
	v_cmp_gt_u64_e64 s4, s[44:45], s[12:13]
                                        ; implicit-def: $sgpr42
                                        ; implicit-def: $sgpr5
                                        ; implicit-def: $sgpr15
	s_delay_alu instid0(VALU_DEP_1)
	s_and_b32 vcc_lo, exec_lo, s4
	s_mov_b32 s4, -1
	s_cbranch_vccnz .LBB140_131
; %bb.126:                              ;   in Loop: Header=BB140_21 Depth=1
	ds_load_b64 v[2:3], v15 offset:5120
	s_waitcnt lgkmcnt(0)
	v_cmp_ne_u64_e32 vcc_lo, 0, v[2:3]
	s_cbranch_vccnz .LBB140_130
; %bb.127:                              ;   in Loop: Header=BB140_21 Depth=1
	s_and_saveexec_b32 s4, s3
	s_cbranch_execz .LBB140_129
; %bb.128:                              ;   in Loop: Header=BB140_21 Depth=1
	v_dual_mov_b32 v2, s12 :: v_dual_mov_b32 v3, s13
	ds_store_b64 v15, v[2:3] offset:5128
.LBB140_129:                            ;   in Loop: Header=BB140_21 Depth=1
	s_or_b32 exec_lo, exec_lo, s4
	s_waitcnt lgkmcnt(0)
	s_barrier
	buffer_gl0_inv
.LBB140_130:                            ;   in Loop: Header=BB140_21 Depth=1
	s_and_b32 s5, s88, s18
	s_or_b32 s15, s89, s16
	s_mov_b32 s4, 0
	s_mov_b32 s42, 8
.LBB140_131:                            ;   in Loop: Header=BB140_21 Depth=1
	s_and_not1_b32 vcc_lo, exec_lo, s4
	s_cbranch_vccnz .LBB140_133
; %bb.132:                              ;   in Loop: Header=BB140_21 Depth=1
	s_sub_u32 s44, s44, s12
	s_subb_u32 s45, s45, s13
	s_mov_b32 s4, -1
	s_mov_b32 s42, 0
	s_mov_b32 s5, s88
	;; [unrolled: 1-line block ×3, first 2 shown]
.LBB140_133:                            ;   in Loop: Header=BB140_21 Depth=1
	s_delay_alu instid0(SALU_CYCLE_1)
	s_mov_b32 s89, s15
	s_mov_b32 s88, s5
	s_and_b32 vcc_lo, exec_lo, s4
	s_mov_b32 s15, -1
	s_cbranch_vccnz .LBB140_136
.LBB140_134:                            ;   in Loop: Header=BB140_21 Depth=1
	s_mov_b32 s5, -1
                                        ; implicit-def: $sgpr12
                                        ; implicit-def: $sgpr19
                                        ; implicit-def: $sgpr13
	s_delay_alu instid0(SALU_CYCLE_1) | instskip(NEXT) | instid1(SALU_CYCLE_1)
	s_and_saveexec_b32 s4, s5
	s_xor_b32 s4, exec_lo, s4
	s_cbranch_execz .LBB140_19
	s_branch .LBB140_282
.LBB140_135:                            ;   in Loop: Header=BB140_21 Depth=1
	s_mov_b64 s[44:45], 1
	s_mov_b32 s15, -1
	s_branch .LBB140_134
.LBB140_136:                            ;   in Loop: Header=BB140_21 Depth=1
	s_cmp_eq_u64 s[10:11], 1
	s_cselect_b32 s4, -1, 0
	s_cmp_eq_u64 s[44:45], 1
	s_cselect_b32 s5, -1, 0
	s_delay_alu instid0(SALU_CYCLE_1)
	s_and_b32 s21, s4, s5
	s_mov_b32 s4, -1
	s_and_b32 vcc_lo, exec_lo, s21
	s_cbranch_vccz .LBB140_151
; %bb.137:                              ;   in Loop: Header=BB140_21 Depth=1
	ds_load_b64 v[2:3], v15 offset:5120
	s_waitcnt lgkmcnt(0)
	s_barrier
	buffer_gl0_inv
	v_readfirstlane_b32 s12, v2
	v_readfirstlane_b32 s13, v3
	s_and_saveexec_b32 s4, s0
	s_cbranch_execz .LBB140_139
; %bb.138:                              ;   in Loop: Header=BB140_21 Depth=1
	ds_store_b16 v29, v15
.LBB140_139:                            ;   in Loop: Header=BB140_21 Depth=1
	s_or_b32 exec_lo, exec_lo, s4
	s_lshl_b32 s4, 1, s17
	s_and_b32 s5, s88, s18
	s_or_b32 s89, s89, s16
	s_or_b32 s88, s5, s4
	s_cmp_eq_u64 s[12:13], 0
	s_waitcnt lgkmcnt(0)
	s_barrier
	buffer_gl0_inv
	s_cbranch_scc1 .LBB140_154
; %bb.140:                              ;   in Loop: Header=BB140_21 Depth=1
	s_add_u32 s19, s69, s12
	s_addc_u32 s5, s70, s13
	s_mov_b32 s4, s43
	s_delay_alu instid0(SALU_CYCLE_1)
	s_cmp_lg_u64 s[4:5], 0
	s_cbranch_scc0 .LBB140_199
; %bb.141:                              ;   in Loop: Header=BB140_21 Depth=1
	v_cvt_f32_u32_e32 v2, s29
	s_sub_u32 s22, 0, s29
	s_subb_u32 s23, 0, 0
	s_delay_alu instid0(VALU_DEP_1) | instskip(NEXT) | instid1(VALU_DEP_1)
	v_fmac_f32_e64 v2, 0, 0x4f800000
	v_rcp_f32_e32 v2, v2
	s_waitcnt_depctr 0xfff
	v_mul_f32_e32 v2, 0x5f7ffffc, v2
	s_delay_alu instid0(VALU_DEP_1) | instskip(NEXT) | instid1(VALU_DEP_1)
	v_mul_f32_e32 v3, 0x2f800000, v2
	v_trunc_f32_e32 v3, v3
	s_delay_alu instid0(VALU_DEP_1) | instskip(SKIP_1) | instid1(VALU_DEP_2)
	v_fmac_f32_e32 v2, 0xcf800000, v3
	v_cvt_u32_f32_e32 v3, v3
	v_cvt_u32_f32_e32 v2, v2
	s_delay_alu instid0(VALU_DEP_2) | instskip(NEXT) | instid1(VALU_DEP_2)
	v_readfirstlane_b32 s4, v3
	v_readfirstlane_b32 s20, v2
	s_delay_alu instid0(VALU_DEP_2) | instskip(NEXT) | instid1(VALU_DEP_1)
	s_mul_i32 s42, s22, s4
	s_mul_hi_u32 s56, s22, s20
	s_mul_i32 s48, s23, s20
	s_add_i32 s42, s56, s42
	s_mul_i32 s57, s22, s20
	s_add_i32 s42, s42, s48
	s_mul_hi_u32 s56, s20, s57
	s_mul_hi_u32 s58, s4, s57
	s_mul_i32 s48, s4, s57
	s_mul_hi_u32 s57, s20, s42
	s_mul_i32 s20, s20, s42
	s_mul_hi_u32 s59, s4, s42
	s_add_u32 s20, s56, s20
	s_addc_u32 s56, 0, s57
	s_add_u32 s20, s20, s48
	s_mul_i32 s42, s4, s42
	s_addc_u32 s20, s56, s58
	s_addc_u32 s48, s59, 0
	s_add_u32 s20, s20, s42
	s_addc_u32 s42, 0, s48
	v_add_co_u32 v2, s20, v2, s20
	s_delay_alu instid0(VALU_DEP_1) | instskip(SKIP_1) | instid1(VALU_DEP_1)
	s_cmp_lg_u32 s20, 0
	s_addc_u32 s4, s4, s42
	v_readfirstlane_b32 s20, v2
	s_mul_i32 s42, s22, s4
	s_delay_alu instid0(VALU_DEP_1)
	s_mul_hi_u32 s48, s22, s20
	s_mul_i32 s23, s23, s20
	s_add_i32 s42, s48, s42
	s_mul_i32 s22, s22, s20
	s_add_i32 s42, s42, s23
	s_mul_hi_u32 s48, s4, s22
	s_mul_i32 s56, s4, s22
	s_mul_hi_u32 s22, s20, s22
	s_mul_hi_u32 s57, s20, s42
	s_mul_i32 s20, s20, s42
	s_mul_hi_u32 s23, s4, s42
	s_add_u32 s20, s22, s20
	s_addc_u32 s22, 0, s57
	s_add_u32 s20, s20, s56
	s_mul_i32 s42, s4, s42
	s_addc_u32 s20, s22, s48
	s_addc_u32 s22, s23, 0
	s_add_u32 s20, s20, s42
	s_addc_u32 s22, 0, s22
	v_add_co_u32 v2, s20, v2, s20
	s_delay_alu instid0(VALU_DEP_1) | instskip(SKIP_1) | instid1(VALU_DEP_1)
	s_cmp_lg_u32 s20, 0
	s_addc_u32 s4, s4, s22
	v_readfirstlane_b32 s20, v2
	s_mul_i32 s23, s19, s4
	s_mul_hi_u32 s22, s19, s4
	s_mul_hi_u32 s42, s5, s4
	s_mul_i32 s4, s5, s4
	s_mul_hi_u32 s48, s19, s20
	s_mul_hi_u32 s56, s5, s20
	s_mul_i32 s20, s5, s20
	s_add_u32 s23, s48, s23
	s_addc_u32 s22, 0, s22
	s_add_u32 s20, s23, s20
	s_addc_u32 s20, s22, s56
	s_addc_u32 s22, s42, 0
	s_add_u32 s4, s20, s4
	s_addc_u32 s20, 0, s22
	s_mul_hi_u32 s22, s29, s4
	s_mul_i32 s4, s29, s4
	s_mul_i32 s20, s29, s20
	v_sub_co_u32 v2, s4, s19, s4
	s_add_i32 s22, s22, s20
	s_cmp_lg_u32 s4, 0
	s_delay_alu instid0(VALU_DEP_1) | instskip(SKIP_2) | instid1(VALU_DEP_1)
	v_sub_co_u32 v3, s4, v2, s29
	s_subb_u32 s20, s5, s22
	s_cmp_lg_u32 s4, 0
	v_cmp_le_u32_e32 vcc_lo, s29, v3
	v_sub_co_u32 v4, s4, v3, s29
	s_subb_u32 s22, s20, 0
	s_cmp_lg_u32 s4, 0
	v_cndmask_b32_e64 v5, 0, -1, vcc_lo
	s_subb_u32 s4, s22, 0
	s_cmp_eq_u32 s22, 0
	v_mov_b32_e32 v7, s4
	s_cselect_b32 vcc_lo, -1, 0
	s_cmp_eq_u32 s20, 0
	v_cndmask_b32_e32 v5, -1, v5, vcc_lo
	v_cmp_le_u32_e32 vcc_lo, s29, v2
	s_cselect_b32 s4, -1, 0
	v_cndmask_b32_e64 v6, 0, -1, vcc_lo
	s_delay_alu instid0(VALU_DEP_3) | instskip(NEXT) | instid1(VALU_DEP_2)
	v_cmp_ne_u32_e32 vcc_lo, 0, v5
	v_cndmask_b32_e64 v5, -1, v6, s4
	v_cndmask_b32_e32 v6, s22, v7, vcc_lo
	v_cndmask_b32_e32 v4, v3, v4, vcc_lo
	s_delay_alu instid0(VALU_DEP_3) | instskip(NEXT) | instid1(VALU_DEP_3)
	v_cmp_ne_u32_e32 vcc_lo, 0, v5
	v_cndmask_b32_e32 v3, s20, v6, vcc_lo
	s_delay_alu instid0(VALU_DEP_3)
	v_cndmask_b32_e32 v2, v2, v4, vcc_lo
	s_cbranch_execnz .LBB140_143
.LBB140_142:                            ;   in Loop: Header=BB140_21 Depth=1
	v_cvt_f32_u32_e32 v2, s29
	s_sub_i32 s4, 0, s29
	s_delay_alu instid0(VALU_DEP_1) | instskip(SKIP_2) | instid1(VALU_DEP_1)
	v_rcp_iflag_f32_e32 v2, v2
	s_waitcnt_depctr 0xfff
	v_mul_f32_e32 v2, 0x4f7ffffe, v2
	v_cvt_u32_f32_e32 v2, v2
	s_delay_alu instid0(VALU_DEP_1) | instskip(NEXT) | instid1(VALU_DEP_1)
	v_mul_lo_u32 v3, s4, v2
	v_mul_hi_u32 v3, v2, v3
	s_delay_alu instid0(VALU_DEP_1) | instskip(NEXT) | instid1(VALU_DEP_1)
	v_add_nc_u32_e32 v2, v2, v3
	v_mul_hi_u32 v2, s19, v2
	s_delay_alu instid0(VALU_DEP_1) | instskip(NEXT) | instid1(VALU_DEP_1)
	v_mul_lo_u32 v2, v2, s29
	v_sub_nc_u32_e32 v2, s19, v2
	s_delay_alu instid0(VALU_DEP_1) | instskip(SKIP_1) | instid1(VALU_DEP_2)
	v_subrev_nc_u32_e32 v3, s29, v2
	v_cmp_le_u32_e32 vcc_lo, s29, v2
	v_cndmask_b32_e32 v2, v2, v3, vcc_lo
	s_delay_alu instid0(VALU_DEP_1) | instskip(SKIP_1) | instid1(VALU_DEP_2)
	v_subrev_nc_u32_e32 v3, s29, v2
	v_cmp_le_u32_e32 vcc_lo, s29, v2
	v_cndmask_b32_e32 v14, v2, v3, vcc_lo
	s_delay_alu instid0(VALU_DEP_1)
	v_dual_mov_b32 v2, v14 :: v_dual_mov_b32 v3, v15
.LBB140_143:                            ;   in Loop: Header=BB140_21 Depth=1
	s_delay_alu instid0(VALU_DEP_1) | instskip(NEXT) | instid1(VALU_DEP_2)
	v_sub_co_u32 v2, vcc_lo, s19, v2
	v_sub_co_ci_u32_e32 v3, vcc_lo, s5, v3, vcc_lo
	s_mov_b32 s4, 0
	s_mov_b32 s5, exec_lo
                                        ; implicit-def: $vgpr36
	s_delay_alu instid0(VALU_DEP_1)
	v_cmpx_gt_u64_e64 v[2:3], v[0:1]
	s_cbranch_execz .LBB140_156
; %bb.144:                              ;   in Loop: Header=BB140_21 Depth=1
	v_dual_mov_b32 v6, v28 :: v_dual_mov_b32 v5, v1
	v_mov_b32_e32 v4, v0
	s_mov_b32 s19, 0
                                        ; implicit-def: $sgpr20
	s_branch .LBB140_146
.LBB140_145:                            ;   in Loop: Header=BB140_146 Depth=2
	s_or_b32 exec_lo, exec_lo, s4
	s_waitcnt lgkmcnt(0)
	s_barrier
	buffer_gl0_inv
	ds_load_b32 v7, v15 offset:3072
	v_add_co_u32 v4, vcc_lo, v4, s29
	v_add_co_ci_u32_e32 v5, vcc_lo, 0, v5, vcc_lo
	v_add_nc_u32_e32 v6, s77, v6
	s_waitcnt lgkmcnt(0)
	s_barrier
	s_delay_alu instid0(VALU_DEP_2) | instskip(SKIP_2) | instid1(VALU_DEP_1)
	v_cmp_ge_u64_e32 vcc_lo, v[4:5], v[2:3]
	buffer_gl0_inv
	v_and_b32_e32 v8, 0x7fff, v7
	v_cmp_ne_u16_e64 s4, 0, v8
	s_delay_alu instid0(VALU_DEP_1) | instskip(NEXT) | instid1(SALU_CYCLE_1)
	s_or_b32 s22, vcc_lo, s4
	s_and_b32 s22, exec_lo, s22
	s_delay_alu instid0(SALU_CYCLE_1) | instskip(SKIP_2) | instid1(SALU_CYCLE_1)
	s_or_b32 s19, s22, s19
	s_and_not1_b32 s20, s20, exec_lo
	s_and_b32 s4, s4, exec_lo
	s_or_b32 s20, s20, s4
	s_and_not1_b32 exec_lo, exec_lo, s19
	s_cbranch_execz .LBB140_155
.LBB140_146:                            ;   Parent Loop BB140_21 Depth=1
                                        ; =>  This Inner Loop Header: Depth=2
	s_delay_alu instid0(VALU_DEP_1)
	v_cmp_gt_u64_e32 vcc_lo, s[12:13], v[4:5]
	v_mov_b32_e32 v7, 0
	s_and_saveexec_b32 s4, vcc_lo
	s_cbranch_execz .LBB140_148
; %bb.147:                              ;   in Loop: Header=BB140_146 Depth=2
	ds_load_u16 v7, v6
.LBB140_148:                            ;   in Loop: Header=BB140_146 Depth=2
	s_or_b32 exec_lo, exec_lo, s4
	s_and_saveexec_b32 s4, vcc_lo
	s_cbranch_execz .LBB140_145
; %bb.149:                              ;   in Loop: Header=BB140_146 Depth=2
	s_waitcnt lgkmcnt(0)
	v_cmp_lt_i16_e32 vcc_lo, -1, v7
	v_and_b32_e32 v8, 0xffff, v7
	v_lshlrev_b32_e32 v14, 16, v7
	v_cndmask_b32_e32 v9, 0xffff, v35, vcc_lo
	s_delay_alu instid0(VALU_DEP_2) | instskip(NEXT) | instid1(VALU_DEP_2)
	v_cmp_o_f32_e32 vcc_lo, v14, v14
	v_xor_b32_e32 v8, v9, v8
	s_delay_alu instid0(VALU_DEP_1) | instskip(NEXT) | instid1(VALU_DEP_1)
	v_cndmask_b32_e32 v8, 0xffff, v8, vcc_lo
	v_and_b32_e32 v8, s89, v8
	s_delay_alu instid0(VALU_DEP_1)
	v_cmp_eq_u32_e32 vcc_lo, s88, v8
	s_and_b32 exec_lo, exec_lo, vcc_lo
	s_cbranch_execz .LBB140_145
; %bb.150:                              ;   in Loop: Header=BB140_146 Depth=2
	v_perm_b32 v7, v7, s78, 0x5040100
	ds_store_b32 v15, v7 offset:3072
	s_branch .LBB140_145
.LBB140_151:                            ;   in Loop: Header=BB140_21 Depth=1
                                        ; implicit-def: $sgpr13
                                        ; implicit-def: $sgpr19
                                        ; implicit-def: $sgpr12
	s_branch .LBB140_170
.LBB140_152:                            ;   in Loop: Header=BB140_21 Depth=1
                                        ; implicit-def: $vgpr2_vgpr3
	s_branch .LBB140_97
.LBB140_153:                            ;   in Loop: Header=BB140_21 Depth=1
                                        ; implicit-def: $vgpr2_vgpr3
	s_branch .LBB140_112
.LBB140_154:                            ;   in Loop: Header=BB140_21 Depth=1
	s_mov_b32 s13, -1
	s_mov_b32 s4, 0
                                        ; implicit-def: $sgpr12
                                        ; implicit-def: $vgpr36
	s_mov_b32 s19, s13
	s_cbranch_execnz .LBB140_157
	s_branch .LBB140_170
.LBB140_155:                            ;   in Loop: Header=BB140_21 Depth=1
	s_or_b32 exec_lo, exec_lo, s19
	v_lshrrev_b32_e32 v36, 16, v7
	s_and_b32 s4, s20, exec_lo
.LBB140_156:                            ;   in Loop: Header=BB140_21 Depth=1
	s_or_b32 exec_lo, exec_lo, s5
	s_mov_b32 s12, -1
	s_mov_b32 s13, 0
	s_delay_alu instid0(SALU_CYCLE_1)
	s_mov_b32 s19, s13
	s_branch .LBB140_170
.LBB140_157:                            ;   in Loop: Header=BB140_21 Depth=1
	s_mov_b32 s48, s43
	s_delay_alu instid0(SALU_CYCLE_1)
	s_cmp_lg_u64 s[48:49], 0
	s_cbranch_scc0 .LBB140_200
; %bb.158:                              ;   in Loop: Header=BB140_21 Depth=1
	v_cvt_f32_u32_e32 v2, s29
	s_sub_u32 s12, 0, s29
	s_subb_u32 s13, 0, 0
	s_delay_alu instid0(VALU_DEP_1) | instskip(NEXT) | instid1(VALU_DEP_1)
	v_fmac_f32_e64 v2, 0, 0x4f800000
	v_rcp_f32_e32 v2, v2
	s_waitcnt_depctr 0xfff
	v_mul_f32_e32 v2, 0x5f7ffffc, v2
	s_delay_alu instid0(VALU_DEP_1) | instskip(NEXT) | instid1(VALU_DEP_1)
	v_mul_f32_e32 v3, 0x2f800000, v2
	v_trunc_f32_e32 v3, v3
	s_delay_alu instid0(VALU_DEP_1) | instskip(SKIP_1) | instid1(VALU_DEP_2)
	v_fmac_f32_e32 v2, 0xcf800000, v3
	v_cvt_u32_f32_e32 v3, v3
	v_cvt_u32_f32_e32 v2, v2
	s_delay_alu instid0(VALU_DEP_2) | instskip(NEXT) | instid1(VALU_DEP_2)
	v_readfirstlane_b32 s4, v3
	v_readfirstlane_b32 s5, v2
	s_delay_alu instid0(VALU_DEP_2) | instskip(NEXT) | instid1(VALU_DEP_1)
	s_mul_i32 s19, s12, s4
	s_mul_hi_u32 s22, s12, s5
	s_mul_i32 s20, s13, s5
	s_add_i32 s19, s22, s19
	s_mul_i32 s23, s12, s5
	s_add_i32 s19, s19, s20
	s_mul_hi_u32 s22, s5, s23
	s_mul_hi_u32 s42, s4, s23
	s_mul_i32 s20, s4, s23
	s_mul_hi_u32 s23, s5, s19
	s_mul_i32 s5, s5, s19
	s_mul_hi_u32 s48, s4, s19
	s_add_u32 s5, s22, s5
	s_addc_u32 s22, 0, s23
	s_add_u32 s5, s5, s20
	s_mul_i32 s19, s4, s19
	s_addc_u32 s5, s22, s42
	s_addc_u32 s20, s48, 0
	s_add_u32 s5, s5, s19
	s_addc_u32 s19, 0, s20
	v_add_co_u32 v2, s5, v2, s5
	s_delay_alu instid0(VALU_DEP_1) | instskip(SKIP_1) | instid1(VALU_DEP_1)
	s_cmp_lg_u32 s5, 0
	s_addc_u32 s4, s4, s19
	v_readfirstlane_b32 s5, v2
	s_mul_i32 s19, s12, s4
	s_delay_alu instid0(VALU_DEP_1)
	s_mul_hi_u32 s20, s12, s5
	s_mul_i32 s13, s13, s5
	s_add_i32 s19, s20, s19
	s_mul_i32 s12, s12, s5
	s_add_i32 s19, s19, s13
	s_mul_hi_u32 s20, s4, s12
	s_mul_i32 s22, s4, s12
	s_mul_hi_u32 s12, s5, s12
	s_mul_hi_u32 s23, s5, s19
	s_mul_i32 s5, s5, s19
	s_mul_hi_u32 s13, s4, s19
	s_add_u32 s5, s12, s5
	s_addc_u32 s12, 0, s23
	s_add_u32 s5, s5, s22
	s_mul_i32 s19, s4, s19
	s_addc_u32 s5, s12, s20
	s_addc_u32 s12, s13, 0
	s_add_u32 s5, s5, s19
	s_addc_u32 s12, 0, s12
	v_add_co_u32 v2, s5, v2, s5
	s_delay_alu instid0(VALU_DEP_1) | instskip(SKIP_1) | instid1(VALU_DEP_1)
	s_cmp_lg_u32 s5, 0
	s_addc_u32 s4, s4, s12
	v_readfirstlane_b32 s5, v2
	s_mul_i32 s13, s71, s4
	s_mul_hi_u32 s12, s71, s4
	s_mul_hi_u32 s19, s49, s4
	s_mul_i32 s4, s49, s4
	s_mul_hi_u32 s20, s71, s5
	s_mul_hi_u32 s22, s49, s5
	s_mul_i32 s5, s49, s5
	s_add_u32 s13, s20, s13
	s_addc_u32 s12, 0, s12
	s_add_u32 s5, s13, s5
	s_addc_u32 s5, s12, s22
	s_addc_u32 s12, s19, 0
	s_add_u32 s4, s5, s4
	s_addc_u32 s5, 0, s12
	s_mul_hi_u32 s12, s29, s4
	s_mul_i32 s4, s29, s4
	s_mul_i32 s5, s29, s5
	v_sub_co_u32 v2, s4, s71, s4
	s_add_i32 s12, s12, s5
	s_cmp_lg_u32 s4, 0
	s_delay_alu instid0(VALU_DEP_1) | instskip(SKIP_2) | instid1(VALU_DEP_1)
	v_sub_co_u32 v3, s4, v2, s29
	s_subb_u32 s5, s49, s12
	s_cmp_lg_u32 s4, 0
	v_cmp_le_u32_e32 vcc_lo, s29, v3
	v_sub_co_u32 v4, s4, v3, s29
	s_subb_u32 s12, s5, 0
	s_cmp_lg_u32 s4, 0
	v_cndmask_b32_e64 v5, 0, -1, vcc_lo
	s_subb_u32 s4, s12, 0
	s_cmp_eq_u32 s12, 0
	v_mov_b32_e32 v7, s4
	s_cselect_b32 vcc_lo, -1, 0
	s_cmp_eq_u32 s5, 0
	v_cndmask_b32_e32 v5, -1, v5, vcc_lo
	v_cmp_le_u32_e32 vcc_lo, s29, v2
	s_cselect_b32 s4, -1, 0
	v_cndmask_b32_e64 v6, 0, -1, vcc_lo
	s_delay_alu instid0(VALU_DEP_3) | instskip(NEXT) | instid1(VALU_DEP_2)
	v_cmp_ne_u32_e32 vcc_lo, 0, v5
	v_cndmask_b32_e64 v5, -1, v6, s4
	v_cndmask_b32_e32 v6, s12, v7, vcc_lo
	v_cndmask_b32_e32 v4, v3, v4, vcc_lo
	s_delay_alu instid0(VALU_DEP_3) | instskip(NEXT) | instid1(VALU_DEP_3)
	v_cmp_ne_u32_e32 vcc_lo, 0, v5
	v_cndmask_b32_e32 v3, s5, v6, vcc_lo
	s_delay_alu instid0(VALU_DEP_3)
	v_cndmask_b32_e32 v2, v2, v4, vcc_lo
	s_cbranch_execnz .LBB140_160
.LBB140_159:                            ;   in Loop: Header=BB140_21 Depth=1
	v_cvt_f32_u32_e32 v2, s29
	s_sub_i32 s4, 0, s29
	s_delay_alu instid0(VALU_DEP_1) | instskip(SKIP_2) | instid1(VALU_DEP_1)
	v_rcp_iflag_f32_e32 v2, v2
	s_waitcnt_depctr 0xfff
	v_mul_f32_e32 v2, 0x4f7ffffe, v2
	v_cvt_u32_f32_e32 v2, v2
	s_delay_alu instid0(VALU_DEP_1) | instskip(NEXT) | instid1(VALU_DEP_1)
	v_mul_lo_u32 v3, s4, v2
	v_mul_hi_u32 v3, v2, v3
	s_delay_alu instid0(VALU_DEP_1) | instskip(NEXT) | instid1(VALU_DEP_1)
	v_add_nc_u32_e32 v2, v2, v3
	v_mul_hi_u32 v2, s71, v2
	s_delay_alu instid0(VALU_DEP_1) | instskip(NEXT) | instid1(VALU_DEP_1)
	v_mul_lo_u32 v2, v2, s29
	v_sub_nc_u32_e32 v2, s71, v2
	s_delay_alu instid0(VALU_DEP_1) | instskip(SKIP_1) | instid1(VALU_DEP_2)
	v_subrev_nc_u32_e32 v3, s29, v2
	v_cmp_le_u32_e32 vcc_lo, s29, v2
	v_cndmask_b32_e32 v2, v2, v3, vcc_lo
	s_delay_alu instid0(VALU_DEP_1) | instskip(SKIP_1) | instid1(VALU_DEP_2)
	v_subrev_nc_u32_e32 v3, s29, v2
	v_cmp_le_u32_e32 vcc_lo, s29, v2
	v_cndmask_b32_e32 v14, v2, v3, vcc_lo
	s_delay_alu instid0(VALU_DEP_1)
	v_dual_mov_b32 v2, v14 :: v_dual_mov_b32 v3, v15
.LBB140_160:                            ;   in Loop: Header=BB140_21 Depth=1
	s_delay_alu instid0(VALU_DEP_1) | instskip(NEXT) | instid1(VALU_DEP_2)
	v_sub_co_u32 v2, vcc_lo, s71, v2
	v_sub_co_ci_u32_e32 v3, vcc_lo, s49, v3, vcc_lo
	s_mov_b32 s4, 0
	s_mov_b32 s5, exec_lo
                                        ; implicit-def: $vgpr36
	s_delay_alu instid0(VALU_DEP_1)
	v_cmpx_gt_u64_e64 v[2:3], v[0:1]
	s_cbranch_execz .LBB140_169
; %bb.161:                              ;   in Loop: Header=BB140_21 Depth=1
	v_dual_mov_b32 v4, v10 :: v_dual_mov_b32 v5, v11
	v_dual_mov_b32 v7, v1 :: v_dual_mov_b32 v6, v0
	s_mov_b32 s12, 0
                                        ; implicit-def: $sgpr13
	s_branch .LBB140_163
.LBB140_162:                            ;   in Loop: Header=BB140_163 Depth=2
	s_or_b32 exec_lo, exec_lo, s4
	s_waitcnt vmcnt(0) lgkmcnt(0)
	s_barrier
	buffer_gl0_inv
	ds_load_b32 v8, v15 offset:3072
	v_add_co_u32 v6, vcc_lo, v6, s29
	v_add_co_ci_u32_e32 v7, vcc_lo, 0, v7, vcc_lo
	s_waitcnt lgkmcnt(0)
	s_barrier
	buffer_gl0_inv
	v_cmp_ge_u64_e32 vcc_lo, v[6:7], v[2:3]
	v_and_b32_e32 v9, 0x7fff, v8
	s_delay_alu instid0(VALU_DEP_1) | instskip(NEXT) | instid1(VALU_DEP_1)
	v_cmp_ne_u16_e64 s4, 0, v9
	s_or_b32 s19, vcc_lo, s4
	v_add_co_u32 v4, vcc_lo, v4, s40
	s_and_b32 s19, exec_lo, s19
	v_add_co_ci_u32_e32 v5, vcc_lo, s41, v5, vcc_lo
	s_or_b32 s12, s19, s12
	s_and_not1_b32 s13, s13, exec_lo
	s_and_b32 s4, s4, exec_lo
	s_delay_alu instid0(SALU_CYCLE_1)
	s_or_b32 s13, s13, s4
	s_and_not1_b32 exec_lo, exec_lo, s12
	s_cbranch_execz .LBB140_168
.LBB140_163:                            ;   Parent Loop BB140_21 Depth=1
                                        ; =>  This Inner Loop Header: Depth=2
	s_delay_alu instid0(VALU_DEP_1)
	v_cmp_gt_u64_e32 vcc_lo, s[24:25], v[6:7]
	v_mov_b32_e32 v8, 0
	s_and_saveexec_b32 s4, vcc_lo
	s_cbranch_execz .LBB140_165
; %bb.164:                              ;   in Loop: Header=BB140_163 Depth=2
	global_load_u16 v8, v[4:5], off
.LBB140_165:                            ;   in Loop: Header=BB140_163 Depth=2
	s_or_b32 exec_lo, exec_lo, s4
	s_and_saveexec_b32 s4, vcc_lo
	s_cbranch_execz .LBB140_162
; %bb.166:                              ;   in Loop: Header=BB140_163 Depth=2
	s_waitcnt vmcnt(0)
	v_cmp_lt_i16_e32 vcc_lo, -1, v8
	v_and_b32_e32 v9, 0xffff, v8
	v_dual_cndmask_b32 v14, 0xffff, v35 :: v_dual_lshlrev_b32 v23, 16, v8
	s_delay_alu instid0(VALU_DEP_1) | instskip(NEXT) | instid1(VALU_DEP_2)
	v_cmp_o_f32_e32 vcc_lo, v23, v23
	v_xor_b32_e32 v9, v14, v9
	s_delay_alu instid0(VALU_DEP_1) | instskip(NEXT) | instid1(VALU_DEP_1)
	v_cndmask_b32_e32 v9, 0xffff, v9, vcc_lo
	v_and_b32_e32 v9, s89, v9
	s_delay_alu instid0(VALU_DEP_1)
	v_cmp_eq_u32_e32 vcc_lo, s88, v9
	s_and_b32 exec_lo, exec_lo, vcc_lo
	s_cbranch_execz .LBB140_162
; %bb.167:                              ;   in Loop: Header=BB140_163 Depth=2
	v_perm_b32 v8, v8, s78, 0x5040100
	ds_store_b32 v15, v8 offset:3072
	s_branch .LBB140_162
.LBB140_168:                            ;   in Loop: Header=BB140_21 Depth=1
	s_or_b32 exec_lo, exec_lo, s12
	v_lshrrev_b32_e32 v36, 16, v8
	s_and_b32 s4, s13, exec_lo
.LBB140_169:                            ;   in Loop: Header=BB140_21 Depth=1
	s_or_b32 exec_lo, exec_lo, s5
	s_mov_b32 s19, -1
	s_mov_b32 s13, 0
	s_mov_b32 s12, 0
.LBB140_170:                            ;   in Loop: Header=BB140_21 Depth=1
	s_mov_b32 s5, 0
                                        ; implicit-def: $sgpr42
	s_and_saveexec_b32 s20, s4
	s_cbranch_execz .LBB140_281
; %bb.171:                              ;   in Loop: Header=BB140_21 Depth=1
	s_xor_b32 s4, s21, -1
	s_mov_b32 s42, 1
	s_and_not1_b32 vcc_lo, exec_lo, s4
	s_cbranch_vccnz .LBB140_182
; %bb.172:                              ;   in Loop: Header=BB140_21 Depth=1
	v_cmp_gt_u64_e64 s4, s[44:45], s[10:11]
                                        ; implicit-def: $sgpr42
                                        ; implicit-def: $sgpr5
                                        ; implicit-def: $sgpr21
	s_delay_alu instid0(VALU_DEP_1)
	s_and_b32 vcc_lo, exec_lo, s4
	s_mov_b32 s4, -1
	s_cbranch_vccnz .LBB140_178
; %bb.173:                              ;   in Loop: Header=BB140_21 Depth=1
	ds_load_b64 v[2:3], v15 offset:5120
	s_waitcnt lgkmcnt(0)
	v_cmp_ne_u64_e32 vcc_lo, 0, v[2:3]
	s_cbranch_vccnz .LBB140_177
; %bb.174:                              ;   in Loop: Header=BB140_21 Depth=1
	s_and_saveexec_b32 s4, s3
	s_cbranch_execz .LBB140_176
; %bb.175:                              ;   in Loop: Header=BB140_21 Depth=1
	v_dual_mov_b32 v2, s10 :: v_dual_mov_b32 v3, s11
	ds_store_b64 v15, v[2:3] offset:5128
.LBB140_176:                            ;   in Loop: Header=BB140_21 Depth=1
	s_or_b32 exec_lo, exec_lo, s4
	s_waitcnt lgkmcnt(0)
	s_barrier
	buffer_gl0_inv
.LBB140_177:                            ;   in Loop: Header=BB140_21 Depth=1
	s_lshl_b32 s4, 1, s17
	s_and_b32 s5, s88, s18
	s_or_b32 s21, s89, s16
	s_or_b32 s5, s5, s4
	s_mov_b32 s4, 0
	s_mov_b32 s42, 8
.LBB140_178:                            ;   in Loop: Header=BB140_21 Depth=1
	s_and_not1_b32 vcc_lo, exec_lo, s4
	s_cbranch_vccnz .LBB140_180
; %bb.179:                              ;   in Loop: Header=BB140_21 Depth=1
	s_sub_u32 s44, s44, s10
	s_subb_u32 s45, s45, s11
	s_mov_b32 s4, -1
	s_mov_b32 s42, 0
	s_mov_b32 s5, s88
	;; [unrolled: 1-line block ×3, first 2 shown]
.LBB140_180:                            ;   in Loop: Header=BB140_21 Depth=1
	s_delay_alu instid0(SALU_CYCLE_1)
	s_mov_b32 s89, s21
	s_mov_b32 s88, s5
	s_and_not1_b32 vcc_lo, exec_lo, s4
	s_mov_b32 s5, -1
	s_cbranch_vccz .LBB140_183
.LBB140_181:                            ;   in Loop: Header=BB140_21 Depth=1
                                        ; implicit-def: $sgpr11
                                        ; implicit-def: $sgpr21
                                        ; implicit-def: $sgpr10
	s_branch .LBB140_280
.LBB140_182:                            ;   in Loop: Header=BB140_21 Depth=1
	s_mov_b64 s[44:45], 1
	s_mov_b32 s5, -1
	s_cbranch_execnz .LBB140_181
.LBB140_183:                            ;   in Loop: Header=BB140_21 Depth=1
	s_cmp_eq_u64 s[8:9], 1
	s_cselect_b32 s4, -1, 0
	s_cmp_eq_u64 s[44:45], 1
	s_cselect_b32 s5, -1, 0
	s_delay_alu instid0(SALU_CYCLE_1)
	s_and_b32 s23, s4, s5
	s_mov_b32 s4, -1
	s_and_b32 vcc_lo, exec_lo, s23
	s_cbranch_vccz .LBB140_198
; %bb.184:                              ;   in Loop: Header=BB140_21 Depth=1
	ds_load_b64 v[2:3], v15 offset:5120
	s_waitcnt lgkmcnt(0)
	s_barrier
	buffer_gl0_inv
	v_readfirstlane_b32 s10, v2
	v_readfirstlane_b32 s11, v3
	s_and_saveexec_b32 s4, s0
	s_cbranch_execz .LBB140_186
; %bb.185:                              ;   in Loop: Header=BB140_21 Depth=1
	ds_store_b16 v29, v15
.LBB140_186:                            ;   in Loop: Header=BB140_21 Depth=1
	s_or_b32 exec_lo, exec_lo, s4
	s_lshl_b32 s4, 2, s17
	s_and_b32 s5, s88, s18
	s_or_b32 s89, s89, s16
	s_or_b32 s88, s5, s4
	s_cmp_eq_u64 s[10:11], 0
	s_waitcnt lgkmcnt(0)
	s_barrier
	buffer_gl0_inv
	s_cbranch_scc1 .LBB140_201
; %bb.187:                              ;   in Loop: Header=BB140_21 Depth=1
	s_add_u32 s21, s69, s10
	s_addc_u32 s5, s70, s11
	s_mov_b32 s4, s43
	s_delay_alu instid0(SALU_CYCLE_1)
	s_cmp_lg_u64 s[4:5], 0
	s_cbranch_scc0 .LBB140_246
; %bb.188:                              ;   in Loop: Header=BB140_21 Depth=1
	v_cvt_f32_u32_e32 v2, s29
	s_sub_u32 s42, 0, s29
	s_subb_u32 s48, 0, 0
	s_delay_alu instid0(VALU_DEP_1) | instskip(NEXT) | instid1(VALU_DEP_1)
	v_fmac_f32_e64 v2, 0, 0x4f800000
	v_rcp_f32_e32 v2, v2
	s_waitcnt_depctr 0xfff
	v_mul_f32_e32 v2, 0x5f7ffffc, v2
	s_delay_alu instid0(VALU_DEP_1) | instskip(NEXT) | instid1(VALU_DEP_1)
	v_mul_f32_e32 v3, 0x2f800000, v2
	v_trunc_f32_e32 v3, v3
	s_delay_alu instid0(VALU_DEP_1) | instskip(SKIP_1) | instid1(VALU_DEP_2)
	v_fmac_f32_e32 v2, 0xcf800000, v3
	v_cvt_u32_f32_e32 v3, v3
	v_cvt_u32_f32_e32 v2, v2
	s_delay_alu instid0(VALU_DEP_2) | instskip(NEXT) | instid1(VALU_DEP_2)
	v_readfirstlane_b32 s4, v3
	v_readfirstlane_b32 s22, v2
	s_delay_alu instid0(VALU_DEP_2) | instskip(NEXT) | instid1(VALU_DEP_1)
	s_mul_i32 s56, s42, s4
	s_mul_hi_u32 s58, s42, s22
	s_mul_i32 s57, s48, s22
	s_add_i32 s56, s58, s56
	s_mul_i32 s59, s42, s22
	s_add_i32 s56, s56, s57
	s_mul_hi_u32 s58, s22, s59
	s_mul_hi_u32 s60, s4, s59
	s_mul_i32 s57, s4, s59
	s_mul_hi_u32 s59, s22, s56
	s_mul_i32 s22, s22, s56
	s_mul_hi_u32 s61, s4, s56
	s_add_u32 s22, s58, s22
	s_addc_u32 s58, 0, s59
	s_add_u32 s22, s22, s57
	s_mul_i32 s56, s4, s56
	s_addc_u32 s22, s58, s60
	s_addc_u32 s57, s61, 0
	s_add_u32 s22, s22, s56
	s_addc_u32 s56, 0, s57
	v_add_co_u32 v2, s22, v2, s22
	s_delay_alu instid0(VALU_DEP_1) | instskip(SKIP_1) | instid1(VALU_DEP_1)
	s_cmp_lg_u32 s22, 0
	s_addc_u32 s4, s4, s56
	v_readfirstlane_b32 s22, v2
	s_mul_i32 s56, s42, s4
	s_delay_alu instid0(VALU_DEP_1)
	s_mul_hi_u32 s57, s42, s22
	s_mul_i32 s48, s48, s22
	s_add_i32 s56, s57, s56
	s_mul_i32 s42, s42, s22
	s_add_i32 s56, s56, s48
	s_mul_hi_u32 s57, s4, s42
	s_mul_i32 s58, s4, s42
	s_mul_hi_u32 s42, s22, s42
	s_mul_hi_u32 s59, s22, s56
	s_mul_i32 s22, s22, s56
	s_mul_hi_u32 s48, s4, s56
	s_add_u32 s22, s42, s22
	s_addc_u32 s42, 0, s59
	s_add_u32 s22, s22, s58
	s_mul_i32 s56, s4, s56
	s_addc_u32 s22, s42, s57
	s_addc_u32 s42, s48, 0
	s_add_u32 s22, s22, s56
	s_addc_u32 s42, 0, s42
	v_add_co_u32 v2, s22, v2, s22
	s_delay_alu instid0(VALU_DEP_1) | instskip(SKIP_1) | instid1(VALU_DEP_1)
	s_cmp_lg_u32 s22, 0
	s_addc_u32 s4, s4, s42
	v_readfirstlane_b32 s22, v2
	s_mul_i32 s48, s21, s4
	s_mul_hi_u32 s42, s21, s4
	s_mul_hi_u32 s56, s5, s4
	s_mul_i32 s4, s5, s4
	s_mul_hi_u32 s57, s21, s22
	s_mul_hi_u32 s58, s5, s22
	s_mul_i32 s22, s5, s22
	s_add_u32 s48, s57, s48
	s_addc_u32 s42, 0, s42
	s_add_u32 s22, s48, s22
	s_addc_u32 s22, s42, s58
	s_addc_u32 s42, s56, 0
	s_add_u32 s4, s22, s4
	s_addc_u32 s22, 0, s42
	s_mul_hi_u32 s42, s29, s4
	s_mul_i32 s4, s29, s4
	s_mul_i32 s22, s29, s22
	v_sub_co_u32 v2, s4, s21, s4
	s_add_i32 s42, s42, s22
	s_cmp_lg_u32 s4, 0
	s_delay_alu instid0(VALU_DEP_1) | instskip(SKIP_2) | instid1(VALU_DEP_1)
	v_sub_co_u32 v3, s4, v2, s29
	s_subb_u32 s22, s5, s42
	s_cmp_lg_u32 s4, 0
	v_cmp_le_u32_e32 vcc_lo, s29, v3
	v_sub_co_u32 v4, s4, v3, s29
	s_subb_u32 s42, s22, 0
	s_cmp_lg_u32 s4, 0
	v_cndmask_b32_e64 v5, 0, -1, vcc_lo
	s_subb_u32 s4, s42, 0
	s_cmp_eq_u32 s42, 0
	v_mov_b32_e32 v7, s4
	s_cselect_b32 vcc_lo, -1, 0
	s_cmp_eq_u32 s22, 0
	v_cndmask_b32_e32 v5, -1, v5, vcc_lo
	v_cmp_le_u32_e32 vcc_lo, s29, v2
	s_cselect_b32 s4, -1, 0
	v_cndmask_b32_e64 v6, 0, -1, vcc_lo
	s_delay_alu instid0(VALU_DEP_3) | instskip(NEXT) | instid1(VALU_DEP_2)
	v_cmp_ne_u32_e32 vcc_lo, 0, v5
	v_cndmask_b32_e64 v5, -1, v6, s4
	v_cndmask_b32_e32 v6, s42, v7, vcc_lo
	v_cndmask_b32_e32 v4, v3, v4, vcc_lo
	s_delay_alu instid0(VALU_DEP_3) | instskip(NEXT) | instid1(VALU_DEP_3)
	v_cmp_ne_u32_e32 vcc_lo, 0, v5
	v_cndmask_b32_e32 v3, s22, v6, vcc_lo
	s_delay_alu instid0(VALU_DEP_3)
	v_cndmask_b32_e32 v2, v2, v4, vcc_lo
	s_cbranch_execnz .LBB140_190
.LBB140_189:                            ;   in Loop: Header=BB140_21 Depth=1
	v_cvt_f32_u32_e32 v2, s29
	s_sub_i32 s4, 0, s29
	s_delay_alu instid0(VALU_DEP_1) | instskip(SKIP_2) | instid1(VALU_DEP_1)
	v_rcp_iflag_f32_e32 v2, v2
	s_waitcnt_depctr 0xfff
	v_mul_f32_e32 v2, 0x4f7ffffe, v2
	v_cvt_u32_f32_e32 v2, v2
	s_delay_alu instid0(VALU_DEP_1) | instskip(NEXT) | instid1(VALU_DEP_1)
	v_mul_lo_u32 v3, s4, v2
	v_mul_hi_u32 v3, v2, v3
	s_delay_alu instid0(VALU_DEP_1) | instskip(NEXT) | instid1(VALU_DEP_1)
	v_add_nc_u32_e32 v2, v2, v3
	v_mul_hi_u32 v2, s21, v2
	s_delay_alu instid0(VALU_DEP_1) | instskip(NEXT) | instid1(VALU_DEP_1)
	v_mul_lo_u32 v2, v2, s29
	v_sub_nc_u32_e32 v2, s21, v2
	s_delay_alu instid0(VALU_DEP_1) | instskip(SKIP_1) | instid1(VALU_DEP_2)
	v_subrev_nc_u32_e32 v3, s29, v2
	v_cmp_le_u32_e32 vcc_lo, s29, v2
	v_cndmask_b32_e32 v2, v2, v3, vcc_lo
	s_delay_alu instid0(VALU_DEP_1) | instskip(SKIP_1) | instid1(VALU_DEP_2)
	v_subrev_nc_u32_e32 v3, s29, v2
	v_cmp_le_u32_e32 vcc_lo, s29, v2
	v_cndmask_b32_e32 v14, v2, v3, vcc_lo
	s_delay_alu instid0(VALU_DEP_1)
	v_dual_mov_b32 v2, v14 :: v_dual_mov_b32 v3, v15
.LBB140_190:                            ;   in Loop: Header=BB140_21 Depth=1
	s_delay_alu instid0(VALU_DEP_1) | instskip(NEXT) | instid1(VALU_DEP_2)
	v_sub_co_u32 v2, vcc_lo, s21, v2
	v_sub_co_ci_u32_e32 v3, vcc_lo, s5, v3, vcc_lo
	s_mov_b32 s4, 0
	s_mov_b32 s5, exec_lo
                                        ; implicit-def: $vgpr36
	s_delay_alu instid0(VALU_DEP_1)
	v_cmpx_gt_u64_e64 v[2:3], v[0:1]
	s_cbranch_execz .LBB140_203
; %bb.191:                              ;   in Loop: Header=BB140_21 Depth=1
	v_dual_mov_b32 v6, v28 :: v_dual_mov_b32 v5, v1
	v_mov_b32_e32 v4, v0
	s_mov_b32 s21, 0
                                        ; implicit-def: $sgpr22
	s_branch .LBB140_193
.LBB140_192:                            ;   in Loop: Header=BB140_193 Depth=2
	s_or_b32 exec_lo, exec_lo, s4
	s_waitcnt lgkmcnt(0)
	s_barrier
	buffer_gl0_inv
	ds_load_b32 v7, v15 offset:3072
	v_add_co_u32 v4, vcc_lo, v4, s29
	v_add_co_ci_u32_e32 v5, vcc_lo, 0, v5, vcc_lo
	v_add_nc_u32_e32 v6, s77, v6
	s_waitcnt lgkmcnt(0)
	s_barrier
	s_delay_alu instid0(VALU_DEP_2) | instskip(SKIP_2) | instid1(VALU_DEP_1)
	v_cmp_ge_u64_e32 vcc_lo, v[4:5], v[2:3]
	buffer_gl0_inv
	v_and_b32_e32 v8, 0x7fff, v7
	v_cmp_ne_u16_e64 s4, 0, v8
	s_delay_alu instid0(VALU_DEP_1) | instskip(NEXT) | instid1(SALU_CYCLE_1)
	s_or_b32 s42, vcc_lo, s4
	s_and_b32 s42, exec_lo, s42
	s_delay_alu instid0(SALU_CYCLE_1) | instskip(SKIP_2) | instid1(SALU_CYCLE_1)
	s_or_b32 s21, s42, s21
	s_and_not1_b32 s22, s22, exec_lo
	s_and_b32 s4, s4, exec_lo
	s_or_b32 s22, s22, s4
	s_and_not1_b32 exec_lo, exec_lo, s21
	s_cbranch_execz .LBB140_202
.LBB140_193:                            ;   Parent Loop BB140_21 Depth=1
                                        ; =>  This Inner Loop Header: Depth=2
	s_delay_alu instid0(VALU_DEP_1)
	v_cmp_gt_u64_e32 vcc_lo, s[10:11], v[4:5]
	v_mov_b32_e32 v7, 0
	s_and_saveexec_b32 s4, vcc_lo
	s_cbranch_execz .LBB140_195
; %bb.194:                              ;   in Loop: Header=BB140_193 Depth=2
	ds_load_u16 v7, v6
.LBB140_195:                            ;   in Loop: Header=BB140_193 Depth=2
	s_or_b32 exec_lo, exec_lo, s4
	s_and_saveexec_b32 s4, vcc_lo
	s_cbranch_execz .LBB140_192
; %bb.196:                              ;   in Loop: Header=BB140_193 Depth=2
	s_waitcnt lgkmcnt(0)
	v_cmp_lt_i16_e32 vcc_lo, -1, v7
	v_and_b32_e32 v8, 0xffff, v7
	v_lshlrev_b32_e32 v14, 16, v7
	v_cndmask_b32_e32 v9, 0xffff, v35, vcc_lo
	s_delay_alu instid0(VALU_DEP_2) | instskip(NEXT) | instid1(VALU_DEP_2)
	v_cmp_o_f32_e32 vcc_lo, v14, v14
	v_xor_b32_e32 v8, v9, v8
	s_delay_alu instid0(VALU_DEP_1) | instskip(NEXT) | instid1(VALU_DEP_1)
	v_cndmask_b32_e32 v8, 0xffff, v8, vcc_lo
	v_and_b32_e32 v8, s89, v8
	s_delay_alu instid0(VALU_DEP_1)
	v_cmp_eq_u32_e32 vcc_lo, s88, v8
	s_and_b32 exec_lo, exec_lo, vcc_lo
	s_cbranch_execz .LBB140_192
; %bb.197:                              ;   in Loop: Header=BB140_193 Depth=2
	v_perm_b32 v7, v7, s78, 0x5040100
	ds_store_b32 v15, v7 offset:3072
	s_branch .LBB140_192
.LBB140_198:                            ;   in Loop: Header=BB140_21 Depth=1
                                        ; implicit-def: $sgpr10
                                        ; implicit-def: $sgpr21
                                        ; implicit-def: $sgpr11
	s_branch .LBB140_217
.LBB140_199:                            ;   in Loop: Header=BB140_21 Depth=1
                                        ; implicit-def: $vgpr2_vgpr3
	s_branch .LBB140_142
.LBB140_200:                            ;   in Loop: Header=BB140_21 Depth=1
                                        ; implicit-def: $vgpr2_vgpr3
	s_branch .LBB140_159
.LBB140_201:                            ;   in Loop: Header=BB140_21 Depth=1
	s_mov_b32 s10, -1
	s_mov_b32 s4, 0
                                        ; implicit-def: $sgpr11
                                        ; implicit-def: $vgpr36
	s_mov_b32 s21, s10
	s_cbranch_execnz .LBB140_204
	s_branch .LBB140_217
.LBB140_202:                            ;   in Loop: Header=BB140_21 Depth=1
	s_or_b32 exec_lo, exec_lo, s21
	v_lshrrev_b32_e32 v36, 16, v7
	s_and_b32 s4, s22, exec_lo
.LBB140_203:                            ;   in Loop: Header=BB140_21 Depth=1
	s_or_b32 exec_lo, exec_lo, s5
	s_mov_b32 s11, -1
	s_mov_b32 s10, 0
	s_delay_alu instid0(SALU_CYCLE_1)
	s_mov_b32 s21, s10
	s_branch .LBB140_217
.LBB140_204:                            ;   in Loop: Header=BB140_21 Depth=1
	s_mov_b32 s48, s43
	s_delay_alu instid0(SALU_CYCLE_1)
	s_cmp_lg_u64 s[48:49], 0
	s_cbranch_scc0 .LBB140_247
; %bb.205:                              ;   in Loop: Header=BB140_21 Depth=1
	v_cvt_f32_u32_e32 v2, s29
	s_sub_u32 s10, 0, s29
	s_subb_u32 s11, 0, 0
	s_delay_alu instid0(VALU_DEP_1) | instskip(NEXT) | instid1(VALU_DEP_1)
	v_fmac_f32_e64 v2, 0, 0x4f800000
	v_rcp_f32_e32 v2, v2
	s_waitcnt_depctr 0xfff
	v_mul_f32_e32 v2, 0x5f7ffffc, v2
	s_delay_alu instid0(VALU_DEP_1) | instskip(NEXT) | instid1(VALU_DEP_1)
	v_mul_f32_e32 v3, 0x2f800000, v2
	v_trunc_f32_e32 v3, v3
	s_delay_alu instid0(VALU_DEP_1) | instskip(SKIP_1) | instid1(VALU_DEP_2)
	v_fmac_f32_e32 v2, 0xcf800000, v3
	v_cvt_u32_f32_e32 v3, v3
	v_cvt_u32_f32_e32 v2, v2
	s_delay_alu instid0(VALU_DEP_2) | instskip(NEXT) | instid1(VALU_DEP_2)
	v_readfirstlane_b32 s4, v3
	v_readfirstlane_b32 s5, v2
	s_delay_alu instid0(VALU_DEP_2) | instskip(NEXT) | instid1(VALU_DEP_1)
	s_mul_i32 s21, s10, s4
	s_mul_hi_u32 s42, s10, s5
	s_mul_i32 s22, s11, s5
	s_add_i32 s21, s42, s21
	s_mul_i32 s48, s10, s5
	s_add_i32 s21, s21, s22
	s_mul_hi_u32 s42, s5, s48
	s_mul_hi_u32 s56, s4, s48
	s_mul_i32 s22, s4, s48
	s_mul_hi_u32 s48, s5, s21
	s_mul_i32 s5, s5, s21
	s_mul_hi_u32 s57, s4, s21
	s_add_u32 s5, s42, s5
	s_addc_u32 s42, 0, s48
	s_add_u32 s5, s5, s22
	s_mul_i32 s21, s4, s21
	s_addc_u32 s5, s42, s56
	s_addc_u32 s22, s57, 0
	s_add_u32 s5, s5, s21
	s_addc_u32 s21, 0, s22
	v_add_co_u32 v2, s5, v2, s5
	s_delay_alu instid0(VALU_DEP_1) | instskip(SKIP_1) | instid1(VALU_DEP_1)
	s_cmp_lg_u32 s5, 0
	s_addc_u32 s4, s4, s21
	v_readfirstlane_b32 s5, v2
	s_mul_i32 s21, s10, s4
	s_delay_alu instid0(VALU_DEP_1)
	s_mul_hi_u32 s22, s10, s5
	s_mul_i32 s11, s11, s5
	s_add_i32 s21, s22, s21
	s_mul_i32 s10, s10, s5
	s_add_i32 s21, s21, s11
	s_mul_hi_u32 s22, s4, s10
	s_mul_i32 s42, s4, s10
	s_mul_hi_u32 s10, s5, s10
	s_mul_hi_u32 s48, s5, s21
	s_mul_i32 s5, s5, s21
	s_mul_hi_u32 s11, s4, s21
	s_add_u32 s5, s10, s5
	s_addc_u32 s10, 0, s48
	s_add_u32 s5, s5, s42
	s_mul_i32 s21, s4, s21
	s_addc_u32 s5, s10, s22
	s_addc_u32 s10, s11, 0
	s_add_u32 s5, s5, s21
	s_addc_u32 s10, 0, s10
	v_add_co_u32 v2, s5, v2, s5
	s_delay_alu instid0(VALU_DEP_1) | instskip(SKIP_1) | instid1(VALU_DEP_1)
	s_cmp_lg_u32 s5, 0
	s_addc_u32 s4, s4, s10
	v_readfirstlane_b32 s5, v2
	s_mul_i32 s11, s71, s4
	s_mul_hi_u32 s10, s71, s4
	s_mul_hi_u32 s21, s49, s4
	s_mul_i32 s4, s49, s4
	s_mul_hi_u32 s22, s71, s5
	s_mul_hi_u32 s42, s49, s5
	s_mul_i32 s5, s49, s5
	s_add_u32 s11, s22, s11
	s_addc_u32 s10, 0, s10
	s_add_u32 s5, s11, s5
	s_addc_u32 s5, s10, s42
	s_addc_u32 s10, s21, 0
	s_add_u32 s4, s5, s4
	s_addc_u32 s5, 0, s10
	s_mul_hi_u32 s10, s29, s4
	s_mul_i32 s4, s29, s4
	s_mul_i32 s5, s29, s5
	v_sub_co_u32 v2, s4, s71, s4
	s_add_i32 s10, s10, s5
	s_cmp_lg_u32 s4, 0
	s_delay_alu instid0(VALU_DEP_1) | instskip(SKIP_2) | instid1(VALU_DEP_1)
	v_sub_co_u32 v3, s4, v2, s29
	s_subb_u32 s5, s49, s10
	s_cmp_lg_u32 s4, 0
	v_cmp_le_u32_e32 vcc_lo, s29, v3
	v_sub_co_u32 v4, s4, v3, s29
	s_subb_u32 s10, s5, 0
	s_cmp_lg_u32 s4, 0
	v_cndmask_b32_e64 v5, 0, -1, vcc_lo
	s_subb_u32 s4, s10, 0
	s_cmp_eq_u32 s10, 0
	v_mov_b32_e32 v7, s4
	s_cselect_b32 vcc_lo, -1, 0
	s_cmp_eq_u32 s5, 0
	v_cndmask_b32_e32 v5, -1, v5, vcc_lo
	v_cmp_le_u32_e32 vcc_lo, s29, v2
	s_cselect_b32 s4, -1, 0
	v_cndmask_b32_e64 v6, 0, -1, vcc_lo
	s_delay_alu instid0(VALU_DEP_3) | instskip(NEXT) | instid1(VALU_DEP_2)
	v_cmp_ne_u32_e32 vcc_lo, 0, v5
	v_cndmask_b32_e64 v5, -1, v6, s4
	v_cndmask_b32_e32 v6, s10, v7, vcc_lo
	v_cndmask_b32_e32 v4, v3, v4, vcc_lo
	s_delay_alu instid0(VALU_DEP_3) | instskip(NEXT) | instid1(VALU_DEP_3)
	v_cmp_ne_u32_e32 vcc_lo, 0, v5
	v_cndmask_b32_e32 v3, s5, v6, vcc_lo
	s_delay_alu instid0(VALU_DEP_3)
	v_cndmask_b32_e32 v2, v2, v4, vcc_lo
	s_cbranch_execnz .LBB140_207
.LBB140_206:                            ;   in Loop: Header=BB140_21 Depth=1
	v_cvt_f32_u32_e32 v2, s29
	s_sub_i32 s4, 0, s29
	s_delay_alu instid0(VALU_DEP_1) | instskip(SKIP_2) | instid1(VALU_DEP_1)
	v_rcp_iflag_f32_e32 v2, v2
	s_waitcnt_depctr 0xfff
	v_mul_f32_e32 v2, 0x4f7ffffe, v2
	v_cvt_u32_f32_e32 v2, v2
	s_delay_alu instid0(VALU_DEP_1) | instskip(NEXT) | instid1(VALU_DEP_1)
	v_mul_lo_u32 v3, s4, v2
	v_mul_hi_u32 v3, v2, v3
	s_delay_alu instid0(VALU_DEP_1) | instskip(NEXT) | instid1(VALU_DEP_1)
	v_add_nc_u32_e32 v2, v2, v3
	v_mul_hi_u32 v2, s71, v2
	s_delay_alu instid0(VALU_DEP_1) | instskip(NEXT) | instid1(VALU_DEP_1)
	v_mul_lo_u32 v2, v2, s29
	v_sub_nc_u32_e32 v2, s71, v2
	s_delay_alu instid0(VALU_DEP_1) | instskip(SKIP_1) | instid1(VALU_DEP_2)
	v_subrev_nc_u32_e32 v3, s29, v2
	v_cmp_le_u32_e32 vcc_lo, s29, v2
	v_cndmask_b32_e32 v2, v2, v3, vcc_lo
	s_delay_alu instid0(VALU_DEP_1) | instskip(SKIP_1) | instid1(VALU_DEP_2)
	v_subrev_nc_u32_e32 v3, s29, v2
	v_cmp_le_u32_e32 vcc_lo, s29, v2
	v_cndmask_b32_e32 v14, v2, v3, vcc_lo
	s_delay_alu instid0(VALU_DEP_1)
	v_dual_mov_b32 v2, v14 :: v_dual_mov_b32 v3, v15
.LBB140_207:                            ;   in Loop: Header=BB140_21 Depth=1
	s_delay_alu instid0(VALU_DEP_1) | instskip(NEXT) | instid1(VALU_DEP_2)
	v_sub_co_u32 v2, vcc_lo, s71, v2
	v_sub_co_ci_u32_e32 v3, vcc_lo, s49, v3, vcc_lo
	s_mov_b32 s4, 0
	s_mov_b32 s5, exec_lo
                                        ; implicit-def: $vgpr36
	s_delay_alu instid0(VALU_DEP_1)
	v_cmpx_gt_u64_e64 v[2:3], v[0:1]
	s_cbranch_execz .LBB140_216
; %bb.208:                              ;   in Loop: Header=BB140_21 Depth=1
	v_dual_mov_b32 v4, v10 :: v_dual_mov_b32 v5, v11
	v_dual_mov_b32 v7, v1 :: v_dual_mov_b32 v6, v0
	s_mov_b32 s10, 0
                                        ; implicit-def: $sgpr11
	s_branch .LBB140_210
.LBB140_209:                            ;   in Loop: Header=BB140_210 Depth=2
	s_or_b32 exec_lo, exec_lo, s4
	s_waitcnt vmcnt(0) lgkmcnt(0)
	s_barrier
	buffer_gl0_inv
	ds_load_b32 v8, v15 offset:3072
	v_add_co_u32 v6, vcc_lo, v6, s29
	v_add_co_ci_u32_e32 v7, vcc_lo, 0, v7, vcc_lo
	s_waitcnt lgkmcnt(0)
	s_barrier
	buffer_gl0_inv
	v_cmp_ge_u64_e32 vcc_lo, v[6:7], v[2:3]
	v_and_b32_e32 v9, 0x7fff, v8
	s_delay_alu instid0(VALU_DEP_1) | instskip(NEXT) | instid1(VALU_DEP_1)
	v_cmp_ne_u16_e64 s4, 0, v9
	s_or_b32 s21, vcc_lo, s4
	v_add_co_u32 v4, vcc_lo, v4, s40
	s_and_b32 s21, exec_lo, s21
	v_add_co_ci_u32_e32 v5, vcc_lo, s41, v5, vcc_lo
	s_or_b32 s10, s21, s10
	s_and_not1_b32 s11, s11, exec_lo
	s_and_b32 s4, s4, exec_lo
	s_delay_alu instid0(SALU_CYCLE_1)
	s_or_b32 s11, s11, s4
	s_and_not1_b32 exec_lo, exec_lo, s10
	s_cbranch_execz .LBB140_215
.LBB140_210:                            ;   Parent Loop BB140_21 Depth=1
                                        ; =>  This Inner Loop Header: Depth=2
	s_delay_alu instid0(VALU_DEP_1)
	v_cmp_gt_u64_e32 vcc_lo, s[24:25], v[6:7]
	v_mov_b32_e32 v8, 0
	s_and_saveexec_b32 s4, vcc_lo
	s_cbranch_execz .LBB140_212
; %bb.211:                              ;   in Loop: Header=BB140_210 Depth=2
	global_load_u16 v8, v[4:5], off
.LBB140_212:                            ;   in Loop: Header=BB140_210 Depth=2
	s_or_b32 exec_lo, exec_lo, s4
	s_and_saveexec_b32 s4, vcc_lo
	s_cbranch_execz .LBB140_209
; %bb.213:                              ;   in Loop: Header=BB140_210 Depth=2
	s_waitcnt vmcnt(0)
	v_cmp_lt_i16_e32 vcc_lo, -1, v8
	v_and_b32_e32 v9, 0xffff, v8
	v_dual_cndmask_b32 v14, 0xffff, v35 :: v_dual_lshlrev_b32 v23, 16, v8
	s_delay_alu instid0(VALU_DEP_1) | instskip(NEXT) | instid1(VALU_DEP_2)
	v_cmp_o_f32_e32 vcc_lo, v23, v23
	v_xor_b32_e32 v9, v14, v9
	s_delay_alu instid0(VALU_DEP_1) | instskip(NEXT) | instid1(VALU_DEP_1)
	v_cndmask_b32_e32 v9, 0xffff, v9, vcc_lo
	v_and_b32_e32 v9, s89, v9
	s_delay_alu instid0(VALU_DEP_1)
	v_cmp_eq_u32_e32 vcc_lo, s88, v9
	s_and_b32 exec_lo, exec_lo, vcc_lo
	s_cbranch_execz .LBB140_209
; %bb.214:                              ;   in Loop: Header=BB140_210 Depth=2
	v_perm_b32 v8, v8, s78, 0x5040100
	ds_store_b32 v15, v8 offset:3072
	s_branch .LBB140_209
.LBB140_215:                            ;   in Loop: Header=BB140_21 Depth=1
	s_or_b32 exec_lo, exec_lo, s10
	v_lshrrev_b32_e32 v36, 16, v8
	s_and_b32 s4, s11, exec_lo
.LBB140_216:                            ;   in Loop: Header=BB140_21 Depth=1
	s_or_b32 exec_lo, exec_lo, s5
	s_mov_b32 s21, -1
	s_mov_b32 s10, 0
	s_mov_b32 s11, 0
.LBB140_217:                            ;   in Loop: Header=BB140_21 Depth=1
	s_mov_b32 s5, 0
                                        ; implicit-def: $sgpr42
	s_and_saveexec_b32 s22, s4
	s_cbranch_execz .LBB140_279
; %bb.218:                              ;   in Loop: Header=BB140_21 Depth=1
	s_xor_b32 s4, s23, -1
	s_mov_b32 s42, 1
	s_and_not1_b32 vcc_lo, exec_lo, s4
	s_cbranch_vccnz .LBB140_229
; %bb.219:                              ;   in Loop: Header=BB140_21 Depth=1
	v_cmp_gt_u64_e64 s4, s[44:45], s[8:9]
                                        ; implicit-def: $sgpr42
                                        ; implicit-def: $sgpr5
                                        ; implicit-def: $sgpr23
	s_delay_alu instid0(VALU_DEP_1)
	s_and_b32 vcc_lo, exec_lo, s4
	s_mov_b32 s4, -1
	s_cbranch_vccnz .LBB140_225
; %bb.220:                              ;   in Loop: Header=BB140_21 Depth=1
	ds_load_b64 v[2:3], v15 offset:5120
	s_waitcnt lgkmcnt(0)
	v_cmp_ne_u64_e32 vcc_lo, 0, v[2:3]
	s_cbranch_vccnz .LBB140_224
; %bb.221:                              ;   in Loop: Header=BB140_21 Depth=1
	s_and_saveexec_b32 s4, s3
	s_cbranch_execz .LBB140_223
; %bb.222:                              ;   in Loop: Header=BB140_21 Depth=1
	v_dual_mov_b32 v2, s8 :: v_dual_mov_b32 v3, s9
	ds_store_b64 v15, v[2:3] offset:5128
.LBB140_223:                            ;   in Loop: Header=BB140_21 Depth=1
	s_or_b32 exec_lo, exec_lo, s4
	s_waitcnt lgkmcnt(0)
	s_barrier
	buffer_gl0_inv
.LBB140_224:                            ;   in Loop: Header=BB140_21 Depth=1
	s_lshl_b32 s4, 2, s17
	s_and_b32 s5, s88, s18
	s_or_b32 s23, s89, s16
	s_or_b32 s5, s5, s4
	s_mov_b32 s4, 0
	s_mov_b32 s42, 8
.LBB140_225:                            ;   in Loop: Header=BB140_21 Depth=1
	s_and_not1_b32 vcc_lo, exec_lo, s4
	s_cbranch_vccnz .LBB140_227
; %bb.226:                              ;   in Loop: Header=BB140_21 Depth=1
	s_sub_u32 s44, s44, s8
	s_subb_u32 s45, s45, s9
	s_mov_b32 s4, -1
	s_mov_b32 s42, 0
	s_mov_b32 s5, s88
	;; [unrolled: 1-line block ×3, first 2 shown]
.LBB140_227:                            ;   in Loop: Header=BB140_21 Depth=1
	s_delay_alu instid0(SALU_CYCLE_1)
	s_mov_b32 s89, s23
	s_mov_b32 s88, s5
	s_and_not1_b32 vcc_lo, exec_lo, s4
	s_mov_b32 s56, -1
	s_cbranch_vccz .LBB140_230
.LBB140_228:                            ;   in Loop: Header=BB140_21 Depth=1
                                        ; implicit-def: $sgpr8
                                        ; implicit-def: $sgpr18
                                        ; implicit-def: $sgpr9
	s_branch .LBB140_278
.LBB140_229:                            ;   in Loop: Header=BB140_21 Depth=1
	s_mov_b64 s[44:45], 1
	s_mov_b32 s56, -1
	s_cbranch_execnz .LBB140_228
.LBB140_230:                            ;   in Loop: Header=BB140_21 Depth=1
	s_cmp_eq_u64 s[6:7], 1
	s_mov_b32 s23, -1
	s_cselect_b32 s4, -1, 0
	s_cmp_eq_u64 s[44:45], 1
	s_cselect_b32 s5, -1, 0
	s_delay_alu instid0(SALU_CYCLE_1) | instskip(NEXT) | instid1(SALU_CYCLE_1)
	s_and_b32 s17, s4, s5
	s_and_b32 vcc_lo, exec_lo, s17
	s_cbranch_vccz .LBB140_245
; %bb.231:                              ;   in Loop: Header=BB140_21 Depth=1
	ds_load_b64 v[2:3], v15 offset:5120
	s_waitcnt lgkmcnt(0)
	s_barrier
	buffer_gl0_inv
	v_readfirstlane_b32 s8, v2
	v_readfirstlane_b32 s9, v3
	s_and_saveexec_b32 s4, s0
	s_cbranch_execz .LBB140_233
; %bb.232:                              ;   in Loop: Header=BB140_21 Depth=1
	ds_store_b16 v29, v15
.LBB140_233:                            ;   in Loop: Header=BB140_21 Depth=1
	s_or_b32 exec_lo, exec_lo, s4
	s_or_b32 s88, s88, s16
	s_or_b32 s89, s89, s16
	s_cmp_eq_u64 s[8:9], 0
	s_waitcnt lgkmcnt(0)
	s_barrier
	buffer_gl0_inv
	s_cbranch_scc1 .LBB140_248
; %bb.234:                              ;   in Loop: Header=BB140_21 Depth=1
	s_add_u32 s18, s69, s8
	s_addc_u32 s5, s70, s9
	s_mov_b32 s4, s43
	s_delay_alu instid0(SALU_CYCLE_1)
	s_cmp_lg_u64 s[4:5], 0
	s_cbranch_scc0 .LBB140_284
; %bb.235:                              ;   in Loop: Header=BB140_21 Depth=1
	v_cvt_f32_u32_e32 v2, s29
	s_sub_u32 s42, 0, s29
	s_subb_u32 s48, 0, 0
	s_delay_alu instid0(VALU_DEP_1) | instskip(NEXT) | instid1(VALU_DEP_1)
	v_fmac_f32_e64 v2, 0, 0x4f800000
	v_rcp_f32_e32 v2, v2
	s_waitcnt_depctr 0xfff
	v_mul_f32_e32 v2, 0x5f7ffffc, v2
	s_delay_alu instid0(VALU_DEP_1) | instskip(NEXT) | instid1(VALU_DEP_1)
	v_mul_f32_e32 v3, 0x2f800000, v2
	v_trunc_f32_e32 v3, v3
	s_delay_alu instid0(VALU_DEP_1) | instskip(SKIP_1) | instid1(VALU_DEP_2)
	v_fmac_f32_e32 v2, 0xcf800000, v3
	v_cvt_u32_f32_e32 v3, v3
	v_cvt_u32_f32_e32 v2, v2
	s_delay_alu instid0(VALU_DEP_2) | instskip(NEXT) | instid1(VALU_DEP_2)
	v_readfirstlane_b32 s4, v3
	v_readfirstlane_b32 s23, v2
	s_delay_alu instid0(VALU_DEP_2) | instskip(NEXT) | instid1(VALU_DEP_1)
	s_mul_i32 s56, s42, s4
	s_mul_hi_u32 s58, s42, s23
	s_mul_i32 s57, s48, s23
	s_add_i32 s56, s58, s56
	s_mul_i32 s59, s42, s23
	s_add_i32 s56, s56, s57
	s_mul_hi_u32 s58, s23, s59
	s_mul_hi_u32 s60, s4, s59
	s_mul_i32 s57, s4, s59
	s_mul_hi_u32 s59, s23, s56
	s_mul_i32 s23, s23, s56
	s_mul_hi_u32 s61, s4, s56
	s_add_u32 s23, s58, s23
	s_addc_u32 s58, 0, s59
	s_add_u32 s23, s23, s57
	s_mul_i32 s56, s4, s56
	s_addc_u32 s23, s58, s60
	s_addc_u32 s57, s61, 0
	s_add_u32 s23, s23, s56
	s_addc_u32 s56, 0, s57
	v_add_co_u32 v2, s23, v2, s23
	s_delay_alu instid0(VALU_DEP_1) | instskip(SKIP_1) | instid1(VALU_DEP_1)
	s_cmp_lg_u32 s23, 0
	s_addc_u32 s4, s4, s56
	v_readfirstlane_b32 s23, v2
	s_mul_i32 s56, s42, s4
	s_delay_alu instid0(VALU_DEP_1)
	s_mul_hi_u32 s57, s42, s23
	s_mul_i32 s48, s48, s23
	s_add_i32 s56, s57, s56
	s_mul_i32 s42, s42, s23
	s_add_i32 s56, s56, s48
	s_mul_hi_u32 s57, s4, s42
	s_mul_i32 s58, s4, s42
	s_mul_hi_u32 s42, s23, s42
	s_mul_hi_u32 s59, s23, s56
	s_mul_i32 s23, s23, s56
	s_mul_hi_u32 s48, s4, s56
	s_add_u32 s23, s42, s23
	s_addc_u32 s42, 0, s59
	s_add_u32 s23, s23, s58
	s_mul_i32 s56, s4, s56
	s_addc_u32 s23, s42, s57
	s_addc_u32 s42, s48, 0
	s_add_u32 s23, s23, s56
	s_addc_u32 s42, 0, s42
	v_add_co_u32 v2, s23, v2, s23
	s_delay_alu instid0(VALU_DEP_1) | instskip(SKIP_1) | instid1(VALU_DEP_1)
	s_cmp_lg_u32 s23, 0
	s_addc_u32 s4, s4, s42
	v_readfirstlane_b32 s23, v2
	s_mul_i32 s48, s18, s4
	s_mul_hi_u32 s42, s18, s4
	s_mul_hi_u32 s56, s5, s4
	s_mul_i32 s4, s5, s4
	s_mul_hi_u32 s57, s18, s23
	s_mul_hi_u32 s58, s5, s23
	s_mul_i32 s23, s5, s23
	s_add_u32 s48, s57, s48
	s_addc_u32 s42, 0, s42
	s_add_u32 s23, s48, s23
	s_addc_u32 s23, s42, s58
	s_addc_u32 s42, s56, 0
	s_add_u32 s4, s23, s4
	s_addc_u32 s23, 0, s42
	s_mul_hi_u32 s42, s29, s4
	s_mul_i32 s4, s29, s4
	s_mul_i32 s23, s29, s23
	v_sub_co_u32 v2, s4, s18, s4
	s_add_i32 s42, s42, s23
	s_cmp_lg_u32 s4, 0
	s_delay_alu instid0(VALU_DEP_1) | instskip(SKIP_2) | instid1(VALU_DEP_1)
	v_sub_co_u32 v3, s4, v2, s29
	s_subb_u32 s23, s5, s42
	s_cmp_lg_u32 s4, 0
	v_cmp_le_u32_e32 vcc_lo, s29, v3
	v_sub_co_u32 v4, s4, v3, s29
	s_subb_u32 s42, s23, 0
	s_cmp_lg_u32 s4, 0
	v_cndmask_b32_e64 v5, 0, -1, vcc_lo
	s_subb_u32 s4, s42, 0
	s_cmp_eq_u32 s42, 0
	v_mov_b32_e32 v7, s4
	s_cselect_b32 vcc_lo, -1, 0
	s_cmp_eq_u32 s23, 0
	v_cndmask_b32_e32 v5, -1, v5, vcc_lo
	v_cmp_le_u32_e32 vcc_lo, s29, v2
	s_cselect_b32 s4, -1, 0
	v_cndmask_b32_e64 v6, 0, -1, vcc_lo
	s_delay_alu instid0(VALU_DEP_3) | instskip(NEXT) | instid1(VALU_DEP_2)
	v_cmp_ne_u32_e32 vcc_lo, 0, v5
	v_cndmask_b32_e64 v5, -1, v6, s4
	v_cndmask_b32_e32 v6, s42, v7, vcc_lo
	v_cndmask_b32_e32 v4, v3, v4, vcc_lo
	s_delay_alu instid0(VALU_DEP_3) | instskip(NEXT) | instid1(VALU_DEP_3)
	v_cmp_ne_u32_e32 vcc_lo, 0, v5
	v_cndmask_b32_e32 v3, s23, v6, vcc_lo
	s_delay_alu instid0(VALU_DEP_3)
	v_cndmask_b32_e32 v2, v2, v4, vcc_lo
	s_cbranch_execnz .LBB140_237
.LBB140_236:                            ;   in Loop: Header=BB140_21 Depth=1
	v_cvt_f32_u32_e32 v2, s29
	s_sub_i32 s4, 0, s29
	s_delay_alu instid0(VALU_DEP_1) | instskip(SKIP_2) | instid1(VALU_DEP_1)
	v_rcp_iflag_f32_e32 v2, v2
	s_waitcnt_depctr 0xfff
	v_mul_f32_e32 v2, 0x4f7ffffe, v2
	v_cvt_u32_f32_e32 v2, v2
	s_delay_alu instid0(VALU_DEP_1) | instskip(NEXT) | instid1(VALU_DEP_1)
	v_mul_lo_u32 v3, s4, v2
	v_mul_hi_u32 v3, v2, v3
	s_delay_alu instid0(VALU_DEP_1) | instskip(NEXT) | instid1(VALU_DEP_1)
	v_add_nc_u32_e32 v2, v2, v3
	v_mul_hi_u32 v2, s18, v2
	s_delay_alu instid0(VALU_DEP_1) | instskip(NEXT) | instid1(VALU_DEP_1)
	v_mul_lo_u32 v2, v2, s29
	v_sub_nc_u32_e32 v2, s18, v2
	s_delay_alu instid0(VALU_DEP_1) | instskip(SKIP_1) | instid1(VALU_DEP_2)
	v_subrev_nc_u32_e32 v3, s29, v2
	v_cmp_le_u32_e32 vcc_lo, s29, v2
	v_cndmask_b32_e32 v2, v2, v3, vcc_lo
	s_delay_alu instid0(VALU_DEP_1) | instskip(SKIP_1) | instid1(VALU_DEP_2)
	v_subrev_nc_u32_e32 v3, s29, v2
	v_cmp_le_u32_e32 vcc_lo, s29, v2
	v_cndmask_b32_e32 v14, v2, v3, vcc_lo
	s_delay_alu instid0(VALU_DEP_1)
	v_dual_mov_b32 v2, v14 :: v_dual_mov_b32 v3, v15
.LBB140_237:                            ;   in Loop: Header=BB140_21 Depth=1
	s_delay_alu instid0(VALU_DEP_1) | instskip(NEXT) | instid1(VALU_DEP_2)
	v_sub_co_u32 v2, vcc_lo, s18, v2
	v_sub_co_ci_u32_e32 v3, vcc_lo, s5, v3, vcc_lo
	s_mov_b32 s23, 0
	s_mov_b32 s5, exec_lo
                                        ; implicit-def: $vgpr36
	s_delay_alu instid0(VALU_DEP_1)
	v_cmpx_gt_u64_e64 v[2:3], v[0:1]
	s_cbranch_execz .LBB140_250
; %bb.238:                              ;   in Loop: Header=BB140_21 Depth=1
	v_dual_mov_b32 v6, v28 :: v_dual_mov_b32 v5, v1
	v_mov_b32_e32 v4, v0
	s_mov_b32 s18, 0
                                        ; implicit-def: $sgpr23
	s_branch .LBB140_240
.LBB140_239:                            ;   in Loop: Header=BB140_240 Depth=2
	s_or_b32 exec_lo, exec_lo, s4
	s_waitcnt lgkmcnt(0)
	s_barrier
	buffer_gl0_inv
	ds_load_b32 v7, v15 offset:3072
	v_add_co_u32 v4, vcc_lo, v4, s29
	v_add_co_ci_u32_e32 v5, vcc_lo, 0, v5, vcc_lo
	v_add_nc_u32_e32 v6, s77, v6
	s_waitcnt lgkmcnt(0)
	s_barrier
	s_delay_alu instid0(VALU_DEP_2) | instskip(SKIP_2) | instid1(VALU_DEP_1)
	v_cmp_ge_u64_e32 vcc_lo, v[4:5], v[2:3]
	buffer_gl0_inv
	v_and_b32_e32 v8, 0x7fff, v7
	v_cmp_ne_u16_e64 s4, 0, v8
	s_delay_alu instid0(VALU_DEP_1) | instskip(NEXT) | instid1(SALU_CYCLE_1)
	s_or_b32 s42, vcc_lo, s4
	s_and_b32 s42, exec_lo, s42
	s_delay_alu instid0(SALU_CYCLE_1) | instskip(SKIP_2) | instid1(SALU_CYCLE_1)
	s_or_b32 s18, s42, s18
	s_and_not1_b32 s23, s23, exec_lo
	s_and_b32 s4, s4, exec_lo
	s_or_b32 s23, s23, s4
	s_and_not1_b32 exec_lo, exec_lo, s18
	s_cbranch_execz .LBB140_249
.LBB140_240:                            ;   Parent Loop BB140_21 Depth=1
                                        ; =>  This Inner Loop Header: Depth=2
	s_delay_alu instid0(VALU_DEP_1)
	v_cmp_gt_u64_e32 vcc_lo, s[8:9], v[4:5]
	v_mov_b32_e32 v7, 0
	s_and_saveexec_b32 s4, vcc_lo
	s_cbranch_execz .LBB140_242
; %bb.241:                              ;   in Loop: Header=BB140_240 Depth=2
	ds_load_u16 v7, v6
.LBB140_242:                            ;   in Loop: Header=BB140_240 Depth=2
	s_or_b32 exec_lo, exec_lo, s4
	s_and_saveexec_b32 s4, vcc_lo
	s_cbranch_execz .LBB140_239
; %bb.243:                              ;   in Loop: Header=BB140_240 Depth=2
	s_waitcnt lgkmcnt(0)
	v_cmp_lt_i16_e32 vcc_lo, -1, v7
	v_and_b32_e32 v8, 0xffff, v7
	v_lshlrev_b32_e32 v14, 16, v7
	v_cndmask_b32_e32 v9, 0xffff, v35, vcc_lo
	s_delay_alu instid0(VALU_DEP_2) | instskip(NEXT) | instid1(VALU_DEP_2)
	v_cmp_o_f32_e32 vcc_lo, v14, v14
	v_xor_b32_e32 v8, v9, v8
	s_delay_alu instid0(VALU_DEP_1) | instskip(NEXT) | instid1(VALU_DEP_1)
	v_cndmask_b32_e32 v8, 0xffff, v8, vcc_lo
	v_and_b32_e32 v8, s89, v8
	s_delay_alu instid0(VALU_DEP_1)
	v_cmp_eq_u32_e32 vcc_lo, s88, v8
	s_and_b32 exec_lo, exec_lo, vcc_lo
	s_cbranch_execz .LBB140_239
; %bb.244:                              ;   in Loop: Header=BB140_240 Depth=2
	v_perm_b32 v7, v7, s78, 0x5040100
	ds_store_b32 v15, v7 offset:3072
	s_branch .LBB140_239
.LBB140_245:                            ;   in Loop: Header=BB140_21 Depth=1
                                        ; implicit-def: $sgpr8
                                        ; implicit-def: $sgpr18
                                        ; implicit-def: $sgpr9
	s_branch .LBB140_264
.LBB140_246:                            ;   in Loop: Header=BB140_21 Depth=1
                                        ; implicit-def: $vgpr2_vgpr3
	s_branch .LBB140_189
.LBB140_247:                            ;   in Loop: Header=BB140_21 Depth=1
                                        ; implicit-def: $vgpr2_vgpr3
	s_branch .LBB140_206
.LBB140_248:                            ;   in Loop: Header=BB140_21 Depth=1
	s_mov_b32 s8, -1
	s_mov_b32 s23, 0
                                        ; implicit-def: $sgpr9
                                        ; implicit-def: $vgpr36
	s_mov_b32 s18, s8
	s_cbranch_execnz .LBB140_251
	s_branch .LBB140_264
.LBB140_249:                            ;   in Loop: Header=BB140_21 Depth=1
	s_or_b32 exec_lo, exec_lo, s18
	v_lshrrev_b32_e32 v36, 16, v7
	s_and_b32 s23, s23, exec_lo
.LBB140_250:                            ;   in Loop: Header=BB140_21 Depth=1
	s_or_b32 exec_lo, exec_lo, s5
	s_mov_b32 s9, -1
	s_mov_b32 s8, 0
	s_delay_alu instid0(SALU_CYCLE_1)
	s_mov_b32 s18, s8
	s_branch .LBB140_264
.LBB140_251:                            ;   in Loop: Header=BB140_21 Depth=1
	s_mov_b32 s48, s43
	s_delay_alu instid0(SALU_CYCLE_1)
	s_cmp_lg_u64 s[48:49], 0
	s_cbranch_scc0 .LBB140_285
; %bb.252:                              ;   in Loop: Header=BB140_21 Depth=1
	v_cvt_f32_u32_e32 v2, s29
	s_sub_u32 s8, 0, s29
	s_subb_u32 s9, 0, 0
	s_delay_alu instid0(VALU_DEP_1) | instskip(NEXT) | instid1(VALU_DEP_1)
	v_fmac_f32_e64 v2, 0, 0x4f800000
	v_rcp_f32_e32 v2, v2
	s_waitcnt_depctr 0xfff
	v_mul_f32_e32 v2, 0x5f7ffffc, v2
	s_delay_alu instid0(VALU_DEP_1) | instskip(NEXT) | instid1(VALU_DEP_1)
	v_mul_f32_e32 v3, 0x2f800000, v2
	v_trunc_f32_e32 v3, v3
	s_delay_alu instid0(VALU_DEP_1) | instskip(SKIP_1) | instid1(VALU_DEP_2)
	v_fmac_f32_e32 v2, 0xcf800000, v3
	v_cvt_u32_f32_e32 v3, v3
	v_cvt_u32_f32_e32 v2, v2
	s_delay_alu instid0(VALU_DEP_2) | instskip(NEXT) | instid1(VALU_DEP_2)
	v_readfirstlane_b32 s4, v3
	v_readfirstlane_b32 s5, v2
	s_delay_alu instid0(VALU_DEP_2) | instskip(NEXT) | instid1(VALU_DEP_1)
	s_mul_i32 s18, s8, s4
	s_mul_hi_u32 s42, s8, s5
	s_mul_i32 s23, s9, s5
	s_add_i32 s18, s42, s18
	s_mul_i32 s48, s8, s5
	s_add_i32 s18, s18, s23
	s_mul_hi_u32 s42, s5, s48
	s_mul_hi_u32 s56, s4, s48
	s_mul_i32 s23, s4, s48
	s_mul_hi_u32 s48, s5, s18
	s_mul_i32 s5, s5, s18
	s_mul_hi_u32 s57, s4, s18
	s_add_u32 s5, s42, s5
	s_addc_u32 s42, 0, s48
	s_add_u32 s5, s5, s23
	s_mul_i32 s18, s4, s18
	s_addc_u32 s5, s42, s56
	s_addc_u32 s23, s57, 0
	s_add_u32 s5, s5, s18
	s_addc_u32 s18, 0, s23
	v_add_co_u32 v2, s5, v2, s5
	s_delay_alu instid0(VALU_DEP_1) | instskip(SKIP_1) | instid1(VALU_DEP_1)
	s_cmp_lg_u32 s5, 0
	s_addc_u32 s4, s4, s18
	v_readfirstlane_b32 s5, v2
	s_mul_i32 s18, s8, s4
	s_delay_alu instid0(VALU_DEP_1)
	s_mul_hi_u32 s23, s8, s5
	s_mul_i32 s9, s9, s5
	s_add_i32 s18, s23, s18
	s_mul_i32 s8, s8, s5
	s_add_i32 s18, s18, s9
	s_mul_hi_u32 s23, s4, s8
	s_mul_i32 s42, s4, s8
	s_mul_hi_u32 s8, s5, s8
	s_mul_hi_u32 s48, s5, s18
	s_mul_i32 s5, s5, s18
	s_mul_hi_u32 s9, s4, s18
	s_add_u32 s5, s8, s5
	s_addc_u32 s8, 0, s48
	s_add_u32 s5, s5, s42
	s_mul_i32 s18, s4, s18
	s_addc_u32 s5, s8, s23
	s_addc_u32 s8, s9, 0
	s_add_u32 s5, s5, s18
	s_addc_u32 s8, 0, s8
	v_add_co_u32 v2, s5, v2, s5
	s_delay_alu instid0(VALU_DEP_1) | instskip(SKIP_1) | instid1(VALU_DEP_1)
	s_cmp_lg_u32 s5, 0
	s_addc_u32 s4, s4, s8
	v_readfirstlane_b32 s5, v2
	s_mul_i32 s9, s71, s4
	s_mul_hi_u32 s8, s71, s4
	s_mul_hi_u32 s18, s49, s4
	s_mul_i32 s4, s49, s4
	s_mul_hi_u32 s23, s71, s5
	s_mul_hi_u32 s42, s49, s5
	s_mul_i32 s5, s49, s5
	s_add_u32 s9, s23, s9
	s_addc_u32 s8, 0, s8
	s_add_u32 s5, s9, s5
	s_addc_u32 s5, s8, s42
	s_addc_u32 s8, s18, 0
	s_add_u32 s4, s5, s4
	s_addc_u32 s5, 0, s8
	s_mul_hi_u32 s8, s29, s4
	s_mul_i32 s4, s29, s4
	s_mul_i32 s5, s29, s5
	v_sub_co_u32 v2, s4, s71, s4
	s_add_i32 s8, s8, s5
	s_cmp_lg_u32 s4, 0
	s_delay_alu instid0(VALU_DEP_1) | instskip(SKIP_2) | instid1(VALU_DEP_1)
	v_sub_co_u32 v3, s4, v2, s29
	s_subb_u32 s5, s49, s8
	s_cmp_lg_u32 s4, 0
	v_cmp_le_u32_e32 vcc_lo, s29, v3
	v_sub_co_u32 v4, s4, v3, s29
	s_subb_u32 s8, s5, 0
	s_cmp_lg_u32 s4, 0
	v_cndmask_b32_e64 v5, 0, -1, vcc_lo
	s_subb_u32 s4, s8, 0
	s_cmp_eq_u32 s8, 0
	v_mov_b32_e32 v7, s4
	s_cselect_b32 vcc_lo, -1, 0
	s_cmp_eq_u32 s5, 0
	v_cndmask_b32_e32 v5, -1, v5, vcc_lo
	v_cmp_le_u32_e32 vcc_lo, s29, v2
	s_cselect_b32 s4, -1, 0
	v_cndmask_b32_e64 v6, 0, -1, vcc_lo
	s_delay_alu instid0(VALU_DEP_3) | instskip(NEXT) | instid1(VALU_DEP_2)
	v_cmp_ne_u32_e32 vcc_lo, 0, v5
	v_cndmask_b32_e64 v5, -1, v6, s4
	v_cndmask_b32_e32 v6, s8, v7, vcc_lo
	v_cndmask_b32_e32 v4, v3, v4, vcc_lo
	s_delay_alu instid0(VALU_DEP_3) | instskip(NEXT) | instid1(VALU_DEP_3)
	v_cmp_ne_u32_e32 vcc_lo, 0, v5
	v_cndmask_b32_e32 v3, s5, v6, vcc_lo
	s_delay_alu instid0(VALU_DEP_3)
	v_cndmask_b32_e32 v2, v2, v4, vcc_lo
	s_cbranch_execnz .LBB140_254
.LBB140_253:                            ;   in Loop: Header=BB140_21 Depth=1
	v_cvt_f32_u32_e32 v2, s29
	s_sub_i32 s4, 0, s29
	s_delay_alu instid0(VALU_DEP_1) | instskip(SKIP_2) | instid1(VALU_DEP_1)
	v_rcp_iflag_f32_e32 v2, v2
	s_waitcnt_depctr 0xfff
	v_mul_f32_e32 v2, 0x4f7ffffe, v2
	v_cvt_u32_f32_e32 v2, v2
	s_delay_alu instid0(VALU_DEP_1) | instskip(NEXT) | instid1(VALU_DEP_1)
	v_mul_lo_u32 v3, s4, v2
	v_mul_hi_u32 v3, v2, v3
	s_delay_alu instid0(VALU_DEP_1) | instskip(NEXT) | instid1(VALU_DEP_1)
	v_add_nc_u32_e32 v2, v2, v3
	v_mul_hi_u32 v2, s71, v2
	s_delay_alu instid0(VALU_DEP_1) | instskip(NEXT) | instid1(VALU_DEP_1)
	v_mul_lo_u32 v2, v2, s29
	v_sub_nc_u32_e32 v2, s71, v2
	s_delay_alu instid0(VALU_DEP_1) | instskip(SKIP_1) | instid1(VALU_DEP_2)
	v_subrev_nc_u32_e32 v3, s29, v2
	v_cmp_le_u32_e32 vcc_lo, s29, v2
	v_cndmask_b32_e32 v2, v2, v3, vcc_lo
	s_delay_alu instid0(VALU_DEP_1) | instskip(SKIP_1) | instid1(VALU_DEP_2)
	v_subrev_nc_u32_e32 v3, s29, v2
	v_cmp_le_u32_e32 vcc_lo, s29, v2
	v_cndmask_b32_e32 v14, v2, v3, vcc_lo
	s_delay_alu instid0(VALU_DEP_1)
	v_dual_mov_b32 v2, v14 :: v_dual_mov_b32 v3, v15
.LBB140_254:                            ;   in Loop: Header=BB140_21 Depth=1
	s_delay_alu instid0(VALU_DEP_1) | instskip(NEXT) | instid1(VALU_DEP_2)
	v_sub_co_u32 v2, vcc_lo, s71, v2
	v_sub_co_ci_u32_e32 v3, vcc_lo, s49, v3, vcc_lo
	s_mov_b32 s23, 0
	s_mov_b32 s5, exec_lo
                                        ; implicit-def: $vgpr36
	s_delay_alu instid0(VALU_DEP_1)
	v_cmpx_gt_u64_e64 v[2:3], v[0:1]
	s_cbranch_execz .LBB140_263
; %bb.255:                              ;   in Loop: Header=BB140_21 Depth=1
	v_dual_mov_b32 v4, v10 :: v_dual_mov_b32 v5, v11
	v_dual_mov_b32 v7, v1 :: v_dual_mov_b32 v6, v0
	s_mov_b32 s8, 0
                                        ; implicit-def: $sgpr9
	s_branch .LBB140_257
.LBB140_256:                            ;   in Loop: Header=BB140_257 Depth=2
	s_or_b32 exec_lo, exec_lo, s4
	s_waitcnt vmcnt(0) lgkmcnt(0)
	s_barrier
	buffer_gl0_inv
	ds_load_b32 v8, v15 offset:3072
	v_add_co_u32 v6, vcc_lo, v6, s29
	v_add_co_ci_u32_e32 v7, vcc_lo, 0, v7, vcc_lo
	s_waitcnt lgkmcnt(0)
	s_barrier
	buffer_gl0_inv
	v_cmp_ge_u64_e32 vcc_lo, v[6:7], v[2:3]
	v_and_b32_e32 v9, 0x7fff, v8
	s_delay_alu instid0(VALU_DEP_1) | instskip(NEXT) | instid1(VALU_DEP_1)
	v_cmp_ne_u16_e64 s4, 0, v9
	s_or_b32 s18, vcc_lo, s4
	v_add_co_u32 v4, vcc_lo, v4, s40
	s_and_b32 s18, exec_lo, s18
	v_add_co_ci_u32_e32 v5, vcc_lo, s41, v5, vcc_lo
	s_or_b32 s8, s18, s8
	s_and_not1_b32 s9, s9, exec_lo
	s_and_b32 s4, s4, exec_lo
	s_delay_alu instid0(SALU_CYCLE_1)
	s_or_b32 s9, s9, s4
	s_and_not1_b32 exec_lo, exec_lo, s8
	s_cbranch_execz .LBB140_262
.LBB140_257:                            ;   Parent Loop BB140_21 Depth=1
                                        ; =>  This Inner Loop Header: Depth=2
	s_delay_alu instid0(VALU_DEP_1)
	v_cmp_gt_u64_e32 vcc_lo, s[24:25], v[6:7]
	v_mov_b32_e32 v8, 0
	s_and_saveexec_b32 s4, vcc_lo
	s_cbranch_execz .LBB140_259
; %bb.258:                              ;   in Loop: Header=BB140_257 Depth=2
	global_load_u16 v8, v[4:5], off
.LBB140_259:                            ;   in Loop: Header=BB140_257 Depth=2
	s_or_b32 exec_lo, exec_lo, s4
	s_and_saveexec_b32 s4, vcc_lo
	s_cbranch_execz .LBB140_256
; %bb.260:                              ;   in Loop: Header=BB140_257 Depth=2
	s_waitcnt vmcnt(0)
	v_cmp_lt_i16_e32 vcc_lo, -1, v8
	v_and_b32_e32 v9, 0xffff, v8
	v_dual_cndmask_b32 v14, 0xffff, v35 :: v_dual_lshlrev_b32 v23, 16, v8
	s_delay_alu instid0(VALU_DEP_1) | instskip(NEXT) | instid1(VALU_DEP_2)
	v_cmp_o_f32_e32 vcc_lo, v23, v23
	v_xor_b32_e32 v9, v14, v9
	s_delay_alu instid0(VALU_DEP_1) | instskip(NEXT) | instid1(VALU_DEP_1)
	v_cndmask_b32_e32 v9, 0xffff, v9, vcc_lo
	v_and_b32_e32 v9, s89, v9
	s_delay_alu instid0(VALU_DEP_1)
	v_cmp_eq_u32_e32 vcc_lo, s88, v9
	s_and_b32 exec_lo, exec_lo, vcc_lo
	s_cbranch_execz .LBB140_256
; %bb.261:                              ;   in Loop: Header=BB140_257 Depth=2
	v_perm_b32 v8, v8, s78, 0x5040100
	ds_store_b32 v15, v8 offset:3072
	s_branch .LBB140_256
.LBB140_262:                            ;   in Loop: Header=BB140_21 Depth=1
	s_or_b32 exec_lo, exec_lo, s8
	v_lshrrev_b32_e32 v36, 16, v8
	s_and_b32 s23, s9, exec_lo
.LBB140_263:                            ;   in Loop: Header=BB140_21 Depth=1
	s_or_b32 exec_lo, exec_lo, s5
	s_mov_b32 s18, -1
	s_mov_b32 s8, 0
	s_mov_b32 s9, 0
.LBB140_264:                            ;   in Loop: Header=BB140_21 Depth=1
	s_mov_b32 s56, 0
                                        ; implicit-def: $sgpr42
                                        ; implicit-def: $sgpr4_sgpr5
	s_and_saveexec_b32 s48, s23
	s_cbranch_execz .LBB140_277
; %bb.265:                              ;   in Loop: Header=BB140_21 Depth=1
	s_xor_b32 s17, s17, -1
	s_mov_b64 s[4:5], 1
	s_and_not1_b32 vcc_lo, exec_lo, s17
	s_mov_b32 s42, 1
	s_cbranch_vccnz .LBB140_276
; %bb.266:                              ;   in Loop: Header=BB140_21 Depth=1
	v_cmp_gt_u64_e64 s4, s[44:45], s[6:7]
	s_delay_alu instid0(VALU_DEP_1)
	s_and_b32 vcc_lo, exec_lo, s4
	s_cbranch_vccnz .LBB140_272
; %bb.267:                              ;   in Loop: Header=BB140_21 Depth=1
	ds_load_b64 v[2:3], v15 offset:5120
	s_waitcnt lgkmcnt(0)
	v_cmp_ne_u64_e32 vcc_lo, 0, v[2:3]
	s_cbranch_vccnz .LBB140_271
; %bb.268:                              ;   in Loop: Header=BB140_21 Depth=1
	s_and_saveexec_b32 s4, s3
	s_cbranch_execz .LBB140_270
; %bb.269:                              ;   in Loop: Header=BB140_21 Depth=1
	v_dual_mov_b32 v2, s6 :: v_dual_mov_b32 v3, s7
	ds_store_b64 v15, v[2:3] offset:5128
.LBB140_270:                            ;   in Loop: Header=BB140_21 Depth=1
	s_or_b32 exec_lo, exec_lo, s4
	s_waitcnt lgkmcnt(0)
	s_barrier
	buffer_gl0_inv
.LBB140_271:                            ;   in Loop: Header=BB140_21 Depth=1
	s_or_b32 s17, s88, s16
	s_or_b32 s16, s89, s16
	s_mov_b32 s4, 0
	s_mov_b32 s42, 8
	s_branch .LBB140_273
.LBB140_272:                            ;   in Loop: Header=BB140_21 Depth=1
	s_mov_b32 s4, -1
                                        ; implicit-def: $sgpr42
                                        ; implicit-def: $sgpr17
                                        ; implicit-def: $sgpr16
.LBB140_273:                            ;   in Loop: Header=BB140_21 Depth=1
	s_delay_alu instid0(SALU_CYCLE_1)
	s_and_not1_b32 vcc_lo, exec_lo, s4
	s_cbranch_vccnz .LBB140_275
; %bb.274:                              ;   in Loop: Header=BB140_21 Depth=1
	s_sub_u32 s44, s44, s6
	s_subb_u32 s45, s45, s7
	s_mov_b32 s42, 8
	s_mov_b32 s17, s88
	;; [unrolled: 1-line block ×3, first 2 shown]
.LBB140_275:                            ;   in Loop: Header=BB140_21 Depth=1
	s_mov_b64 s[4:5], s[44:45]
	s_mov_b32 s88, s17
	s_mov_b32 s89, s16
.LBB140_276:                            ;   in Loop: Header=BB140_21 Depth=1
	s_mov_b32 s56, exec_lo
.LBB140_277:                            ;   in Loop: Header=BB140_21 Depth=1
	s_or_b32 exec_lo, exec_lo, s48
	s_mov_b64 s[44:45], s[4:5]
.LBB140_278:                            ;   in Loop: Header=BB140_21 Depth=1
	s_and_not1_b32 s4, s10, exec_lo
	s_and_b32 s5, s8, exec_lo
	s_and_not1_b32 s6, s11, exec_lo
	s_or_b32 s10, s4, s5
	s_and_not1_b32 s4, s21, exec_lo
	s_and_b32 s5, s18, exec_lo
	s_and_b32 s7, s9, exec_lo
	s_or_b32 s21, s4, s5
	s_or_b32 s11, s6, s7
	s_and_b32 s5, s56, exec_lo
.LBB140_279:                            ;   in Loop: Header=BB140_21 Depth=1
	s_or_b32 exec_lo, exec_lo, s22
.LBB140_280:                            ;   in Loop: Header=BB140_21 Depth=1
	s_delay_alu instid0(SALU_CYCLE_1)
	s_and_not1_b32 s4, s13, exec_lo
	s_and_b32 s6, s10, exec_lo
	s_and_not1_b32 s7, s12, exec_lo
	s_or_b32 s13, s4, s6
	s_and_not1_b32 s4, s19, exec_lo
	s_and_b32 s6, s21, exec_lo
	s_and_b32 s8, s11, exec_lo
	s_or_b32 s19, s4, s6
	s_or_b32 s12, s7, s8
	s_and_b32 s5, s5, exec_lo
.LBB140_281:                            ;   in Loop: Header=BB140_21 Depth=1
	s_or_b32 exec_lo, exec_lo, s20
	s_and_saveexec_b32 s4, s5
	s_delay_alu instid0(SALU_CYCLE_1)
	s_xor_b32 s4, exec_lo, s4
	s_cbranch_execz .LBB140_19
.LBB140_282:                            ;   in Loop: Header=BB140_21 Depth=1
	s_and_b32 s5, s42, -9
	s_delay_alu instid0(SALU_CYCLE_1)
	s_cmp_eq_u32 s5, 0
	s_cbranch_scc1 .LBB140_17
; %bb.283:                              ;   in Loop: Header=BB140_21 Depth=1
	s_mov_b32 s5, -1
	s_mov_b32 s6, -1
                                        ; implicit-def: $sgpr89
                                        ; implicit-def: $sgpr44_sgpr45
                                        ; implicit-def: $sgpr83
                                        ; implicit-def: $sgpr86
	s_branch .LBB140_18
.LBB140_284:                            ;   in Loop: Header=BB140_21 Depth=1
                                        ; implicit-def: $vgpr2_vgpr3
	s_branch .LBB140_236
.LBB140_285:                            ;   in Loop: Header=BB140_21 Depth=1
                                        ; implicit-def: $vgpr2_vgpr3
	s_branch .LBB140_253
.LBB140_286:
	s_or_b32 exec_lo, exec_lo, s79
	s_xor_b32 s3, s82, -1
	s_xor_b32 s1, s80, -1
	;; [unrolled: 1-line block ×3, first 2 shown]
	s_mov_b32 s0, 0
	s_and_saveexec_b32 s5, s1
	s_delay_alu instid0(SALU_CYCLE_1)
	s_xor_b32 s1, exec_lo, s5
	s_cbranch_execz .LBB140_300
; %bb.287:
	s_and_saveexec_b32 s0, s3
	s_delay_alu instid0(SALU_CYCLE_1)
	s_xor_b32 s3, exec_lo, s0
	s_cbranch_execz .LBB140_298
; %bb.288:
	s_and_saveexec_b32 s0, s4
	s_delay_alu instid0(SALU_CYCLE_1)
	s_xor_b32 s0, exec_lo, s0
; %bb.289:
	v_and_b32_e32 v3, 0x8000, v2
	v_mov_b32_e32 v4, 0xffff
	s_delay_alu instid0(VALU_DEP_2) | instskip(NEXT) | instid1(VALU_DEP_2)
	v_cmp_eq_u32_e32 vcc_lo, 0, v3
	v_cndmask_b32_e32 v3, 0x8000, v4, vcc_lo
	s_delay_alu instid0(VALU_DEP_1)
	v_xor_b32_e32 v36, v3, v2
; %bb.290:
	s_or_b32 exec_lo, exec_lo, s0
	s_mul_i32 s0, s37, s28
	s_mul_hi_u32 s5, s36, s28
	s_mul_i32 s4, s36, s28
	s_add_i32 s5, s5, s0
	v_mov_b32_e32 v2, 0
	s_lshl_b64 s[4:5], s[4:5], 1
	s_delay_alu instid0(SALU_CYCLE_1)
	s_add_u32 s4, s34, s4
	s_addc_u32 s5, s35, s5
	global_store_b16 v2, v36, s[4:5]
	s_and_saveexec_b32 s4, s2
	s_cbranch_execz .LBB140_297
; %bb.291:
	v_lshlrev_b32_e32 v4, 16, v36
	s_mov_b32 s2, 0
                                        ; implicit-def: $sgpr5
                                        ; implicit-def: $sgpr8
                                        ; implicit-def: $sgpr7
	s_delay_alu instid0(VALU_DEP_1)
	v_cmp_u_f32_e32 vcc_lo, v4, v4
	s_xor_b32 s6, vcc_lo, -1
	s_set_inst_prefetch_distance 0x1
	s_branch .LBB140_293
	.p2align	6
.LBB140_292:                            ;   in Loop: Header=BB140_293 Depth=1
	s_or_b32 exec_lo, exec_lo, s9
	s_delay_alu instid0(SALU_CYCLE_1) | instskip(NEXT) | instid1(SALU_CYCLE_1)
	s_and_b32 s0, exec_lo, s8
	s_or_b32 s2, s0, s2
	s_and_not1_b32 s0, s5, exec_lo
	s_and_b32 s5, s7, exec_lo
	s_delay_alu instid0(SALU_CYCLE_1)
	s_or_b32 s5, s0, s5
	s_and_not1_b32 exec_lo, exec_lo, s2
	s_cbranch_execz .LBB140_295
.LBB140_293:                            ; =>This Inner Loop Header: Depth=1
	global_load_u16 v2, v[10:11], off
	s_or_b32 s7, s7, exec_lo
	s_or_b32 s8, s8, exec_lo
	s_waitcnt vmcnt(0)
	v_lshlrev_b32_e32 v2, 16, v2
	s_delay_alu instid0(VALU_DEP_1)
	v_cmp_o_f32_e32 vcc_lo, v2, v2
	v_cmp_neq_f32_e64 s0, v2, v4
	v_dual_mov_b32 v3, v1 :: v_dual_mov_b32 v2, v0
                                        ; implicit-def: $vgpr0_vgpr1
	s_or_b32 s9, s6, vcc_lo
	s_delay_alu instid0(VALU_DEP_2) | instid1(SALU_CYCLE_1)
	s_and_b32 s0, s0, s9
	s_delay_alu instid0(SALU_CYCLE_1)
	s_and_saveexec_b32 s9, s0
	s_cbranch_execz .LBB140_292
; %bb.294:                              ;   in Loop: Header=BB140_293 Depth=1
	v_add_co_u32 v0, vcc_lo, v2, s29
	v_add_co_ci_u32_e32 v1, vcc_lo, 0, v3, vcc_lo
	v_add_co_u32 v10, s0, v10, s40
	s_delay_alu instid0(VALU_DEP_1) | instskip(NEXT) | instid1(VALU_DEP_3)
	v_add_co_ci_u32_e64 v11, s0, s41, v11, s0
	v_cmp_le_u64_e32 vcc_lo, s[24:25], v[0:1]
	s_and_not1_b32 s0, s8, exec_lo
	s_and_not1_b32 s7, s7, exec_lo
	s_and_b32 s8, vcc_lo, exec_lo
	s_delay_alu instid0(SALU_CYCLE_1)
	s_or_b32 s8, s0, s8
	s_branch .LBB140_292
.LBB140_295:
	s_set_inst_prefetch_distance 0x2
	s_or_b32 exec_lo, exec_lo, s2
	s_and_saveexec_b32 s0, s5
	s_delay_alu instid0(SALU_CYCLE_1)
	s_xor_b32 s0, exec_lo, s0
	s_cbranch_execz .LBB140_297
; %bb.296:
	s_mul_i32 s0, s31, s28
	s_mul_hi_u32 s2, s30, s28
	s_mul_i32 s6, s30, s28
	s_add_i32 s7, s2, s0
	v_mov_b32_e32 v0, 0
	s_lshl_b64 s[6:7], s[6:7], 3
	s_delay_alu instid0(SALU_CYCLE_1)
	s_add_u32 s6, s26, s6
	s_addc_u32 s7, s27, s7
	global_store_b64 v0, v[2:3], s[6:7]
.LBB140_297:
	s_or_b32 exec_lo, exec_lo, s4
.LBB140_298:
	s_or_saveexec_b32 s0, s3
	s_mov_b32 s2, 0
	s_xor_b32 exec_lo, exec_lo, s0
	s_cbranch_execnz .LBB140_306
.LBB140_299:
	s_or_b32 exec_lo, exec_lo, s0
	s_delay_alu instid0(SALU_CYCLE_1)
	s_and_b32 s0, s2, exec_lo
.LBB140_300:
	s_and_not1_saveexec_b32 s1, s1
	s_cbranch_execnz .LBB140_304
; %bb.301:
	s_or_b32 exec_lo, exec_lo, s1
	s_and_saveexec_b32 s1, s0
.LBB140_302:
	; divergent unreachable
.LBB140_303:
	s_nop 0
	s_sendmsg sendmsg(MSG_DEALLOC_VGPRS)
	s_endpgm
.LBB140_304:
	s_cbranch_execnz .LBB140_308
; %bb.305:
	s_or_b32 s0, s0, exec_lo
	s_or_b32 exec_lo, exec_lo, s1
	s_and_saveexec_b32 s1, s0
	s_cbranch_execnz .LBB140_302
	s_branch .LBB140_303
.LBB140_306:
	s_cbranch_execnz .LBB140_310
; %bb.307:
	s_mov_b32 s2, exec_lo
	s_branch .LBB140_299
.LBB140_308:
	s_trap 2
	s_sendmsg_rtn_b32 s0, sendmsg(MSG_RTN_GET_DOORBELL)
	s_mov_b32 ttmp2, m0
	s_waitcnt lgkmcnt(0)
	s_and_b32 s0, s0, 0x3ff
	s_delay_alu instid0(SALU_CYCLE_1) | instskip(NEXT) | instid1(SALU_CYCLE_1)
	s_bitset1_b32 s0, 10
	s_mov_b32 m0, s0
	s_sendmsg sendmsg(MSG_INTERRUPT)
	s_mov_b32 m0, ttmp2
.LBB140_309:                            ; =>This Inner Loop Header: Depth=1
	s_sethalt 5
	s_branch .LBB140_309
.LBB140_310:
	s_trap 2
	s_sendmsg_rtn_b32 s0, sendmsg(MSG_RTN_GET_DOORBELL)
	s_mov_b32 ttmp2, m0
	s_waitcnt lgkmcnt(0)
	s_and_b32 s0, s0, 0x3ff
	s_delay_alu instid0(SALU_CYCLE_1) | instskip(NEXT) | instid1(SALU_CYCLE_1)
	s_bitset1_b32 s0, 10
	s_mov_b32 m0, s0
	s_sendmsg sendmsg(MSG_INTERRUPT)
	s_mov_b32 m0, ttmp2
.LBB140_311:                            ; =>This Inner Loop Header: Depth=1
	s_sethalt 5
	s_branch .LBB140_311
	.section	.rodata,"a",@progbits
	.p2align	6, 0x0
	.amdhsa_kernel _ZN2at6native12_GLOBAL__N_112gatherMedianIN3c108BFloat16EmLi1EEEvNS_4cuda6detail10TensorInfoIT_T0_EENS7_IlS9_EENS7_IKS8_S9_EES9_S9_S9_b
		.amdhsa_group_segment_fixed_size 5152
		.amdhsa_private_segment_fixed_size 0
		.amdhsa_kernarg_size 1536
		.amdhsa_user_sgpr_count 13
		.amdhsa_user_sgpr_dispatch_ptr 0
		.amdhsa_user_sgpr_queue_ptr 0
		.amdhsa_user_sgpr_kernarg_segment_ptr 1
		.amdhsa_user_sgpr_dispatch_id 0
		.amdhsa_user_sgpr_private_segment_size 0
		.amdhsa_wavefront_size32 1
		.amdhsa_uses_dynamic_stack 0
		.amdhsa_enable_private_segment 0
		.amdhsa_system_sgpr_workgroup_id_x 1
		.amdhsa_system_sgpr_workgroup_id_y 1
		.amdhsa_system_sgpr_workgroup_id_z 1
		.amdhsa_system_sgpr_workgroup_info 0
		.amdhsa_system_vgpr_workitem_id 0
		.amdhsa_next_free_vgpr 41
		.amdhsa_next_free_sgpr 94
		.amdhsa_reserve_vcc 1
		.amdhsa_float_round_mode_32 0
		.amdhsa_float_round_mode_16_64 0
		.amdhsa_float_denorm_mode_32 3
		.amdhsa_float_denorm_mode_16_64 3
		.amdhsa_dx10_clamp 1
		.amdhsa_ieee_mode 1
		.amdhsa_fp16_overflow 0
		.amdhsa_workgroup_processor_mode 1
		.amdhsa_memory_ordered 1
		.amdhsa_forward_progress 0
		.amdhsa_shared_vgpr_count 0
		.amdhsa_exception_fp_ieee_invalid_op 0
		.amdhsa_exception_fp_denorm_src 0
		.amdhsa_exception_fp_ieee_div_zero 0
		.amdhsa_exception_fp_ieee_overflow 0
		.amdhsa_exception_fp_ieee_underflow 0
		.amdhsa_exception_fp_ieee_inexact 0
		.amdhsa_exception_int_div_zero 0
	.end_amdhsa_kernel
	.section	.text._ZN2at6native12_GLOBAL__N_112gatherMedianIN3c108BFloat16EmLi1EEEvNS_4cuda6detail10TensorInfoIT_T0_EENS7_IlS9_EENS7_IKS8_S9_EES9_S9_S9_b,"axG",@progbits,_ZN2at6native12_GLOBAL__N_112gatherMedianIN3c108BFloat16EmLi1EEEvNS_4cuda6detail10TensorInfoIT_T0_EENS7_IlS9_EENS7_IKS8_S9_EES9_S9_S9_b,comdat
.Lfunc_end140:
	.size	_ZN2at6native12_GLOBAL__N_112gatherMedianIN3c108BFloat16EmLi1EEEvNS_4cuda6detail10TensorInfoIT_T0_EENS7_IlS9_EENS7_IKS8_S9_EES9_S9_S9_b, .Lfunc_end140-_ZN2at6native12_GLOBAL__N_112gatherMedianIN3c108BFloat16EmLi1EEEvNS_4cuda6detail10TensorInfoIT_T0_EENS7_IlS9_EENS7_IKS8_S9_EES9_S9_S9_b
                                        ; -- End function
	.section	.AMDGPU.csdata,"",@progbits
; Kernel info:
; codeLenInByte = 17704
; NumSgprs: 96
; NumVgprs: 41
; ScratchSize: 0
; MemoryBound: 0
; FloatMode: 240
; IeeeMode: 1
; LDSByteSize: 5152 bytes/workgroup (compile time only)
; SGPRBlocks: 11
; VGPRBlocks: 5
; NumSGPRsForWavesPerEU: 96
; NumVGPRsForWavesPerEU: 41
; Occupancy: 16
; WaveLimiterHint : 1
; COMPUTE_PGM_RSRC2:SCRATCH_EN: 0
; COMPUTE_PGM_RSRC2:USER_SGPR: 13
; COMPUTE_PGM_RSRC2:TRAP_HANDLER: 0
; COMPUTE_PGM_RSRC2:TGID_X_EN: 1
; COMPUTE_PGM_RSRC2:TGID_Y_EN: 1
; COMPUTE_PGM_RSRC2:TGID_Z_EN: 1
; COMPUTE_PGM_RSRC2:TIDIG_COMP_CNT: 0
	.section	.text._ZN2at6native12_GLOBAL__N_112gatherMedianIN3c108BFloat16EmLi2EEEvNS_4cuda6detail10TensorInfoIT_T0_EENS7_IlS9_EENS7_IKS8_S9_EES9_S9_S9_b,"axG",@progbits,_ZN2at6native12_GLOBAL__N_112gatherMedianIN3c108BFloat16EmLi2EEEvNS_4cuda6detail10TensorInfoIT_T0_EENS7_IlS9_EENS7_IKS8_S9_EES9_S9_S9_b,comdat
	.globl	_ZN2at6native12_GLOBAL__N_112gatherMedianIN3c108BFloat16EmLi2EEEvNS_4cuda6detail10TensorInfoIT_T0_EENS7_IlS9_EENS7_IKS8_S9_EES9_S9_S9_b ; -- Begin function _ZN2at6native12_GLOBAL__N_112gatherMedianIN3c108BFloat16EmLi2EEEvNS_4cuda6detail10TensorInfoIT_T0_EENS7_IlS9_EENS7_IKS8_S9_EES9_S9_S9_b
	.p2align	8
	.type	_ZN2at6native12_GLOBAL__N_112gatherMedianIN3c108BFloat16EmLi2EEEvNS_4cuda6detail10TensorInfoIT_T0_EENS7_IlS9_EENS7_IKS8_S9_EES9_S9_S9_b,@function
_ZN2at6native12_GLOBAL__N_112gatherMedianIN3c108BFloat16EmLi2EEEvNS_4cuda6detail10TensorInfoIT_T0_EENS7_IlS9_EENS7_IKS8_S9_EES9_S9_S9_b: ; @_ZN2at6native12_GLOBAL__N_112gatherMedianIN3c108BFloat16EmLi2EEEvNS_4cuda6detail10TensorInfoIT_T0_EENS7_IlS9_EENS7_IKS8_S9_EES9_S9_S9_b
; %bb.0:
	s_clause 0x1
	s_load_b64 s[8:9], s[0:1], 0x500
	s_load_b128 s[24:27], s[0:1], 0x4e0
	s_add_u32 s10, s0, 0x500
	s_addc_u32 s11, s1, 0
	s_mov_b32 s35, 0
	s_waitcnt lgkmcnt(0)
	s_mul_i32 s2, s9, s15
	s_delay_alu instid0(SALU_CYCLE_1) | instskip(NEXT) | instid1(SALU_CYCLE_1)
	s_add_i32 s2, s2, s14
	s_mul_i32 s2, s2, s8
	s_delay_alu instid0(SALU_CYCLE_1) | instskip(NEXT) | instid1(SALU_CYCLE_1)
	s_add_i32 s34, s2, s13
	v_cmp_ge_u64_e64 s2, s[34:35], s[26:27]
	s_delay_alu instid0(VALU_DEP_1)
	s_and_b32 vcc_lo, exec_lo, s2
	s_cbranch_vccnz .LBB141_309
; %bb.1:
	s_clause 0x3
	s_load_b64 s[46:47], s[0:1], 0x10
	s_load_b64 s[42:43], s[0:1], 0x4f0
	s_load_b64 s[2:3], s[0:1], 0x350
	s_load_b64 s[26:27], s[0:1], 0x1b0
	s_mov_b64 s[40:41], 0
	s_mov_b64 s[48:49], 0
	s_waitcnt lgkmcnt(0)
	v_cmp_lt_u64_e64 s4, s[34:35], s[46:47]
	s_delay_alu instid0(VALU_DEP_1)
	s_and_b32 vcc_lo, exec_lo, s4
	s_cbranch_vccnz .LBB141_3
; %bb.2:
	v_cvt_f32_u32_e32 v1, s46
	s_sub_i32 s5, 0, s46
	s_delay_alu instid0(VALU_DEP_1) | instskip(SKIP_2) | instid1(VALU_DEP_1)
	v_rcp_iflag_f32_e32 v1, v1
	s_waitcnt_depctr 0xfff
	v_mul_f32_e32 v1, 0x4f7ffffe, v1
	v_cvt_u32_f32_e32 v1, v1
	s_delay_alu instid0(VALU_DEP_1) | instskip(NEXT) | instid1(VALU_DEP_1)
	v_readfirstlane_b32 s4, v1
	s_mul_i32 s5, s5, s4
	s_delay_alu instid0(SALU_CYCLE_1) | instskip(NEXT) | instid1(SALU_CYCLE_1)
	s_mul_hi_u32 s5, s4, s5
	s_add_i32 s4, s4, s5
	s_delay_alu instid0(SALU_CYCLE_1) | instskip(NEXT) | instid1(SALU_CYCLE_1)
	s_mul_hi_u32 s4, s34, s4
	s_mul_i32 s5, s4, s46
	s_add_i32 s6, s4, 1
	s_sub_i32 s5, s34, s5
	s_delay_alu instid0(SALU_CYCLE_1)
	s_sub_i32 s7, s5, s46
	s_cmp_ge_u32 s5, s46
	s_cselect_b32 s4, s6, s4
	s_cselect_b32 s5, s7, s5
	s_add_i32 s6, s4, 1
	s_cmp_ge_u32 s5, s46
	s_cselect_b32 s48, s6, s4
.LBB141_3:
	s_load_b64 s[14:15], s[0:1], 0x340
	v_cmp_lt_u64_e64 s4, s[34:35], s[26:27]
	s_delay_alu instid0(VALU_DEP_1)
	s_and_b32 vcc_lo, exec_lo, s4
	s_cbranch_vccnz .LBB141_5
; %bb.4:
	v_cvt_f32_u32_e32 v1, s26
	s_sub_i32 s5, 0, s26
	s_delay_alu instid0(VALU_DEP_1) | instskip(SKIP_2) | instid1(VALU_DEP_1)
	v_rcp_iflag_f32_e32 v1, v1
	s_waitcnt_depctr 0xfff
	v_mul_f32_e32 v1, 0x4f7ffffe, v1
	v_cvt_u32_f32_e32 v1, v1
	s_delay_alu instid0(VALU_DEP_1) | instskip(NEXT) | instid1(VALU_DEP_1)
	v_readfirstlane_b32 s4, v1
	s_mul_i32 s5, s5, s4
	s_delay_alu instid0(SALU_CYCLE_1) | instskip(NEXT) | instid1(SALU_CYCLE_1)
	s_mul_hi_u32 s5, s4, s5
	s_add_i32 s4, s4, s5
	s_delay_alu instid0(SALU_CYCLE_1) | instskip(NEXT) | instid1(SALU_CYCLE_1)
	s_mul_hi_u32 s4, s34, s4
	s_mul_i32 s5, s4, s26
	s_add_i32 s6, s4, 1
	s_sub_i32 s5, s34, s5
	s_delay_alu instid0(SALU_CYCLE_1)
	s_sub_i32 s7, s5, s26
	s_cmp_ge_u32 s5, s26
	s_cselect_b32 s4, s6, s4
	s_cselect_b32 s5, s7, s5
	s_add_i32 s6, s4, 1
	s_cmp_ge_u32 s5, s26
	s_cselect_b32 s40, s6, s4
.LBB141_5:
	s_load_b128 s[4:7], s[0:1], 0x410
	v_cmp_lt_u64_e64 s9, s[34:35], s[2:3]
	s_mov_b64 s[16:17], 0
	s_delay_alu instid0(VALU_DEP_1)
	s_and_b32 vcc_lo, exec_lo, s9
	s_cbranch_vccnz .LBB141_7
; %bb.6:
	v_cvt_f32_u32_e32 v1, s2
	s_sub_i32 s12, 0, s2
	s_delay_alu instid0(VALU_DEP_1) | instskip(SKIP_2) | instid1(VALU_DEP_1)
	v_rcp_iflag_f32_e32 v1, v1
	s_waitcnt_depctr 0xfff
	v_mul_f32_e32 v1, 0x4f7ffffe, v1
	v_cvt_u32_f32_e32 v1, v1
	s_delay_alu instid0(VALU_DEP_1) | instskip(NEXT) | instid1(VALU_DEP_1)
	v_readfirstlane_b32 s9, v1
	s_mul_i32 s12, s12, s9
	s_delay_alu instid0(SALU_CYCLE_1) | instskip(NEXT) | instid1(SALU_CYCLE_1)
	s_mul_hi_u32 s12, s9, s12
	s_add_i32 s9, s9, s12
	s_delay_alu instid0(SALU_CYCLE_1) | instskip(NEXT) | instid1(SALU_CYCLE_1)
	s_mul_hi_u32 s9, s34, s9
	s_mul_i32 s12, s9, s2
	s_add_i32 s16, s9, 1
	s_sub_i32 s12, s34, s12
	s_delay_alu instid0(SALU_CYCLE_1)
	s_sub_i32 s17, s12, s2
	s_cmp_ge_u32 s12, s2
	s_cselect_b32 s9, s16, s9
	s_cselect_b32 s12, s17, s12
	s_add_i32 s16, s9, 1
	s_cmp_ge_u32 s12, s2
	s_cselect_b32 s16, s16, s9
.LBB141_7:
	s_clause 0x1
	s_load_b64 s[44:45], s[0:1], 0x1a0
	s_load_b64 s[50:51], s[0:1], 0x0
	s_mul_i32 s3, s16, s3
	s_mul_hi_u32 s9, s16, s2
	s_mul_i32 s2, s16, s2
	s_add_i32 s9, s9, s3
	s_sub_u32 s12, s34, s2
	v_dual_mov_b32 v1, 0 :: v_dual_mov_b32 v2, 0
	s_waitcnt lgkmcnt(0)
	s_mul_i32 s2, s12, s7
	s_mul_hi_u32 s3, s12, s6
	s_subb_u32 s7, 0, s9
	s_add_i32 s2, s3, s2
	s_mul_i32 s7, s7, s6
	s_mul_i32 s3, s16, s5
	s_mul_hi_u32 s9, s16, s4
	s_add_i32 s5, s2, s7
	s_add_i32 s3, s9, s3
	s_mul_i32 s2, s16, s4
	s_mul_i32 s4, s12, s6
	s_lshl_b64 s[2:3], s[2:3], 1
	v_mov_b32_e32 v3, 0
	s_add_u32 s6, s14, s2
	v_cmp_gt_u64_e64 s2, s[24:25], v[0:1]
	s_addc_u32 s3, s15, s3
	s_lshl_b64 s[4:5], s[4:5], 1
	s_delay_alu instid0(SALU_CYCLE_1) | instskip(SKIP_1) | instid1(VALU_DEP_1)
	s_add_u32 s33, s6, s4
	s_addc_u32 s35, s3, s5
	s_and_saveexec_b32 s4, s2
	s_cbranch_execz .LBB141_11
; %bb.8:
	s_load_b32 s3, s[10:11], 0xc
	v_dual_mov_b32 v2, 0 :: v_dual_mov_b32 v5, v1
	v_dual_mov_b32 v3, 0 :: v_dual_mov_b32 v4, v0
	s_mov_b32 s5, 0
	s_waitcnt lgkmcnt(0)
	s_and_b32 s6, s3, 0xffff
	.p2align	6
.LBB141_9:                              ; =>This Inner Loop Header: Depth=1
	v_mul_lo_u32 v8, v5, s42
	v_mul_lo_u32 v9, v4, s43
	v_mad_u64_u32 v[6:7], null, v4, s42, 0
	s_delay_alu instid0(VALU_DEP_1) | instskip(NEXT) | instid1(VALU_DEP_1)
	v_add3_u32 v7, v7, v9, v8
	v_lshlrev_b64 v[6:7], 1, v[6:7]
	s_delay_alu instid0(VALU_DEP_1) | instskip(NEXT) | instid1(VALU_DEP_2)
	v_add_co_u32 v6, vcc_lo, s33, v6
	v_add_co_ci_u32_e32 v7, vcc_lo, s35, v7, vcc_lo
	v_add_co_u32 v4, vcc_lo, v4, s6
	v_add_co_ci_u32_e32 v5, vcc_lo, 0, v5, vcc_lo
	global_load_u16 v6, v[6:7], off
	s_waitcnt vmcnt(0)
	v_lshlrev_b32_e32 v6, 16, v6
	s_delay_alu instid0(VALU_DEP_1) | instskip(SKIP_2) | instid1(VALU_DEP_2)
	v_cmp_u_f32_e32 vcc_lo, v6, v6
	v_cndmask_b32_e64 v6, 0, 1, vcc_lo
	v_cmp_le_u64_e32 vcc_lo, s[24:25], v[4:5]
	v_add_co_u32 v2, s3, v2, v6
	s_delay_alu instid0(VALU_DEP_1) | instskip(SKIP_1) | instid1(SALU_CYCLE_1)
	v_add_co_ci_u32_e64 v3, s3, 0, v3, s3
	s_or_b32 s5, vcc_lo, s5
	s_and_not1_b32 exec_lo, exec_lo, s5
	s_cbranch_execnz .LBB141_9
; %bb.10:
	s_or_b32 exec_lo, exec_lo, s5
.LBB141_11:
	s_delay_alu instid0(SALU_CYCLE_1) | instskip(SKIP_4) | instid1(VALU_DEP_1)
	s_or_b32 exec_lo, exec_lo, s4
	s_clause 0x1
	s_load_b128 s[28:31], s[0:1], 0x270
	s_load_b128 s[36:39], s[0:1], 0xd0
	v_cmp_eq_u32_e64 s3, 0, v0
	s_and_saveexec_b32 s4, s3
	s_cbranch_execz .LBB141_13
; %bb.12:
	v_mov_b32_e32 v4, 0
	s_delay_alu instid0(VALU_DEP_1)
	v_mov_b32_e32 v5, v4
	ds_store_b64 v4, v[4:5] offset:5136
.LBB141_13:
	s_or_b32 exec_lo, exec_lo, s4
	s_mov_b64 s[4:5], 0
	s_mov_b32 s6, exec_lo
	s_waitcnt lgkmcnt(0)
	s_barrier
	buffer_gl0_inv
	v_cmpx_ne_u64_e32 0, v[2:3]
	s_cbranch_execz .LBB141_18
; %bb.14:
	s_mov_b32 s7, exec_lo
.LBB141_15:                             ; =>This Inner Loop Header: Depth=1
	s_delay_alu instid0(SALU_CYCLE_1) | instskip(NEXT) | instid1(SALU_CYCLE_1)
	s_ctz_i32_b32 s9, s7
	v_readlane_b32 s12, v2, s9
	v_readlane_b32 s14, v3, s9
	s_delay_alu instid0(VALU_DEP_2) | instskip(NEXT) | instid1(VALU_DEP_1)
	s_add_u32 s4, s4, s12
	s_addc_u32 s5, s5, s14
	s_lshl_b32 s9, 1, s9
	s_delay_alu instid0(SALU_CYCLE_1) | instskip(NEXT) | instid1(SALU_CYCLE_1)
	s_and_not1_b32 s7, s7, s9
	s_cmp_lg_u32 s7, 0
	s_cbranch_scc1 .LBB141_15
; %bb.16:
	v_mbcnt_lo_u32_b32 v2, exec_lo, 0
	s_mov_b32 s7, exec_lo
	s_delay_alu instid0(VALU_DEP_1)
	v_cmpx_eq_u32_e32 0, v2
	s_xor_b32 s7, exec_lo, s7
	s_cbranch_execz .LBB141_18
; %bb.17:
	v_mov_b32_e32 v2, s4
	v_dual_mov_b32 v4, 0 :: v_dual_mov_b32 v3, s5
	ds_add_u64 v4, v[2:3] offset:5136
.LBB141_18:
	s_or_b32 exec_lo, exec_lo, s6
	v_mov_b32_e32 v2, 0
	s_waitcnt lgkmcnt(0)
	s_barrier
	buffer_gl0_inv
	s_load_b32 s4, s[0:1], 0x4f8
	ds_load_b64 v[2:3], v2 offset:5136
	s_mov_b64 s[52:53], s[24:25]
	s_waitcnt lgkmcnt(0)
	s_bitcmp1_b32 s4, 0
	v_readfirstlane_b32 s0, v2
	v_readfirstlane_b32 s1, v3
	s_cselect_b32 s4, -1, 0
	s_delay_alu instid0(VALU_DEP_1) | instskip(NEXT) | instid1(VALU_DEP_1)
	v_cmp_lt_i64_e64 s5, s[0:1], 1
	s_or_b32 s4, s4, s5
	s_delay_alu instid0(SALU_CYCLE_1)
	s_and_not1_b32 vcc_lo, exec_lo, s4
	s_cbranch_vccnz .LBB141_20
; %bb.19:
	s_not_b64 s[0:1], s[0:1]
	s_delay_alu instid0(SALU_CYCLE_1) | instskip(SKIP_1) | instid1(SALU_CYCLE_1)
	s_add_u32 s0, s0, s24
	s_addc_u32 s1, s1, s25
	s_lshr_b64 s[0:1], s[0:1], 1
	s_delay_alu instid0(SALU_CYCLE_1)
	s_add_u32 s52, s0, 1
	s_addc_u32 s53, s1, 0
.LBB141_20:
	s_and_saveexec_b32 s0, s3
	s_cbranch_execz .LBB141_22
; %bb.21:
	v_dual_mov_b32 v2, 0 :: v_dual_mov_b32 v5, s25
	s_delay_alu instid0(VALU_DEP_1)
	v_dual_mov_b32 v4, s24 :: v_dual_mov_b32 v3, v2
	ds_store_b32 v2, v2 offset:5144
	ds_store_b128 v2, v[2:5] offset:5120
.LBB141_22:
	s_or_b32 exec_lo, exec_lo, s0
	v_mad_u64_u32 v[2:3], null, v0, s42, 0
	s_waitcnt lgkmcnt(0)
	s_barrier
	buffer_gl0_inv
	s_load_b32 s5, s[10:11], 0xc
	v_mbcnt_lo_u32_b32 v20, -1, 0
	v_cmp_gt_u32_e32 vcc_lo, 32, v0
	v_mad_u64_u32 v[4:5], null, v0, s43, v[3:4]
	v_dual_mov_b32 v28, 0 :: v_dual_lshlrev_b32 v21, 1, v0
	s_delay_alu instid0(VALU_DEP_4) | instskip(SKIP_2) | instid1(VALU_DEP_4)
	v_cmp_gt_i32_e64 s4, 4, v20
	v_dual_mov_b32 v13, 0 :: v_dual_lshlrev_b32 v10, 2, v0
	v_lshrrev_b32_e32 v5, 3, v0
	v_dual_mov_b32 v3, v4 :: v_dual_add_nc_u32 v22, 0xc00, v21
	s_delay_alu instid0(VALU_DEP_4) | instskip(SKIP_2) | instid1(VALU_DEP_3)
	s_and_b32 s70, vcc_lo, s4
	v_cmp_lt_u64_e64 s49, 0x600, s[24:25]
	v_cmp_gt_u32_e64 s0, 2, v0
	v_lshlrev_b64 v[2:3], 1, v[2:3]
	v_cmp_eq_u32_e64 s1, 0, v20
	v_mov_b32_e32 v11, v13
	v_and_b32_e32 v23, 0x7c, v5
	s_waitcnt lgkmcnt(0)
	s_and_b32 s41, s5, 0xffff
	s_bfe_u32 s4, s5, 0xb0005
	s_add_u32 s71, s41, -1
	s_addc_u32 s72, 0, -1
	s_add_u32 s73, s71, s24
	s_addc_u32 s57, s72, s25
	s_cmp_lt_u32 s13, s8
	v_add_co_u32 v14, vcc_lo, s33, v2
	s_cselect_b32 s6, 12, 18
	v_add_co_ci_u32_e32 v15, vcc_lo, s35, v3, vcc_lo
	v_lshlrev_b64 v[2:3], v20, -1
	s_add_u32 s58, s10, s6
	s_addc_u32 s59, s11, 0
	s_add_i32 s6, s4, -1
	s_bfe_u32 s74, s41, 0x30005
	s_cmp_gt_u32 s6, 6
	v_not_b32_e32 v24, v2
	s_cselect_b32 s75, -1, 0
	s_and_b32 s76, s4, 0x7f8
	v_cmp_gt_u16_e64 s77, s5, 31
	v_lshlrev_b32_e32 v25, 3, v0
	v_lshl_or_b32 v26, v20, 3, 0xc00
	v_mov_b32_e32 v27, 0x8000
	s_cmp_lg_u32 s74, 0
	s_mov_b32 s55, 0
	s_cselect_b32 s78, -1, 0
	s_lshl_b32 s79, s41, 1
	s_mov_b32 s85, 14
	s_movk_i32 s80, 0x3f80
	s_mov_b32 s81, 0
	s_mov_b32 s88, 0
	s_mov_b32 s90, 0
	s_mov_b32 s91, 0
                                        ; implicit-def: $sgpr82
                                        ; implicit-def: $sgpr84
                                        ; implicit-def: $sgpr83
                                        ; implicit-def: $sgpr87
                                        ; implicit-def: $sgpr89
                                        ; implicit-def: $sgpr86
	s_branch .LBB141_27
.LBB141_23:                             ;   in Loop: Header=BB141_27 Depth=1
	s_xor_b32 s88, s88, 1
	s_add_i32 s7, s85, -2
	s_cmp_eq_u32 s85, 0
	s_mov_b32 s5, 0
	s_cselect_b32 s6, -1, 0
	s_mov_b32 s85, s7
.LBB141_24:                             ;   in Loop: Header=BB141_27 Depth=1
	s_and_not1_b32 s7, s13, exec_lo
	s_and_b32 s5, s5, exec_lo
	s_and_not1_b32 s19, s19, exec_lo
	s_or_b32 s13, s7, s5
	s_and_not1_b32 s12, s12, exec_lo
	s_or_not1_b32 s15, s6, exec_lo
.LBB141_25:                             ;   in Loop: Header=BB141_27 Depth=1
	s_or_b32 exec_lo, exec_lo, s4
	s_delay_alu instid0(SALU_CYCLE_1)
	s_and_not1_b32 s4, s86, exec_lo
	s_and_b32 s5, s13, exec_lo
	s_and_not1_b32 s6, s87, exec_lo
	s_or_b32 s86, s4, s5
	s_and_not1_b32 s4, s89, exec_lo
	s_and_b32 s5, s19, exec_lo
	s_and_b32 s7, s12, exec_lo
	s_or_b32 s89, s4, s5
	s_or_b32 s87, s6, s7
	s_or_not1_b32 s19, s15, exec_lo
.LBB141_26:                             ;   in Loop: Header=BB141_27 Depth=1
	s_or_b32 exec_lo, exec_lo, s14
	s_delay_alu instid0(SALU_CYCLE_1)
	s_and_b32 s4, exec_lo, s19
	v_mov_b32_e32 v2, s90
	s_or_b32 s81, s4, s81
	s_and_not1_b32 s4, s83, exec_lo
	s_and_b32 s5, s86, exec_lo
	s_and_not1_b32 s6, s82, exec_lo
	s_or_b32 s83, s4, s5
	s_and_not1_b32 s4, s84, exec_lo
	s_and_b32 s5, s89, exec_lo
	s_and_b32 s7, s87, exec_lo
	s_or_b32 s84, s4, s5
	s_or_b32 s82, s6, s7
	s_and_not1_b32 exec_lo, exec_lo, s81
	s_cbranch_execz .LBB141_292
.LBB141_27:                             ; =>This Loop Header: Depth=1
                                        ;     Child Loop BB141_32 Depth 2
                                        ;     Child Loop BB141_50 Depth 2
                                        ;     Child Loop BB141_77 Depth 2
                                        ;     Child Loop BB141_81 Depth 2
                                        ;     Child Loop BB141_63 Depth 2
                                        ;     Child Loop BB141_70 Depth 2
                                        ;     Child Loop BB141_90 Depth 2
                                        ;     Child Loop BB141_95 Depth 2
                                        ;     Child Loop BB141_122 Depth 2
                                        ;     Child Loop BB141_107 Depth 2
                                        ;     Child Loop BB141_169 Depth 2
                                        ;     Child Loop BB141_152 Depth 2
                                        ;     Child Loop BB141_216 Depth 2
                                        ;     Child Loop BB141_199 Depth 2
                                        ;     Child Loop BB141_263 Depth 2
                                        ;     Child Loop BB141_246 Depth 2
	ds_load_b128 v[2:5], v13 offset:5120
	s_waitcnt lgkmcnt(0)
	v_readfirstlane_b32 s61, v3
	v_readfirstlane_b32 s60, v2
	s_delay_alu instid0(VALU_DEP_1)
	s_cmp_lg_u64 s[60:61], 0
	s_cbranch_scc1 .LBB141_57
; %bb.28:                               ;   in Loop: Header=BB141_27 Depth=1
	s_and_b32 vcc_lo, exec_lo, s49
	s_cbranch_vccz .LBB141_40
; %bb.29:                               ;   in Loop: Header=BB141_27 Depth=1
	v_cmp_gt_u64_e32 vcc_lo, 0x601, v[4:5]
	s_mov_b32 s6, 0
	s_mov_b32 s4, 0
	s_cbranch_vccz .LBB141_41
; %bb.30:                               ;   in Loop: Header=BB141_27 Depth=1
	global_load_u16 v2, v13, s[58:59]
	global_load_u16 v5, v[14:15], off
	s_mov_b32 s7, 0
	s_waitcnt vmcnt(1)
	v_dual_mov_b32 v3, v1 :: v_dual_and_b32 v4, 0xffff, v2
	v_mov_b32_e32 v2, v0
	s_branch .LBB141_32
.LBB141_31:                             ;   in Loop: Header=BB141_32 Depth=2
	s_or_b32 exec_lo, exec_lo, s5
	v_mov_b32_e32 v5, v6
	s_and_not1_b32 exec_lo, exec_lo, s7
	s_cbranch_execz .LBB141_42
.LBB141_32:                             ;   Parent Loop BB141_27 Depth=1
                                        ; =>  This Inner Loop Header: Depth=2
	s_delay_alu instid0(VALU_DEP_1) | instskip(NEXT) | instid1(VALU_DEP_3)
	v_add_co_u32 v2, vcc_lo, v2, v4
	v_add_co_ci_u32_e32 v3, vcc_lo, 0, v3, vcc_lo
	s_waitcnt lgkmcnt(0)
	v_dual_mov_b32 v7, 0 :: v_dual_mov_b32 v6, 0
	s_mov_b32 s5, exec_lo
	s_delay_alu instid0(VALU_DEP_2)
	v_cmp_le_u64_e32 vcc_lo, s[24:25], v[2:3]
	v_cmpx_gt_u64_e64 s[24:25], v[2:3]
	s_cbranch_execz .LBB141_34
; %bb.33:                               ;   in Loop: Header=BB141_32 Depth=2
	v_mul_lo_u32 v6, v3, s42
	v_mul_lo_u32 v12, v2, s43
	v_mad_u64_u32 v[8:9], null, v2, s42, 0
	s_delay_alu instid0(VALU_DEP_1) | instskip(NEXT) | instid1(VALU_DEP_1)
	v_add3_u32 v9, v9, v12, v6
	v_lshlrev_b64 v[8:9], 1, v[8:9]
	s_delay_alu instid0(VALU_DEP_1) | instskip(NEXT) | instid1(VALU_DEP_1)
	v_add_co_u32 v8, s4, s33, v8
	v_add_co_ci_u32_e64 v9, s4, s35, v9, s4
	global_load_u16 v6, v[8:9], off
.LBB141_34:                             ;   in Loop: Header=BB141_32 Depth=2
	s_or_b32 exec_lo, exec_lo, s5
	s_waitcnt vmcnt(0)
	v_cmp_lt_i16_e64 s4, -1, v5
	v_and_b32_e32 v8, 0xffff, v5
	v_lshlrev_b32_e32 v12, 16, v5
	s_delay_alu instid0(VALU_DEP_3) | instskip(NEXT) | instid1(VALU_DEP_2)
	v_cndmask_b32_e64 v9, 0xffff, v27, s4
	v_cmp_o_f32_e64 s4, v12, v12
	s_delay_alu instid0(VALU_DEP_2) | instskip(NEXT) | instid1(VALU_DEP_1)
	v_xor_b32_e32 v8, v9, v8
	v_cndmask_b32_e64 v8, 0xffff, v8, s4
	s_delay_alu instid0(VALU_DEP_1) | instskip(NEXT) | instid1(VALU_DEP_1)
	v_and_b32_e32 v8, s91, v8
	v_cmp_eq_u32_e64 s4, s90, v8
	s_delay_alu instid0(VALU_DEP_1) | instskip(SKIP_1) | instid1(SALU_CYCLE_1)
	s_cmp_lg_u32 s4, 0
	s_cselect_b32 s5, -1, 0
	s_and_b32 s5, s1, s5
	s_delay_alu instid0(SALU_CYCLE_1)
	s_and_saveexec_b32 s8, s5
	s_cbranch_execz .LBB141_38
; %bb.35:                               ;   in Loop: Header=BB141_32 Depth=2
	s_mov_b32 s11, exec_lo
	s_bcnt1_i32_b32 s9, s4
	v_mbcnt_lo_u32_b32 v7, s11, 0
	s_mov_b32 s10, exec_lo
                                        ; implicit-def: $vgpr8
	s_delay_alu instid0(VALU_DEP_1)
	v_cmpx_eq_u32_e32 0, v7
	s_cbranch_execz .LBB141_37
; %bb.36:                               ;   in Loop: Header=BB141_32 Depth=2
	s_bcnt1_i32_b32 s5, s11
	s_delay_alu instid0(SALU_CYCLE_1) | instskip(NEXT) | instid1(SALU_CYCLE_1)
	s_mul_i32 s5, s9, s5
	v_mov_b32_e32 v8, s5
	ds_add_rtn_u32 v8, v13, v8 offset:5144
.LBB141_37:                             ;   in Loop: Header=BB141_32 Depth=2
	s_or_b32 exec_lo, exec_lo, s10
	s_waitcnt lgkmcnt(0)
	v_readfirstlane_b32 s5, v8
	s_delay_alu instid0(VALU_DEP_1)
	v_mad_u32_u24 v7, s9, v7, s5
.LBB141_38:                             ;   in Loop: Header=BB141_32 Depth=2
	s_or_b32 exec_lo, exec_lo, s8
	ds_bpermute_b32 v7, v13, v7
	s_and_b32 s5, exec_lo, vcc_lo
	s_delay_alu instid0(SALU_CYCLE_1)
	s_or_b32 s7, s5, s7
	s_and_saveexec_b32 s5, s4
	s_cbranch_execz .LBB141_31
; %bb.39:                               ;   in Loop: Header=BB141_32 Depth=2
	v_and_b32_e32 v8, s4, v24
	s_delay_alu instid0(VALU_DEP_1) | instskip(NEXT) | instid1(VALU_DEP_1)
	v_bcnt_u32_b32 v8, v8, 0
	v_lshlrev_b32_e32 v8, 1, v8
	s_waitcnt lgkmcnt(0)
	s_delay_alu instid0(VALU_DEP_1)
	v_lshl_add_u32 v7, v7, 1, v8
	ds_store_b16 v7, v5
	s_branch .LBB141_31
.LBB141_40:                             ;   in Loop: Header=BB141_27 Depth=1
	s_mov_b32 s4, 0
                                        ; implicit-def: $sgpr60_sgpr61
	s_cbranch_execnz .LBB141_45
	s_branch .LBB141_55
.LBB141_41:                             ;   in Loop: Header=BB141_27 Depth=1
	s_mov_b64 s[60:61], 0
	s_and_b32 vcc_lo, exec_lo, s6
	s_cbranch_vccnz .LBB141_45
	s_branch .LBB141_55
.LBB141_42:                             ;   in Loop: Header=BB141_27 Depth=1
	s_or_b32 exec_lo, exec_lo, s7
	s_waitcnt lgkmcnt(0)
	s_barrier
	buffer_gl0_inv
	s_and_saveexec_b32 s4, s3
	s_cbranch_execz .LBB141_44
; %bb.43:                               ;   in Loop: Header=BB141_27 Depth=1
	ds_load_b32 v2, v13 offset:5144
	s_waitcnt lgkmcnt(0)
	v_ashrrev_i32_e32 v3, 31, v2
	ds_store_b64 v13, v[2:3] offset:5120
.LBB141_44:                             ;   in Loop: Header=BB141_27 Depth=1
	s_or_b32 exec_lo, exec_lo, s4
	s_waitcnt lgkmcnt(0)
	s_mov_b32 s4, -1
	s_barrier
	s_mov_b64 s[60:61], 0
	s_and_b32 vcc_lo, exec_lo, s6
	s_cbranch_vccz .LBB141_55
.LBB141_45:                             ;   in Loop: Header=BB141_27 Depth=1
	v_mov_b32_e32 v4, 0
	s_and_saveexec_b32 s4, s2
	s_cbranch_execz .LBB141_47
; %bb.46:                               ;   in Loop: Header=BB141_27 Depth=1
	global_load_u16 v4, v[14:15], off
.LBB141_47:                             ;   in Loop: Header=BB141_27 Depth=1
	s_or_b32 exec_lo, exec_lo, s4
	s_and_saveexec_b32 s5, s2
	s_cbranch_execz .LBB141_52
; %bb.48:                               ;   in Loop: Header=BB141_27 Depth=1
	global_load_u16 v2, v13, s[58:59]
	s_mov_b32 s6, 0
	s_waitcnt vmcnt(0)
	v_dual_mov_b32 v6, v21 :: v_dual_and_b32 v5, 0xffff, v2
	v_dual_mov_b32 v3, v1 :: v_dual_mov_b32 v2, v0
	s_delay_alu instid0(VALU_DEP_2)
	v_lshlrev_b32_e32 v7, 1, v5
	s_set_inst_prefetch_distance 0x1
	s_branch .LBB141_50
	.p2align	6
.LBB141_49:                             ;   in Loop: Header=BB141_50 Depth=2
	s_or_b32 exec_lo, exec_lo, s7
	ds_store_b16 v6, v4
	v_add_nc_u32_e32 v6, v6, v7
	s_waitcnt vmcnt(0)
	v_mov_b32_e32 v4, v8
	s_and_b32 s4, exec_lo, vcc_lo
	s_delay_alu instid0(SALU_CYCLE_1) | instskip(NEXT) | instid1(SALU_CYCLE_1)
	s_or_b32 s6, s4, s6
	s_and_not1_b32 exec_lo, exec_lo, s6
	s_cbranch_execz .LBB141_52
.LBB141_50:                             ;   Parent Loop BB141_27 Depth=1
                                        ; =>  This Inner Loop Header: Depth=2
	s_delay_alu instid0(VALU_DEP_2) | instskip(SKIP_3) | instid1(VALU_DEP_2)
	v_add_co_u32 v2, vcc_lo, v2, v5
	v_add_co_ci_u32_e32 v3, vcc_lo, 0, v3, vcc_lo
	v_mov_b32_e32 v8, 0
	s_mov_b32 s7, exec_lo
	v_cmp_le_u64_e32 vcc_lo, s[24:25], v[2:3]
	v_cmpx_gt_u64_e64 s[24:25], v[2:3]
	s_cbranch_execz .LBB141_49
; %bb.51:                               ;   in Loop: Header=BB141_50 Depth=2
	v_mul_lo_u32 v12, v3, s42
	v_mul_lo_u32 v16, v2, s43
	v_mad_u64_u32 v[8:9], null, v2, s42, 0
	s_delay_alu instid0(VALU_DEP_1) | instskip(NEXT) | instid1(VALU_DEP_1)
	v_add3_u32 v9, v9, v16, v12
	v_lshlrev_b64 v[8:9], 1, v[8:9]
	s_delay_alu instid0(VALU_DEP_1) | instskip(NEXT) | instid1(VALU_DEP_1)
	v_add_co_u32 v8, s4, s33, v8
	v_add_co_ci_u32_e64 v9, s4, s35, v9, s4
	global_load_u16 v8, v[8:9], off
	s_branch .LBB141_49
.LBB141_52:                             ;   in Loop: Header=BB141_27 Depth=1
	s_set_inst_prefetch_distance 0x2
	s_or_b32 exec_lo, exec_lo, s5
	s_waitcnt vmcnt(0) lgkmcnt(0)
	s_barrier
	buffer_gl0_inv
	s_and_saveexec_b32 s4, s3
	s_cbranch_execz .LBB141_54
; %bb.53:                               ;   in Loop: Header=BB141_27 Depth=1
	v_dual_mov_b32 v2, s24 :: v_dual_mov_b32 v3, s25
	ds_store_b64 v13, v[2:3] offset:5120
.LBB141_54:                             ;   in Loop: Header=BB141_27 Depth=1
	s_or_b32 exec_lo, exec_lo, s4
	s_mov_b32 s4, -1
	s_waitcnt lgkmcnt(0)
	s_barrier
                                        ; implicit-def: $sgpr60_sgpr61
.LBB141_55:                             ;   in Loop: Header=BB141_27 Depth=1
	s_and_b32 vcc_lo, exec_lo, s4
	s_cbranch_vccz .LBB141_57
; %bb.56:                               ;   in Loop: Header=BB141_27 Depth=1
	buffer_gl0_inv
	ds_load_b64 v[2:3], v13 offset:5120
	s_waitcnt lgkmcnt(0)
	v_readfirstlane_b32 s60, v2
.LBB141_57:                             ;   in Loop: Header=BB141_27 Depth=1
	s_delay_alu instid0(VALU_DEP_1)
	s_cmp_lt_i32 s60, 1
	s_cbranch_scc0 .LBB141_72
; %bb.58:                               ;   in Loop: Header=BB141_27 Depth=1
	global_load_u16 v29, v13, s[58:59]
	s_mov_b32 s5, s25
	s_waitcnt vmcnt(0)
	v_readfirstlane_b32 s4, v29
	s_delay_alu instid0(VALU_DEP_1)
	s_and_b32 s6, 0xffff, s4
	s_mov_b32 s4, s55
	s_lshl_b32 s54, s6, 2
	s_cmp_lg_u64 s[4:5], 0
	s_cbranch_scc0 .LBB141_92
; %bb.59:                               ;   in Loop: Header=BB141_27 Depth=1
	v_cvt_f32_u32_e32 v2, s54
	s_sub_u32 s6, 0, s54
	s_subb_u32 s7, 0, 0
	s_delay_alu instid0(VALU_DEP_1) | instskip(NEXT) | instid1(VALU_DEP_1)
	v_fmac_f32_e64 v2, 0, 0x4f800000
	v_rcp_f32_e32 v2, v2
	s_waitcnt_depctr 0xfff
	v_mul_f32_e32 v2, 0x5f7ffffc, v2
	s_delay_alu instid0(VALU_DEP_1) | instskip(NEXT) | instid1(VALU_DEP_1)
	v_mul_f32_e32 v3, 0x2f800000, v2
	v_trunc_f32_e32 v3, v3
	s_delay_alu instid0(VALU_DEP_1) | instskip(SKIP_1) | instid1(VALU_DEP_2)
	v_fmac_f32_e32 v2, 0xcf800000, v3
	v_cvt_u32_f32_e32 v3, v3
	v_cvt_u32_f32_e32 v2, v2
	s_delay_alu instid0(VALU_DEP_2) | instskip(NEXT) | instid1(VALU_DEP_2)
	v_readfirstlane_b32 s4, v3
	v_readfirstlane_b32 s5, v2
	s_delay_alu instid0(VALU_DEP_2) | instskip(NEXT) | instid1(VALU_DEP_1)
	s_mul_i32 s8, s6, s4
	s_mul_hi_u32 s10, s6, s5
	s_mul_i32 s9, s7, s5
	s_add_i32 s8, s10, s8
	s_mul_i32 s11, s6, s5
	s_add_i32 s8, s8, s9
	s_mul_hi_u32 s10, s5, s11
	s_mul_hi_u32 s12, s4, s11
	s_mul_i32 s9, s4, s11
	s_mul_hi_u32 s11, s5, s8
	s_mul_i32 s5, s5, s8
	s_mul_hi_u32 s13, s4, s8
	s_add_u32 s5, s10, s5
	s_addc_u32 s10, 0, s11
	s_add_u32 s5, s5, s9
	s_mul_i32 s8, s4, s8
	s_addc_u32 s5, s10, s12
	s_addc_u32 s9, s13, 0
	s_add_u32 s5, s5, s8
	s_addc_u32 s8, 0, s9
	v_add_co_u32 v2, s5, v2, s5
	s_delay_alu instid0(VALU_DEP_1) | instskip(SKIP_1) | instid1(VALU_DEP_1)
	s_cmp_lg_u32 s5, 0
	s_addc_u32 s4, s4, s8
	v_readfirstlane_b32 s5, v2
	s_mul_i32 s8, s6, s4
	s_delay_alu instid0(VALU_DEP_1)
	s_mul_hi_u32 s9, s6, s5
	s_mul_i32 s7, s7, s5
	s_add_i32 s8, s9, s8
	s_mul_i32 s6, s6, s5
	s_add_i32 s8, s8, s7
	s_mul_hi_u32 s9, s4, s6
	s_mul_i32 s10, s4, s6
	s_mul_hi_u32 s6, s5, s6
	s_mul_hi_u32 s11, s5, s8
	s_mul_i32 s5, s5, s8
	s_mul_hi_u32 s7, s4, s8
	s_add_u32 s5, s6, s5
	s_addc_u32 s6, 0, s11
	s_add_u32 s5, s5, s10
	s_mul_i32 s8, s4, s8
	s_addc_u32 s5, s6, s9
	s_addc_u32 s6, s7, 0
	s_add_u32 s5, s5, s8
	s_addc_u32 s6, 0, s6
	v_add_co_u32 v2, s5, v2, s5
	s_delay_alu instid0(VALU_DEP_1) | instskip(SKIP_1) | instid1(VALU_DEP_1)
	s_cmp_lg_u32 s5, 0
	s_addc_u32 s4, s4, s6
	v_readfirstlane_b32 s5, v2
	s_mul_i32 s7, s24, s4
	s_mul_hi_u32 s6, s24, s4
	s_mul_hi_u32 s8, s25, s4
	s_mul_i32 s4, s25, s4
	s_mul_hi_u32 s9, s24, s5
	s_mul_hi_u32 s10, s25, s5
	s_mul_i32 s5, s25, s5
	s_add_u32 s7, s9, s7
	s_addc_u32 s6, 0, s6
	s_add_u32 s5, s7, s5
	s_addc_u32 s5, s6, s10
	s_addc_u32 s6, s8, 0
	s_add_u32 s4, s5, s4
	s_addc_u32 s5, 0, s6
	s_mul_hi_u32 s6, s54, s4
	s_mul_i32 s4, s54, s4
	s_mul_i32 s5, s54, s5
	v_sub_co_u32 v2, s4, s24, s4
	s_add_i32 s6, s6, s5
	s_cmp_lg_u32 s4, 0
	s_delay_alu instid0(VALU_DEP_1) | instskip(SKIP_2) | instid1(VALU_DEP_1)
	v_sub_co_u32 v3, s4, v2, s54
	s_subb_u32 s5, s25, s6
	s_cmp_lg_u32 s4, 0
	v_cmp_le_u32_e32 vcc_lo, s54, v3
	v_sub_co_u32 v4, s4, v3, s54
	s_subb_u32 s6, s5, 0
	s_cmp_lg_u32 s4, 0
	v_cndmask_b32_e64 v5, 0, -1, vcc_lo
	s_subb_u32 s4, s6, 0
	s_cmp_eq_u32 s6, 0
	v_mov_b32_e32 v7, s4
	s_cselect_b32 vcc_lo, -1, 0
	s_cmp_eq_u32 s5, 0
	v_cndmask_b32_e32 v5, -1, v5, vcc_lo
	v_cmp_le_u32_e32 vcc_lo, s54, v2
	s_cselect_b32 s4, -1, 0
	v_cndmask_b32_e64 v6, 0, -1, vcc_lo
	s_delay_alu instid0(VALU_DEP_3) | instskip(NEXT) | instid1(VALU_DEP_2)
	v_cmp_ne_u32_e32 vcc_lo, 0, v5
	v_cndmask_b32_e64 v5, -1, v6, s4
	v_cndmask_b32_e32 v6, s6, v7, vcc_lo
	v_cndmask_b32_e32 v4, v3, v4, vcc_lo
	s_delay_alu instid0(VALU_DEP_3) | instskip(NEXT) | instid1(VALU_DEP_3)
	v_cmp_ne_u32_e32 vcc_lo, 0, v5
	v_cndmask_b32_e32 v3, s5, v6, vcc_lo
	s_delay_alu instid0(VALU_DEP_3)
	v_cndmask_b32_e32 v2, v2, v4, vcc_lo
	s_cbranch_execnz .LBB141_61
.LBB141_60:                             ;   in Loop: Header=BB141_27 Depth=1
	v_cvt_f32_u32_e32 v2, s54
	s_sub_i32 s4, 0, s54
	s_delay_alu instid0(VALU_DEP_1) | instskip(SKIP_2) | instid1(VALU_DEP_1)
	v_rcp_iflag_f32_e32 v2, v2
	s_waitcnt_depctr 0xfff
	v_mul_f32_e32 v2, 0x4f7ffffe, v2
	v_cvt_u32_f32_e32 v2, v2
	s_delay_alu instid0(VALU_DEP_1) | instskip(NEXT) | instid1(VALU_DEP_1)
	v_mul_lo_u32 v3, s4, v2
	v_mul_hi_u32 v3, v2, v3
	s_delay_alu instid0(VALU_DEP_1) | instskip(NEXT) | instid1(VALU_DEP_1)
	v_add_nc_u32_e32 v2, v2, v3
	v_mul_hi_u32 v2, s24, v2
	s_delay_alu instid0(VALU_DEP_1) | instskip(NEXT) | instid1(VALU_DEP_1)
	v_mul_lo_u32 v2, v2, s54
	v_sub_nc_u32_e32 v2, s24, v2
	s_delay_alu instid0(VALU_DEP_1) | instskip(SKIP_1) | instid1(VALU_DEP_2)
	v_subrev_nc_u32_e32 v3, s54, v2
	v_cmp_le_u32_e32 vcc_lo, s54, v2
	v_cndmask_b32_e32 v2, v2, v3, vcc_lo
	s_delay_alu instid0(VALU_DEP_1) | instskip(SKIP_1) | instid1(VALU_DEP_2)
	v_subrev_nc_u32_e32 v3, s54, v2
	v_cmp_le_u32_e32 vcc_lo, s54, v2
	v_cndmask_b32_e32 v12, v2, v3, vcc_lo
	s_delay_alu instid0(VALU_DEP_1)
	v_dual_mov_b32 v2, v12 :: v_dual_mov_b32 v3, v13
.LBB141_61:                             ;   in Loop: Header=BB141_27 Depth=1
	s_delay_alu instid0(VALU_DEP_1) | instskip(NEXT) | instid1(VALU_DEP_2)
	v_sub_co_u32 v16, vcc_lo, s24, v2
	v_sub_co_ci_u32_e32 v17, vcc_lo, s25, v3, vcc_lo
	v_mov_b32_e32 v2, 0
	v_mov_b32_e32 v3, 0
	s_mov_b64 s[22:23], 0
	s_mov_b32 s56, exec_lo
	s_delay_alu instid0(VALU_DEP_1)
	v_dual_mov_b32 v5, v3 :: v_dual_mov_b32 v4, v2
	v_dual_mov_b32 v7, v3 :: v_dual_mov_b32 v6, v2
	;; [unrolled: 1-line block ×3, first 2 shown]
	v_cmpx_gt_u64_e64 v[16:17], v[10:11]
	s_cbranch_execz .LBB141_65
; %bb.62:                               ;   in Loop: Header=BB141_27 Depth=1
	v_dual_mov_b32 v19, v11 :: v_dual_mov_b32 v18, v10
	s_and_b32 s68, s85, 0xfe
	s_mov_b32 s61, 0
	s_mov_b64 s[62:63], 0
	s_mov_b64 s[64:65], 0
	;; [unrolled: 1-line block ×3, first 2 shown]
.LBB141_63:                             ;   Parent Loop BB141_27 Depth=1
                                        ; =>  This Inner Loop Header: Depth=2
	v_mul_lo_u32 v4, v19, s42
	v_mul_lo_u32 v5, v18, s43
	v_mad_u64_u32 v[2:3], null, v18, s42, 0
	s_lshl_b64 s[4:5], s[42:43], 1
	s_delay_alu instid0(VALU_DEP_1) | instskip(NEXT) | instid1(VALU_DEP_1)
	v_add3_u32 v3, v3, v5, v4
	v_lshlrev_b64 v[2:3], 1, v[2:3]
	s_delay_alu instid0(VALU_DEP_1) | instskip(NEXT) | instid1(VALU_DEP_2)
	v_add_co_u32 v2, vcc_lo, s33, v2
	v_add_co_ci_u32_e32 v3, vcc_lo, s35, v3, vcc_lo
	s_delay_alu instid0(VALU_DEP_2) | instskip(NEXT) | instid1(VALU_DEP_2)
	v_add_co_u32 v4, vcc_lo, v2, s4
	v_add_co_ci_u32_e32 v5, vcc_lo, s5, v3, vcc_lo
	s_clause 0x1
	global_load_u16 v6, v[2:3], off
	global_load_u16 v7, v[4:5], off
	v_add_co_u32 v2, vcc_lo, v4, s4
	v_add_co_ci_u32_e32 v3, vcc_lo, s5, v5, vcc_lo
	global_load_u16 v4, v[2:3], off
	v_add_co_u32 v2, vcc_lo, v2, s4
	v_add_co_ci_u32_e32 v3, vcc_lo, s5, v3, vcc_lo
	v_add_co_u32 v18, vcc_lo, v18, s54
	v_add_co_ci_u32_e32 v19, vcc_lo, 0, v19, vcc_lo
	global_load_u16 v2, v[2:3], off
	v_cmp_ge_u64_e32 vcc_lo, v[18:19], v[16:17]
	s_waitcnt vmcnt(3)
	v_cmp_lt_i16_e64 s4, -1, v6
	v_and_b32_e32 v3, 0xffff, v6
	v_lshlrev_b32_e32 v6, 16, v6
	s_waitcnt vmcnt(2)
	v_and_b32_e32 v8, 0xffff, v7
	v_cndmask_b32_e64 v5, 0xffff, v27, s4
	v_cmp_lt_i16_e64 s4, -1, v7
	s_waitcnt vmcnt(1)
	v_cmp_lt_i16_e64 s5, -1, v4
	s_delay_alu instid0(VALU_DEP_3) | instskip(NEXT) | instid1(VALU_DEP_3)
	v_xor_b32_e32 v3, v5, v3
	v_cndmask_b32_e64 v9, 0xffff, v27, s4
	v_cmp_o_f32_e64 s4, v6, v6
	v_lshlrev_b32_e32 v5, 16, v7
	v_and_b32_e32 v7, 0xffff, v4
	v_lshlrev_b32_e32 v4, 16, v4
	v_xor_b32_e32 v6, v9, v8
	v_cndmask_b32_e64 v3, 0xffff, v3, s4
	v_cmp_o_f32_e64 s4, v5, v5
	v_cndmask_b32_e64 v8, 0xffff, v27, s5
	s_delay_alu instid0(VALU_DEP_3) | instskip(NEXT) | instid1(VALU_DEP_3)
	v_and_b32_e32 v9, s91, v3
	v_cndmask_b32_e64 v5, 0xffff, v6, s4
	s_waitcnt vmcnt(0)
	v_cmp_lt_i16_e64 s4, -1, v2
	v_xor_b32_e32 v6, v8, v7
	v_and_b32_e32 v7, 0xffff, v2
	v_lshlrev_b32_e32 v2, 16, v2
	v_bfe_u32 v3, v3, s68, 2
	v_cndmask_b32_e64 v8, 0xffff, v27, s4
	v_cmp_o_f32_e64 s4, v4, v4
	s_delay_alu instid0(VALU_DEP_4) | instskip(NEXT) | instid1(VALU_DEP_4)
	v_cmp_o_f32_e64 s9, v2, v2
	v_cmp_eq_u32_e64 s5, 0, v3
	v_cmp_eq_u32_e64 s6, 1, v3
	s_delay_alu instid0(VALU_DEP_4)
	v_cndmask_b32_e64 v4, 0xffff, v6, s4
	v_xor_b32_e32 v6, v8, v7
	v_cmp_eq_u32_e64 s4, s90, v9
	v_and_b32_e32 v7, s91, v5
	v_bfe_u32 v5, v5, s68, 2
	v_cmp_eq_u32_e64 s7, 2, v3
	v_cmp_eq_u32_e64 s8, 3, v3
	v_cndmask_b32_e64 v2, 0xffff, v6, s9
	v_and_b32_e32 v3, s91, v4
	v_cmp_eq_u32_e64 s9, s90, v7
	v_bfe_u32 v4, v4, s68, 2
	v_cmp_eq_u32_e64 s10, 0, v5
	s_and_b32 s5, s4, s5
	v_cmp_eq_u32_e64 s13, s90, v3
	v_cndmask_b32_e64 v6, 0, 1, s5
	v_and_b32_e32 v3, s91, v2
	v_bfe_u32 v2, v2, s68, 2
	v_cmp_eq_u32_e64 s14, 0, v4
	s_and_b32 s10, s9, s10
	v_cmp_eq_u32_e64 s5, 1, v5
	v_cmp_eq_u32_e64 s11, 2, v5
	;; [unrolled: 1-line block ×3, first 2 shown]
	v_cmp_ne_u32_e64 s15, 0, v6
	v_cndmask_b32_e64 v5, 0, 1, s10
	v_cmp_eq_u32_e64 s18, s90, v3
	v_cmp_eq_u32_e64 s19, 0, v2
	s_and_b32 s14, s13, s14
	s_bcnt1_i32_b32 s69, s15
	v_cmp_ne_u32_e64 s15, 0, v5
	v_cndmask_b32_e64 v3, 0, 1, s14
	s_and_b32 s19, s18, s19
	v_cmp_eq_u32_e64 s14, 1, v2
	v_cmp_eq_u32_e64 s20, 2, v2
	v_cmp_eq_u32_e64 s21, 3, v2
	v_cndmask_b32_e64 v2, 0, 1, s19
	s_bcnt1_i32_b32 s19, s15
	v_cmp_ne_u32_e64 s15, 0, v3
	s_add_i32 s69, s19, s69
	v_cmp_eq_u32_e64 s10, 1, v4
	v_cmp_ne_u32_e64 s19, 0, v2
	v_cmp_eq_u32_e64 s16, 2, v4
	s_bcnt1_i32_b32 s15, s15
	v_cmp_eq_u32_e64 s17, 3, v4
	s_add_i32 s15, s69, s15
	s_bcnt1_i32_b32 s19, s19
	s_delay_alu instid0(SALU_CYCLE_1) | instskip(NEXT) | instid1(SALU_CYCLE_1)
	s_add_i32 s15, s15, s19
	s_add_u32 s66, s66, s15
	s_addc_u32 s67, s67, 0
	s_and_b32 s6, s4, s6
	s_and_b32 s5, s9, s5
	v_cndmask_b32_e64 v2, 0, 1, s6
	v_cndmask_b32_e64 v3, 0, 1, s5
	s_and_b32 s5, s13, s10
	s_delay_alu instid0(SALU_CYCLE_1) | instskip(SKIP_1) | instid1(VALU_DEP_2)
	v_cndmask_b32_e64 v4, 0, 1, s5
	s_and_b32 s5, s18, s14
	v_cmp_ne_u32_e64 s6, 0, v3
	v_cndmask_b32_e64 v5, 0, 1, s5
	v_cmp_ne_u32_e64 s5, 0, v2
	v_cmp_ne_u32_e64 s10, 0, v4
	s_delay_alu instid0(VALU_DEP_4) | instskip(NEXT) | instid1(VALU_DEP_3)
	s_bcnt1_i32_b32 s6, s6
	v_cmp_ne_u32_e64 s14, 0, v5
	s_delay_alu instid0(VALU_DEP_3) | instskip(NEXT) | instid1(VALU_DEP_2)
	s_bcnt1_i32_b32 s5, s5
	s_bcnt1_i32_b32 s10, s10
	s_add_i32 s5, s6, s5
	s_delay_alu instid0(VALU_DEP_1) | instskip(SKIP_1) | instid1(SALU_CYCLE_1)
	s_bcnt1_i32_b32 s14, s14
	s_add_i32 s5, s5, s10
	s_add_i32 s5, s5, s14
	s_delay_alu instid0(SALU_CYCLE_1) | instskip(SKIP_2) | instid1(SALU_CYCLE_1)
	s_add_u32 s64, s64, s5
	s_addc_u32 s65, s65, 0
	s_and_b32 s5, s4, s7
	v_cndmask_b32_e64 v2, 0, 1, s5
	s_and_b32 s5, s9, s11
	s_delay_alu instid0(SALU_CYCLE_1) | instskip(SKIP_1) | instid1(SALU_CYCLE_1)
	v_cndmask_b32_e64 v3, 0, 1, s5
	s_and_b32 s5, s13, s16
	v_cndmask_b32_e64 v4, 0, 1, s5
	s_and_b32 s5, s18, s20
	s_delay_alu instid0(VALU_DEP_2) | instskip(SKIP_3) | instid1(VALU_DEP_4)
	v_cmp_ne_u32_e64 s6, 0, v3
	v_cndmask_b32_e64 v5, 0, 1, s5
	v_cmp_ne_u32_e64 s5, 0, v2
	v_cmp_ne_u32_e64 s7, 0, v4
	s_bcnt1_i32_b32 s6, s6
	s_delay_alu instid0(VALU_DEP_3) | instskip(NEXT) | instid1(VALU_DEP_3)
	v_cmp_ne_u32_e64 s10, 0, v5
	s_bcnt1_i32_b32 s5, s5
	s_delay_alu instid0(VALU_DEP_2) | instskip(SKIP_1) | instid1(VALU_DEP_1)
	s_bcnt1_i32_b32 s7, s7
	s_add_i32 s5, s6, s5
	s_bcnt1_i32_b32 s10, s10
	s_add_i32 s5, s5, s7
	s_delay_alu instid0(SALU_CYCLE_1) | instskip(NEXT) | instid1(SALU_CYCLE_1)
	s_add_i32 s5, s5, s10
	s_add_u32 s62, s62, s5
	s_addc_u32 s63, s63, 0
	s_and_b32 s4, s4, s8
	v_mov_b32_e32 v6, s62
	v_cndmask_b32_e64 v2, 0, 1, s4
	s_and_b32 s4, s9, s12
	v_mov_b32_e32 v7, s63
	v_cndmask_b32_e64 v3, 0, 1, s4
	s_and_b32 s4, s13, s17
	s_delay_alu instid0(SALU_CYCLE_1) | instskip(SKIP_1) | instid1(VALU_DEP_2)
	v_cndmask_b32_e64 v4, 0, 1, s4
	s_and_b32 s4, s18, s21
	v_cmp_ne_u32_e64 s5, 0, v3
	v_cndmask_b32_e64 v5, 0, 1, s4
	v_cmp_ne_u32_e64 s4, 0, v2
	v_cmp_ne_u32_e64 s6, 0, v4
	v_mov_b32_e32 v2, s66
	s_bcnt1_i32_b32 s5, s5
	v_cmp_ne_u32_e64 s7, 0, v5
	s_bcnt1_i32_b32 s4, s4
	s_bcnt1_i32_b32 s6, s6
	s_add_i32 s4, s5, s4
	v_mov_b32_e32 v4, s64
	s_bcnt1_i32_b32 s5, s7
	s_add_i32 s4, s4, s6
	v_mov_b32_e32 v3, s67
	s_add_i32 s4, s4, s5
	v_mov_b32_e32 v5, s65
	s_add_u32 s22, s22, s4
	s_addc_u32 s23, s23, 0
	s_delay_alu instid0(SALU_CYCLE_1) | instskip(SKIP_1) | instid1(SALU_CYCLE_1)
	v_dual_mov_b32 v8, s22 :: v_dual_mov_b32 v9, s23
	s_or_b32 s61, vcc_lo, s61
	s_and_not1_b32 exec_lo, exec_lo, s61
	s_cbranch_execnz .LBB141_63
; %bb.64:                               ;   in Loop: Header=BB141_27 Depth=1
	s_or_b32 exec_lo, exec_lo, s61
.LBB141_65:                             ;   in Loop: Header=BB141_27 Depth=1
	s_delay_alu instid0(SALU_CYCLE_1) | instskip(SKIP_3) | instid1(VALU_DEP_2)
	s_or_b32 exec_lo, exec_lo, s56
	v_add_co_u32 v16, vcc_lo, v16, v0
	v_add_co_ci_u32_e32 v17, vcc_lo, 0, v17, vcc_lo
	v_dual_mov_b32 v19, 0 :: v_dual_and_b32 v12, 0xffff, v29
	v_cmp_gt_u64_e32 vcc_lo, s[24:25], v[16:17]
	s_and_saveexec_b32 s5, vcc_lo
	s_cbranch_execz .LBB141_67
; %bb.66:                               ;   in Loop: Header=BB141_27 Depth=1
	v_mul_lo_u32 v29, v17, s42
	v_mul_lo_u32 v30, v16, s43
	v_mad_u64_u32 v[18:19], null, v16, s42, 0
	s_delay_alu instid0(VALU_DEP_1) | instskip(NEXT) | instid1(VALU_DEP_1)
	v_add3_u32 v19, v19, v30, v29
	v_lshlrev_b64 v[18:19], 1, v[18:19]
	s_delay_alu instid0(VALU_DEP_1) | instskip(NEXT) | instid1(VALU_DEP_1)
	v_add_co_u32 v18, s4, s33, v18
	v_add_co_ci_u32_e64 v19, s4, s35, v19, s4
	global_load_u16 v19, v[18:19], off
.LBB141_67:                             ;   in Loop: Header=BB141_27 Depth=1
	s_or_b32 exec_lo, exec_lo, s5
	s_and_saveexec_b32 s8, vcc_lo
	s_cbranch_execz .LBB141_74
; %bb.68:                               ;   in Loop: Header=BB141_27 Depth=1
	s_and_b32 s10, s85, 0xfe
	s_mov_b32 s9, 0
	s_branch .LBB141_70
.LBB141_69:                             ;   in Loop: Header=BB141_70 Depth=2
	s_or_b32 exec_lo, exec_lo, s5
	s_waitcnt vmcnt(0)
	v_cmp_lt_i16_e64 s4, -1, v19
	v_and_b32_e32 v29, 0xffff, v19
	v_lshlrev_b32_e32 v19, 16, v19
	s_and_b32 s6, exec_lo, vcc_lo
	s_delay_alu instid0(SALU_CYCLE_1) | instskip(SKIP_1) | instid1(VALU_DEP_2)
	s_or_b32 s9, s6, s9
	v_cndmask_b32_e64 v30, 0xffff, v27, s4
	v_cmp_o_f32_e64 s4, v19, v19
	s_delay_alu instid0(VALU_DEP_2) | instskip(NEXT) | instid1(VALU_DEP_1)
	v_xor_b32_e32 v29, v30, v29
	v_cndmask_b32_e64 v19, 0xffff, v29, s4
	s_delay_alu instid0(VALU_DEP_1) | instskip(SKIP_1) | instid1(VALU_DEP_2)
	v_and_b32_e32 v29, s91, v19
	v_bfe_u32 v19, v19, s10, 2
	v_cmp_eq_u32_e64 s4, s90, v29
	s_delay_alu instid0(VALU_DEP_2) | instskip(SKIP_2) | instid1(VALU_DEP_3)
	v_cmp_eq_u32_e64 s5, 0, v19
	v_cmp_eq_u32_e32 vcc_lo, 1, v19
	v_cmp_eq_u32_e64 s6, 2, v19
	s_and_b32 s5, s4, s5
	s_delay_alu instid0(SALU_CYCLE_1) | instskip(SKIP_4) | instid1(SALU_CYCLE_1)
	v_cndmask_b32_e64 v29, 0, 1, s5
	s_and_b32 s5, s4, vcc_lo
	v_cmp_eq_u32_e32 vcc_lo, 3, v19
	v_cndmask_b32_e64 v30, 0, 1, s5
	s_and_b32 s5, s4, s6
	v_cndmask_b32_e64 v31, 0, 1, s5
	v_cmp_ne_u32_e64 s5, 0, v29
	s_delay_alu instid0(VALU_DEP_3) | instskip(SKIP_1) | instid1(SALU_CYCLE_1)
	v_cmp_ne_u32_e64 s6, 0, v30
	s_and_b32 s4, s4, vcc_lo
	v_cndmask_b32_e64 v19, 0, 1, s4
	s_delay_alu instid0(VALU_DEP_3)
	s_bcnt1_i32_b32 s4, s5
	v_cmp_ne_u32_e64 s7, 0, v31
	v_add_co_u32 v2, vcc_lo, v2, s4
	s_bcnt1_i32_b32 s5, s6
	v_add_co_ci_u32_e32 v3, vcc_lo, 0, v3, vcc_lo
	v_add_co_u32 v4, vcc_lo, v4, s5
	v_add_co_ci_u32_e32 v5, vcc_lo, 0, v5, vcc_lo
	s_bcnt1_i32_b32 s6, s7
	v_cmp_ne_u32_e32 vcc_lo, 0, v19
	v_add_co_u32 v6, s4, v6, s6
	s_delay_alu instid0(VALU_DEP_1)
	v_add_co_ci_u32_e64 v7, s4, 0, v7, s4
	s_bcnt1_i32_b32 s4, vcc_lo
	v_mov_b32_e32 v19, v18
	v_add_co_u32 v8, vcc_lo, v8, s4
	v_add_co_ci_u32_e32 v9, vcc_lo, 0, v9, vcc_lo
	s_and_not1_b32 exec_lo, exec_lo, s9
	s_cbranch_execz .LBB141_73
.LBB141_70:                             ;   Parent Loop BB141_27 Depth=1
                                        ; =>  This Inner Loop Header: Depth=2
	v_add_co_u32 v16, vcc_lo, v16, v12
	v_add_co_ci_u32_e32 v17, vcc_lo, 0, v17, vcc_lo
	v_mov_b32_e32 v18, 0
	s_mov_b32 s5, exec_lo
	s_delay_alu instid0(VALU_DEP_2)
	v_cmp_le_u64_e32 vcc_lo, s[24:25], v[16:17]
	v_cmpx_gt_u64_e64 s[24:25], v[16:17]
	s_cbranch_execz .LBB141_69
; %bb.71:                               ;   in Loop: Header=BB141_70 Depth=2
	v_mul_lo_u32 v18, v17, s42
	v_mul_lo_u32 v31, v16, s43
	v_mad_u64_u32 v[29:30], null, v16, s42, 0
	s_delay_alu instid0(VALU_DEP_1) | instskip(NEXT) | instid1(VALU_DEP_1)
	v_add3_u32 v30, v30, v31, v18
	v_lshlrev_b64 v[29:30], 1, v[29:30]
	s_delay_alu instid0(VALU_DEP_1) | instskip(NEXT) | instid1(VALU_DEP_1)
	v_add_co_u32 v29, s4, s33, v29
	v_add_co_ci_u32_e64 v30, s4, s35, v30, s4
	global_load_u16 v18, v[29:30], off
	s_branch .LBB141_69
.LBB141_72:                             ;   in Loop: Header=BB141_27 Depth=1
                                        ; implicit-def: $vgpr8_vgpr9
                                        ; implicit-def: $vgpr4_vgpr5
	s_cbranch_execnz .LBB141_75
	s_branch .LBB141_84
.LBB141_73:                             ;   in Loop: Header=BB141_27 Depth=1
	s_or_b32 exec_lo, exec_lo, s9
.LBB141_74:                             ;   in Loop: Header=BB141_27 Depth=1
	s_delay_alu instid0(SALU_CYCLE_1)
	s_or_b32 exec_lo, exec_lo, s8
	s_branch .LBB141_84
.LBB141_75:                             ;   in Loop: Header=BB141_27 Depth=1
	global_load_u16 v8, v13, s[58:59]
	s_mov_b64 s[62:63], 0
	s_mov_b32 s61, exec_lo
	s_waitcnt vmcnt(0)
	v_readfirstlane_b32 s4, v8
	v_and_b32_e32 v18, 0xffff, v8
	s_delay_alu instid0(VALU_DEP_2) | instskip(NEXT) | instid1(SALU_CYCLE_1)
	s_and_b32 s4, 0xffff, s4
	s_lshl_b32 s56, s4, 2
	s_delay_alu instid0(SALU_CYCLE_1) | instskip(SKIP_1) | instid1(VALU_DEP_1)
	v_cvt_f32_u32_e32 v2, s56
	s_sub_i32 s5, 0, s56
	v_rcp_iflag_f32_e32 v2, v2
	s_waitcnt_depctr 0xfff
	v_mul_f32_e32 v2, 0x4f7ffffe, v2
	s_delay_alu instid0(VALU_DEP_1) | instskip(NEXT) | instid1(VALU_DEP_1)
	v_cvt_u32_f32_e32 v2, v2
	v_readfirstlane_b32 s4, v2
	v_mov_b32_e32 v2, 0
	v_mov_b32_e32 v3, 0
	s_delay_alu instid0(VALU_DEP_3) | instskip(NEXT) | instid1(VALU_DEP_1)
	s_mul_i32 s5, s5, s4
	v_dual_mov_b32 v5, v3 :: v_dual_mov_b32 v4, v2
	s_mul_hi_u32 s5, s4, s5
	v_dual_mov_b32 v7, v3 :: v_dual_mov_b32 v6, v2
	s_add_i32 s4, s4, s5
	v_dual_mov_b32 v9, v3 :: v_dual_mov_b32 v8, v2
	s_mul_hi_u32 s4, s60, s4
	s_delay_alu instid0(SALU_CYCLE_1) | instskip(NEXT) | instid1(SALU_CYCLE_1)
	s_mul_i32 s4, s4, s56
	s_sub_i32 s4, s60, s4
	s_delay_alu instid0(SALU_CYCLE_1) | instskip(SKIP_2) | instid1(SALU_CYCLE_1)
	s_sub_i32 s5, s4, s56
	s_cmp_ge_u32 s4, s56
	s_cselect_b32 s4, s5, s4
	s_sub_i32 s5, s4, s56
	s_cmp_ge_u32 s4, s56
	s_cselect_b32 s4, s5, s4
	s_delay_alu instid0(SALU_CYCLE_1) | instskip(NEXT) | instid1(SALU_CYCLE_1)
	s_sub_i32 s54, s60, s4
	v_cmpx_gt_u32_e64 s54, v10
	s_cbranch_execz .LBB141_79
; %bb.76:                               ;   in Loop: Header=BB141_27 Depth=1
	v_dual_mov_b32 v19, v25 :: v_dual_lshlrev_b32 v12, 3, v18
	v_dual_mov_b32 v17, v11 :: v_dual_mov_b32 v16, v10
	s_and_b32 s92, s85, 0xfe
	s_mov_b32 s93, 0
	s_mov_b64 s[64:65], 0
	s_mov_b64 s[66:67], 0
	;; [unrolled: 1-line block ×3, first 2 shown]
.LBB141_77:                             ;   Parent Loop BB141_27 Depth=1
                                        ; =>  This Inner Loop Header: Depth=2
	ds_load_b64 v[2:3], v19
	v_add_co_u32 v16, vcc_lo, v16, s56
	v_add_co_ci_u32_e32 v17, vcc_lo, 0, v17, vcc_lo
	s_delay_alu instid0(VALU_DEP_1)
	v_cmp_le_u64_e32 vcc_lo, s[54:55], v[16:17]
	s_waitcnt lgkmcnt(0)
	v_cmp_lt_i16_e64 s4, -1, v2
	v_lshrrev_b32_e32 v4, 16, v2
	v_lshrrev_b32_e32 v5, 16, v3
	v_and_b32_e32 v6, 0xffff, v2
	v_lshlrev_b32_e32 v8, 16, v2
	v_cndmask_b32_e64 v7, 0xffff, v27, s4
	v_cmp_lt_i16_e64 s4, -1, v3
	v_and_b32_e32 v9, 0xffff, v3
	v_cmp_lt_i16_e64 s5, -1, v5
	v_lshlrev_b32_e32 v30, 16, v3
	v_and_b32_e32 v2, 0xffff0000, v2
	v_cndmask_b32_e64 v29, 0xffff, v27, s4
	v_cmp_lt_i16_e64 s4, -1, v4
	v_xor_b32_e32 v6, v7, v6
	v_and_b32_e32 v3, 0xffff0000, v3
	s_delay_alu instid0(VALU_DEP_4) | instskip(NEXT) | instid1(VALU_DEP_4)
	v_xor_b32_e32 v9, v29, v9
	v_cndmask_b32_e64 v7, 0xffff, v27, s4
	v_cndmask_b32_e64 v29, 0xffff, v27, s5
	v_cmp_o_f32_e64 s5, v8, v8
	v_cmp_o_f32_e64 s4, v30, v30
	s_delay_alu instid0(VALU_DEP_4) | instskip(NEXT) | instid1(VALU_DEP_4)
	v_xor_b32_e32 v4, v7, v4
	v_xor_b32_e32 v5, v29, v5
	s_delay_alu instid0(VALU_DEP_4) | instskip(SKIP_3) | instid1(VALU_DEP_4)
	v_cndmask_b32_e64 v6, 0xffff, v6, s5
	v_cmp_o_f32_e64 s5, v2, v2
	v_cndmask_b32_e64 v7, 0xffff, v9, s4
	v_cmp_o_f32_e64 s4, v3, v3
	v_and_b32_e32 v3, s91, v6
	s_delay_alu instid0(VALU_DEP_4) | instskip(SKIP_1) | instid1(VALU_DEP_4)
	v_cndmask_b32_e64 v2, 0xffff, v4, s5
	v_bfe_u32 v6, v6, s92, 2
	v_cndmask_b32_e64 v4, 0xffff, v5, s4
	v_and_b32_e32 v5, s91, v7
	v_bfe_u32 v7, v7, s92, 2
	v_cmp_eq_u32_e64 s4, s90, v3
	v_and_b32_e32 v3, s91, v2
	v_bfe_u32 v2, v2, s92, 2
	v_cmp_eq_u32_e64 s6, 0, v6
	v_cmp_eq_u32_e64 s5, s90, v5
	v_and_b32_e32 v5, s91, v4
	v_bfe_u32 v4, v4, s92, 2
	v_cmp_eq_u32_e64 s7, 0, v7
	v_cmp_eq_u32_e64 s14, s90, v3
	;; [unrolled: 1-line block ×3, first 2 shown]
	s_and_b32 s6, s4, s6
	v_cmp_eq_u32_e64 s15, s90, v5
	v_cmp_eq_u32_e64 s17, 0, v4
	v_cndmask_b32_e64 v3, 0, 1, s6
	s_and_b32 s6, s5, s7
	s_and_b32 s16, s14, s16
	v_cndmask_b32_e64 v5, 0, 1, s6
	v_cmp_eq_u32_e64 s6, 1, v2
	v_cmp_eq_u32_e64 s18, 2, v2
	;; [unrolled: 1-line block ×3, first 2 shown]
	v_cndmask_b32_e64 v2, 0, 1, s16
	s_and_b32 s16, s15, s17
	v_cmp_eq_u32_e64 s7, 1, v4
	v_cmp_eq_u32_e64 s19, 2, v4
	v_cmp_eq_u32_e64 s21, 3, v4
	v_cndmask_b32_e64 v4, 0, 1, s16
	v_cmp_ne_u32_e64 s16, 0, v3
	v_cmp_ne_u32_e64 s22, 0, v2
	;; [unrolled: 1-line block ×3, first 2 shown]
	v_cmp_eq_u32_e64 s8, 1, v6
	v_cmp_ne_u32_e64 s23, 0, v4
	s_bcnt1_i32_b32 s16, s16
	s_bcnt1_i32_b32 s22, s22
	;; [unrolled: 1-line block ×3, first 2 shown]
	s_add_i32 s16, s22, s16
	s_bcnt1_i32_b32 s23, s23
	s_add_i32 s16, s16, s17
	v_cmp_eq_u32_e64 s9, 1, v7
	s_add_i32 s16, s16, s23
	v_cmp_eq_u32_e64 s10, 2, v6
	s_add_u32 s68, s68, s16
	s_addc_u32 s69, s69, 0
	s_and_b32 s8, s4, s8
	s_and_b32 s6, s14, s6
	v_cndmask_b32_e64 v2, 0, 1, s8
	v_cndmask_b32_e64 v3, 0, 1, s6
	s_and_b32 s6, s5, s9
	v_cmp_eq_u32_e64 s11, 2, v7
	v_cndmask_b32_e64 v4, 0, 1, s6
	s_and_b32 s6, s15, s7
	v_cmp_ne_u32_e64 s7, 0, v3
	v_cndmask_b32_e64 v5, 0, 1, s6
	v_cmp_ne_u32_e64 s6, 0, v2
	v_cmp_ne_u32_e64 s8, 0, v4
	v_cmp_eq_u32_e64 s12, 3, v6
	s_bcnt1_i32_b32 s7, s7
	v_cmp_ne_u32_e64 s9, 0, v5
	s_bcnt1_i32_b32 s6, s6
	s_bcnt1_i32_b32 s8, s8
	s_add_i32 s6, s7, s6
	v_cmp_eq_u32_e64 s13, 3, v7
	s_bcnt1_i32_b32 s9, s9
	s_add_i32 s6, s6, s8
	v_add_nc_u32_e32 v19, v19, v12
	s_add_i32 s6, s6, s9
	s_delay_alu instid0(SALU_CYCLE_1) | instskip(SKIP_2) | instid1(SALU_CYCLE_1)
	s_add_u32 s66, s66, s6
	s_addc_u32 s67, s67, 0
	s_and_b32 s6, s4, s10
	v_cndmask_b32_e64 v2, 0, 1, s6
	s_and_b32 s6, s14, s18
	s_delay_alu instid0(SALU_CYCLE_1) | instskip(SKIP_1) | instid1(SALU_CYCLE_1)
	v_cndmask_b32_e64 v3, 0, 1, s6
	s_and_b32 s6, s5, s11
	v_cndmask_b32_e64 v4, 0, 1, s6
	s_and_b32 s6, s15, s19
	s_delay_alu instid0(VALU_DEP_2) | instskip(SKIP_3) | instid1(VALU_DEP_4)
	v_cmp_ne_u32_e64 s7, 0, v3
	v_cndmask_b32_e64 v5, 0, 1, s6
	v_cmp_ne_u32_e64 s6, 0, v2
	v_cmp_ne_u32_e64 s8, 0, v4
	s_bcnt1_i32_b32 s7, s7
	s_delay_alu instid0(VALU_DEP_3) | instskip(NEXT) | instid1(VALU_DEP_3)
	v_cmp_ne_u32_e64 s9, 0, v5
	s_bcnt1_i32_b32 s6, s6
	s_delay_alu instid0(VALU_DEP_2) | instskip(SKIP_1) | instid1(VALU_DEP_1)
	s_bcnt1_i32_b32 s8, s8
	s_add_i32 s6, s7, s6
	s_bcnt1_i32_b32 s9, s9
	s_add_i32 s6, s6, s8
	s_delay_alu instid0(SALU_CYCLE_1) | instskip(NEXT) | instid1(SALU_CYCLE_1)
	s_add_i32 s6, s6, s9
	s_add_u32 s64, s64, s6
	s_addc_u32 s65, s65, 0
	s_and_b32 s4, s4, s12
	v_mov_b32_e32 v6, s64
	v_cndmask_b32_e64 v2, 0, 1, s4
	s_and_b32 s4, s14, s20
	v_mov_b32_e32 v7, s65
	v_cndmask_b32_e64 v3, 0, 1, s4
	s_and_b32 s4, s5, s13
	s_delay_alu instid0(SALU_CYCLE_1) | instskip(SKIP_1) | instid1(VALU_DEP_2)
	v_cndmask_b32_e64 v4, 0, 1, s4
	s_and_b32 s4, s15, s21
	v_cmp_ne_u32_e64 s5, 0, v3
	v_cndmask_b32_e64 v5, 0, 1, s4
	v_cmp_ne_u32_e64 s4, 0, v2
	v_mov_b32_e32 v2, s68
	v_cmp_ne_u32_e64 s6, 0, v4
	s_bcnt1_i32_b32 s5, s5
	v_cmp_ne_u32_e64 s7, 0, v5
	s_bcnt1_i32_b32 s4, s4
	v_mov_b32_e32 v4, s66
	s_bcnt1_i32_b32 s6, s6
	s_add_i32 s4, s5, s4
	s_bcnt1_i32_b32 s5, s7
	s_add_i32 s4, s4, s6
	v_mov_b32_e32 v3, s69
	s_add_i32 s4, s4, s5
	v_mov_b32_e32 v5, s67
	s_add_u32 s62, s62, s4
	s_addc_u32 s63, s63, 0
	s_delay_alu instid0(SALU_CYCLE_1) | instskip(SKIP_1) | instid1(SALU_CYCLE_1)
	v_dual_mov_b32 v8, s62 :: v_dual_mov_b32 v9, s63
	s_or_b32 s93, vcc_lo, s93
	s_and_not1_b32 exec_lo, exec_lo, s93
	s_cbranch_execnz .LBB141_77
; %bb.78:                               ;   in Loop: Header=BB141_27 Depth=1
	s_or_b32 exec_lo, exec_lo, s93
.LBB141_79:                             ;   in Loop: Header=BB141_27 Depth=1
	s_delay_alu instid0(SALU_CYCLE_1) | instskip(SKIP_2) | instid1(VALU_DEP_1)
	s_or_b32 exec_lo, exec_lo, s61
	v_add_nc_u32_e32 v12, s54, v0
	s_mov_b32 s9, exec_lo
	v_cmpx_gt_u32_e64 s60, v12
	s_cbranch_execz .LBB141_83
; %bb.80:                               ;   in Loop: Header=BB141_27 Depth=1
	v_mov_b32_e32 v17, v13
	v_dual_mov_b32 v16, v12 :: v_dual_lshlrev_b32 v19, 1, v12
	v_lshlrev_b32_e32 v29, 1, v18
	s_mov_b32 s11, 0
	s_and_b32 s10, s60, 0x7fffffff
	s_and_b32 s13, s85, 0xfe
	s_mov_b32 s12, s11
.LBB141_81:                             ;   Parent Loop BB141_27 Depth=1
                                        ; =>  This Inner Loop Header: Depth=2
	ds_load_u16 v12, v19
	v_add_co_u32 v16, vcc_lo, v16, v18
	v_add_co_ci_u32_e32 v17, vcc_lo, 0, v17, vcc_lo
	v_add_nc_u32_e32 v19, v19, v29
	s_delay_alu instid0(VALU_DEP_2) | instskip(SKIP_4) | instid1(VALU_DEP_3)
	v_cmp_le_u64_e32 vcc_lo, s[10:11], v[16:17]
	s_waitcnt lgkmcnt(0)
	v_cmp_lt_i16_e64 s4, -1, v12
	v_and_b32_e32 v30, 0xffff, v12
	v_lshlrev_b32_e32 v12, 16, v12
	v_cndmask_b32_e64 v31, 0xffff, v27, s4
	s_delay_alu instid0(VALU_DEP_2) | instskip(NEXT) | instid1(VALU_DEP_2)
	v_cmp_o_f32_e64 s4, v12, v12
	v_xor_b32_e32 v30, v31, v30
	s_delay_alu instid0(VALU_DEP_1) | instskip(NEXT) | instid1(VALU_DEP_1)
	v_cndmask_b32_e64 v12, 0xffff, v30, s4
	v_and_b32_e32 v30, s91, v12
	v_bfe_u32 v12, v12, s13, 2
	s_delay_alu instid0(VALU_DEP_2) | instskip(NEXT) | instid1(VALU_DEP_2)
	v_cmp_eq_u32_e64 s4, s90, v30
	v_cmp_eq_u32_e64 s5, 0, v12
	;; [unrolled: 1-line block ×5, first 2 shown]
	s_delay_alu instid0(VALU_DEP_4) | instskip(NEXT) | instid1(SALU_CYCLE_1)
	s_and_b32 s5, s4, s5
	v_cndmask_b32_e64 v12, 0, 1, s5
	s_and_b32 s5, s4, s6
	s_delay_alu instid0(SALU_CYCLE_1)
	v_cndmask_b32_e64 v30, 0, 1, s5
	s_and_b32 s5, s4, s7
	s_and_b32 s4, s4, s8
	v_cndmask_b32_e64 v31, 0, 1, s5
	v_cndmask_b32_e64 v32, 0, 1, s4
	v_cmp_ne_u32_e64 s4, 0, v12
	v_cmp_ne_u32_e64 s5, 0, v30
	s_delay_alu instid0(VALU_DEP_4) | instskip(NEXT) | instid1(VALU_DEP_4)
	v_cmp_ne_u32_e64 s6, 0, v31
	v_cmp_ne_u32_e64 s7, 0, v32
	s_delay_alu instid0(VALU_DEP_4) | instskip(NEXT) | instid1(VALU_DEP_3)
	s_bcnt1_i32_b32 s4, s4
	s_bcnt1_i32_b32 s5, s5
	v_add_co_u32 v2, s4, v2, s4
	s_delay_alu instid0(VALU_DEP_1)
	v_add_co_ci_u32_e64 v3, s4, 0, v3, s4
	v_add_co_u32 v4, s4, v4, s5
	s_bcnt1_i32_b32 s6, s6
	v_add_co_ci_u32_e64 v5, s4, 0, v5, s4
	v_add_co_u32 v6, s4, v6, s6
	s_bcnt1_i32_b32 s7, s7
	v_add_co_ci_u32_e64 v7, s4, 0, v7, s4
	v_add_co_u32 v8, s4, v8, s7
	s_delay_alu instid0(VALU_DEP_1) | instskip(SKIP_1) | instid1(SALU_CYCLE_1)
	v_add_co_ci_u32_e64 v9, s4, 0, v9, s4
	s_or_b32 s12, vcc_lo, s12
	s_and_not1_b32 exec_lo, exec_lo, s12
	s_cbranch_execnz .LBB141_81
; %bb.82:                               ;   in Loop: Header=BB141_27 Depth=1
	s_or_b32 exec_lo, exec_lo, s12
.LBB141_83:                             ;   in Loop: Header=BB141_27 Depth=1
	s_delay_alu instid0(SALU_CYCLE_1)
	s_or_b32 exec_lo, exec_lo, s9
.LBB141_84:                             ;   in Loop: Header=BB141_27 Depth=1
	s_lshl_b32 s4, s88, 7
	s_and_saveexec_b32 s5, s1
	s_cbranch_execz .LBB141_86
; %bb.85:                               ;   in Loop: Header=BB141_27 Depth=1
	v_or_b32_e32 v12, s4, v23
	s_delay_alu instid0(VALU_DEP_1)
	v_lshlrev_b32_e32 v12, 3, v12
	ds_store_b128 v12, v[2:5] offset:3072
	ds_store_b128 v12, v[6:9] offset:3088
.LBB141_86:                             ;   in Loop: Header=BB141_27 Depth=1
	s_or_b32 exec_lo, exec_lo, s5
	s_waitcnt vmcnt(0) lgkmcnt(0)
	s_barrier
	buffer_gl0_inv
	s_and_saveexec_b32 s5, s70
	s_cbranch_execz .LBB141_97
; %bb.87:                               ;   in Loop: Header=BB141_27 Depth=1
	v_mov_b32_e32 v2, 0
	v_mov_b32_e32 v3, 0
	s_and_not1_b32 vcc_lo, exec_lo, s77
	s_cbranch_vccnz .LBB141_96
; %bb.88:                               ;   in Loop: Header=BB141_27 Depth=1
	v_mov_b32_e32 v2, 0
	v_mov_b32_e32 v3, 0
	s_and_not1_b32 vcc_lo, exec_lo, s75
	s_cbranch_vccnz .LBB141_93
; %bb.89:                               ;   in Loop: Header=BB141_27 Depth=1
	v_lshl_add_u32 v4, s88, 10, v26
	s_mov_b32 s6, 0
	s_set_inst_prefetch_distance 0x1
	.p2align	6
.LBB141_90:                             ;   Parent Loop BB141_27 Depth=1
                                        ; =>  This Inner Loop Header: Depth=2
	ds_load_2addr_b64 v[5:8], v4 offset1:4
	ds_load_2addr_b64 v[16:19], v4 offset0:8 offset1:12
	ds_load_2addr_b64 v[29:32], v4 offset0:16 offset1:20
	s_add_i32 s6, s6, 8
	s_delay_alu instid0(SALU_CYCLE_1) | instskip(SKIP_3) | instid1(VALU_DEP_2)
	s_cmp_eq_u32 s76, s6
	s_waitcnt lgkmcnt(2)
	v_add_co_u32 v2, vcc_lo, v5, v2
	v_add_co_ci_u32_e32 v3, vcc_lo, v6, v3, vcc_lo
	v_add_co_u32 v2, vcc_lo, v7, v2
	s_delay_alu instid0(VALU_DEP_2)
	v_add_co_ci_u32_e32 v3, vcc_lo, v8, v3, vcc_lo
	ds_load_2addr_b64 v[5:8], v4 offset0:24 offset1:28
	s_waitcnt lgkmcnt(2)
	v_add_co_u32 v2, vcc_lo, v16, v2
	v_add_co_ci_u32_e32 v3, vcc_lo, v17, v3, vcc_lo
	v_add_nc_u32_e32 v4, 0x100, v4
	s_delay_alu instid0(VALU_DEP_3) | instskip(NEXT) | instid1(VALU_DEP_3)
	v_add_co_u32 v2, vcc_lo, v18, v2
	v_add_co_ci_u32_e32 v3, vcc_lo, v19, v3, vcc_lo
	s_waitcnt lgkmcnt(1)
	s_delay_alu instid0(VALU_DEP_2) | instskip(NEXT) | instid1(VALU_DEP_2)
	v_add_co_u32 v2, vcc_lo, v29, v2
	v_add_co_ci_u32_e32 v3, vcc_lo, v30, v3, vcc_lo
	s_delay_alu instid0(VALU_DEP_2) | instskip(NEXT) | instid1(VALU_DEP_2)
	v_add_co_u32 v2, vcc_lo, v31, v2
	v_add_co_ci_u32_e32 v3, vcc_lo, v32, v3, vcc_lo
	s_waitcnt lgkmcnt(0)
	s_delay_alu instid0(VALU_DEP_2) | instskip(NEXT) | instid1(VALU_DEP_2)
	v_add_co_u32 v2, vcc_lo, v5, v2
	v_add_co_ci_u32_e32 v3, vcc_lo, v6, v3, vcc_lo
	s_delay_alu instid0(VALU_DEP_2) | instskip(NEXT) | instid1(VALU_DEP_2)
	v_add_co_u32 v2, vcc_lo, v7, v2
	v_add_co_ci_u32_e32 v3, vcc_lo, v8, v3, vcc_lo
	s_cbranch_scc0 .LBB141_90
; %bb.91:                               ;   in Loop: Header=BB141_27 Depth=1
	s_set_inst_prefetch_distance 0x2
	s_mov_b32 s6, s76
	s_and_not1_b32 vcc_lo, exec_lo, s78
	s_cbranch_vccz .LBB141_94
	s_branch .LBB141_96
.LBB141_92:                             ;   in Loop: Header=BB141_27 Depth=1
                                        ; implicit-def: $vgpr2_vgpr3
	s_branch .LBB141_60
.LBB141_93:                             ;   in Loop: Header=BB141_27 Depth=1
	s_mov_b32 s6, 0
	s_and_not1_b32 vcc_lo, exec_lo, s78
	s_cbranch_vccnz .LBB141_96
.LBB141_94:                             ;   in Loop: Header=BB141_27 Depth=1
	s_lshl_b32 s7, s88, 10
	s_lshl_b32 s6, s6, 5
	s_delay_alu instid0(SALU_CYCLE_1)
	v_add3_u32 v4, s7, s6, v26
	s_mov_b32 s6, s74
.LBB141_95:                             ;   Parent Loop BB141_27 Depth=1
                                        ; =>  This Inner Loop Header: Depth=2
	ds_load_b64 v[5:6], v4
	v_add_nc_u32_e32 v4, 32, v4
	s_add_i32 s6, s6, -1
	s_delay_alu instid0(SALU_CYCLE_1)
	s_cmp_lg_u32 s6, 0
	s_waitcnt lgkmcnt(0)
	v_add_co_u32 v2, vcc_lo, v5, v2
	v_add_co_ci_u32_e32 v3, vcc_lo, v6, v3, vcc_lo
	s_cbranch_scc1 .LBB141_95
.LBB141_96:                             ;   in Loop: Header=BB141_27 Depth=1
	v_add_lshl_u32 v4, s4, v20, 3
	ds_store_b64 v4, v[2:3] offset:3072
.LBB141_97:                             ;   in Loop: Header=BB141_27 Depth=1
	s_or_b32 exec_lo, exec_lo, s5
	s_lshl_b32 s4, s4, 3
	s_waitcnt lgkmcnt(0)
	v_mov_b32_e32 v6, s4
	s_barrier
	buffer_gl0_inv
	s_and_b32 s17, s85, 0xfe
	s_mov_b32 s19, -1
	ds_load_b128 v[2:5], v6 offset:3072
	ds_load_b128 v[6:9], v6 offset:3088
	s_lshl_b32 s16, 3, s17
	s_delay_alu instid0(SALU_CYCLE_1)
	s_not_b32 s18, s16
	s_waitcnt lgkmcnt(1)
	v_readfirstlane_b32 s13, v3
	v_readfirstlane_b32 s12, v2
	;; [unrolled: 1-line block ×4, first 2 shown]
	s_waitcnt lgkmcnt(0)
	v_readfirstlane_b32 s8, v6
	v_readfirstlane_b32 s9, v7
	s_cmp_eq_u64 s[12:13], 1
	v_readfirstlane_b32 s6, v8
	s_cselect_b32 s4, -1, 0
	s_cmp_eq_u64 s[52:53], 1
	v_readfirstlane_b32 s7, v9
	s_cselect_b32 s5, -1, 0
	s_delay_alu instid0(SALU_CYCLE_1) | instskip(NEXT) | instid1(SALU_CYCLE_1)
	s_and_b32 s20, s4, s5
	s_and_b32 vcc_lo, exec_lo, s20
	s_cbranch_vccz .LBB141_112
; %bb.98:                               ;   in Loop: Header=BB141_27 Depth=1
	ds_load_b64 v[2:3], v13 offset:5120
	s_waitcnt lgkmcnt(0)
	s_barrier
	buffer_gl0_inv
	v_readfirstlane_b32 s14, v2
	v_readfirstlane_b32 s15, v3
	s_and_saveexec_b32 s4, s0
	s_cbranch_execz .LBB141_100
; %bb.99:                               ;   in Loop: Header=BB141_27 Depth=1
	ds_store_b16 v22, v13
.LBB141_100:                            ;   in Loop: Header=BB141_27 Depth=1
	s_or_b32 exec_lo, exec_lo, s4
	s_and_b32 s90, s90, s18
	s_or_b32 s91, s91, s16
	s_cmp_eq_u64 s[14:15], 0
	s_waitcnt lgkmcnt(0)
	s_barrier
	buffer_gl0_inv
	s_cbranch_scc1 .LBB141_113
; %bb.101:                              ;   in Loop: Header=BB141_27 Depth=1
	s_add_u32 s21, s71, s14
	s_addc_u32 s5, s72, s15
	s_mov_b32 s4, s55
	s_delay_alu instid0(SALU_CYCLE_1)
	s_cmp_lg_u64 s[4:5], 0
	s_cbranch_scc0 .LBB141_158
; %bb.102:                              ;   in Loop: Header=BB141_27 Depth=1
	v_cvt_f32_u32_e32 v2, s41
	s_sub_u32 s23, 0, s41
	s_subb_u32 s54, 0, 0
	s_delay_alu instid0(VALU_DEP_1) | instskip(NEXT) | instid1(VALU_DEP_1)
	v_fmac_f32_e64 v2, 0, 0x4f800000
	v_rcp_f32_e32 v2, v2
	s_waitcnt_depctr 0xfff
	v_mul_f32_e32 v2, 0x5f7ffffc, v2
	s_delay_alu instid0(VALU_DEP_1) | instskip(NEXT) | instid1(VALU_DEP_1)
	v_mul_f32_e32 v3, 0x2f800000, v2
	v_trunc_f32_e32 v3, v3
	s_delay_alu instid0(VALU_DEP_1) | instskip(SKIP_1) | instid1(VALU_DEP_2)
	v_fmac_f32_e32 v2, 0xcf800000, v3
	v_cvt_u32_f32_e32 v3, v3
	v_cvt_u32_f32_e32 v2, v2
	s_delay_alu instid0(VALU_DEP_2) | instskip(NEXT) | instid1(VALU_DEP_2)
	v_readfirstlane_b32 s4, v3
	v_readfirstlane_b32 s22, v2
	s_delay_alu instid0(VALU_DEP_2) | instskip(NEXT) | instid1(VALU_DEP_1)
	s_mul_i32 s56, s23, s4
	s_mul_hi_u32 s61, s23, s22
	s_mul_i32 s60, s54, s22
	s_add_i32 s56, s61, s56
	s_mul_i32 s62, s23, s22
	s_add_i32 s56, s56, s60
	s_mul_hi_u32 s61, s22, s62
	s_mul_hi_u32 s63, s4, s62
	s_mul_i32 s60, s4, s62
	s_mul_hi_u32 s62, s22, s56
	s_mul_i32 s22, s22, s56
	s_mul_hi_u32 s64, s4, s56
	s_add_u32 s22, s61, s22
	s_addc_u32 s61, 0, s62
	s_add_u32 s22, s22, s60
	s_mul_i32 s56, s4, s56
	s_addc_u32 s22, s61, s63
	s_addc_u32 s60, s64, 0
	s_add_u32 s22, s22, s56
	s_addc_u32 s56, 0, s60
	v_add_co_u32 v2, s22, v2, s22
	s_delay_alu instid0(VALU_DEP_1) | instskip(SKIP_1) | instid1(VALU_DEP_1)
	s_cmp_lg_u32 s22, 0
	s_addc_u32 s4, s4, s56
	v_readfirstlane_b32 s22, v2
	s_mul_i32 s56, s23, s4
	s_delay_alu instid0(VALU_DEP_1)
	s_mul_hi_u32 s60, s23, s22
	s_mul_i32 s54, s54, s22
	s_add_i32 s56, s60, s56
	s_mul_i32 s23, s23, s22
	s_add_i32 s56, s56, s54
	s_mul_hi_u32 s60, s4, s23
	s_mul_i32 s61, s4, s23
	s_mul_hi_u32 s23, s22, s23
	s_mul_hi_u32 s62, s22, s56
	s_mul_i32 s22, s22, s56
	s_mul_hi_u32 s54, s4, s56
	s_add_u32 s22, s23, s22
	s_addc_u32 s23, 0, s62
	s_add_u32 s22, s22, s61
	s_mul_i32 s56, s4, s56
	s_addc_u32 s22, s23, s60
	s_addc_u32 s23, s54, 0
	s_add_u32 s22, s22, s56
	s_addc_u32 s23, 0, s23
	v_add_co_u32 v2, s22, v2, s22
	s_delay_alu instid0(VALU_DEP_1) | instskip(SKIP_1) | instid1(VALU_DEP_1)
	s_cmp_lg_u32 s22, 0
	s_addc_u32 s4, s4, s23
	v_readfirstlane_b32 s22, v2
	s_mul_i32 s54, s21, s4
	s_mul_hi_u32 s23, s21, s4
	s_mul_hi_u32 s56, s5, s4
	s_mul_i32 s4, s5, s4
	s_mul_hi_u32 s60, s21, s22
	s_mul_hi_u32 s61, s5, s22
	s_mul_i32 s22, s5, s22
	s_add_u32 s54, s60, s54
	s_addc_u32 s23, 0, s23
	s_add_u32 s22, s54, s22
	s_addc_u32 s22, s23, s61
	s_addc_u32 s23, s56, 0
	s_add_u32 s4, s22, s4
	s_addc_u32 s22, 0, s23
	s_mul_hi_u32 s23, s41, s4
	s_mul_i32 s4, s41, s4
	s_mul_i32 s22, s41, s22
	v_sub_co_u32 v2, s4, s21, s4
	s_add_i32 s23, s23, s22
	s_cmp_lg_u32 s4, 0
	s_delay_alu instid0(VALU_DEP_1) | instskip(SKIP_2) | instid1(VALU_DEP_1)
	v_sub_co_u32 v3, s4, v2, s41
	s_subb_u32 s22, s5, s23
	s_cmp_lg_u32 s4, 0
	v_cmp_le_u32_e32 vcc_lo, s41, v3
	v_sub_co_u32 v4, s4, v3, s41
	s_subb_u32 s23, s22, 0
	s_cmp_lg_u32 s4, 0
	v_cndmask_b32_e64 v5, 0, -1, vcc_lo
	s_subb_u32 s4, s23, 0
	s_cmp_eq_u32 s23, 0
	v_mov_b32_e32 v7, s4
	s_cselect_b32 vcc_lo, -1, 0
	s_cmp_eq_u32 s22, 0
	v_cndmask_b32_e32 v5, -1, v5, vcc_lo
	v_cmp_le_u32_e32 vcc_lo, s41, v2
	s_cselect_b32 s4, -1, 0
	v_cndmask_b32_e64 v6, 0, -1, vcc_lo
	s_delay_alu instid0(VALU_DEP_3) | instskip(NEXT) | instid1(VALU_DEP_2)
	v_cmp_ne_u32_e32 vcc_lo, 0, v5
	v_cndmask_b32_e64 v5, -1, v6, s4
	v_cndmask_b32_e32 v6, s23, v7, vcc_lo
	v_cndmask_b32_e32 v4, v3, v4, vcc_lo
	s_delay_alu instid0(VALU_DEP_3) | instskip(NEXT) | instid1(VALU_DEP_3)
	v_cmp_ne_u32_e32 vcc_lo, 0, v5
	v_cndmask_b32_e32 v3, s22, v6, vcc_lo
	s_delay_alu instid0(VALU_DEP_3)
	v_cndmask_b32_e32 v2, v2, v4, vcc_lo
	s_cbranch_execnz .LBB141_104
.LBB141_103:                            ;   in Loop: Header=BB141_27 Depth=1
	v_cvt_f32_u32_e32 v2, s41
	s_sub_i32 s4, 0, s41
	s_delay_alu instid0(VALU_DEP_1) | instskip(SKIP_2) | instid1(VALU_DEP_1)
	v_rcp_iflag_f32_e32 v2, v2
	s_waitcnt_depctr 0xfff
	v_mul_f32_e32 v2, 0x4f7ffffe, v2
	v_cvt_u32_f32_e32 v2, v2
	s_delay_alu instid0(VALU_DEP_1) | instskip(NEXT) | instid1(VALU_DEP_1)
	v_mul_lo_u32 v3, s4, v2
	v_mul_hi_u32 v3, v2, v3
	s_delay_alu instid0(VALU_DEP_1) | instskip(NEXT) | instid1(VALU_DEP_1)
	v_add_nc_u32_e32 v2, v2, v3
	v_mul_hi_u32 v2, s21, v2
	s_delay_alu instid0(VALU_DEP_1) | instskip(NEXT) | instid1(VALU_DEP_1)
	v_mul_lo_u32 v2, v2, s41
	v_sub_nc_u32_e32 v2, s21, v2
	s_delay_alu instid0(VALU_DEP_1) | instskip(SKIP_1) | instid1(VALU_DEP_2)
	v_subrev_nc_u32_e32 v3, s41, v2
	v_cmp_le_u32_e32 vcc_lo, s41, v2
	v_cndmask_b32_e32 v2, v2, v3, vcc_lo
	s_delay_alu instid0(VALU_DEP_1) | instskip(SKIP_1) | instid1(VALU_DEP_2)
	v_subrev_nc_u32_e32 v3, s41, v2
	v_cmp_le_u32_e32 vcc_lo, s41, v2
	v_cndmask_b32_e32 v12, v2, v3, vcc_lo
	s_delay_alu instid0(VALU_DEP_1)
	v_dual_mov_b32 v2, v12 :: v_dual_mov_b32 v3, v13
.LBB141_104:                            ;   in Loop: Header=BB141_27 Depth=1
	s_delay_alu instid0(VALU_DEP_1) | instskip(NEXT) | instid1(VALU_DEP_2)
	v_sub_co_u32 v2, vcc_lo, s21, v2
	v_sub_co_ci_u32_e32 v3, vcc_lo, s5, v3, vcc_lo
	s_mov_b32 s4, 0
	s_mov_b32 s5, exec_lo
                                        ; implicit-def: $vgpr28
	s_delay_alu instid0(VALU_DEP_1)
	v_cmpx_gt_u64_e64 v[2:3], v[0:1]
	s_cbranch_execz .LBB141_115
; %bb.105:                              ;   in Loop: Header=BB141_27 Depth=1
	v_mov_b32_e32 v6, v21
	v_dual_mov_b32 v5, v1 :: v_dual_mov_b32 v4, v0
	s_mov_b32 s21, 0
                                        ; implicit-def: $sgpr22
	s_branch .LBB141_107
.LBB141_106:                            ;   in Loop: Header=BB141_107 Depth=2
	s_or_b32 exec_lo, exec_lo, s4
	s_waitcnt lgkmcnt(0)
	s_barrier
	buffer_gl0_inv
	ds_load_b32 v7, v13 offset:3072
	v_add_co_u32 v4, vcc_lo, v4, s41
	v_add_co_ci_u32_e32 v5, vcc_lo, 0, v5, vcc_lo
	v_add_nc_u32_e32 v6, s79, v6
	s_waitcnt lgkmcnt(0)
	s_barrier
	s_delay_alu instid0(VALU_DEP_2) | instskip(SKIP_2) | instid1(VALU_DEP_1)
	v_cmp_ge_u64_e32 vcc_lo, v[4:5], v[2:3]
	buffer_gl0_inv
	v_and_b32_e32 v8, 0x7fff, v7
	v_cmp_ne_u16_e64 s4, 0, v8
	s_delay_alu instid0(VALU_DEP_1) | instskip(NEXT) | instid1(SALU_CYCLE_1)
	s_or_b32 s23, vcc_lo, s4
	s_and_b32 s23, exec_lo, s23
	s_delay_alu instid0(SALU_CYCLE_1) | instskip(SKIP_2) | instid1(SALU_CYCLE_1)
	s_or_b32 s21, s23, s21
	s_and_not1_b32 s22, s22, exec_lo
	s_and_b32 s4, s4, exec_lo
	s_or_b32 s22, s22, s4
	s_and_not1_b32 exec_lo, exec_lo, s21
	s_cbranch_execz .LBB141_114
.LBB141_107:                            ;   Parent Loop BB141_27 Depth=1
                                        ; =>  This Inner Loop Header: Depth=2
	s_delay_alu instid0(VALU_DEP_1)
	v_cmp_gt_u64_e32 vcc_lo, s[14:15], v[4:5]
	v_mov_b32_e32 v7, 0
	s_and_saveexec_b32 s4, vcc_lo
	s_cbranch_execz .LBB141_109
; %bb.108:                              ;   in Loop: Header=BB141_107 Depth=2
	ds_load_u16 v7, v6
.LBB141_109:                            ;   in Loop: Header=BB141_107 Depth=2
	s_or_b32 exec_lo, exec_lo, s4
	s_and_saveexec_b32 s4, vcc_lo
	s_cbranch_execz .LBB141_106
; %bb.110:                              ;   in Loop: Header=BB141_107 Depth=2
	s_waitcnt lgkmcnt(0)
	v_cmp_lt_i16_e32 vcc_lo, -1, v7
	v_and_b32_e32 v8, 0xffff, v7
	v_lshlrev_b32_e32 v12, 16, v7
	v_cndmask_b32_e32 v9, 0xffff, v27, vcc_lo
	s_delay_alu instid0(VALU_DEP_2) | instskip(NEXT) | instid1(VALU_DEP_2)
	v_cmp_o_f32_e32 vcc_lo, v12, v12
	v_xor_b32_e32 v8, v9, v8
	s_delay_alu instid0(VALU_DEP_1) | instskip(NEXT) | instid1(VALU_DEP_1)
	v_cndmask_b32_e32 v8, 0xffff, v8, vcc_lo
	v_and_b32_e32 v8, s91, v8
	s_delay_alu instid0(VALU_DEP_1)
	v_cmp_eq_u32_e32 vcc_lo, s90, v8
	s_and_b32 exec_lo, exec_lo, vcc_lo
	s_cbranch_execz .LBB141_106
; %bb.111:                              ;   in Loop: Header=BB141_107 Depth=2
	v_perm_b32 v7, v7, s80, 0x5040100
	ds_store_b32 v13, v7 offset:3072
	s_branch .LBB141_106
.LBB141_112:                            ;   in Loop: Header=BB141_27 Depth=1
	s_mov_b32 s4, -1
                                        ; implicit-def: $sgpr5
                                        ; implicit-def: $sgpr15
                                        ; implicit-def: $sgpr14
	s_branch .LBB141_129
.LBB141_113:                            ;   in Loop: Header=BB141_27 Depth=1
	s_mov_b32 s5, -1
	s_mov_b32 s4, 0
                                        ; implicit-def: $sgpr14
                                        ; implicit-def: $vgpr28
	s_mov_b32 s15, s5
	s_cbranch_execnz .LBB141_116
	s_branch .LBB141_129
.LBB141_114:                            ;   in Loop: Header=BB141_27 Depth=1
	s_or_b32 exec_lo, exec_lo, s21
	v_lshrrev_b32_e32 v28, 16, v7
	s_and_b32 s4, s22, exec_lo
.LBB141_115:                            ;   in Loop: Header=BB141_27 Depth=1
	s_or_b32 exec_lo, exec_lo, s5
	s_mov_b32 s14, -1
	s_mov_b32 s5, 0
	s_delay_alu instid0(SALU_CYCLE_1)
	s_mov_b32 s15, s5
	s_branch .LBB141_129
.LBB141_116:                            ;   in Loop: Header=BB141_27 Depth=1
	s_mov_b32 s56, s55
	s_delay_alu instid0(SALU_CYCLE_1)
	s_cmp_lg_u64 s[56:57], 0
	s_cbranch_scc0 .LBB141_159
; %bb.117:                              ;   in Loop: Header=BB141_27 Depth=1
	v_cvt_f32_u32_e32 v2, s41
	s_sub_u32 s14, 0, s41
	s_subb_u32 s15, 0, 0
	s_delay_alu instid0(VALU_DEP_1) | instskip(NEXT) | instid1(VALU_DEP_1)
	v_fmac_f32_e64 v2, 0, 0x4f800000
	v_rcp_f32_e32 v2, v2
	s_waitcnt_depctr 0xfff
	v_mul_f32_e32 v2, 0x5f7ffffc, v2
	s_delay_alu instid0(VALU_DEP_1) | instskip(NEXT) | instid1(VALU_DEP_1)
	v_mul_f32_e32 v3, 0x2f800000, v2
	v_trunc_f32_e32 v3, v3
	s_delay_alu instid0(VALU_DEP_1) | instskip(SKIP_1) | instid1(VALU_DEP_2)
	v_fmac_f32_e32 v2, 0xcf800000, v3
	v_cvt_u32_f32_e32 v3, v3
	v_cvt_u32_f32_e32 v2, v2
	s_delay_alu instid0(VALU_DEP_2) | instskip(NEXT) | instid1(VALU_DEP_2)
	v_readfirstlane_b32 s4, v3
	v_readfirstlane_b32 s5, v2
	s_delay_alu instid0(VALU_DEP_2) | instskip(NEXT) | instid1(VALU_DEP_1)
	s_mul_i32 s21, s14, s4
	s_mul_hi_u32 s23, s14, s5
	s_mul_i32 s22, s15, s5
	s_add_i32 s21, s23, s21
	s_mul_i32 s54, s14, s5
	s_add_i32 s21, s21, s22
	s_mul_hi_u32 s23, s5, s54
	s_mul_hi_u32 s56, s4, s54
	s_mul_i32 s22, s4, s54
	s_mul_hi_u32 s54, s5, s21
	s_mul_i32 s5, s5, s21
	s_mul_hi_u32 s60, s4, s21
	s_add_u32 s5, s23, s5
	s_addc_u32 s23, 0, s54
	s_add_u32 s5, s5, s22
	s_mul_i32 s21, s4, s21
	s_addc_u32 s5, s23, s56
	s_addc_u32 s22, s60, 0
	s_add_u32 s5, s5, s21
	s_addc_u32 s21, 0, s22
	v_add_co_u32 v2, s5, v2, s5
	s_delay_alu instid0(VALU_DEP_1) | instskip(SKIP_1) | instid1(VALU_DEP_1)
	s_cmp_lg_u32 s5, 0
	s_addc_u32 s4, s4, s21
	v_readfirstlane_b32 s5, v2
	s_mul_i32 s21, s14, s4
	s_delay_alu instid0(VALU_DEP_1)
	s_mul_hi_u32 s22, s14, s5
	s_mul_i32 s15, s15, s5
	s_add_i32 s21, s22, s21
	s_mul_i32 s14, s14, s5
	s_add_i32 s21, s21, s15
	s_mul_hi_u32 s22, s4, s14
	s_mul_i32 s23, s4, s14
	s_mul_hi_u32 s14, s5, s14
	s_mul_hi_u32 s54, s5, s21
	s_mul_i32 s5, s5, s21
	s_mul_hi_u32 s15, s4, s21
	s_add_u32 s5, s14, s5
	s_addc_u32 s14, 0, s54
	s_add_u32 s5, s5, s23
	s_mul_i32 s21, s4, s21
	s_addc_u32 s5, s14, s22
	s_addc_u32 s14, s15, 0
	s_add_u32 s5, s5, s21
	s_addc_u32 s14, 0, s14
	v_add_co_u32 v2, s5, v2, s5
	s_delay_alu instid0(VALU_DEP_1) | instskip(SKIP_1) | instid1(VALU_DEP_1)
	s_cmp_lg_u32 s5, 0
	s_addc_u32 s4, s4, s14
	v_readfirstlane_b32 s5, v2
	s_mul_i32 s15, s73, s4
	s_mul_hi_u32 s14, s73, s4
	s_mul_hi_u32 s21, s57, s4
	s_mul_i32 s4, s57, s4
	s_mul_hi_u32 s22, s73, s5
	s_mul_hi_u32 s23, s57, s5
	s_mul_i32 s5, s57, s5
	s_add_u32 s15, s22, s15
	s_addc_u32 s14, 0, s14
	s_add_u32 s5, s15, s5
	s_addc_u32 s5, s14, s23
	s_addc_u32 s14, s21, 0
	s_add_u32 s4, s5, s4
	s_addc_u32 s5, 0, s14
	s_mul_hi_u32 s14, s41, s4
	s_mul_i32 s4, s41, s4
	s_mul_i32 s5, s41, s5
	v_sub_co_u32 v2, s4, s73, s4
	s_add_i32 s14, s14, s5
	s_cmp_lg_u32 s4, 0
	s_delay_alu instid0(VALU_DEP_1) | instskip(SKIP_2) | instid1(VALU_DEP_1)
	v_sub_co_u32 v3, s4, v2, s41
	s_subb_u32 s5, s57, s14
	s_cmp_lg_u32 s4, 0
	v_cmp_le_u32_e32 vcc_lo, s41, v3
	v_sub_co_u32 v4, s4, v3, s41
	s_subb_u32 s14, s5, 0
	s_cmp_lg_u32 s4, 0
	v_cndmask_b32_e64 v5, 0, -1, vcc_lo
	s_subb_u32 s4, s14, 0
	s_cmp_eq_u32 s14, 0
	v_mov_b32_e32 v7, s4
	s_cselect_b32 vcc_lo, -1, 0
	s_cmp_eq_u32 s5, 0
	v_cndmask_b32_e32 v5, -1, v5, vcc_lo
	v_cmp_le_u32_e32 vcc_lo, s41, v2
	s_cselect_b32 s4, -1, 0
	v_cndmask_b32_e64 v6, 0, -1, vcc_lo
	s_delay_alu instid0(VALU_DEP_3) | instskip(NEXT) | instid1(VALU_DEP_2)
	v_cmp_ne_u32_e32 vcc_lo, 0, v5
	v_cndmask_b32_e64 v5, -1, v6, s4
	v_cndmask_b32_e32 v6, s14, v7, vcc_lo
	v_cndmask_b32_e32 v4, v3, v4, vcc_lo
	s_delay_alu instid0(VALU_DEP_3) | instskip(NEXT) | instid1(VALU_DEP_3)
	v_cmp_ne_u32_e32 vcc_lo, 0, v5
	v_cndmask_b32_e32 v3, s5, v6, vcc_lo
	s_delay_alu instid0(VALU_DEP_3)
	v_cndmask_b32_e32 v2, v2, v4, vcc_lo
	s_cbranch_execnz .LBB141_119
.LBB141_118:                            ;   in Loop: Header=BB141_27 Depth=1
	v_cvt_f32_u32_e32 v2, s41
	s_sub_i32 s4, 0, s41
	s_delay_alu instid0(VALU_DEP_1) | instskip(SKIP_2) | instid1(VALU_DEP_1)
	v_rcp_iflag_f32_e32 v2, v2
	s_waitcnt_depctr 0xfff
	v_mul_f32_e32 v2, 0x4f7ffffe, v2
	v_cvt_u32_f32_e32 v2, v2
	s_delay_alu instid0(VALU_DEP_1) | instskip(NEXT) | instid1(VALU_DEP_1)
	v_mul_lo_u32 v3, s4, v2
	v_mul_hi_u32 v3, v2, v3
	s_delay_alu instid0(VALU_DEP_1) | instskip(NEXT) | instid1(VALU_DEP_1)
	v_add_nc_u32_e32 v2, v2, v3
	v_mul_hi_u32 v2, s73, v2
	s_delay_alu instid0(VALU_DEP_1) | instskip(NEXT) | instid1(VALU_DEP_1)
	v_mul_lo_u32 v2, v2, s41
	v_sub_nc_u32_e32 v2, s73, v2
	s_delay_alu instid0(VALU_DEP_1) | instskip(SKIP_1) | instid1(VALU_DEP_2)
	v_subrev_nc_u32_e32 v3, s41, v2
	v_cmp_le_u32_e32 vcc_lo, s41, v2
	v_cndmask_b32_e32 v2, v2, v3, vcc_lo
	s_delay_alu instid0(VALU_DEP_1) | instskip(SKIP_1) | instid1(VALU_DEP_2)
	v_subrev_nc_u32_e32 v3, s41, v2
	v_cmp_le_u32_e32 vcc_lo, s41, v2
	v_cndmask_b32_e32 v12, v2, v3, vcc_lo
	s_delay_alu instid0(VALU_DEP_1)
	v_dual_mov_b32 v2, v12 :: v_dual_mov_b32 v3, v13
.LBB141_119:                            ;   in Loop: Header=BB141_27 Depth=1
	s_delay_alu instid0(VALU_DEP_1) | instskip(NEXT) | instid1(VALU_DEP_2)
	v_sub_co_u32 v2, vcc_lo, s73, v2
	v_sub_co_ci_u32_e32 v3, vcc_lo, s57, v3, vcc_lo
	s_mov_b32 s4, 0
	s_mov_b32 s5, exec_lo
                                        ; implicit-def: $vgpr28
	s_delay_alu instid0(VALU_DEP_1)
	v_cmpx_gt_u64_e64 v[2:3], v[0:1]
	s_cbranch_execz .LBB141_128
; %bb.120:                              ;   in Loop: Header=BB141_27 Depth=1
	v_dual_mov_b32 v5, v1 :: v_dual_mov_b32 v4, v0
	s_mov_b32 s14, 0
                                        ; implicit-def: $sgpr15
	s_branch .LBB141_122
.LBB141_121:                            ;   in Loop: Header=BB141_122 Depth=2
	s_or_b32 exec_lo, exec_lo, s4
	s_waitcnt vmcnt(0) lgkmcnt(0)
	s_barrier
	buffer_gl0_inv
	ds_load_b32 v6, v13 offset:3072
	v_add_co_u32 v4, vcc_lo, v4, s41
	v_add_co_ci_u32_e32 v5, vcc_lo, 0, v5, vcc_lo
	s_waitcnt lgkmcnt(0)
	s_barrier
	buffer_gl0_inv
	v_cmp_ge_u64_e32 vcc_lo, v[4:5], v[2:3]
	v_and_b32_e32 v7, 0x7fff, v6
	s_delay_alu instid0(VALU_DEP_1) | instskip(NEXT) | instid1(VALU_DEP_1)
	v_cmp_ne_u16_e64 s4, 0, v7
	s_or_b32 s21, vcc_lo, s4
	s_delay_alu instid0(SALU_CYCLE_1) | instskip(NEXT) | instid1(SALU_CYCLE_1)
	s_and_b32 s21, exec_lo, s21
	s_or_b32 s14, s21, s14
	s_and_not1_b32 s15, s15, exec_lo
	s_and_b32 s4, s4, exec_lo
	s_delay_alu instid0(SALU_CYCLE_1)
	s_or_b32 s15, s15, s4
	s_and_not1_b32 exec_lo, exec_lo, s14
	s_cbranch_execz .LBB141_127
.LBB141_122:                            ;   Parent Loop BB141_27 Depth=1
                                        ; =>  This Inner Loop Header: Depth=2
	s_delay_alu instid0(VALU_DEP_1)
	v_cmp_gt_u64_e32 vcc_lo, s[24:25], v[4:5]
	v_mov_b32_e32 v6, 0
	s_and_saveexec_b32 s21, vcc_lo
	s_cbranch_execz .LBB141_124
; %bb.123:                              ;   in Loop: Header=BB141_122 Depth=2
	v_mul_lo_u32 v8, v5, s42
	v_mul_lo_u32 v9, v4, s43
	v_mad_u64_u32 v[6:7], null, v4, s42, 0
	s_delay_alu instid0(VALU_DEP_1) | instskip(NEXT) | instid1(VALU_DEP_1)
	v_add3_u32 v7, v7, v9, v8
	v_lshlrev_b64 v[6:7], 1, v[6:7]
	s_delay_alu instid0(VALU_DEP_1) | instskip(NEXT) | instid1(VALU_DEP_1)
	v_add_co_u32 v6, s4, s33, v6
	v_add_co_ci_u32_e64 v7, s4, s35, v7, s4
	global_load_u16 v6, v[6:7], off
.LBB141_124:                            ;   in Loop: Header=BB141_122 Depth=2
	s_or_b32 exec_lo, exec_lo, s21
	s_and_saveexec_b32 s4, vcc_lo
	s_cbranch_execz .LBB141_121
; %bb.125:                              ;   in Loop: Header=BB141_122 Depth=2
	s_waitcnt vmcnt(0)
	v_cmp_lt_i16_e32 vcc_lo, -1, v6
	v_and_b32_e32 v7, 0xffff, v6
	v_dual_cndmask_b32 v8, 0xffff, v27 :: v_dual_lshlrev_b32 v9, 16, v6
	s_delay_alu instid0(VALU_DEP_1) | instskip(NEXT) | instid1(VALU_DEP_2)
	v_cmp_o_f32_e32 vcc_lo, v9, v9
	v_xor_b32_e32 v7, v8, v7
	s_delay_alu instid0(VALU_DEP_1) | instskip(NEXT) | instid1(VALU_DEP_1)
	v_cndmask_b32_e32 v7, 0xffff, v7, vcc_lo
	v_and_b32_e32 v7, s91, v7
	s_delay_alu instid0(VALU_DEP_1)
	v_cmp_eq_u32_e32 vcc_lo, s90, v7
	s_and_b32 exec_lo, exec_lo, vcc_lo
	s_cbranch_execz .LBB141_121
; %bb.126:                              ;   in Loop: Header=BB141_122 Depth=2
	v_perm_b32 v6, v6, s80, 0x5040100
	ds_store_b32 v13, v6 offset:3072
	s_branch .LBB141_121
.LBB141_127:                            ;   in Loop: Header=BB141_27 Depth=1
	s_or_b32 exec_lo, exec_lo, s14
	v_lshrrev_b32_e32 v28, 16, v6
	s_and_b32 s4, s15, exec_lo
.LBB141_128:                            ;   in Loop: Header=BB141_27 Depth=1
	s_or_b32 exec_lo, exec_lo, s5
	s_mov_b32 s15, -1
	s_mov_b32 s5, 0
	s_mov_b32 s14, 0
.LBB141_129:                            ;   in Loop: Header=BB141_27 Depth=1
	s_and_not1_b32 s21, s86, exec_lo
	s_and_b32 s5, s5, exec_lo
	s_and_b32 s15, s15, exec_lo
	s_or_b32 s86, s21, s5
	s_and_not1_b32 s5, s89, exec_lo
	s_and_not1_b32 s21, s87, exec_lo
	s_and_b32 s14, s14, exec_lo
	s_or_b32 s89, s5, s15
	s_or_b32 s87, s21, s14
	s_and_saveexec_b32 s14, s4
	s_cbranch_execz .LBB141_26
; %bb.130:                              ;   in Loop: Header=BB141_27 Depth=1
	s_xor_b32 s4, s20, -1
	s_mov_b32 s54, 1
	s_and_not1_b32 vcc_lo, exec_lo, s4
	s_cbranch_vccnz .LBB141_141
; %bb.131:                              ;   in Loop: Header=BB141_27 Depth=1
	v_cmp_gt_u64_e64 s4, s[52:53], s[12:13]
                                        ; implicit-def: $sgpr54
                                        ; implicit-def: $sgpr5
                                        ; implicit-def: $sgpr15
	s_delay_alu instid0(VALU_DEP_1)
	s_and_b32 vcc_lo, exec_lo, s4
	s_mov_b32 s4, -1
	s_cbranch_vccnz .LBB141_137
; %bb.132:                              ;   in Loop: Header=BB141_27 Depth=1
	ds_load_b64 v[2:3], v13 offset:5120
	s_waitcnt lgkmcnt(0)
	v_cmp_ne_u64_e32 vcc_lo, 0, v[2:3]
	s_cbranch_vccnz .LBB141_136
; %bb.133:                              ;   in Loop: Header=BB141_27 Depth=1
	s_and_saveexec_b32 s4, s3
	s_cbranch_execz .LBB141_135
; %bb.134:                              ;   in Loop: Header=BB141_27 Depth=1
	v_dual_mov_b32 v2, s12 :: v_dual_mov_b32 v3, s13
	ds_store_b64 v13, v[2:3] offset:5128
.LBB141_135:                            ;   in Loop: Header=BB141_27 Depth=1
	s_or_b32 exec_lo, exec_lo, s4
	s_waitcnt lgkmcnt(0)
	s_barrier
	buffer_gl0_inv
.LBB141_136:                            ;   in Loop: Header=BB141_27 Depth=1
	s_and_b32 s5, s90, s18
	s_or_b32 s15, s91, s16
	s_mov_b32 s4, 0
	s_mov_b32 s54, 8
.LBB141_137:                            ;   in Loop: Header=BB141_27 Depth=1
	s_and_not1_b32 vcc_lo, exec_lo, s4
	s_cbranch_vccnz .LBB141_139
; %bb.138:                              ;   in Loop: Header=BB141_27 Depth=1
	s_sub_u32 s52, s52, s12
	s_subb_u32 s53, s53, s13
	s_mov_b32 s4, -1
	s_mov_b32 s54, 0
	s_mov_b32 s5, s90
	s_mov_b32 s15, s91
.LBB141_139:                            ;   in Loop: Header=BB141_27 Depth=1
	s_delay_alu instid0(SALU_CYCLE_1)
	s_mov_b32 s91, s15
	s_mov_b32 s90, s5
	s_and_b32 vcc_lo, exec_lo, s4
	s_mov_b32 s15, -1
	s_cbranch_vccnz .LBB141_142
.LBB141_140:                            ;   in Loop: Header=BB141_27 Depth=1
	s_mov_b32 s5, -1
                                        ; implicit-def: $sgpr12
                                        ; implicit-def: $sgpr19
                                        ; implicit-def: $sgpr13
	s_delay_alu instid0(SALU_CYCLE_1) | instskip(NEXT) | instid1(SALU_CYCLE_1)
	s_and_saveexec_b32 s4, s5
	s_xor_b32 s4, exec_lo, s4
	s_cbranch_execz .LBB141_25
	s_branch .LBB141_288
.LBB141_141:                            ;   in Loop: Header=BB141_27 Depth=1
	s_mov_b64 s[52:53], 1
	s_mov_b32 s15, -1
	s_branch .LBB141_140
.LBB141_142:                            ;   in Loop: Header=BB141_27 Depth=1
	s_cmp_eq_u64 s[10:11], 1
	s_cselect_b32 s4, -1, 0
	s_cmp_eq_u64 s[52:53], 1
	s_cselect_b32 s5, -1, 0
	s_delay_alu instid0(SALU_CYCLE_1)
	s_and_b32 s21, s4, s5
	s_mov_b32 s4, -1
	s_and_b32 vcc_lo, exec_lo, s21
	s_cbranch_vccz .LBB141_157
; %bb.143:                              ;   in Loop: Header=BB141_27 Depth=1
	ds_load_b64 v[2:3], v13 offset:5120
	s_waitcnt lgkmcnt(0)
	s_barrier
	buffer_gl0_inv
	v_readfirstlane_b32 s12, v2
	v_readfirstlane_b32 s13, v3
	s_and_saveexec_b32 s4, s0
	s_cbranch_execz .LBB141_145
; %bb.144:                              ;   in Loop: Header=BB141_27 Depth=1
	ds_store_b16 v22, v13
.LBB141_145:                            ;   in Loop: Header=BB141_27 Depth=1
	s_or_b32 exec_lo, exec_lo, s4
	s_lshl_b32 s4, 1, s17
	s_and_b32 s5, s90, s18
	s_or_b32 s91, s91, s16
	s_or_b32 s90, s5, s4
	s_cmp_eq_u64 s[12:13], 0
	s_waitcnt lgkmcnt(0)
	s_barrier
	buffer_gl0_inv
	s_cbranch_scc1 .LBB141_160
; %bb.146:                              ;   in Loop: Header=BB141_27 Depth=1
	s_add_u32 s19, s71, s12
	s_addc_u32 s5, s72, s13
	s_mov_b32 s4, s55
	s_delay_alu instid0(SALU_CYCLE_1)
	s_cmp_lg_u64 s[4:5], 0
	s_cbranch_scc0 .LBB141_205
; %bb.147:                              ;   in Loop: Header=BB141_27 Depth=1
	v_cvt_f32_u32_e32 v2, s41
	s_sub_u32 s22, 0, s41
	s_subb_u32 s23, 0, 0
	s_delay_alu instid0(VALU_DEP_1) | instskip(NEXT) | instid1(VALU_DEP_1)
	v_fmac_f32_e64 v2, 0, 0x4f800000
	v_rcp_f32_e32 v2, v2
	s_waitcnt_depctr 0xfff
	v_mul_f32_e32 v2, 0x5f7ffffc, v2
	s_delay_alu instid0(VALU_DEP_1) | instskip(NEXT) | instid1(VALU_DEP_1)
	v_mul_f32_e32 v3, 0x2f800000, v2
	v_trunc_f32_e32 v3, v3
	s_delay_alu instid0(VALU_DEP_1) | instskip(SKIP_1) | instid1(VALU_DEP_2)
	v_fmac_f32_e32 v2, 0xcf800000, v3
	v_cvt_u32_f32_e32 v3, v3
	v_cvt_u32_f32_e32 v2, v2
	s_delay_alu instid0(VALU_DEP_2) | instskip(NEXT) | instid1(VALU_DEP_2)
	v_readfirstlane_b32 s4, v3
	v_readfirstlane_b32 s20, v2
	s_delay_alu instid0(VALU_DEP_2) | instskip(NEXT) | instid1(VALU_DEP_1)
	s_mul_i32 s54, s22, s4
	s_mul_hi_u32 s60, s22, s20
	s_mul_i32 s56, s23, s20
	s_add_i32 s54, s60, s54
	s_mul_i32 s61, s22, s20
	s_add_i32 s54, s54, s56
	s_mul_hi_u32 s60, s20, s61
	s_mul_hi_u32 s62, s4, s61
	s_mul_i32 s56, s4, s61
	s_mul_hi_u32 s61, s20, s54
	s_mul_i32 s20, s20, s54
	s_mul_hi_u32 s63, s4, s54
	s_add_u32 s20, s60, s20
	s_addc_u32 s60, 0, s61
	s_add_u32 s20, s20, s56
	s_mul_i32 s54, s4, s54
	s_addc_u32 s20, s60, s62
	s_addc_u32 s56, s63, 0
	s_add_u32 s20, s20, s54
	s_addc_u32 s54, 0, s56
	v_add_co_u32 v2, s20, v2, s20
	s_delay_alu instid0(VALU_DEP_1) | instskip(SKIP_1) | instid1(VALU_DEP_1)
	s_cmp_lg_u32 s20, 0
	s_addc_u32 s4, s4, s54
	v_readfirstlane_b32 s20, v2
	s_mul_i32 s54, s22, s4
	s_delay_alu instid0(VALU_DEP_1)
	s_mul_hi_u32 s56, s22, s20
	s_mul_i32 s23, s23, s20
	s_add_i32 s54, s56, s54
	s_mul_i32 s22, s22, s20
	s_add_i32 s54, s54, s23
	s_mul_hi_u32 s56, s4, s22
	s_mul_i32 s60, s4, s22
	s_mul_hi_u32 s22, s20, s22
	s_mul_hi_u32 s61, s20, s54
	s_mul_i32 s20, s20, s54
	s_mul_hi_u32 s23, s4, s54
	s_add_u32 s20, s22, s20
	s_addc_u32 s22, 0, s61
	s_add_u32 s20, s20, s60
	s_mul_i32 s54, s4, s54
	s_addc_u32 s20, s22, s56
	s_addc_u32 s22, s23, 0
	s_add_u32 s20, s20, s54
	s_addc_u32 s22, 0, s22
	v_add_co_u32 v2, s20, v2, s20
	s_delay_alu instid0(VALU_DEP_1) | instskip(SKIP_1) | instid1(VALU_DEP_1)
	s_cmp_lg_u32 s20, 0
	s_addc_u32 s4, s4, s22
	v_readfirstlane_b32 s20, v2
	s_mul_i32 s23, s19, s4
	s_mul_hi_u32 s22, s19, s4
	s_mul_hi_u32 s54, s5, s4
	s_mul_i32 s4, s5, s4
	s_mul_hi_u32 s56, s19, s20
	s_mul_hi_u32 s60, s5, s20
	s_mul_i32 s20, s5, s20
	s_add_u32 s23, s56, s23
	s_addc_u32 s22, 0, s22
	s_add_u32 s20, s23, s20
	s_addc_u32 s20, s22, s60
	s_addc_u32 s22, s54, 0
	s_add_u32 s4, s20, s4
	s_addc_u32 s20, 0, s22
	s_mul_hi_u32 s22, s41, s4
	s_mul_i32 s4, s41, s4
	s_mul_i32 s20, s41, s20
	v_sub_co_u32 v2, s4, s19, s4
	s_add_i32 s22, s22, s20
	s_cmp_lg_u32 s4, 0
	s_delay_alu instid0(VALU_DEP_1) | instskip(SKIP_2) | instid1(VALU_DEP_1)
	v_sub_co_u32 v3, s4, v2, s41
	s_subb_u32 s20, s5, s22
	s_cmp_lg_u32 s4, 0
	v_cmp_le_u32_e32 vcc_lo, s41, v3
	v_sub_co_u32 v4, s4, v3, s41
	s_subb_u32 s22, s20, 0
	s_cmp_lg_u32 s4, 0
	v_cndmask_b32_e64 v5, 0, -1, vcc_lo
	s_subb_u32 s4, s22, 0
	s_cmp_eq_u32 s22, 0
	v_mov_b32_e32 v7, s4
	s_cselect_b32 vcc_lo, -1, 0
	s_cmp_eq_u32 s20, 0
	v_cndmask_b32_e32 v5, -1, v5, vcc_lo
	v_cmp_le_u32_e32 vcc_lo, s41, v2
	s_cselect_b32 s4, -1, 0
	v_cndmask_b32_e64 v6, 0, -1, vcc_lo
	s_delay_alu instid0(VALU_DEP_3) | instskip(NEXT) | instid1(VALU_DEP_2)
	v_cmp_ne_u32_e32 vcc_lo, 0, v5
	v_cndmask_b32_e64 v5, -1, v6, s4
	v_cndmask_b32_e32 v6, s22, v7, vcc_lo
	v_cndmask_b32_e32 v4, v3, v4, vcc_lo
	s_delay_alu instid0(VALU_DEP_3) | instskip(NEXT) | instid1(VALU_DEP_3)
	v_cmp_ne_u32_e32 vcc_lo, 0, v5
	v_cndmask_b32_e32 v3, s20, v6, vcc_lo
	s_delay_alu instid0(VALU_DEP_3)
	v_cndmask_b32_e32 v2, v2, v4, vcc_lo
	s_cbranch_execnz .LBB141_149
.LBB141_148:                            ;   in Loop: Header=BB141_27 Depth=1
	v_cvt_f32_u32_e32 v2, s41
	s_sub_i32 s4, 0, s41
	s_delay_alu instid0(VALU_DEP_1) | instskip(SKIP_2) | instid1(VALU_DEP_1)
	v_rcp_iflag_f32_e32 v2, v2
	s_waitcnt_depctr 0xfff
	v_mul_f32_e32 v2, 0x4f7ffffe, v2
	v_cvt_u32_f32_e32 v2, v2
	s_delay_alu instid0(VALU_DEP_1) | instskip(NEXT) | instid1(VALU_DEP_1)
	v_mul_lo_u32 v3, s4, v2
	v_mul_hi_u32 v3, v2, v3
	s_delay_alu instid0(VALU_DEP_1) | instskip(NEXT) | instid1(VALU_DEP_1)
	v_add_nc_u32_e32 v2, v2, v3
	v_mul_hi_u32 v2, s19, v2
	s_delay_alu instid0(VALU_DEP_1) | instskip(NEXT) | instid1(VALU_DEP_1)
	v_mul_lo_u32 v2, v2, s41
	v_sub_nc_u32_e32 v2, s19, v2
	s_delay_alu instid0(VALU_DEP_1) | instskip(SKIP_1) | instid1(VALU_DEP_2)
	v_subrev_nc_u32_e32 v3, s41, v2
	v_cmp_le_u32_e32 vcc_lo, s41, v2
	v_cndmask_b32_e32 v2, v2, v3, vcc_lo
	s_delay_alu instid0(VALU_DEP_1) | instskip(SKIP_1) | instid1(VALU_DEP_2)
	v_subrev_nc_u32_e32 v3, s41, v2
	v_cmp_le_u32_e32 vcc_lo, s41, v2
	v_cndmask_b32_e32 v12, v2, v3, vcc_lo
	s_delay_alu instid0(VALU_DEP_1)
	v_dual_mov_b32 v2, v12 :: v_dual_mov_b32 v3, v13
.LBB141_149:                            ;   in Loop: Header=BB141_27 Depth=1
	s_delay_alu instid0(VALU_DEP_1) | instskip(NEXT) | instid1(VALU_DEP_2)
	v_sub_co_u32 v2, vcc_lo, s19, v2
	v_sub_co_ci_u32_e32 v3, vcc_lo, s5, v3, vcc_lo
	s_mov_b32 s4, 0
	s_mov_b32 s5, exec_lo
                                        ; implicit-def: $vgpr28
	s_delay_alu instid0(VALU_DEP_1)
	v_cmpx_gt_u64_e64 v[2:3], v[0:1]
	s_cbranch_execz .LBB141_162
; %bb.150:                              ;   in Loop: Header=BB141_27 Depth=1
	v_mov_b32_e32 v6, v21
	v_dual_mov_b32 v5, v1 :: v_dual_mov_b32 v4, v0
	s_mov_b32 s19, 0
                                        ; implicit-def: $sgpr20
	s_branch .LBB141_152
.LBB141_151:                            ;   in Loop: Header=BB141_152 Depth=2
	s_or_b32 exec_lo, exec_lo, s4
	s_waitcnt lgkmcnt(0)
	s_barrier
	buffer_gl0_inv
	ds_load_b32 v7, v13 offset:3072
	v_add_co_u32 v4, vcc_lo, v4, s41
	v_add_co_ci_u32_e32 v5, vcc_lo, 0, v5, vcc_lo
	v_add_nc_u32_e32 v6, s79, v6
	s_waitcnt lgkmcnt(0)
	s_barrier
	s_delay_alu instid0(VALU_DEP_2) | instskip(SKIP_2) | instid1(VALU_DEP_1)
	v_cmp_ge_u64_e32 vcc_lo, v[4:5], v[2:3]
	buffer_gl0_inv
	v_and_b32_e32 v8, 0x7fff, v7
	v_cmp_ne_u16_e64 s4, 0, v8
	s_delay_alu instid0(VALU_DEP_1) | instskip(NEXT) | instid1(SALU_CYCLE_1)
	s_or_b32 s22, vcc_lo, s4
	s_and_b32 s22, exec_lo, s22
	s_delay_alu instid0(SALU_CYCLE_1) | instskip(SKIP_2) | instid1(SALU_CYCLE_1)
	s_or_b32 s19, s22, s19
	s_and_not1_b32 s20, s20, exec_lo
	s_and_b32 s4, s4, exec_lo
	s_or_b32 s20, s20, s4
	s_and_not1_b32 exec_lo, exec_lo, s19
	s_cbranch_execz .LBB141_161
.LBB141_152:                            ;   Parent Loop BB141_27 Depth=1
                                        ; =>  This Inner Loop Header: Depth=2
	s_delay_alu instid0(VALU_DEP_1)
	v_cmp_gt_u64_e32 vcc_lo, s[12:13], v[4:5]
	v_mov_b32_e32 v7, 0
	s_and_saveexec_b32 s4, vcc_lo
	s_cbranch_execz .LBB141_154
; %bb.153:                              ;   in Loop: Header=BB141_152 Depth=2
	ds_load_u16 v7, v6
.LBB141_154:                            ;   in Loop: Header=BB141_152 Depth=2
	s_or_b32 exec_lo, exec_lo, s4
	s_and_saveexec_b32 s4, vcc_lo
	s_cbranch_execz .LBB141_151
; %bb.155:                              ;   in Loop: Header=BB141_152 Depth=2
	s_waitcnt lgkmcnt(0)
	v_cmp_lt_i16_e32 vcc_lo, -1, v7
	v_and_b32_e32 v8, 0xffff, v7
	v_lshlrev_b32_e32 v12, 16, v7
	v_cndmask_b32_e32 v9, 0xffff, v27, vcc_lo
	s_delay_alu instid0(VALU_DEP_2) | instskip(NEXT) | instid1(VALU_DEP_2)
	v_cmp_o_f32_e32 vcc_lo, v12, v12
	v_xor_b32_e32 v8, v9, v8
	s_delay_alu instid0(VALU_DEP_1) | instskip(NEXT) | instid1(VALU_DEP_1)
	v_cndmask_b32_e32 v8, 0xffff, v8, vcc_lo
	v_and_b32_e32 v8, s91, v8
	s_delay_alu instid0(VALU_DEP_1)
	v_cmp_eq_u32_e32 vcc_lo, s90, v8
	s_and_b32 exec_lo, exec_lo, vcc_lo
	s_cbranch_execz .LBB141_151
; %bb.156:                              ;   in Loop: Header=BB141_152 Depth=2
	v_perm_b32 v7, v7, s80, 0x5040100
	ds_store_b32 v13, v7 offset:3072
	s_branch .LBB141_151
.LBB141_157:                            ;   in Loop: Header=BB141_27 Depth=1
                                        ; implicit-def: $sgpr13
                                        ; implicit-def: $sgpr19
                                        ; implicit-def: $sgpr12
	s_branch .LBB141_176
.LBB141_158:                            ;   in Loop: Header=BB141_27 Depth=1
                                        ; implicit-def: $vgpr2_vgpr3
	s_branch .LBB141_103
.LBB141_159:                            ;   in Loop: Header=BB141_27 Depth=1
                                        ; implicit-def: $vgpr2_vgpr3
	s_branch .LBB141_118
.LBB141_160:                            ;   in Loop: Header=BB141_27 Depth=1
	s_mov_b32 s13, -1
	s_mov_b32 s4, 0
                                        ; implicit-def: $sgpr12
                                        ; implicit-def: $vgpr28
	s_mov_b32 s19, s13
	s_cbranch_execnz .LBB141_163
	s_branch .LBB141_176
.LBB141_161:                            ;   in Loop: Header=BB141_27 Depth=1
	s_or_b32 exec_lo, exec_lo, s19
	v_lshrrev_b32_e32 v28, 16, v7
	s_and_b32 s4, s20, exec_lo
.LBB141_162:                            ;   in Loop: Header=BB141_27 Depth=1
	s_or_b32 exec_lo, exec_lo, s5
	s_mov_b32 s12, -1
	s_mov_b32 s13, 0
	s_delay_alu instid0(SALU_CYCLE_1)
	s_mov_b32 s19, s13
	s_branch .LBB141_176
.LBB141_163:                            ;   in Loop: Header=BB141_27 Depth=1
	s_mov_b32 s56, s55
	s_delay_alu instid0(SALU_CYCLE_1)
	s_cmp_lg_u64 s[56:57], 0
	s_cbranch_scc0 .LBB141_206
; %bb.164:                              ;   in Loop: Header=BB141_27 Depth=1
	v_cvt_f32_u32_e32 v2, s41
	s_sub_u32 s12, 0, s41
	s_subb_u32 s13, 0, 0
	s_delay_alu instid0(VALU_DEP_1) | instskip(NEXT) | instid1(VALU_DEP_1)
	v_fmac_f32_e64 v2, 0, 0x4f800000
	v_rcp_f32_e32 v2, v2
	s_waitcnt_depctr 0xfff
	v_mul_f32_e32 v2, 0x5f7ffffc, v2
	s_delay_alu instid0(VALU_DEP_1) | instskip(NEXT) | instid1(VALU_DEP_1)
	v_mul_f32_e32 v3, 0x2f800000, v2
	v_trunc_f32_e32 v3, v3
	s_delay_alu instid0(VALU_DEP_1) | instskip(SKIP_1) | instid1(VALU_DEP_2)
	v_fmac_f32_e32 v2, 0xcf800000, v3
	v_cvt_u32_f32_e32 v3, v3
	v_cvt_u32_f32_e32 v2, v2
	s_delay_alu instid0(VALU_DEP_2) | instskip(NEXT) | instid1(VALU_DEP_2)
	v_readfirstlane_b32 s4, v3
	v_readfirstlane_b32 s5, v2
	s_delay_alu instid0(VALU_DEP_2) | instskip(NEXT) | instid1(VALU_DEP_1)
	s_mul_i32 s19, s12, s4
	s_mul_hi_u32 s22, s12, s5
	s_mul_i32 s20, s13, s5
	s_add_i32 s19, s22, s19
	s_mul_i32 s23, s12, s5
	s_add_i32 s19, s19, s20
	s_mul_hi_u32 s22, s5, s23
	s_mul_hi_u32 s54, s4, s23
	s_mul_i32 s20, s4, s23
	s_mul_hi_u32 s23, s5, s19
	s_mul_i32 s5, s5, s19
	s_mul_hi_u32 s56, s4, s19
	s_add_u32 s5, s22, s5
	s_addc_u32 s22, 0, s23
	s_add_u32 s5, s5, s20
	s_mul_i32 s19, s4, s19
	s_addc_u32 s5, s22, s54
	s_addc_u32 s20, s56, 0
	s_add_u32 s5, s5, s19
	s_addc_u32 s19, 0, s20
	v_add_co_u32 v2, s5, v2, s5
	s_delay_alu instid0(VALU_DEP_1) | instskip(SKIP_1) | instid1(VALU_DEP_1)
	s_cmp_lg_u32 s5, 0
	s_addc_u32 s4, s4, s19
	v_readfirstlane_b32 s5, v2
	s_mul_i32 s19, s12, s4
	s_delay_alu instid0(VALU_DEP_1)
	s_mul_hi_u32 s20, s12, s5
	s_mul_i32 s13, s13, s5
	s_add_i32 s19, s20, s19
	s_mul_i32 s12, s12, s5
	s_add_i32 s19, s19, s13
	s_mul_hi_u32 s20, s4, s12
	s_mul_i32 s22, s4, s12
	s_mul_hi_u32 s12, s5, s12
	s_mul_hi_u32 s23, s5, s19
	s_mul_i32 s5, s5, s19
	s_mul_hi_u32 s13, s4, s19
	s_add_u32 s5, s12, s5
	s_addc_u32 s12, 0, s23
	s_add_u32 s5, s5, s22
	s_mul_i32 s19, s4, s19
	s_addc_u32 s5, s12, s20
	s_addc_u32 s12, s13, 0
	s_add_u32 s5, s5, s19
	s_addc_u32 s12, 0, s12
	v_add_co_u32 v2, s5, v2, s5
	s_delay_alu instid0(VALU_DEP_1) | instskip(SKIP_1) | instid1(VALU_DEP_1)
	s_cmp_lg_u32 s5, 0
	s_addc_u32 s4, s4, s12
	v_readfirstlane_b32 s5, v2
	s_mul_i32 s13, s73, s4
	s_mul_hi_u32 s12, s73, s4
	s_mul_hi_u32 s19, s57, s4
	s_mul_i32 s4, s57, s4
	s_mul_hi_u32 s20, s73, s5
	s_mul_hi_u32 s22, s57, s5
	s_mul_i32 s5, s57, s5
	s_add_u32 s13, s20, s13
	s_addc_u32 s12, 0, s12
	s_add_u32 s5, s13, s5
	s_addc_u32 s5, s12, s22
	s_addc_u32 s12, s19, 0
	s_add_u32 s4, s5, s4
	s_addc_u32 s5, 0, s12
	s_mul_hi_u32 s12, s41, s4
	s_mul_i32 s4, s41, s4
	s_mul_i32 s5, s41, s5
	v_sub_co_u32 v2, s4, s73, s4
	s_add_i32 s12, s12, s5
	s_cmp_lg_u32 s4, 0
	s_delay_alu instid0(VALU_DEP_1) | instskip(SKIP_2) | instid1(VALU_DEP_1)
	v_sub_co_u32 v3, s4, v2, s41
	s_subb_u32 s5, s57, s12
	s_cmp_lg_u32 s4, 0
	v_cmp_le_u32_e32 vcc_lo, s41, v3
	v_sub_co_u32 v4, s4, v3, s41
	s_subb_u32 s12, s5, 0
	s_cmp_lg_u32 s4, 0
	v_cndmask_b32_e64 v5, 0, -1, vcc_lo
	s_subb_u32 s4, s12, 0
	s_cmp_eq_u32 s12, 0
	v_mov_b32_e32 v7, s4
	s_cselect_b32 vcc_lo, -1, 0
	s_cmp_eq_u32 s5, 0
	v_cndmask_b32_e32 v5, -1, v5, vcc_lo
	v_cmp_le_u32_e32 vcc_lo, s41, v2
	s_cselect_b32 s4, -1, 0
	v_cndmask_b32_e64 v6, 0, -1, vcc_lo
	s_delay_alu instid0(VALU_DEP_3) | instskip(NEXT) | instid1(VALU_DEP_2)
	v_cmp_ne_u32_e32 vcc_lo, 0, v5
	v_cndmask_b32_e64 v5, -1, v6, s4
	v_cndmask_b32_e32 v6, s12, v7, vcc_lo
	v_cndmask_b32_e32 v4, v3, v4, vcc_lo
	s_delay_alu instid0(VALU_DEP_3) | instskip(NEXT) | instid1(VALU_DEP_3)
	v_cmp_ne_u32_e32 vcc_lo, 0, v5
	v_cndmask_b32_e32 v3, s5, v6, vcc_lo
	s_delay_alu instid0(VALU_DEP_3)
	v_cndmask_b32_e32 v2, v2, v4, vcc_lo
	s_cbranch_execnz .LBB141_166
.LBB141_165:                            ;   in Loop: Header=BB141_27 Depth=1
	v_cvt_f32_u32_e32 v2, s41
	s_sub_i32 s4, 0, s41
	s_delay_alu instid0(VALU_DEP_1) | instskip(SKIP_2) | instid1(VALU_DEP_1)
	v_rcp_iflag_f32_e32 v2, v2
	s_waitcnt_depctr 0xfff
	v_mul_f32_e32 v2, 0x4f7ffffe, v2
	v_cvt_u32_f32_e32 v2, v2
	s_delay_alu instid0(VALU_DEP_1) | instskip(NEXT) | instid1(VALU_DEP_1)
	v_mul_lo_u32 v3, s4, v2
	v_mul_hi_u32 v3, v2, v3
	s_delay_alu instid0(VALU_DEP_1) | instskip(NEXT) | instid1(VALU_DEP_1)
	v_add_nc_u32_e32 v2, v2, v3
	v_mul_hi_u32 v2, s73, v2
	s_delay_alu instid0(VALU_DEP_1) | instskip(NEXT) | instid1(VALU_DEP_1)
	v_mul_lo_u32 v2, v2, s41
	v_sub_nc_u32_e32 v2, s73, v2
	s_delay_alu instid0(VALU_DEP_1) | instskip(SKIP_1) | instid1(VALU_DEP_2)
	v_subrev_nc_u32_e32 v3, s41, v2
	v_cmp_le_u32_e32 vcc_lo, s41, v2
	v_cndmask_b32_e32 v2, v2, v3, vcc_lo
	s_delay_alu instid0(VALU_DEP_1) | instskip(SKIP_1) | instid1(VALU_DEP_2)
	v_subrev_nc_u32_e32 v3, s41, v2
	v_cmp_le_u32_e32 vcc_lo, s41, v2
	v_cndmask_b32_e32 v12, v2, v3, vcc_lo
	s_delay_alu instid0(VALU_DEP_1)
	v_dual_mov_b32 v2, v12 :: v_dual_mov_b32 v3, v13
.LBB141_166:                            ;   in Loop: Header=BB141_27 Depth=1
	s_delay_alu instid0(VALU_DEP_1) | instskip(NEXT) | instid1(VALU_DEP_2)
	v_sub_co_u32 v2, vcc_lo, s73, v2
	v_sub_co_ci_u32_e32 v3, vcc_lo, s57, v3, vcc_lo
	s_mov_b32 s4, 0
	s_mov_b32 s5, exec_lo
                                        ; implicit-def: $vgpr28
	s_delay_alu instid0(VALU_DEP_1)
	v_cmpx_gt_u64_e64 v[2:3], v[0:1]
	s_cbranch_execz .LBB141_175
; %bb.167:                              ;   in Loop: Header=BB141_27 Depth=1
	v_dual_mov_b32 v5, v1 :: v_dual_mov_b32 v4, v0
	s_mov_b32 s12, 0
                                        ; implicit-def: $sgpr13
	s_branch .LBB141_169
.LBB141_168:                            ;   in Loop: Header=BB141_169 Depth=2
	s_or_b32 exec_lo, exec_lo, s4
	s_waitcnt vmcnt(0) lgkmcnt(0)
	s_barrier
	buffer_gl0_inv
	ds_load_b32 v6, v13 offset:3072
	v_add_co_u32 v4, vcc_lo, v4, s41
	v_add_co_ci_u32_e32 v5, vcc_lo, 0, v5, vcc_lo
	s_waitcnt lgkmcnt(0)
	s_barrier
	buffer_gl0_inv
	v_cmp_ge_u64_e32 vcc_lo, v[4:5], v[2:3]
	v_and_b32_e32 v7, 0x7fff, v6
	s_delay_alu instid0(VALU_DEP_1) | instskip(NEXT) | instid1(VALU_DEP_1)
	v_cmp_ne_u16_e64 s4, 0, v7
	s_or_b32 s19, vcc_lo, s4
	s_delay_alu instid0(SALU_CYCLE_1) | instskip(NEXT) | instid1(SALU_CYCLE_1)
	s_and_b32 s19, exec_lo, s19
	s_or_b32 s12, s19, s12
	s_and_not1_b32 s13, s13, exec_lo
	s_and_b32 s4, s4, exec_lo
	s_delay_alu instid0(SALU_CYCLE_1)
	s_or_b32 s13, s13, s4
	s_and_not1_b32 exec_lo, exec_lo, s12
	s_cbranch_execz .LBB141_174
.LBB141_169:                            ;   Parent Loop BB141_27 Depth=1
                                        ; =>  This Inner Loop Header: Depth=2
	s_delay_alu instid0(VALU_DEP_1)
	v_cmp_gt_u64_e32 vcc_lo, s[24:25], v[4:5]
	v_mov_b32_e32 v6, 0
	s_and_saveexec_b32 s19, vcc_lo
	s_cbranch_execz .LBB141_171
; %bb.170:                              ;   in Loop: Header=BB141_169 Depth=2
	v_mul_lo_u32 v8, v5, s42
	v_mul_lo_u32 v9, v4, s43
	v_mad_u64_u32 v[6:7], null, v4, s42, 0
	s_delay_alu instid0(VALU_DEP_1) | instskip(NEXT) | instid1(VALU_DEP_1)
	v_add3_u32 v7, v7, v9, v8
	v_lshlrev_b64 v[6:7], 1, v[6:7]
	s_delay_alu instid0(VALU_DEP_1) | instskip(NEXT) | instid1(VALU_DEP_1)
	v_add_co_u32 v6, s4, s33, v6
	v_add_co_ci_u32_e64 v7, s4, s35, v7, s4
	global_load_u16 v6, v[6:7], off
.LBB141_171:                            ;   in Loop: Header=BB141_169 Depth=2
	s_or_b32 exec_lo, exec_lo, s19
	s_and_saveexec_b32 s4, vcc_lo
	s_cbranch_execz .LBB141_168
; %bb.172:                              ;   in Loop: Header=BB141_169 Depth=2
	s_waitcnt vmcnt(0)
	v_cmp_lt_i16_e32 vcc_lo, -1, v6
	v_and_b32_e32 v7, 0xffff, v6
	v_dual_cndmask_b32 v8, 0xffff, v27 :: v_dual_lshlrev_b32 v9, 16, v6
	s_delay_alu instid0(VALU_DEP_1) | instskip(NEXT) | instid1(VALU_DEP_2)
	v_cmp_o_f32_e32 vcc_lo, v9, v9
	v_xor_b32_e32 v7, v8, v7
	s_delay_alu instid0(VALU_DEP_1) | instskip(NEXT) | instid1(VALU_DEP_1)
	v_cndmask_b32_e32 v7, 0xffff, v7, vcc_lo
	v_and_b32_e32 v7, s91, v7
	s_delay_alu instid0(VALU_DEP_1)
	v_cmp_eq_u32_e32 vcc_lo, s90, v7
	s_and_b32 exec_lo, exec_lo, vcc_lo
	s_cbranch_execz .LBB141_168
; %bb.173:                              ;   in Loop: Header=BB141_169 Depth=2
	v_perm_b32 v6, v6, s80, 0x5040100
	ds_store_b32 v13, v6 offset:3072
	s_branch .LBB141_168
.LBB141_174:                            ;   in Loop: Header=BB141_27 Depth=1
	s_or_b32 exec_lo, exec_lo, s12
	v_lshrrev_b32_e32 v28, 16, v6
	s_and_b32 s4, s13, exec_lo
.LBB141_175:                            ;   in Loop: Header=BB141_27 Depth=1
	s_or_b32 exec_lo, exec_lo, s5
	s_mov_b32 s19, -1
	s_mov_b32 s13, 0
	s_mov_b32 s12, 0
.LBB141_176:                            ;   in Loop: Header=BB141_27 Depth=1
	s_mov_b32 s5, 0
                                        ; implicit-def: $sgpr54
	s_and_saveexec_b32 s20, s4
	s_cbranch_execz .LBB141_287
; %bb.177:                              ;   in Loop: Header=BB141_27 Depth=1
	s_xor_b32 s4, s21, -1
	s_mov_b32 s54, 1
	s_and_not1_b32 vcc_lo, exec_lo, s4
	s_cbranch_vccnz .LBB141_188
; %bb.178:                              ;   in Loop: Header=BB141_27 Depth=1
	v_cmp_gt_u64_e64 s4, s[52:53], s[10:11]
                                        ; implicit-def: $sgpr54
                                        ; implicit-def: $sgpr5
                                        ; implicit-def: $sgpr21
	s_delay_alu instid0(VALU_DEP_1)
	s_and_b32 vcc_lo, exec_lo, s4
	s_mov_b32 s4, -1
	s_cbranch_vccnz .LBB141_184
; %bb.179:                              ;   in Loop: Header=BB141_27 Depth=1
	ds_load_b64 v[2:3], v13 offset:5120
	s_waitcnt lgkmcnt(0)
	v_cmp_ne_u64_e32 vcc_lo, 0, v[2:3]
	s_cbranch_vccnz .LBB141_183
; %bb.180:                              ;   in Loop: Header=BB141_27 Depth=1
	s_and_saveexec_b32 s4, s3
	s_cbranch_execz .LBB141_182
; %bb.181:                              ;   in Loop: Header=BB141_27 Depth=1
	v_dual_mov_b32 v2, s10 :: v_dual_mov_b32 v3, s11
	ds_store_b64 v13, v[2:3] offset:5128
.LBB141_182:                            ;   in Loop: Header=BB141_27 Depth=1
	s_or_b32 exec_lo, exec_lo, s4
	s_waitcnt lgkmcnt(0)
	s_barrier
	buffer_gl0_inv
.LBB141_183:                            ;   in Loop: Header=BB141_27 Depth=1
	s_lshl_b32 s4, 1, s17
	s_and_b32 s5, s90, s18
	s_or_b32 s21, s91, s16
	s_or_b32 s5, s5, s4
	s_mov_b32 s4, 0
	s_mov_b32 s54, 8
.LBB141_184:                            ;   in Loop: Header=BB141_27 Depth=1
	s_and_not1_b32 vcc_lo, exec_lo, s4
	s_cbranch_vccnz .LBB141_186
; %bb.185:                              ;   in Loop: Header=BB141_27 Depth=1
	s_sub_u32 s52, s52, s10
	s_subb_u32 s53, s53, s11
	s_mov_b32 s4, -1
	s_mov_b32 s54, 0
	s_mov_b32 s5, s90
	;; [unrolled: 1-line block ×3, first 2 shown]
.LBB141_186:                            ;   in Loop: Header=BB141_27 Depth=1
	s_delay_alu instid0(SALU_CYCLE_1)
	s_mov_b32 s91, s21
	s_mov_b32 s90, s5
	s_and_not1_b32 vcc_lo, exec_lo, s4
	s_mov_b32 s5, -1
	s_cbranch_vccz .LBB141_189
.LBB141_187:                            ;   in Loop: Header=BB141_27 Depth=1
                                        ; implicit-def: $sgpr11
                                        ; implicit-def: $sgpr21
                                        ; implicit-def: $sgpr10
	s_branch .LBB141_286
.LBB141_188:                            ;   in Loop: Header=BB141_27 Depth=1
	s_mov_b64 s[52:53], 1
	s_mov_b32 s5, -1
	s_cbranch_execnz .LBB141_187
.LBB141_189:                            ;   in Loop: Header=BB141_27 Depth=1
	s_cmp_eq_u64 s[8:9], 1
	s_cselect_b32 s4, -1, 0
	s_cmp_eq_u64 s[52:53], 1
	s_cselect_b32 s5, -1, 0
	s_delay_alu instid0(SALU_CYCLE_1)
	s_and_b32 s23, s4, s5
	s_mov_b32 s4, -1
	s_and_b32 vcc_lo, exec_lo, s23
	s_cbranch_vccz .LBB141_204
; %bb.190:                              ;   in Loop: Header=BB141_27 Depth=1
	ds_load_b64 v[2:3], v13 offset:5120
	s_waitcnt lgkmcnt(0)
	s_barrier
	buffer_gl0_inv
	v_readfirstlane_b32 s10, v2
	v_readfirstlane_b32 s11, v3
	s_and_saveexec_b32 s4, s0
	s_cbranch_execz .LBB141_192
; %bb.191:                              ;   in Loop: Header=BB141_27 Depth=1
	ds_store_b16 v22, v13
.LBB141_192:                            ;   in Loop: Header=BB141_27 Depth=1
	s_or_b32 exec_lo, exec_lo, s4
	s_lshl_b32 s4, 2, s17
	s_and_b32 s5, s90, s18
	s_or_b32 s91, s91, s16
	s_or_b32 s90, s5, s4
	s_cmp_eq_u64 s[10:11], 0
	s_waitcnt lgkmcnt(0)
	s_barrier
	buffer_gl0_inv
	s_cbranch_scc1 .LBB141_207
; %bb.193:                              ;   in Loop: Header=BB141_27 Depth=1
	s_add_u32 s21, s71, s10
	s_addc_u32 s5, s72, s11
	s_mov_b32 s4, s55
	s_delay_alu instid0(SALU_CYCLE_1)
	s_cmp_lg_u64 s[4:5], 0
	s_cbranch_scc0 .LBB141_252
; %bb.194:                              ;   in Loop: Header=BB141_27 Depth=1
	v_cvt_f32_u32_e32 v2, s41
	s_sub_u32 s54, 0, s41
	s_subb_u32 s56, 0, 0
	s_delay_alu instid0(VALU_DEP_1) | instskip(NEXT) | instid1(VALU_DEP_1)
	v_fmac_f32_e64 v2, 0, 0x4f800000
	v_rcp_f32_e32 v2, v2
	s_waitcnt_depctr 0xfff
	v_mul_f32_e32 v2, 0x5f7ffffc, v2
	s_delay_alu instid0(VALU_DEP_1) | instskip(NEXT) | instid1(VALU_DEP_1)
	v_mul_f32_e32 v3, 0x2f800000, v2
	v_trunc_f32_e32 v3, v3
	s_delay_alu instid0(VALU_DEP_1) | instskip(SKIP_1) | instid1(VALU_DEP_2)
	v_fmac_f32_e32 v2, 0xcf800000, v3
	v_cvt_u32_f32_e32 v3, v3
	v_cvt_u32_f32_e32 v2, v2
	s_delay_alu instid0(VALU_DEP_2) | instskip(NEXT) | instid1(VALU_DEP_2)
	v_readfirstlane_b32 s4, v3
	v_readfirstlane_b32 s22, v2
	s_delay_alu instid0(VALU_DEP_2) | instskip(NEXT) | instid1(VALU_DEP_1)
	s_mul_i32 s60, s54, s4
	s_mul_hi_u32 s62, s54, s22
	s_mul_i32 s61, s56, s22
	s_add_i32 s60, s62, s60
	s_mul_i32 s63, s54, s22
	s_add_i32 s60, s60, s61
	s_mul_hi_u32 s62, s22, s63
	s_mul_hi_u32 s64, s4, s63
	s_mul_i32 s61, s4, s63
	s_mul_hi_u32 s63, s22, s60
	s_mul_i32 s22, s22, s60
	s_mul_hi_u32 s65, s4, s60
	s_add_u32 s22, s62, s22
	s_addc_u32 s62, 0, s63
	s_add_u32 s22, s22, s61
	s_mul_i32 s60, s4, s60
	s_addc_u32 s22, s62, s64
	s_addc_u32 s61, s65, 0
	s_add_u32 s22, s22, s60
	s_addc_u32 s60, 0, s61
	v_add_co_u32 v2, s22, v2, s22
	s_delay_alu instid0(VALU_DEP_1) | instskip(SKIP_1) | instid1(VALU_DEP_1)
	s_cmp_lg_u32 s22, 0
	s_addc_u32 s4, s4, s60
	v_readfirstlane_b32 s22, v2
	s_mul_i32 s60, s54, s4
	s_delay_alu instid0(VALU_DEP_1)
	s_mul_hi_u32 s61, s54, s22
	s_mul_i32 s56, s56, s22
	s_add_i32 s60, s61, s60
	s_mul_i32 s54, s54, s22
	s_add_i32 s60, s60, s56
	s_mul_hi_u32 s61, s4, s54
	s_mul_i32 s62, s4, s54
	s_mul_hi_u32 s54, s22, s54
	s_mul_hi_u32 s63, s22, s60
	s_mul_i32 s22, s22, s60
	s_mul_hi_u32 s56, s4, s60
	s_add_u32 s22, s54, s22
	s_addc_u32 s54, 0, s63
	s_add_u32 s22, s22, s62
	s_mul_i32 s60, s4, s60
	s_addc_u32 s22, s54, s61
	s_addc_u32 s54, s56, 0
	s_add_u32 s22, s22, s60
	s_addc_u32 s54, 0, s54
	v_add_co_u32 v2, s22, v2, s22
	s_delay_alu instid0(VALU_DEP_1) | instskip(SKIP_1) | instid1(VALU_DEP_1)
	s_cmp_lg_u32 s22, 0
	s_addc_u32 s4, s4, s54
	v_readfirstlane_b32 s22, v2
	s_mul_i32 s56, s21, s4
	s_mul_hi_u32 s54, s21, s4
	s_mul_hi_u32 s60, s5, s4
	s_mul_i32 s4, s5, s4
	s_mul_hi_u32 s61, s21, s22
	s_mul_hi_u32 s62, s5, s22
	s_mul_i32 s22, s5, s22
	s_add_u32 s56, s61, s56
	s_addc_u32 s54, 0, s54
	s_add_u32 s22, s56, s22
	s_addc_u32 s22, s54, s62
	s_addc_u32 s54, s60, 0
	s_add_u32 s4, s22, s4
	s_addc_u32 s22, 0, s54
	s_mul_hi_u32 s54, s41, s4
	s_mul_i32 s4, s41, s4
	s_mul_i32 s22, s41, s22
	v_sub_co_u32 v2, s4, s21, s4
	s_add_i32 s54, s54, s22
	s_cmp_lg_u32 s4, 0
	s_delay_alu instid0(VALU_DEP_1) | instskip(SKIP_2) | instid1(VALU_DEP_1)
	v_sub_co_u32 v3, s4, v2, s41
	s_subb_u32 s22, s5, s54
	s_cmp_lg_u32 s4, 0
	v_cmp_le_u32_e32 vcc_lo, s41, v3
	v_sub_co_u32 v4, s4, v3, s41
	s_subb_u32 s54, s22, 0
	s_cmp_lg_u32 s4, 0
	v_cndmask_b32_e64 v5, 0, -1, vcc_lo
	s_subb_u32 s4, s54, 0
	s_cmp_eq_u32 s54, 0
	v_mov_b32_e32 v7, s4
	s_cselect_b32 vcc_lo, -1, 0
	s_cmp_eq_u32 s22, 0
	v_cndmask_b32_e32 v5, -1, v5, vcc_lo
	v_cmp_le_u32_e32 vcc_lo, s41, v2
	s_cselect_b32 s4, -1, 0
	v_cndmask_b32_e64 v6, 0, -1, vcc_lo
	s_delay_alu instid0(VALU_DEP_3) | instskip(NEXT) | instid1(VALU_DEP_2)
	v_cmp_ne_u32_e32 vcc_lo, 0, v5
	v_cndmask_b32_e64 v5, -1, v6, s4
	v_cndmask_b32_e32 v6, s54, v7, vcc_lo
	v_cndmask_b32_e32 v4, v3, v4, vcc_lo
	s_delay_alu instid0(VALU_DEP_3) | instskip(NEXT) | instid1(VALU_DEP_3)
	v_cmp_ne_u32_e32 vcc_lo, 0, v5
	v_cndmask_b32_e32 v3, s22, v6, vcc_lo
	s_delay_alu instid0(VALU_DEP_3)
	v_cndmask_b32_e32 v2, v2, v4, vcc_lo
	s_cbranch_execnz .LBB141_196
.LBB141_195:                            ;   in Loop: Header=BB141_27 Depth=1
	v_cvt_f32_u32_e32 v2, s41
	s_sub_i32 s4, 0, s41
	s_delay_alu instid0(VALU_DEP_1) | instskip(SKIP_2) | instid1(VALU_DEP_1)
	v_rcp_iflag_f32_e32 v2, v2
	s_waitcnt_depctr 0xfff
	v_mul_f32_e32 v2, 0x4f7ffffe, v2
	v_cvt_u32_f32_e32 v2, v2
	s_delay_alu instid0(VALU_DEP_1) | instskip(NEXT) | instid1(VALU_DEP_1)
	v_mul_lo_u32 v3, s4, v2
	v_mul_hi_u32 v3, v2, v3
	s_delay_alu instid0(VALU_DEP_1) | instskip(NEXT) | instid1(VALU_DEP_1)
	v_add_nc_u32_e32 v2, v2, v3
	v_mul_hi_u32 v2, s21, v2
	s_delay_alu instid0(VALU_DEP_1) | instskip(NEXT) | instid1(VALU_DEP_1)
	v_mul_lo_u32 v2, v2, s41
	v_sub_nc_u32_e32 v2, s21, v2
	s_delay_alu instid0(VALU_DEP_1) | instskip(SKIP_1) | instid1(VALU_DEP_2)
	v_subrev_nc_u32_e32 v3, s41, v2
	v_cmp_le_u32_e32 vcc_lo, s41, v2
	v_cndmask_b32_e32 v2, v2, v3, vcc_lo
	s_delay_alu instid0(VALU_DEP_1) | instskip(SKIP_1) | instid1(VALU_DEP_2)
	v_subrev_nc_u32_e32 v3, s41, v2
	v_cmp_le_u32_e32 vcc_lo, s41, v2
	v_cndmask_b32_e32 v12, v2, v3, vcc_lo
	s_delay_alu instid0(VALU_DEP_1)
	v_dual_mov_b32 v2, v12 :: v_dual_mov_b32 v3, v13
.LBB141_196:                            ;   in Loop: Header=BB141_27 Depth=1
	s_delay_alu instid0(VALU_DEP_1) | instskip(NEXT) | instid1(VALU_DEP_2)
	v_sub_co_u32 v2, vcc_lo, s21, v2
	v_sub_co_ci_u32_e32 v3, vcc_lo, s5, v3, vcc_lo
	s_mov_b32 s4, 0
	s_mov_b32 s5, exec_lo
                                        ; implicit-def: $vgpr28
	s_delay_alu instid0(VALU_DEP_1)
	v_cmpx_gt_u64_e64 v[2:3], v[0:1]
	s_cbranch_execz .LBB141_209
; %bb.197:                              ;   in Loop: Header=BB141_27 Depth=1
	v_mov_b32_e32 v6, v21
	v_dual_mov_b32 v5, v1 :: v_dual_mov_b32 v4, v0
	s_mov_b32 s21, 0
                                        ; implicit-def: $sgpr22
	s_branch .LBB141_199
.LBB141_198:                            ;   in Loop: Header=BB141_199 Depth=2
	s_or_b32 exec_lo, exec_lo, s4
	s_waitcnt lgkmcnt(0)
	s_barrier
	buffer_gl0_inv
	ds_load_b32 v7, v13 offset:3072
	v_add_co_u32 v4, vcc_lo, v4, s41
	v_add_co_ci_u32_e32 v5, vcc_lo, 0, v5, vcc_lo
	v_add_nc_u32_e32 v6, s79, v6
	s_waitcnt lgkmcnt(0)
	s_barrier
	s_delay_alu instid0(VALU_DEP_2) | instskip(SKIP_2) | instid1(VALU_DEP_1)
	v_cmp_ge_u64_e32 vcc_lo, v[4:5], v[2:3]
	buffer_gl0_inv
	v_and_b32_e32 v8, 0x7fff, v7
	v_cmp_ne_u16_e64 s4, 0, v8
	s_delay_alu instid0(VALU_DEP_1) | instskip(NEXT) | instid1(SALU_CYCLE_1)
	s_or_b32 s54, vcc_lo, s4
	s_and_b32 s54, exec_lo, s54
	s_delay_alu instid0(SALU_CYCLE_1) | instskip(SKIP_2) | instid1(SALU_CYCLE_1)
	s_or_b32 s21, s54, s21
	s_and_not1_b32 s22, s22, exec_lo
	s_and_b32 s4, s4, exec_lo
	s_or_b32 s22, s22, s4
	s_and_not1_b32 exec_lo, exec_lo, s21
	s_cbranch_execz .LBB141_208
.LBB141_199:                            ;   Parent Loop BB141_27 Depth=1
                                        ; =>  This Inner Loop Header: Depth=2
	s_delay_alu instid0(VALU_DEP_1)
	v_cmp_gt_u64_e32 vcc_lo, s[10:11], v[4:5]
	v_mov_b32_e32 v7, 0
	s_and_saveexec_b32 s4, vcc_lo
	s_cbranch_execz .LBB141_201
; %bb.200:                              ;   in Loop: Header=BB141_199 Depth=2
	ds_load_u16 v7, v6
.LBB141_201:                            ;   in Loop: Header=BB141_199 Depth=2
	s_or_b32 exec_lo, exec_lo, s4
	s_and_saveexec_b32 s4, vcc_lo
	s_cbranch_execz .LBB141_198
; %bb.202:                              ;   in Loop: Header=BB141_199 Depth=2
	s_waitcnt lgkmcnt(0)
	v_cmp_lt_i16_e32 vcc_lo, -1, v7
	v_and_b32_e32 v8, 0xffff, v7
	v_lshlrev_b32_e32 v12, 16, v7
	v_cndmask_b32_e32 v9, 0xffff, v27, vcc_lo
	s_delay_alu instid0(VALU_DEP_2) | instskip(NEXT) | instid1(VALU_DEP_2)
	v_cmp_o_f32_e32 vcc_lo, v12, v12
	v_xor_b32_e32 v8, v9, v8
	s_delay_alu instid0(VALU_DEP_1) | instskip(NEXT) | instid1(VALU_DEP_1)
	v_cndmask_b32_e32 v8, 0xffff, v8, vcc_lo
	v_and_b32_e32 v8, s91, v8
	s_delay_alu instid0(VALU_DEP_1)
	v_cmp_eq_u32_e32 vcc_lo, s90, v8
	s_and_b32 exec_lo, exec_lo, vcc_lo
	s_cbranch_execz .LBB141_198
; %bb.203:                              ;   in Loop: Header=BB141_199 Depth=2
	v_perm_b32 v7, v7, s80, 0x5040100
	ds_store_b32 v13, v7 offset:3072
	s_branch .LBB141_198
.LBB141_204:                            ;   in Loop: Header=BB141_27 Depth=1
                                        ; implicit-def: $sgpr10
                                        ; implicit-def: $sgpr21
                                        ; implicit-def: $sgpr11
	s_branch .LBB141_223
.LBB141_205:                            ;   in Loop: Header=BB141_27 Depth=1
                                        ; implicit-def: $vgpr2_vgpr3
	s_branch .LBB141_148
.LBB141_206:                            ;   in Loop: Header=BB141_27 Depth=1
                                        ; implicit-def: $vgpr2_vgpr3
	s_branch .LBB141_165
.LBB141_207:                            ;   in Loop: Header=BB141_27 Depth=1
	s_mov_b32 s10, -1
	s_mov_b32 s4, 0
                                        ; implicit-def: $sgpr11
                                        ; implicit-def: $vgpr28
	s_mov_b32 s21, s10
	s_cbranch_execnz .LBB141_210
	s_branch .LBB141_223
.LBB141_208:                            ;   in Loop: Header=BB141_27 Depth=1
	s_or_b32 exec_lo, exec_lo, s21
	v_lshrrev_b32_e32 v28, 16, v7
	s_and_b32 s4, s22, exec_lo
.LBB141_209:                            ;   in Loop: Header=BB141_27 Depth=1
	s_or_b32 exec_lo, exec_lo, s5
	s_mov_b32 s11, -1
	s_mov_b32 s10, 0
	s_delay_alu instid0(SALU_CYCLE_1)
	s_mov_b32 s21, s10
	s_branch .LBB141_223
.LBB141_210:                            ;   in Loop: Header=BB141_27 Depth=1
	s_mov_b32 s56, s55
	s_delay_alu instid0(SALU_CYCLE_1)
	s_cmp_lg_u64 s[56:57], 0
	s_cbranch_scc0 .LBB141_253
; %bb.211:                              ;   in Loop: Header=BB141_27 Depth=1
	v_cvt_f32_u32_e32 v2, s41
	s_sub_u32 s10, 0, s41
	s_subb_u32 s11, 0, 0
	s_delay_alu instid0(VALU_DEP_1) | instskip(NEXT) | instid1(VALU_DEP_1)
	v_fmac_f32_e64 v2, 0, 0x4f800000
	v_rcp_f32_e32 v2, v2
	s_waitcnt_depctr 0xfff
	v_mul_f32_e32 v2, 0x5f7ffffc, v2
	s_delay_alu instid0(VALU_DEP_1) | instskip(NEXT) | instid1(VALU_DEP_1)
	v_mul_f32_e32 v3, 0x2f800000, v2
	v_trunc_f32_e32 v3, v3
	s_delay_alu instid0(VALU_DEP_1) | instskip(SKIP_1) | instid1(VALU_DEP_2)
	v_fmac_f32_e32 v2, 0xcf800000, v3
	v_cvt_u32_f32_e32 v3, v3
	v_cvt_u32_f32_e32 v2, v2
	s_delay_alu instid0(VALU_DEP_2) | instskip(NEXT) | instid1(VALU_DEP_2)
	v_readfirstlane_b32 s4, v3
	v_readfirstlane_b32 s5, v2
	s_delay_alu instid0(VALU_DEP_2) | instskip(NEXT) | instid1(VALU_DEP_1)
	s_mul_i32 s21, s10, s4
	s_mul_hi_u32 s54, s10, s5
	s_mul_i32 s22, s11, s5
	s_add_i32 s21, s54, s21
	s_mul_i32 s56, s10, s5
	s_add_i32 s21, s21, s22
	s_mul_hi_u32 s54, s5, s56
	s_mul_hi_u32 s60, s4, s56
	s_mul_i32 s22, s4, s56
	s_mul_hi_u32 s56, s5, s21
	s_mul_i32 s5, s5, s21
	s_mul_hi_u32 s61, s4, s21
	s_add_u32 s5, s54, s5
	s_addc_u32 s54, 0, s56
	s_add_u32 s5, s5, s22
	s_mul_i32 s21, s4, s21
	s_addc_u32 s5, s54, s60
	s_addc_u32 s22, s61, 0
	s_add_u32 s5, s5, s21
	s_addc_u32 s21, 0, s22
	v_add_co_u32 v2, s5, v2, s5
	s_delay_alu instid0(VALU_DEP_1) | instskip(SKIP_1) | instid1(VALU_DEP_1)
	s_cmp_lg_u32 s5, 0
	s_addc_u32 s4, s4, s21
	v_readfirstlane_b32 s5, v2
	s_mul_i32 s21, s10, s4
	s_delay_alu instid0(VALU_DEP_1)
	s_mul_hi_u32 s22, s10, s5
	s_mul_i32 s11, s11, s5
	s_add_i32 s21, s22, s21
	s_mul_i32 s10, s10, s5
	s_add_i32 s21, s21, s11
	s_mul_hi_u32 s22, s4, s10
	s_mul_i32 s54, s4, s10
	s_mul_hi_u32 s10, s5, s10
	s_mul_hi_u32 s56, s5, s21
	s_mul_i32 s5, s5, s21
	s_mul_hi_u32 s11, s4, s21
	s_add_u32 s5, s10, s5
	s_addc_u32 s10, 0, s56
	s_add_u32 s5, s5, s54
	s_mul_i32 s21, s4, s21
	s_addc_u32 s5, s10, s22
	s_addc_u32 s10, s11, 0
	s_add_u32 s5, s5, s21
	s_addc_u32 s10, 0, s10
	v_add_co_u32 v2, s5, v2, s5
	s_delay_alu instid0(VALU_DEP_1) | instskip(SKIP_1) | instid1(VALU_DEP_1)
	s_cmp_lg_u32 s5, 0
	s_addc_u32 s4, s4, s10
	v_readfirstlane_b32 s5, v2
	s_mul_i32 s11, s73, s4
	s_mul_hi_u32 s10, s73, s4
	s_mul_hi_u32 s21, s57, s4
	s_mul_i32 s4, s57, s4
	s_mul_hi_u32 s22, s73, s5
	s_mul_hi_u32 s54, s57, s5
	s_mul_i32 s5, s57, s5
	s_add_u32 s11, s22, s11
	s_addc_u32 s10, 0, s10
	s_add_u32 s5, s11, s5
	s_addc_u32 s5, s10, s54
	s_addc_u32 s10, s21, 0
	s_add_u32 s4, s5, s4
	s_addc_u32 s5, 0, s10
	s_mul_hi_u32 s10, s41, s4
	s_mul_i32 s4, s41, s4
	s_mul_i32 s5, s41, s5
	v_sub_co_u32 v2, s4, s73, s4
	s_add_i32 s10, s10, s5
	s_cmp_lg_u32 s4, 0
	s_delay_alu instid0(VALU_DEP_1) | instskip(SKIP_2) | instid1(VALU_DEP_1)
	v_sub_co_u32 v3, s4, v2, s41
	s_subb_u32 s5, s57, s10
	s_cmp_lg_u32 s4, 0
	v_cmp_le_u32_e32 vcc_lo, s41, v3
	v_sub_co_u32 v4, s4, v3, s41
	s_subb_u32 s10, s5, 0
	s_cmp_lg_u32 s4, 0
	v_cndmask_b32_e64 v5, 0, -1, vcc_lo
	s_subb_u32 s4, s10, 0
	s_cmp_eq_u32 s10, 0
	v_mov_b32_e32 v7, s4
	s_cselect_b32 vcc_lo, -1, 0
	s_cmp_eq_u32 s5, 0
	v_cndmask_b32_e32 v5, -1, v5, vcc_lo
	v_cmp_le_u32_e32 vcc_lo, s41, v2
	s_cselect_b32 s4, -1, 0
	v_cndmask_b32_e64 v6, 0, -1, vcc_lo
	s_delay_alu instid0(VALU_DEP_3) | instskip(NEXT) | instid1(VALU_DEP_2)
	v_cmp_ne_u32_e32 vcc_lo, 0, v5
	v_cndmask_b32_e64 v5, -1, v6, s4
	v_cndmask_b32_e32 v6, s10, v7, vcc_lo
	v_cndmask_b32_e32 v4, v3, v4, vcc_lo
	s_delay_alu instid0(VALU_DEP_3) | instskip(NEXT) | instid1(VALU_DEP_3)
	v_cmp_ne_u32_e32 vcc_lo, 0, v5
	v_cndmask_b32_e32 v3, s5, v6, vcc_lo
	s_delay_alu instid0(VALU_DEP_3)
	v_cndmask_b32_e32 v2, v2, v4, vcc_lo
	s_cbranch_execnz .LBB141_213
.LBB141_212:                            ;   in Loop: Header=BB141_27 Depth=1
	v_cvt_f32_u32_e32 v2, s41
	s_sub_i32 s4, 0, s41
	s_delay_alu instid0(VALU_DEP_1) | instskip(SKIP_2) | instid1(VALU_DEP_1)
	v_rcp_iflag_f32_e32 v2, v2
	s_waitcnt_depctr 0xfff
	v_mul_f32_e32 v2, 0x4f7ffffe, v2
	v_cvt_u32_f32_e32 v2, v2
	s_delay_alu instid0(VALU_DEP_1) | instskip(NEXT) | instid1(VALU_DEP_1)
	v_mul_lo_u32 v3, s4, v2
	v_mul_hi_u32 v3, v2, v3
	s_delay_alu instid0(VALU_DEP_1) | instskip(NEXT) | instid1(VALU_DEP_1)
	v_add_nc_u32_e32 v2, v2, v3
	v_mul_hi_u32 v2, s73, v2
	s_delay_alu instid0(VALU_DEP_1) | instskip(NEXT) | instid1(VALU_DEP_1)
	v_mul_lo_u32 v2, v2, s41
	v_sub_nc_u32_e32 v2, s73, v2
	s_delay_alu instid0(VALU_DEP_1) | instskip(SKIP_1) | instid1(VALU_DEP_2)
	v_subrev_nc_u32_e32 v3, s41, v2
	v_cmp_le_u32_e32 vcc_lo, s41, v2
	v_cndmask_b32_e32 v2, v2, v3, vcc_lo
	s_delay_alu instid0(VALU_DEP_1) | instskip(SKIP_1) | instid1(VALU_DEP_2)
	v_subrev_nc_u32_e32 v3, s41, v2
	v_cmp_le_u32_e32 vcc_lo, s41, v2
	v_cndmask_b32_e32 v12, v2, v3, vcc_lo
	s_delay_alu instid0(VALU_DEP_1)
	v_dual_mov_b32 v2, v12 :: v_dual_mov_b32 v3, v13
.LBB141_213:                            ;   in Loop: Header=BB141_27 Depth=1
	s_delay_alu instid0(VALU_DEP_1) | instskip(NEXT) | instid1(VALU_DEP_2)
	v_sub_co_u32 v2, vcc_lo, s73, v2
	v_sub_co_ci_u32_e32 v3, vcc_lo, s57, v3, vcc_lo
	s_mov_b32 s4, 0
	s_mov_b32 s5, exec_lo
                                        ; implicit-def: $vgpr28
	s_delay_alu instid0(VALU_DEP_1)
	v_cmpx_gt_u64_e64 v[2:3], v[0:1]
	s_cbranch_execz .LBB141_222
; %bb.214:                              ;   in Loop: Header=BB141_27 Depth=1
	v_dual_mov_b32 v5, v1 :: v_dual_mov_b32 v4, v0
	s_mov_b32 s10, 0
                                        ; implicit-def: $sgpr11
	s_branch .LBB141_216
.LBB141_215:                            ;   in Loop: Header=BB141_216 Depth=2
	s_or_b32 exec_lo, exec_lo, s4
	s_waitcnt vmcnt(0) lgkmcnt(0)
	s_barrier
	buffer_gl0_inv
	ds_load_b32 v6, v13 offset:3072
	v_add_co_u32 v4, vcc_lo, v4, s41
	v_add_co_ci_u32_e32 v5, vcc_lo, 0, v5, vcc_lo
	s_waitcnt lgkmcnt(0)
	s_barrier
	buffer_gl0_inv
	v_cmp_ge_u64_e32 vcc_lo, v[4:5], v[2:3]
	v_and_b32_e32 v7, 0x7fff, v6
	s_delay_alu instid0(VALU_DEP_1) | instskip(NEXT) | instid1(VALU_DEP_1)
	v_cmp_ne_u16_e64 s4, 0, v7
	s_or_b32 s21, vcc_lo, s4
	s_delay_alu instid0(SALU_CYCLE_1) | instskip(NEXT) | instid1(SALU_CYCLE_1)
	s_and_b32 s21, exec_lo, s21
	s_or_b32 s10, s21, s10
	s_and_not1_b32 s11, s11, exec_lo
	s_and_b32 s4, s4, exec_lo
	s_delay_alu instid0(SALU_CYCLE_1)
	s_or_b32 s11, s11, s4
	s_and_not1_b32 exec_lo, exec_lo, s10
	s_cbranch_execz .LBB141_221
.LBB141_216:                            ;   Parent Loop BB141_27 Depth=1
                                        ; =>  This Inner Loop Header: Depth=2
	s_delay_alu instid0(VALU_DEP_1)
	v_cmp_gt_u64_e32 vcc_lo, s[24:25], v[4:5]
	v_mov_b32_e32 v6, 0
	s_and_saveexec_b32 s21, vcc_lo
	s_cbranch_execz .LBB141_218
; %bb.217:                              ;   in Loop: Header=BB141_216 Depth=2
	v_mul_lo_u32 v8, v5, s42
	v_mul_lo_u32 v9, v4, s43
	v_mad_u64_u32 v[6:7], null, v4, s42, 0
	s_delay_alu instid0(VALU_DEP_1) | instskip(NEXT) | instid1(VALU_DEP_1)
	v_add3_u32 v7, v7, v9, v8
	v_lshlrev_b64 v[6:7], 1, v[6:7]
	s_delay_alu instid0(VALU_DEP_1) | instskip(NEXT) | instid1(VALU_DEP_1)
	v_add_co_u32 v6, s4, s33, v6
	v_add_co_ci_u32_e64 v7, s4, s35, v7, s4
	global_load_u16 v6, v[6:7], off
.LBB141_218:                            ;   in Loop: Header=BB141_216 Depth=2
	s_or_b32 exec_lo, exec_lo, s21
	s_and_saveexec_b32 s4, vcc_lo
	s_cbranch_execz .LBB141_215
; %bb.219:                              ;   in Loop: Header=BB141_216 Depth=2
	s_waitcnt vmcnt(0)
	v_cmp_lt_i16_e32 vcc_lo, -1, v6
	v_and_b32_e32 v7, 0xffff, v6
	v_dual_cndmask_b32 v8, 0xffff, v27 :: v_dual_lshlrev_b32 v9, 16, v6
	s_delay_alu instid0(VALU_DEP_1) | instskip(NEXT) | instid1(VALU_DEP_2)
	v_cmp_o_f32_e32 vcc_lo, v9, v9
	v_xor_b32_e32 v7, v8, v7
	s_delay_alu instid0(VALU_DEP_1) | instskip(NEXT) | instid1(VALU_DEP_1)
	v_cndmask_b32_e32 v7, 0xffff, v7, vcc_lo
	v_and_b32_e32 v7, s91, v7
	s_delay_alu instid0(VALU_DEP_1)
	v_cmp_eq_u32_e32 vcc_lo, s90, v7
	s_and_b32 exec_lo, exec_lo, vcc_lo
	s_cbranch_execz .LBB141_215
; %bb.220:                              ;   in Loop: Header=BB141_216 Depth=2
	v_perm_b32 v6, v6, s80, 0x5040100
	ds_store_b32 v13, v6 offset:3072
	s_branch .LBB141_215
.LBB141_221:                            ;   in Loop: Header=BB141_27 Depth=1
	s_or_b32 exec_lo, exec_lo, s10
	v_lshrrev_b32_e32 v28, 16, v6
	s_and_b32 s4, s11, exec_lo
.LBB141_222:                            ;   in Loop: Header=BB141_27 Depth=1
	s_or_b32 exec_lo, exec_lo, s5
	s_mov_b32 s21, -1
	s_mov_b32 s10, 0
	s_mov_b32 s11, 0
.LBB141_223:                            ;   in Loop: Header=BB141_27 Depth=1
	s_mov_b32 s5, 0
                                        ; implicit-def: $sgpr54
	s_and_saveexec_b32 s22, s4
	s_cbranch_execz .LBB141_285
; %bb.224:                              ;   in Loop: Header=BB141_27 Depth=1
	s_xor_b32 s4, s23, -1
	s_mov_b32 s54, 1
	s_and_not1_b32 vcc_lo, exec_lo, s4
	s_cbranch_vccnz .LBB141_235
; %bb.225:                              ;   in Loop: Header=BB141_27 Depth=1
	v_cmp_gt_u64_e64 s4, s[52:53], s[8:9]
                                        ; implicit-def: $sgpr54
                                        ; implicit-def: $sgpr5
                                        ; implicit-def: $sgpr23
	s_delay_alu instid0(VALU_DEP_1)
	s_and_b32 vcc_lo, exec_lo, s4
	s_mov_b32 s4, -1
	s_cbranch_vccnz .LBB141_231
; %bb.226:                              ;   in Loop: Header=BB141_27 Depth=1
	ds_load_b64 v[2:3], v13 offset:5120
	s_waitcnt lgkmcnt(0)
	v_cmp_ne_u64_e32 vcc_lo, 0, v[2:3]
	s_cbranch_vccnz .LBB141_230
; %bb.227:                              ;   in Loop: Header=BB141_27 Depth=1
	s_and_saveexec_b32 s4, s3
	s_cbranch_execz .LBB141_229
; %bb.228:                              ;   in Loop: Header=BB141_27 Depth=1
	v_dual_mov_b32 v2, s8 :: v_dual_mov_b32 v3, s9
	ds_store_b64 v13, v[2:3] offset:5128
.LBB141_229:                            ;   in Loop: Header=BB141_27 Depth=1
	s_or_b32 exec_lo, exec_lo, s4
	s_waitcnt lgkmcnt(0)
	s_barrier
	buffer_gl0_inv
.LBB141_230:                            ;   in Loop: Header=BB141_27 Depth=1
	s_lshl_b32 s4, 2, s17
	s_and_b32 s5, s90, s18
	s_or_b32 s23, s91, s16
	s_or_b32 s5, s5, s4
	s_mov_b32 s4, 0
	s_mov_b32 s54, 8
.LBB141_231:                            ;   in Loop: Header=BB141_27 Depth=1
	s_and_not1_b32 vcc_lo, exec_lo, s4
	s_cbranch_vccnz .LBB141_233
; %bb.232:                              ;   in Loop: Header=BB141_27 Depth=1
	s_sub_u32 s52, s52, s8
	s_subb_u32 s53, s53, s9
	s_mov_b32 s4, -1
	s_mov_b32 s54, 0
	s_mov_b32 s5, s90
	;; [unrolled: 1-line block ×3, first 2 shown]
.LBB141_233:                            ;   in Loop: Header=BB141_27 Depth=1
	s_delay_alu instid0(SALU_CYCLE_1)
	s_mov_b32 s91, s23
	s_mov_b32 s90, s5
	s_and_not1_b32 vcc_lo, exec_lo, s4
	s_mov_b32 s60, -1
	s_cbranch_vccz .LBB141_236
.LBB141_234:                            ;   in Loop: Header=BB141_27 Depth=1
                                        ; implicit-def: $sgpr8
                                        ; implicit-def: $sgpr18
                                        ; implicit-def: $sgpr9
	s_branch .LBB141_284
.LBB141_235:                            ;   in Loop: Header=BB141_27 Depth=1
	s_mov_b64 s[52:53], 1
	s_mov_b32 s60, -1
	s_cbranch_execnz .LBB141_234
.LBB141_236:                            ;   in Loop: Header=BB141_27 Depth=1
	s_cmp_eq_u64 s[6:7], 1
	s_mov_b32 s23, -1
	s_cselect_b32 s4, -1, 0
	s_cmp_eq_u64 s[52:53], 1
	s_cselect_b32 s5, -1, 0
	s_delay_alu instid0(SALU_CYCLE_1) | instskip(NEXT) | instid1(SALU_CYCLE_1)
	s_and_b32 s17, s4, s5
	s_and_b32 vcc_lo, exec_lo, s17
	s_cbranch_vccz .LBB141_251
; %bb.237:                              ;   in Loop: Header=BB141_27 Depth=1
	ds_load_b64 v[2:3], v13 offset:5120
	s_waitcnt lgkmcnt(0)
	s_barrier
	buffer_gl0_inv
	v_readfirstlane_b32 s8, v2
	v_readfirstlane_b32 s9, v3
	s_and_saveexec_b32 s4, s0
	s_cbranch_execz .LBB141_239
; %bb.238:                              ;   in Loop: Header=BB141_27 Depth=1
	ds_store_b16 v22, v13
.LBB141_239:                            ;   in Loop: Header=BB141_27 Depth=1
	s_or_b32 exec_lo, exec_lo, s4
	s_or_b32 s90, s90, s16
	s_or_b32 s91, s91, s16
	s_cmp_eq_u64 s[8:9], 0
	s_waitcnt lgkmcnt(0)
	s_barrier
	buffer_gl0_inv
	s_cbranch_scc1 .LBB141_254
; %bb.240:                              ;   in Loop: Header=BB141_27 Depth=1
	s_add_u32 s18, s71, s8
	s_addc_u32 s5, s72, s9
	s_mov_b32 s4, s55
	s_delay_alu instid0(SALU_CYCLE_1)
	s_cmp_lg_u64 s[4:5], 0
	s_cbranch_scc0 .LBB141_290
; %bb.241:                              ;   in Loop: Header=BB141_27 Depth=1
	v_cvt_f32_u32_e32 v2, s41
	s_sub_u32 s54, 0, s41
	s_subb_u32 s56, 0, 0
	s_delay_alu instid0(VALU_DEP_1) | instskip(NEXT) | instid1(VALU_DEP_1)
	v_fmac_f32_e64 v2, 0, 0x4f800000
	v_rcp_f32_e32 v2, v2
	s_waitcnt_depctr 0xfff
	v_mul_f32_e32 v2, 0x5f7ffffc, v2
	s_delay_alu instid0(VALU_DEP_1) | instskip(NEXT) | instid1(VALU_DEP_1)
	v_mul_f32_e32 v3, 0x2f800000, v2
	v_trunc_f32_e32 v3, v3
	s_delay_alu instid0(VALU_DEP_1) | instskip(SKIP_1) | instid1(VALU_DEP_2)
	v_fmac_f32_e32 v2, 0xcf800000, v3
	v_cvt_u32_f32_e32 v3, v3
	v_cvt_u32_f32_e32 v2, v2
	s_delay_alu instid0(VALU_DEP_2) | instskip(NEXT) | instid1(VALU_DEP_2)
	v_readfirstlane_b32 s4, v3
	v_readfirstlane_b32 s23, v2
	s_delay_alu instid0(VALU_DEP_2) | instskip(NEXT) | instid1(VALU_DEP_1)
	s_mul_i32 s60, s54, s4
	s_mul_hi_u32 s62, s54, s23
	s_mul_i32 s61, s56, s23
	s_add_i32 s60, s62, s60
	s_mul_i32 s63, s54, s23
	s_add_i32 s60, s60, s61
	s_mul_hi_u32 s62, s23, s63
	s_mul_hi_u32 s64, s4, s63
	s_mul_i32 s61, s4, s63
	s_mul_hi_u32 s63, s23, s60
	s_mul_i32 s23, s23, s60
	s_mul_hi_u32 s65, s4, s60
	s_add_u32 s23, s62, s23
	s_addc_u32 s62, 0, s63
	s_add_u32 s23, s23, s61
	s_mul_i32 s60, s4, s60
	s_addc_u32 s23, s62, s64
	s_addc_u32 s61, s65, 0
	s_add_u32 s23, s23, s60
	s_addc_u32 s60, 0, s61
	v_add_co_u32 v2, s23, v2, s23
	s_delay_alu instid0(VALU_DEP_1) | instskip(SKIP_1) | instid1(VALU_DEP_1)
	s_cmp_lg_u32 s23, 0
	s_addc_u32 s4, s4, s60
	v_readfirstlane_b32 s23, v2
	s_mul_i32 s60, s54, s4
	s_delay_alu instid0(VALU_DEP_1)
	s_mul_hi_u32 s61, s54, s23
	s_mul_i32 s56, s56, s23
	s_add_i32 s60, s61, s60
	s_mul_i32 s54, s54, s23
	s_add_i32 s60, s60, s56
	s_mul_hi_u32 s61, s4, s54
	s_mul_i32 s62, s4, s54
	s_mul_hi_u32 s54, s23, s54
	s_mul_hi_u32 s63, s23, s60
	s_mul_i32 s23, s23, s60
	s_mul_hi_u32 s56, s4, s60
	s_add_u32 s23, s54, s23
	s_addc_u32 s54, 0, s63
	s_add_u32 s23, s23, s62
	s_mul_i32 s60, s4, s60
	s_addc_u32 s23, s54, s61
	s_addc_u32 s54, s56, 0
	s_add_u32 s23, s23, s60
	s_addc_u32 s54, 0, s54
	v_add_co_u32 v2, s23, v2, s23
	s_delay_alu instid0(VALU_DEP_1) | instskip(SKIP_1) | instid1(VALU_DEP_1)
	s_cmp_lg_u32 s23, 0
	s_addc_u32 s4, s4, s54
	v_readfirstlane_b32 s23, v2
	s_mul_i32 s56, s18, s4
	s_mul_hi_u32 s54, s18, s4
	s_mul_hi_u32 s60, s5, s4
	s_mul_i32 s4, s5, s4
	s_mul_hi_u32 s61, s18, s23
	s_mul_hi_u32 s62, s5, s23
	s_mul_i32 s23, s5, s23
	s_add_u32 s56, s61, s56
	s_addc_u32 s54, 0, s54
	s_add_u32 s23, s56, s23
	s_addc_u32 s23, s54, s62
	s_addc_u32 s54, s60, 0
	s_add_u32 s4, s23, s4
	s_addc_u32 s23, 0, s54
	s_mul_hi_u32 s54, s41, s4
	s_mul_i32 s4, s41, s4
	s_mul_i32 s23, s41, s23
	v_sub_co_u32 v2, s4, s18, s4
	s_add_i32 s54, s54, s23
	s_cmp_lg_u32 s4, 0
	s_delay_alu instid0(VALU_DEP_1) | instskip(SKIP_2) | instid1(VALU_DEP_1)
	v_sub_co_u32 v3, s4, v2, s41
	s_subb_u32 s23, s5, s54
	s_cmp_lg_u32 s4, 0
	v_cmp_le_u32_e32 vcc_lo, s41, v3
	v_sub_co_u32 v4, s4, v3, s41
	s_subb_u32 s54, s23, 0
	s_cmp_lg_u32 s4, 0
	v_cndmask_b32_e64 v5, 0, -1, vcc_lo
	s_subb_u32 s4, s54, 0
	s_cmp_eq_u32 s54, 0
	v_mov_b32_e32 v7, s4
	s_cselect_b32 vcc_lo, -1, 0
	s_cmp_eq_u32 s23, 0
	v_cndmask_b32_e32 v5, -1, v5, vcc_lo
	v_cmp_le_u32_e32 vcc_lo, s41, v2
	s_cselect_b32 s4, -1, 0
	v_cndmask_b32_e64 v6, 0, -1, vcc_lo
	s_delay_alu instid0(VALU_DEP_3) | instskip(NEXT) | instid1(VALU_DEP_2)
	v_cmp_ne_u32_e32 vcc_lo, 0, v5
	v_cndmask_b32_e64 v5, -1, v6, s4
	v_cndmask_b32_e32 v6, s54, v7, vcc_lo
	v_cndmask_b32_e32 v4, v3, v4, vcc_lo
	s_delay_alu instid0(VALU_DEP_3) | instskip(NEXT) | instid1(VALU_DEP_3)
	v_cmp_ne_u32_e32 vcc_lo, 0, v5
	v_cndmask_b32_e32 v3, s23, v6, vcc_lo
	s_delay_alu instid0(VALU_DEP_3)
	v_cndmask_b32_e32 v2, v2, v4, vcc_lo
	s_cbranch_execnz .LBB141_243
.LBB141_242:                            ;   in Loop: Header=BB141_27 Depth=1
	v_cvt_f32_u32_e32 v2, s41
	s_sub_i32 s4, 0, s41
	s_delay_alu instid0(VALU_DEP_1) | instskip(SKIP_2) | instid1(VALU_DEP_1)
	v_rcp_iflag_f32_e32 v2, v2
	s_waitcnt_depctr 0xfff
	v_mul_f32_e32 v2, 0x4f7ffffe, v2
	v_cvt_u32_f32_e32 v2, v2
	s_delay_alu instid0(VALU_DEP_1) | instskip(NEXT) | instid1(VALU_DEP_1)
	v_mul_lo_u32 v3, s4, v2
	v_mul_hi_u32 v3, v2, v3
	s_delay_alu instid0(VALU_DEP_1) | instskip(NEXT) | instid1(VALU_DEP_1)
	v_add_nc_u32_e32 v2, v2, v3
	v_mul_hi_u32 v2, s18, v2
	s_delay_alu instid0(VALU_DEP_1) | instskip(NEXT) | instid1(VALU_DEP_1)
	v_mul_lo_u32 v2, v2, s41
	v_sub_nc_u32_e32 v2, s18, v2
	s_delay_alu instid0(VALU_DEP_1) | instskip(SKIP_1) | instid1(VALU_DEP_2)
	v_subrev_nc_u32_e32 v3, s41, v2
	v_cmp_le_u32_e32 vcc_lo, s41, v2
	v_cndmask_b32_e32 v2, v2, v3, vcc_lo
	s_delay_alu instid0(VALU_DEP_1) | instskip(SKIP_1) | instid1(VALU_DEP_2)
	v_subrev_nc_u32_e32 v3, s41, v2
	v_cmp_le_u32_e32 vcc_lo, s41, v2
	v_cndmask_b32_e32 v12, v2, v3, vcc_lo
	s_delay_alu instid0(VALU_DEP_1)
	v_dual_mov_b32 v2, v12 :: v_dual_mov_b32 v3, v13
.LBB141_243:                            ;   in Loop: Header=BB141_27 Depth=1
	s_delay_alu instid0(VALU_DEP_1) | instskip(NEXT) | instid1(VALU_DEP_2)
	v_sub_co_u32 v2, vcc_lo, s18, v2
	v_sub_co_ci_u32_e32 v3, vcc_lo, s5, v3, vcc_lo
	s_mov_b32 s23, 0
	s_mov_b32 s5, exec_lo
                                        ; implicit-def: $vgpr28
	s_delay_alu instid0(VALU_DEP_1)
	v_cmpx_gt_u64_e64 v[2:3], v[0:1]
	s_cbranch_execz .LBB141_256
; %bb.244:                              ;   in Loop: Header=BB141_27 Depth=1
	v_mov_b32_e32 v6, v21
	v_dual_mov_b32 v5, v1 :: v_dual_mov_b32 v4, v0
	s_mov_b32 s18, 0
                                        ; implicit-def: $sgpr23
	s_branch .LBB141_246
.LBB141_245:                            ;   in Loop: Header=BB141_246 Depth=2
	s_or_b32 exec_lo, exec_lo, s4
	s_waitcnt lgkmcnt(0)
	s_barrier
	buffer_gl0_inv
	ds_load_b32 v7, v13 offset:3072
	v_add_co_u32 v4, vcc_lo, v4, s41
	v_add_co_ci_u32_e32 v5, vcc_lo, 0, v5, vcc_lo
	v_add_nc_u32_e32 v6, s79, v6
	s_waitcnt lgkmcnt(0)
	s_barrier
	s_delay_alu instid0(VALU_DEP_2) | instskip(SKIP_2) | instid1(VALU_DEP_1)
	v_cmp_ge_u64_e32 vcc_lo, v[4:5], v[2:3]
	buffer_gl0_inv
	v_and_b32_e32 v8, 0x7fff, v7
	v_cmp_ne_u16_e64 s4, 0, v8
	s_delay_alu instid0(VALU_DEP_1) | instskip(NEXT) | instid1(SALU_CYCLE_1)
	s_or_b32 s54, vcc_lo, s4
	s_and_b32 s54, exec_lo, s54
	s_delay_alu instid0(SALU_CYCLE_1) | instskip(SKIP_2) | instid1(SALU_CYCLE_1)
	s_or_b32 s18, s54, s18
	s_and_not1_b32 s23, s23, exec_lo
	s_and_b32 s4, s4, exec_lo
	s_or_b32 s23, s23, s4
	s_and_not1_b32 exec_lo, exec_lo, s18
	s_cbranch_execz .LBB141_255
.LBB141_246:                            ;   Parent Loop BB141_27 Depth=1
                                        ; =>  This Inner Loop Header: Depth=2
	s_delay_alu instid0(VALU_DEP_1)
	v_cmp_gt_u64_e32 vcc_lo, s[8:9], v[4:5]
	v_mov_b32_e32 v7, 0
	s_and_saveexec_b32 s4, vcc_lo
	s_cbranch_execz .LBB141_248
; %bb.247:                              ;   in Loop: Header=BB141_246 Depth=2
	ds_load_u16 v7, v6
.LBB141_248:                            ;   in Loop: Header=BB141_246 Depth=2
	s_or_b32 exec_lo, exec_lo, s4
	s_and_saveexec_b32 s4, vcc_lo
	s_cbranch_execz .LBB141_245
; %bb.249:                              ;   in Loop: Header=BB141_246 Depth=2
	s_waitcnt lgkmcnt(0)
	v_cmp_lt_i16_e32 vcc_lo, -1, v7
	v_and_b32_e32 v8, 0xffff, v7
	v_lshlrev_b32_e32 v12, 16, v7
	v_cndmask_b32_e32 v9, 0xffff, v27, vcc_lo
	s_delay_alu instid0(VALU_DEP_2) | instskip(NEXT) | instid1(VALU_DEP_2)
	v_cmp_o_f32_e32 vcc_lo, v12, v12
	v_xor_b32_e32 v8, v9, v8
	s_delay_alu instid0(VALU_DEP_1) | instskip(NEXT) | instid1(VALU_DEP_1)
	v_cndmask_b32_e32 v8, 0xffff, v8, vcc_lo
	v_and_b32_e32 v8, s91, v8
	s_delay_alu instid0(VALU_DEP_1)
	v_cmp_eq_u32_e32 vcc_lo, s90, v8
	s_and_b32 exec_lo, exec_lo, vcc_lo
	s_cbranch_execz .LBB141_245
; %bb.250:                              ;   in Loop: Header=BB141_246 Depth=2
	v_perm_b32 v7, v7, s80, 0x5040100
	ds_store_b32 v13, v7 offset:3072
	s_branch .LBB141_245
.LBB141_251:                            ;   in Loop: Header=BB141_27 Depth=1
                                        ; implicit-def: $sgpr8
                                        ; implicit-def: $sgpr18
                                        ; implicit-def: $sgpr9
	s_branch .LBB141_270
.LBB141_252:                            ;   in Loop: Header=BB141_27 Depth=1
                                        ; implicit-def: $vgpr2_vgpr3
	s_branch .LBB141_195
.LBB141_253:                            ;   in Loop: Header=BB141_27 Depth=1
                                        ; implicit-def: $vgpr2_vgpr3
	s_branch .LBB141_212
.LBB141_254:                            ;   in Loop: Header=BB141_27 Depth=1
	s_mov_b32 s8, -1
	s_mov_b32 s23, 0
                                        ; implicit-def: $sgpr9
                                        ; implicit-def: $vgpr28
	s_mov_b32 s18, s8
	s_cbranch_execnz .LBB141_257
	s_branch .LBB141_270
.LBB141_255:                            ;   in Loop: Header=BB141_27 Depth=1
	s_or_b32 exec_lo, exec_lo, s18
	v_lshrrev_b32_e32 v28, 16, v7
	s_and_b32 s23, s23, exec_lo
.LBB141_256:                            ;   in Loop: Header=BB141_27 Depth=1
	s_or_b32 exec_lo, exec_lo, s5
	s_mov_b32 s9, -1
	s_mov_b32 s8, 0
	s_delay_alu instid0(SALU_CYCLE_1)
	s_mov_b32 s18, s8
	s_branch .LBB141_270
.LBB141_257:                            ;   in Loop: Header=BB141_27 Depth=1
	s_mov_b32 s56, s55
	s_delay_alu instid0(SALU_CYCLE_1)
	s_cmp_lg_u64 s[56:57], 0
	s_cbranch_scc0 .LBB141_291
; %bb.258:                              ;   in Loop: Header=BB141_27 Depth=1
	v_cvt_f32_u32_e32 v2, s41
	s_sub_u32 s8, 0, s41
	s_subb_u32 s9, 0, 0
	s_delay_alu instid0(VALU_DEP_1) | instskip(NEXT) | instid1(VALU_DEP_1)
	v_fmac_f32_e64 v2, 0, 0x4f800000
	v_rcp_f32_e32 v2, v2
	s_waitcnt_depctr 0xfff
	v_mul_f32_e32 v2, 0x5f7ffffc, v2
	s_delay_alu instid0(VALU_DEP_1) | instskip(NEXT) | instid1(VALU_DEP_1)
	v_mul_f32_e32 v3, 0x2f800000, v2
	v_trunc_f32_e32 v3, v3
	s_delay_alu instid0(VALU_DEP_1) | instskip(SKIP_1) | instid1(VALU_DEP_2)
	v_fmac_f32_e32 v2, 0xcf800000, v3
	v_cvt_u32_f32_e32 v3, v3
	v_cvt_u32_f32_e32 v2, v2
	s_delay_alu instid0(VALU_DEP_2) | instskip(NEXT) | instid1(VALU_DEP_2)
	v_readfirstlane_b32 s4, v3
	v_readfirstlane_b32 s5, v2
	s_delay_alu instid0(VALU_DEP_2) | instskip(NEXT) | instid1(VALU_DEP_1)
	s_mul_i32 s18, s8, s4
	s_mul_hi_u32 s54, s8, s5
	s_mul_i32 s23, s9, s5
	s_add_i32 s18, s54, s18
	s_mul_i32 s56, s8, s5
	s_add_i32 s18, s18, s23
	s_mul_hi_u32 s54, s5, s56
	s_mul_hi_u32 s60, s4, s56
	s_mul_i32 s23, s4, s56
	s_mul_hi_u32 s56, s5, s18
	s_mul_i32 s5, s5, s18
	s_mul_hi_u32 s61, s4, s18
	s_add_u32 s5, s54, s5
	s_addc_u32 s54, 0, s56
	s_add_u32 s5, s5, s23
	s_mul_i32 s18, s4, s18
	s_addc_u32 s5, s54, s60
	s_addc_u32 s23, s61, 0
	s_add_u32 s5, s5, s18
	s_addc_u32 s18, 0, s23
	v_add_co_u32 v2, s5, v2, s5
	s_delay_alu instid0(VALU_DEP_1) | instskip(SKIP_1) | instid1(VALU_DEP_1)
	s_cmp_lg_u32 s5, 0
	s_addc_u32 s4, s4, s18
	v_readfirstlane_b32 s5, v2
	s_mul_i32 s18, s8, s4
	s_delay_alu instid0(VALU_DEP_1)
	s_mul_hi_u32 s23, s8, s5
	s_mul_i32 s9, s9, s5
	s_add_i32 s18, s23, s18
	s_mul_i32 s8, s8, s5
	s_add_i32 s18, s18, s9
	s_mul_hi_u32 s23, s4, s8
	s_mul_i32 s54, s4, s8
	s_mul_hi_u32 s8, s5, s8
	s_mul_hi_u32 s56, s5, s18
	s_mul_i32 s5, s5, s18
	s_mul_hi_u32 s9, s4, s18
	s_add_u32 s5, s8, s5
	s_addc_u32 s8, 0, s56
	s_add_u32 s5, s5, s54
	s_mul_i32 s18, s4, s18
	s_addc_u32 s5, s8, s23
	s_addc_u32 s8, s9, 0
	s_add_u32 s5, s5, s18
	s_addc_u32 s8, 0, s8
	v_add_co_u32 v2, s5, v2, s5
	s_delay_alu instid0(VALU_DEP_1) | instskip(SKIP_1) | instid1(VALU_DEP_1)
	s_cmp_lg_u32 s5, 0
	s_addc_u32 s4, s4, s8
	v_readfirstlane_b32 s5, v2
	s_mul_i32 s9, s73, s4
	s_mul_hi_u32 s8, s73, s4
	s_mul_hi_u32 s18, s57, s4
	s_mul_i32 s4, s57, s4
	s_mul_hi_u32 s23, s73, s5
	s_mul_hi_u32 s54, s57, s5
	s_mul_i32 s5, s57, s5
	s_add_u32 s9, s23, s9
	s_addc_u32 s8, 0, s8
	s_add_u32 s5, s9, s5
	s_addc_u32 s5, s8, s54
	s_addc_u32 s8, s18, 0
	s_add_u32 s4, s5, s4
	s_addc_u32 s5, 0, s8
	s_mul_hi_u32 s8, s41, s4
	s_mul_i32 s4, s41, s4
	s_mul_i32 s5, s41, s5
	v_sub_co_u32 v2, s4, s73, s4
	s_add_i32 s8, s8, s5
	s_cmp_lg_u32 s4, 0
	s_delay_alu instid0(VALU_DEP_1) | instskip(SKIP_2) | instid1(VALU_DEP_1)
	v_sub_co_u32 v3, s4, v2, s41
	s_subb_u32 s5, s57, s8
	s_cmp_lg_u32 s4, 0
	v_cmp_le_u32_e32 vcc_lo, s41, v3
	v_sub_co_u32 v4, s4, v3, s41
	s_subb_u32 s8, s5, 0
	s_cmp_lg_u32 s4, 0
	v_cndmask_b32_e64 v5, 0, -1, vcc_lo
	s_subb_u32 s4, s8, 0
	s_cmp_eq_u32 s8, 0
	v_mov_b32_e32 v7, s4
	s_cselect_b32 vcc_lo, -1, 0
	s_cmp_eq_u32 s5, 0
	v_cndmask_b32_e32 v5, -1, v5, vcc_lo
	v_cmp_le_u32_e32 vcc_lo, s41, v2
	s_cselect_b32 s4, -1, 0
	v_cndmask_b32_e64 v6, 0, -1, vcc_lo
	s_delay_alu instid0(VALU_DEP_3) | instskip(NEXT) | instid1(VALU_DEP_2)
	v_cmp_ne_u32_e32 vcc_lo, 0, v5
	v_cndmask_b32_e64 v5, -1, v6, s4
	v_cndmask_b32_e32 v6, s8, v7, vcc_lo
	v_cndmask_b32_e32 v4, v3, v4, vcc_lo
	s_delay_alu instid0(VALU_DEP_3) | instskip(NEXT) | instid1(VALU_DEP_3)
	v_cmp_ne_u32_e32 vcc_lo, 0, v5
	v_cndmask_b32_e32 v3, s5, v6, vcc_lo
	s_delay_alu instid0(VALU_DEP_3)
	v_cndmask_b32_e32 v2, v2, v4, vcc_lo
	s_cbranch_execnz .LBB141_260
.LBB141_259:                            ;   in Loop: Header=BB141_27 Depth=1
	v_cvt_f32_u32_e32 v2, s41
	s_sub_i32 s4, 0, s41
	s_delay_alu instid0(VALU_DEP_1) | instskip(SKIP_2) | instid1(VALU_DEP_1)
	v_rcp_iflag_f32_e32 v2, v2
	s_waitcnt_depctr 0xfff
	v_mul_f32_e32 v2, 0x4f7ffffe, v2
	v_cvt_u32_f32_e32 v2, v2
	s_delay_alu instid0(VALU_DEP_1) | instskip(NEXT) | instid1(VALU_DEP_1)
	v_mul_lo_u32 v3, s4, v2
	v_mul_hi_u32 v3, v2, v3
	s_delay_alu instid0(VALU_DEP_1) | instskip(NEXT) | instid1(VALU_DEP_1)
	v_add_nc_u32_e32 v2, v2, v3
	v_mul_hi_u32 v2, s73, v2
	s_delay_alu instid0(VALU_DEP_1) | instskip(NEXT) | instid1(VALU_DEP_1)
	v_mul_lo_u32 v2, v2, s41
	v_sub_nc_u32_e32 v2, s73, v2
	s_delay_alu instid0(VALU_DEP_1) | instskip(SKIP_1) | instid1(VALU_DEP_2)
	v_subrev_nc_u32_e32 v3, s41, v2
	v_cmp_le_u32_e32 vcc_lo, s41, v2
	v_cndmask_b32_e32 v2, v2, v3, vcc_lo
	s_delay_alu instid0(VALU_DEP_1) | instskip(SKIP_1) | instid1(VALU_DEP_2)
	v_subrev_nc_u32_e32 v3, s41, v2
	v_cmp_le_u32_e32 vcc_lo, s41, v2
	v_cndmask_b32_e32 v12, v2, v3, vcc_lo
	s_delay_alu instid0(VALU_DEP_1)
	v_dual_mov_b32 v2, v12 :: v_dual_mov_b32 v3, v13
.LBB141_260:                            ;   in Loop: Header=BB141_27 Depth=1
	s_delay_alu instid0(VALU_DEP_1) | instskip(NEXT) | instid1(VALU_DEP_2)
	v_sub_co_u32 v2, vcc_lo, s73, v2
	v_sub_co_ci_u32_e32 v3, vcc_lo, s57, v3, vcc_lo
	s_mov_b32 s23, 0
	s_mov_b32 s5, exec_lo
                                        ; implicit-def: $vgpr28
	s_delay_alu instid0(VALU_DEP_1)
	v_cmpx_gt_u64_e64 v[2:3], v[0:1]
	s_cbranch_execz .LBB141_269
; %bb.261:                              ;   in Loop: Header=BB141_27 Depth=1
	v_dual_mov_b32 v5, v1 :: v_dual_mov_b32 v4, v0
	s_mov_b32 s8, 0
                                        ; implicit-def: $sgpr9
	s_branch .LBB141_263
.LBB141_262:                            ;   in Loop: Header=BB141_263 Depth=2
	s_or_b32 exec_lo, exec_lo, s4
	s_waitcnt vmcnt(0) lgkmcnt(0)
	s_barrier
	buffer_gl0_inv
	ds_load_b32 v6, v13 offset:3072
	v_add_co_u32 v4, vcc_lo, v4, s41
	v_add_co_ci_u32_e32 v5, vcc_lo, 0, v5, vcc_lo
	s_waitcnt lgkmcnt(0)
	s_barrier
	buffer_gl0_inv
	v_cmp_ge_u64_e32 vcc_lo, v[4:5], v[2:3]
	v_and_b32_e32 v7, 0x7fff, v6
	s_delay_alu instid0(VALU_DEP_1) | instskip(NEXT) | instid1(VALU_DEP_1)
	v_cmp_ne_u16_e64 s4, 0, v7
	s_or_b32 s18, vcc_lo, s4
	s_delay_alu instid0(SALU_CYCLE_1) | instskip(NEXT) | instid1(SALU_CYCLE_1)
	s_and_b32 s18, exec_lo, s18
	s_or_b32 s8, s18, s8
	s_and_not1_b32 s9, s9, exec_lo
	s_and_b32 s4, s4, exec_lo
	s_delay_alu instid0(SALU_CYCLE_1)
	s_or_b32 s9, s9, s4
	s_and_not1_b32 exec_lo, exec_lo, s8
	s_cbranch_execz .LBB141_268
.LBB141_263:                            ;   Parent Loop BB141_27 Depth=1
                                        ; =>  This Inner Loop Header: Depth=2
	s_delay_alu instid0(VALU_DEP_1)
	v_cmp_gt_u64_e32 vcc_lo, s[24:25], v[4:5]
	v_mov_b32_e32 v6, 0
	s_and_saveexec_b32 s18, vcc_lo
	s_cbranch_execz .LBB141_265
; %bb.264:                              ;   in Loop: Header=BB141_263 Depth=2
	v_mul_lo_u32 v8, v5, s42
	v_mul_lo_u32 v9, v4, s43
	v_mad_u64_u32 v[6:7], null, v4, s42, 0
	s_delay_alu instid0(VALU_DEP_1) | instskip(NEXT) | instid1(VALU_DEP_1)
	v_add3_u32 v7, v7, v9, v8
	v_lshlrev_b64 v[6:7], 1, v[6:7]
	s_delay_alu instid0(VALU_DEP_1) | instskip(NEXT) | instid1(VALU_DEP_1)
	v_add_co_u32 v6, s4, s33, v6
	v_add_co_ci_u32_e64 v7, s4, s35, v7, s4
	global_load_u16 v6, v[6:7], off
.LBB141_265:                            ;   in Loop: Header=BB141_263 Depth=2
	s_or_b32 exec_lo, exec_lo, s18
	s_and_saveexec_b32 s4, vcc_lo
	s_cbranch_execz .LBB141_262
; %bb.266:                              ;   in Loop: Header=BB141_263 Depth=2
	s_waitcnt vmcnt(0)
	v_cmp_lt_i16_e32 vcc_lo, -1, v6
	v_and_b32_e32 v7, 0xffff, v6
	v_dual_cndmask_b32 v8, 0xffff, v27 :: v_dual_lshlrev_b32 v9, 16, v6
	s_delay_alu instid0(VALU_DEP_1) | instskip(NEXT) | instid1(VALU_DEP_2)
	v_cmp_o_f32_e32 vcc_lo, v9, v9
	v_xor_b32_e32 v7, v8, v7
	s_delay_alu instid0(VALU_DEP_1) | instskip(NEXT) | instid1(VALU_DEP_1)
	v_cndmask_b32_e32 v7, 0xffff, v7, vcc_lo
	v_and_b32_e32 v7, s91, v7
	s_delay_alu instid0(VALU_DEP_1)
	v_cmp_eq_u32_e32 vcc_lo, s90, v7
	s_and_b32 exec_lo, exec_lo, vcc_lo
	s_cbranch_execz .LBB141_262
; %bb.267:                              ;   in Loop: Header=BB141_263 Depth=2
	v_perm_b32 v6, v6, s80, 0x5040100
	ds_store_b32 v13, v6 offset:3072
	s_branch .LBB141_262
.LBB141_268:                            ;   in Loop: Header=BB141_27 Depth=1
	s_or_b32 exec_lo, exec_lo, s8
	v_lshrrev_b32_e32 v28, 16, v6
	s_and_b32 s23, s9, exec_lo
.LBB141_269:                            ;   in Loop: Header=BB141_27 Depth=1
	s_or_b32 exec_lo, exec_lo, s5
	s_mov_b32 s18, -1
	s_mov_b32 s8, 0
	s_mov_b32 s9, 0
.LBB141_270:                            ;   in Loop: Header=BB141_27 Depth=1
	s_mov_b32 s60, 0
                                        ; implicit-def: $sgpr54
                                        ; implicit-def: $sgpr4_sgpr5
	s_and_saveexec_b32 s56, s23
	s_cbranch_execz .LBB141_283
; %bb.271:                              ;   in Loop: Header=BB141_27 Depth=1
	s_xor_b32 s17, s17, -1
	s_mov_b64 s[4:5], 1
	s_and_not1_b32 vcc_lo, exec_lo, s17
	s_mov_b32 s54, 1
	s_cbranch_vccnz .LBB141_282
; %bb.272:                              ;   in Loop: Header=BB141_27 Depth=1
	v_cmp_gt_u64_e64 s4, s[52:53], s[6:7]
	s_delay_alu instid0(VALU_DEP_1)
	s_and_b32 vcc_lo, exec_lo, s4
	s_cbranch_vccnz .LBB141_278
; %bb.273:                              ;   in Loop: Header=BB141_27 Depth=1
	ds_load_b64 v[2:3], v13 offset:5120
	s_waitcnt lgkmcnt(0)
	v_cmp_ne_u64_e32 vcc_lo, 0, v[2:3]
	s_cbranch_vccnz .LBB141_277
; %bb.274:                              ;   in Loop: Header=BB141_27 Depth=1
	s_and_saveexec_b32 s4, s3
	s_cbranch_execz .LBB141_276
; %bb.275:                              ;   in Loop: Header=BB141_27 Depth=1
	v_dual_mov_b32 v2, s6 :: v_dual_mov_b32 v3, s7
	ds_store_b64 v13, v[2:3] offset:5128
.LBB141_276:                            ;   in Loop: Header=BB141_27 Depth=1
	s_or_b32 exec_lo, exec_lo, s4
	s_waitcnt lgkmcnt(0)
	s_barrier
	buffer_gl0_inv
.LBB141_277:                            ;   in Loop: Header=BB141_27 Depth=1
	s_or_b32 s17, s90, s16
	s_or_b32 s16, s91, s16
	s_mov_b32 s4, 0
	s_mov_b32 s54, 8
	s_branch .LBB141_279
.LBB141_278:                            ;   in Loop: Header=BB141_27 Depth=1
	s_mov_b32 s4, -1
                                        ; implicit-def: $sgpr54
                                        ; implicit-def: $sgpr17
                                        ; implicit-def: $sgpr16
.LBB141_279:                            ;   in Loop: Header=BB141_27 Depth=1
	s_delay_alu instid0(SALU_CYCLE_1)
	s_and_not1_b32 vcc_lo, exec_lo, s4
	s_cbranch_vccnz .LBB141_281
; %bb.280:                              ;   in Loop: Header=BB141_27 Depth=1
	s_sub_u32 s52, s52, s6
	s_subb_u32 s53, s53, s7
	s_mov_b32 s54, 8
	s_mov_b32 s17, s90
	;; [unrolled: 1-line block ×3, first 2 shown]
.LBB141_281:                            ;   in Loop: Header=BB141_27 Depth=1
	s_mov_b64 s[4:5], s[52:53]
	s_mov_b32 s90, s17
	s_mov_b32 s91, s16
.LBB141_282:                            ;   in Loop: Header=BB141_27 Depth=1
	s_mov_b32 s60, exec_lo
.LBB141_283:                            ;   in Loop: Header=BB141_27 Depth=1
	s_or_b32 exec_lo, exec_lo, s56
	s_mov_b64 s[52:53], s[4:5]
.LBB141_284:                            ;   in Loop: Header=BB141_27 Depth=1
	s_and_not1_b32 s4, s10, exec_lo
	s_and_b32 s5, s8, exec_lo
	s_and_not1_b32 s6, s11, exec_lo
	s_or_b32 s10, s4, s5
	s_and_not1_b32 s4, s21, exec_lo
	s_and_b32 s5, s18, exec_lo
	s_and_b32 s7, s9, exec_lo
	s_or_b32 s21, s4, s5
	s_or_b32 s11, s6, s7
	s_and_b32 s5, s60, exec_lo
.LBB141_285:                            ;   in Loop: Header=BB141_27 Depth=1
	s_or_b32 exec_lo, exec_lo, s22
.LBB141_286:                            ;   in Loop: Header=BB141_27 Depth=1
	s_delay_alu instid0(SALU_CYCLE_1)
	s_and_not1_b32 s4, s13, exec_lo
	s_and_b32 s6, s10, exec_lo
	s_and_not1_b32 s7, s12, exec_lo
	s_or_b32 s13, s4, s6
	s_and_not1_b32 s4, s19, exec_lo
	s_and_b32 s6, s21, exec_lo
	s_and_b32 s8, s11, exec_lo
	s_or_b32 s19, s4, s6
	s_or_b32 s12, s7, s8
	s_and_b32 s5, s5, exec_lo
.LBB141_287:                            ;   in Loop: Header=BB141_27 Depth=1
	s_or_b32 exec_lo, exec_lo, s20
	s_and_saveexec_b32 s4, s5
	s_delay_alu instid0(SALU_CYCLE_1)
	s_xor_b32 s4, exec_lo, s4
	s_cbranch_execz .LBB141_25
.LBB141_288:                            ;   in Loop: Header=BB141_27 Depth=1
	s_and_b32 s5, s54, -9
	s_delay_alu instid0(SALU_CYCLE_1)
	s_cmp_eq_u32 s5, 0
	s_cbranch_scc1 .LBB141_23
; %bb.289:                              ;   in Loop: Header=BB141_27 Depth=1
	s_mov_b32 s5, -1
	s_mov_b32 s6, -1
                                        ; implicit-def: $sgpr91
                                        ; implicit-def: $sgpr52_sgpr53
                                        ; implicit-def: $sgpr85
                                        ; implicit-def: $sgpr88
	s_branch .LBB141_24
.LBB141_290:                            ;   in Loop: Header=BB141_27 Depth=1
                                        ; implicit-def: $vgpr2_vgpr3
	s_branch .LBB141_242
.LBB141_291:                            ;   in Loop: Header=BB141_27 Depth=1
                                        ; implicit-def: $vgpr2_vgpr3
	s_branch .LBB141_259
.LBB141_292:
	s_or_b32 exec_lo, exec_lo, s81
	s_xor_b32 s3, s84, -1
	s_xor_b32 s1, s82, -1
	s_xor_b32 s4, s83, -1
	s_mov_b32 s0, 0
	s_and_saveexec_b32 s5, s1
	s_delay_alu instid0(SALU_CYCLE_1)
	s_xor_b32 s1, exec_lo, s5
	s_cbranch_execz .LBB141_306
; %bb.293:
	s_and_saveexec_b32 s0, s3
	s_delay_alu instid0(SALU_CYCLE_1)
	s_xor_b32 s3, exec_lo, s0
	s_cbranch_execz .LBB141_304
; %bb.294:
	s_and_saveexec_b32 s0, s4
	s_delay_alu instid0(SALU_CYCLE_1)
	s_xor_b32 s0, exec_lo, s0
; %bb.295:
	v_and_b32_e32 v3, 0x8000, v2
	v_mov_b32_e32 v4, 0xffff
	s_delay_alu instid0(VALU_DEP_2) | instskip(NEXT) | instid1(VALU_DEP_2)
	v_cmp_eq_u32_e32 vcc_lo, 0, v3
	v_cndmask_b32_e32 v3, 0x8000, v4, vcc_lo
	s_delay_alu instid0(VALU_DEP_1)
	v_xor_b32_e32 v28, v3, v2
; %bb.296:
	s_or_b32 exec_lo, exec_lo, s0
	s_mul_i32 s0, s48, s47
	s_mul_hi_u32 s4, s48, s46
	s_mul_i32 s5, s48, s46
	s_add_i32 s4, s4, s0
	s_sub_u32 s0, s34, s5
	s_subb_u32 s4, 0, s4
	s_mul_i32 s5, s0, s39
	s_mul_hi_u32 s6, s0, s38
	s_mul_hi_u32 s7, s48, s36
	s_add_i32 s6, s6, s5
	s_mul_i32 s5, s48, s37
	s_mul_i32 s8, s4, s38
	s_add_i32 s5, s7, s5
	s_mul_i32 s4, s48, s36
	s_add_i32 s7, s6, s8
	s_lshl_b64 s[4:5], s[4:5], 1
	s_mul_i32 s6, s0, s38
	s_add_u32 s0, s50, s4
	s_addc_u32 s8, s51, s5
	s_lshl_b64 s[4:5], s[6:7], 1
	v_mov_b32_e32 v2, 0
	s_add_u32 s4, s0, s4
	s_addc_u32 s5, s8, s5
	global_store_b16 v2, v28, s[4:5]
	s_and_saveexec_b32 s4, s2
	s_cbranch_execz .LBB141_303
; %bb.297:
	v_lshlrev_b32_e32 v4, 16, v28
	s_mov_b32 s2, 0
                                        ; implicit-def: $sgpr5
                                        ; implicit-def: $sgpr8
                                        ; implicit-def: $sgpr7
	s_delay_alu instid0(VALU_DEP_1)
	v_cmp_u_f32_e32 vcc_lo, v4, v4
	s_xor_b32 s6, vcc_lo, -1
	s_set_inst_prefetch_distance 0x1
	s_branch .LBB141_299
	.p2align	6
.LBB141_298:                            ;   in Loop: Header=BB141_299 Depth=1
	s_or_b32 exec_lo, exec_lo, s0
	s_delay_alu instid0(SALU_CYCLE_1) | instskip(NEXT) | instid1(SALU_CYCLE_1)
	s_and_b32 s0, exec_lo, s8
	s_or_b32 s2, s0, s2
	s_and_not1_b32 s0, s5, exec_lo
	s_and_b32 s5, s7, exec_lo
	s_delay_alu instid0(SALU_CYCLE_1)
	s_or_b32 s5, s0, s5
	s_and_not1_b32 exec_lo, exec_lo, s2
	s_cbranch_execz .LBB141_301
.LBB141_299:                            ; =>This Inner Loop Header: Depth=1
	v_dual_mov_b32 v3, v1 :: v_dual_mov_b32 v2, v0
	s_or_b32 s7, s7, exec_lo
	s_or_b32 s8, s8, exec_lo
	s_delay_alu instid0(VALU_DEP_1) | instskip(NEXT) | instid1(VALU_DEP_2)
	v_mul_lo_u32 v5, v3, s42
	v_mul_lo_u32 v6, v2, s43
	v_mad_u64_u32 v[0:1], null, v2, s42, 0
	s_delay_alu instid0(VALU_DEP_1) | instskip(NEXT) | instid1(VALU_DEP_1)
	v_add3_u32 v1, v1, v6, v5
	v_lshlrev_b64 v[0:1], 1, v[0:1]
	s_delay_alu instid0(VALU_DEP_1) | instskip(NEXT) | instid1(VALU_DEP_2)
	v_add_co_u32 v0, vcc_lo, s33, v0
	v_add_co_ci_u32_e32 v1, vcc_lo, s35, v1, vcc_lo
	global_load_u16 v0, v[0:1], off
	s_waitcnt vmcnt(0)
	v_lshlrev_b32_e32 v0, 16, v0
	s_delay_alu instid0(VALU_DEP_1)
	v_cmp_o_f32_e32 vcc_lo, v0, v0
	v_cmp_neq_f32_e64 s0, v0, v4
                                        ; implicit-def: $vgpr0_vgpr1
	s_or_b32 s9, s6, vcc_lo
	s_delay_alu instid0(VALU_DEP_1) | instid1(SALU_CYCLE_1)
	s_and_b32 s9, s0, s9
	s_delay_alu instid0(SALU_CYCLE_1)
	s_and_saveexec_b32 s0, s9
	s_cbranch_execz .LBB141_298
; %bb.300:                              ;   in Loop: Header=BB141_299 Depth=1
	v_add_co_u32 v0, vcc_lo, v2, s41
	v_add_co_ci_u32_e32 v1, vcc_lo, 0, v3, vcc_lo
	s_and_not1_b32 s8, s8, exec_lo
	s_and_not1_b32 s7, s7, exec_lo
	s_delay_alu instid0(VALU_DEP_1) | instskip(SKIP_1) | instid1(SALU_CYCLE_1)
	v_cmp_le_u64_e32 vcc_lo, s[24:25], v[0:1]
	s_and_b32 s9, vcc_lo, exec_lo
	s_or_b32 s8, s8, s9
	s_branch .LBB141_298
.LBB141_301:
	s_set_inst_prefetch_distance 0x2
	s_or_b32 exec_lo, exec_lo, s2
	s_and_saveexec_b32 s0, s5
	s_delay_alu instid0(SALU_CYCLE_1)
	s_xor_b32 s0, exec_lo, s0
	s_cbranch_execz .LBB141_303
; %bb.302:
	s_mul_i32 s0, s40, s27
	s_mul_hi_u32 s2, s40, s26
	s_mul_i32 s5, s40, s26
	s_add_i32 s2, s2, s0
	s_sub_u32 s0, s34, s5
	s_subb_u32 s2, 0, s2
	s_mul_i32 s5, s0, s31
	s_mul_hi_u32 s6, s0, s30
	s_mul_hi_u32 s7, s40, s28
	s_add_i32 s5, s6, s5
	s_mul_i32 s6, s40, s29
	s_mul_i32 s2, s2, s30
	s_add_i32 s7, s7, s6
	s_mul_i32 s6, s40, s28
	s_add_i32 s9, s5, s2
	s_lshl_b64 s[6:7], s[6:7], 3
	s_mul_i32 s8, s0, s30
	s_add_u32 s0, s44, s6
	s_addc_u32 s2, s45, s7
	s_lshl_b64 s[6:7], s[8:9], 3
	v_mov_b32_e32 v0, 0
	s_add_u32 s6, s0, s6
	s_addc_u32 s7, s2, s7
	global_store_b64 v0, v[2:3], s[6:7]
.LBB141_303:
	s_or_b32 exec_lo, exec_lo, s4
.LBB141_304:
	s_or_saveexec_b32 s0, s3
	s_mov_b32 s2, 0
	s_xor_b32 exec_lo, exec_lo, s0
	s_cbranch_execnz .LBB141_312
.LBB141_305:
	s_or_b32 exec_lo, exec_lo, s0
	s_delay_alu instid0(SALU_CYCLE_1)
	s_and_b32 s0, s2, exec_lo
.LBB141_306:
	s_and_not1_saveexec_b32 s1, s1
	s_cbranch_execnz .LBB141_310
; %bb.307:
	s_or_b32 exec_lo, exec_lo, s1
	s_and_saveexec_b32 s1, s0
.LBB141_308:
	; divergent unreachable
.LBB141_309:
	s_nop 0
	s_sendmsg sendmsg(MSG_DEALLOC_VGPRS)
	s_endpgm
.LBB141_310:
	s_cbranch_execnz .LBB141_314
; %bb.311:
	s_or_b32 s0, s0, exec_lo
	s_or_b32 exec_lo, exec_lo, s1
	s_and_saveexec_b32 s1, s0
	s_cbranch_execnz .LBB141_308
	s_branch .LBB141_309
.LBB141_312:
	s_cbranch_execnz .LBB141_316
; %bb.313:
	s_mov_b32 s2, exec_lo
	s_branch .LBB141_305
.LBB141_314:
	s_trap 2
	s_sendmsg_rtn_b32 s0, sendmsg(MSG_RTN_GET_DOORBELL)
	s_mov_b32 ttmp2, m0
	s_waitcnt lgkmcnt(0)
	s_and_b32 s0, s0, 0x3ff
	s_delay_alu instid0(SALU_CYCLE_1) | instskip(NEXT) | instid1(SALU_CYCLE_1)
	s_bitset1_b32 s0, 10
	s_mov_b32 m0, s0
	s_sendmsg sendmsg(MSG_INTERRUPT)
	s_mov_b32 m0, ttmp2
.LBB141_315:                            ; =>This Inner Loop Header: Depth=1
	s_sethalt 5
	s_branch .LBB141_315
.LBB141_316:
	s_trap 2
	s_sendmsg_rtn_b32 s0, sendmsg(MSG_RTN_GET_DOORBELL)
	s_mov_b32 ttmp2, m0
	s_waitcnt lgkmcnt(0)
	s_and_b32 s0, s0, 0x3ff
	s_delay_alu instid0(SALU_CYCLE_1) | instskip(NEXT) | instid1(SALU_CYCLE_1)
	s_bitset1_b32 s0, 10
	s_mov_b32 m0, s0
	s_sendmsg sendmsg(MSG_INTERRUPT)
	s_mov_b32 m0, ttmp2
.LBB141_317:                            ; =>This Inner Loop Header: Depth=1
	s_sethalt 5
	s_branch .LBB141_317
	.section	.rodata,"a",@progbits
	.p2align	6, 0x0
	.amdhsa_kernel _ZN2at6native12_GLOBAL__N_112gatherMedianIN3c108BFloat16EmLi2EEEvNS_4cuda6detail10TensorInfoIT_T0_EENS7_IlS9_EENS7_IKS8_S9_EES9_S9_S9_b
		.amdhsa_group_segment_fixed_size 5152
		.amdhsa_private_segment_fixed_size 0
		.amdhsa_kernarg_size 1536
		.amdhsa_user_sgpr_count 13
		.amdhsa_user_sgpr_dispatch_ptr 0
		.amdhsa_user_sgpr_queue_ptr 0
		.amdhsa_user_sgpr_kernarg_segment_ptr 1
		.amdhsa_user_sgpr_dispatch_id 0
		.amdhsa_user_sgpr_private_segment_size 0
		.amdhsa_wavefront_size32 1
		.amdhsa_uses_dynamic_stack 0
		.amdhsa_enable_private_segment 0
		.amdhsa_system_sgpr_workgroup_id_x 1
		.amdhsa_system_sgpr_workgroup_id_y 1
		.amdhsa_system_sgpr_workgroup_id_z 1
		.amdhsa_system_sgpr_workgroup_info 0
		.amdhsa_system_vgpr_workitem_id 0
		.amdhsa_next_free_vgpr 33
		.amdhsa_next_free_sgpr 94
		.amdhsa_reserve_vcc 1
		.amdhsa_float_round_mode_32 0
		.amdhsa_float_round_mode_16_64 0
		.amdhsa_float_denorm_mode_32 3
		.amdhsa_float_denorm_mode_16_64 3
		.amdhsa_dx10_clamp 1
		.amdhsa_ieee_mode 1
		.amdhsa_fp16_overflow 0
		.amdhsa_workgroup_processor_mode 1
		.amdhsa_memory_ordered 1
		.amdhsa_forward_progress 0
		.amdhsa_shared_vgpr_count 0
		.amdhsa_exception_fp_ieee_invalid_op 0
		.amdhsa_exception_fp_denorm_src 0
		.amdhsa_exception_fp_ieee_div_zero 0
		.amdhsa_exception_fp_ieee_overflow 0
		.amdhsa_exception_fp_ieee_underflow 0
		.amdhsa_exception_fp_ieee_inexact 0
		.amdhsa_exception_int_div_zero 0
	.end_amdhsa_kernel
	.section	.text._ZN2at6native12_GLOBAL__N_112gatherMedianIN3c108BFloat16EmLi2EEEvNS_4cuda6detail10TensorInfoIT_T0_EENS7_IlS9_EENS7_IKS8_S9_EES9_S9_S9_b,"axG",@progbits,_ZN2at6native12_GLOBAL__N_112gatherMedianIN3c108BFloat16EmLi2EEEvNS_4cuda6detail10TensorInfoIT_T0_EENS7_IlS9_EENS7_IKS8_S9_EES9_S9_S9_b,comdat
.Lfunc_end141:
	.size	_ZN2at6native12_GLOBAL__N_112gatherMedianIN3c108BFloat16EmLi2EEEvNS_4cuda6detail10TensorInfoIT_T0_EENS7_IlS9_EENS7_IKS8_S9_EES9_S9_S9_b, .Lfunc_end141-_ZN2at6native12_GLOBAL__N_112gatherMedianIN3c108BFloat16EmLi2EEEvNS_4cuda6detail10TensorInfoIT_T0_EENS7_IlS9_EENS7_IKS8_S9_EES9_S9_S9_b
                                        ; -- End function
	.section	.AMDGPU.csdata,"",@progbits
; Kernel info:
; codeLenInByte = 18400
; NumSgprs: 96
; NumVgprs: 33
; ScratchSize: 0
; MemoryBound: 0
; FloatMode: 240
; IeeeMode: 1
; LDSByteSize: 5152 bytes/workgroup (compile time only)
; SGPRBlocks: 11
; VGPRBlocks: 4
; NumSGPRsForWavesPerEU: 96
; NumVGPRsForWavesPerEU: 33
; Occupancy: 16
; WaveLimiterHint : 1
; COMPUTE_PGM_RSRC2:SCRATCH_EN: 0
; COMPUTE_PGM_RSRC2:USER_SGPR: 13
; COMPUTE_PGM_RSRC2:TRAP_HANDLER: 0
; COMPUTE_PGM_RSRC2:TGID_X_EN: 1
; COMPUTE_PGM_RSRC2:TGID_Y_EN: 1
; COMPUTE_PGM_RSRC2:TGID_Z_EN: 1
; COMPUTE_PGM_RSRC2:TIDIG_COMP_CNT: 0
	.section	.text._ZN2at6native12_GLOBAL__N_112gatherMedianIN3c108BFloat16EmLi3EEEvNS_4cuda6detail10TensorInfoIT_T0_EENS7_IlS9_EENS7_IKS8_S9_EES9_S9_S9_b,"axG",@progbits,_ZN2at6native12_GLOBAL__N_112gatherMedianIN3c108BFloat16EmLi3EEEvNS_4cuda6detail10TensorInfoIT_T0_EENS7_IlS9_EENS7_IKS8_S9_EES9_S9_S9_b,comdat
	.globl	_ZN2at6native12_GLOBAL__N_112gatherMedianIN3c108BFloat16EmLi3EEEvNS_4cuda6detail10TensorInfoIT_T0_EENS7_IlS9_EENS7_IKS8_S9_EES9_S9_S9_b ; -- Begin function _ZN2at6native12_GLOBAL__N_112gatherMedianIN3c108BFloat16EmLi3EEEvNS_4cuda6detail10TensorInfoIT_T0_EENS7_IlS9_EENS7_IKS8_S9_EES9_S9_S9_b
	.p2align	8
	.type	_ZN2at6native12_GLOBAL__N_112gatherMedianIN3c108BFloat16EmLi3EEEvNS_4cuda6detail10TensorInfoIT_T0_EENS7_IlS9_EENS7_IKS8_S9_EES9_S9_S9_b,@function
_ZN2at6native12_GLOBAL__N_112gatherMedianIN3c108BFloat16EmLi3EEEvNS_4cuda6detail10TensorInfoIT_T0_EENS7_IlS9_EENS7_IKS8_S9_EES9_S9_S9_b: ; @_ZN2at6native12_GLOBAL__N_112gatherMedianIN3c108BFloat16EmLi3EEEvNS_4cuda6detail10TensorInfoIT_T0_EENS7_IlS9_EENS7_IKS8_S9_EES9_S9_S9_b
; %bb.0:
	s_clause 0x1
	s_load_b64 s[16:17], s[0:1], 0x500
	s_load_b128 s[24:27], s[0:1], 0x4e0
	s_add_u32 s18, s0, 0x500
	s_addc_u32 s19, s1, 0
	s_mov_b32 s35, 0
	s_waitcnt lgkmcnt(0)
	s_mul_i32 s2, s17, s15
	s_delay_alu instid0(SALU_CYCLE_1) | instskip(NEXT) | instid1(SALU_CYCLE_1)
	s_add_i32 s2, s2, s14
	s_mul_i32 s2, s2, s16
	s_delay_alu instid0(SALU_CYCLE_1) | instskip(NEXT) | instid1(SALU_CYCLE_1)
	s_add_i32 s34, s2, s13
	v_cmp_ge_u64_e64 s2, s[34:35], s[26:27]
	s_delay_alu instid0(VALU_DEP_1)
	s_and_b32 vcc_lo, exec_lo, s2
	s_cbranch_vccnz .LBB142_315
; %bb.1:
	s_load_b128 s[36:39], s[0:1], 0x10
	s_mov_b64 s[52:53], 0
	s_mov_b64 s[54:55], 0
	s_waitcnt lgkmcnt(0)
	v_cmp_lt_u64_e64 s2, s[34:35], s[38:39]
	s_delay_alu instid0(VALU_DEP_1)
	s_and_b32 vcc_lo, exec_lo, s2
	s_cbranch_vccnz .LBB142_3
; %bb.2:
	v_cvt_f32_u32_e32 v1, s38
	s_sub_i32 s3, 0, s38
	s_mov_b32 s55, 0
	s_delay_alu instid0(VALU_DEP_1) | instskip(SKIP_2) | instid1(VALU_DEP_1)
	v_rcp_iflag_f32_e32 v1, v1
	s_waitcnt_depctr 0xfff
	v_mul_f32_e32 v1, 0x4f7ffffe, v1
	v_cvt_u32_f32_e32 v1, v1
	s_delay_alu instid0(VALU_DEP_1) | instskip(NEXT) | instid1(VALU_DEP_1)
	v_readfirstlane_b32 s2, v1
	s_mul_i32 s3, s3, s2
	s_delay_alu instid0(SALU_CYCLE_1) | instskip(NEXT) | instid1(SALU_CYCLE_1)
	s_mul_hi_u32 s3, s2, s3
	s_add_i32 s2, s2, s3
	s_delay_alu instid0(SALU_CYCLE_1) | instskip(NEXT) | instid1(SALU_CYCLE_1)
	s_mul_hi_u32 s2, s34, s2
	s_mul_i32 s3, s2, s38
	s_add_i32 s4, s2, 1
	s_sub_i32 s3, s34, s3
	s_delay_alu instid0(SALU_CYCLE_1)
	s_sub_i32 s5, s3, s38
	s_cmp_ge_u32 s3, s38
	s_cselect_b32 s2, s4, s2
	s_cselect_b32 s3, s5, s3
	s_add_i32 s4, s2, 1
	s_cmp_ge_u32 s3, s38
	s_cselect_b32 s54, s4, s2
.LBB142_3:
	s_load_b128 s[28:31], s[0:1], 0x1b0
	v_cmp_lt_u64_e64 s2, s[54:55], s[36:37]
	s_delay_alu instid0(VALU_DEP_1)
	s_and_b32 vcc_lo, exec_lo, s2
	s_cbranch_vccnz .LBB142_5
; %bb.4:
	v_cvt_f32_u32_e32 v1, s36
	s_sub_i32 s3, 0, s36
	s_delay_alu instid0(VALU_DEP_1) | instskip(SKIP_2) | instid1(VALU_DEP_1)
	v_rcp_iflag_f32_e32 v1, v1
	s_waitcnt_depctr 0xfff
	v_mul_f32_e32 v1, 0x4f7ffffe, v1
	v_cvt_u32_f32_e32 v1, v1
	s_delay_alu instid0(VALU_DEP_1) | instskip(NEXT) | instid1(VALU_DEP_1)
	v_readfirstlane_b32 s2, v1
	s_mul_i32 s3, s3, s2
	s_delay_alu instid0(SALU_CYCLE_1) | instskip(NEXT) | instid1(SALU_CYCLE_1)
	s_mul_hi_u32 s3, s2, s3
	s_add_i32 s2, s2, s3
	s_delay_alu instid0(SALU_CYCLE_1) | instskip(NEXT) | instid1(SALU_CYCLE_1)
	s_mul_hi_u32 s2, s54, s2
	s_mul_i32 s3, s2, s36
	s_add_i32 s4, s2, 1
	s_sub_i32 s3, s54, s3
	s_delay_alu instid0(SALU_CYCLE_1)
	s_sub_i32 s5, s3, s36
	s_cmp_ge_u32 s3, s36
	s_cselect_b32 s2, s4, s2
	s_cselect_b32 s3, s5, s3
	s_add_i32 s4, s2, 1
	s_cmp_ge_u32 s3, s36
	s_cselect_b32 s52, s4, s2
.LBB142_5:
	s_waitcnt lgkmcnt(0)
	v_cmp_lt_u64_e64 s2, s[34:35], s[30:31]
	s_mov_b64 s[26:27], 0
	s_mov_b64 s[48:49], 0
	s_delay_alu instid0(VALU_DEP_1)
	s_and_b32 vcc_lo, exec_lo, s2
	s_cbranch_vccnz .LBB142_7
; %bb.6:
	v_cvt_f32_u32_e32 v1, s30
	s_sub_i32 s3, 0, s30
	s_mov_b32 s49, 0
	s_delay_alu instid0(VALU_DEP_1) | instskip(SKIP_2) | instid1(VALU_DEP_1)
	v_rcp_iflag_f32_e32 v1, v1
	s_waitcnt_depctr 0xfff
	v_mul_f32_e32 v1, 0x4f7ffffe, v1
	v_cvt_u32_f32_e32 v1, v1
	s_delay_alu instid0(VALU_DEP_1) | instskip(NEXT) | instid1(VALU_DEP_1)
	v_readfirstlane_b32 s2, v1
	s_mul_i32 s3, s3, s2
	s_delay_alu instid0(SALU_CYCLE_1) | instskip(NEXT) | instid1(SALU_CYCLE_1)
	s_mul_hi_u32 s3, s2, s3
	s_add_i32 s2, s2, s3
	s_delay_alu instid0(SALU_CYCLE_1) | instskip(NEXT) | instid1(SALU_CYCLE_1)
	s_mul_hi_u32 s2, s34, s2
	s_mul_i32 s3, s2, s30
	s_add_i32 s4, s2, 1
	s_sub_i32 s3, s34, s3
	s_delay_alu instid0(SALU_CYCLE_1)
	s_sub_i32 s5, s3, s30
	s_cmp_ge_u32 s3, s30
	s_cselect_b32 s2, s4, s2
	s_cselect_b32 s3, s5, s3
	s_add_i32 s4, s2, 1
	s_cmp_ge_u32 s3, s30
	s_cselect_b32 s48, s4, s2
.LBB142_7:
	s_clause 0x3
	s_load_b64 s[50:51], s[0:1], 0x4f0
	s_load_b64 s[2:3], s[0:1], 0x420
	s_load_b128 s[4:7], s[0:1], 0x410
	s_load_b128 s[8:11], s[0:1], 0x350
	v_cmp_lt_u64_e64 s12, s[48:49], s[28:29]
	s_delay_alu instid0(VALU_DEP_1)
	s_and_b32 vcc_lo, exec_lo, s12
	s_cbranch_vccnz .LBB142_9
; %bb.8:
	v_cvt_f32_u32_e32 v1, s28
	s_sub_i32 s14, 0, s28
	s_delay_alu instid0(VALU_DEP_1) | instskip(SKIP_2) | instid1(VALU_DEP_1)
	v_rcp_iflag_f32_e32 v1, v1
	s_waitcnt_depctr 0xfff
	v_mul_f32_e32 v1, 0x4f7ffffe, v1
	v_cvt_u32_f32_e32 v1, v1
	s_delay_alu instid0(VALU_DEP_1) | instskip(NEXT) | instid1(VALU_DEP_1)
	v_readfirstlane_b32 s12, v1
	s_mul_i32 s14, s14, s12
	s_delay_alu instid0(SALU_CYCLE_1) | instskip(NEXT) | instid1(SALU_CYCLE_1)
	s_mul_hi_u32 s14, s12, s14
	s_add_i32 s12, s12, s14
	s_delay_alu instid0(SALU_CYCLE_1) | instskip(NEXT) | instid1(SALU_CYCLE_1)
	s_mul_hi_u32 s12, s48, s12
	s_mul_i32 s14, s12, s28
	s_add_i32 s15, s12, 1
	s_sub_i32 s14, s48, s14
	s_delay_alu instid0(SALU_CYCLE_1)
	s_sub_i32 s17, s14, s28
	s_cmp_ge_u32 s14, s28
	s_cselect_b32 s12, s15, s12
	s_cselect_b32 s14, s17, s14
	s_add_i32 s15, s12, 1
	s_cmp_ge_u32 s14, s28
	s_cselect_b32 s26, s15, s12
.LBB142_9:
	s_load_b64 s[14:15], s[0:1], 0x340
	s_waitcnt lgkmcnt(0)
	v_cmp_lt_u64_e64 s12, s[34:35], s[10:11]
	s_mov_b64 s[20:21], 0
	s_mov_b64 s[22:23], 0
	s_delay_alu instid0(VALU_DEP_1)
	s_and_b32 vcc_lo, exec_lo, s12
	s_cbranch_vccnz .LBB142_11
; %bb.10:
	v_cvt_f32_u32_e32 v1, s10
	s_sub_i32 s17, 0, s10
	s_mov_b32 s23, 0
	s_delay_alu instid0(VALU_DEP_1) | instskip(SKIP_2) | instid1(VALU_DEP_1)
	v_rcp_iflag_f32_e32 v1, v1
	s_waitcnt_depctr 0xfff
	v_mul_f32_e32 v1, 0x4f7ffffe, v1
	v_cvt_u32_f32_e32 v1, v1
	s_delay_alu instid0(VALU_DEP_1) | instskip(NEXT) | instid1(VALU_DEP_1)
	v_readfirstlane_b32 s12, v1
	s_mul_i32 s17, s17, s12
	s_delay_alu instid0(SALU_CYCLE_1) | instskip(NEXT) | instid1(SALU_CYCLE_1)
	s_mul_hi_u32 s17, s12, s17
	s_add_i32 s12, s12, s17
	s_delay_alu instid0(SALU_CYCLE_1) | instskip(NEXT) | instid1(SALU_CYCLE_1)
	s_mul_hi_u32 s12, s34, s12
	s_mul_i32 s17, s12, s10
	s_add_i32 s21, s12, 1
	s_sub_i32 s17, s34, s17
	s_delay_alu instid0(SALU_CYCLE_1)
	s_sub_i32 s22, s17, s10
	s_cmp_ge_u32 s17, s10
	s_cselect_b32 s12, s21, s12
	s_cselect_b32 s17, s22, s17
	s_add_i32 s21, s12, 1
	s_cmp_ge_u32 s17, s10
	s_cselect_b32 s22, s21, s12
.LBB142_11:
	s_clause 0x3
	s_load_b64 s[56:57], s[0:1], 0x280
	s_load_b128 s[40:43], s[0:1], 0x270
	s_load_b64 s[60:61], s[0:1], 0xe0
	s_load_b128 s[44:47], s[0:1], 0xd0
	v_cmp_lt_u64_e64 s12, s[22:23], s[8:9]
	s_delay_alu instid0(VALU_DEP_1)
	s_and_b32 vcc_lo, exec_lo, s12
	s_cbranch_vccnz .LBB142_13
; %bb.12:
	v_cvt_f32_u32_e32 v1, s8
	s_sub_i32 s17, 0, s8
	s_delay_alu instid0(VALU_DEP_1) | instskip(SKIP_2) | instid1(VALU_DEP_1)
	v_rcp_iflag_f32_e32 v1, v1
	s_waitcnt_depctr 0xfff
	v_mul_f32_e32 v1, 0x4f7ffffe, v1
	v_cvt_u32_f32_e32 v1, v1
	s_delay_alu instid0(VALU_DEP_1) | instskip(NEXT) | instid1(VALU_DEP_1)
	v_readfirstlane_b32 s12, v1
	s_mul_i32 s17, s17, s12
	s_delay_alu instid0(SALU_CYCLE_1) | instskip(NEXT) | instid1(SALU_CYCLE_1)
	s_mul_hi_u32 s17, s12, s17
	s_add_i32 s12, s12, s17
	s_delay_alu instid0(SALU_CYCLE_1) | instskip(NEXT) | instid1(SALU_CYCLE_1)
	s_mul_hi_u32 s12, s22, s12
	s_mul_i32 s17, s12, s8
	s_add_i32 s20, s12, 1
	s_sub_i32 s17, s22, s17
	s_delay_alu instid0(SALU_CYCLE_1)
	s_sub_i32 s21, s17, s8
	s_cmp_ge_u32 s17, s8
	s_cselect_b32 s12, s20, s12
	s_cselect_b32 s17, s21, s17
	s_add_i32 s20, s12, 1
	s_cmp_ge_u32 s17, s8
	s_cselect_b32 s20, s20, s12
.LBB142_13:
	s_mul_i32 s11, s22, s11
	s_mul_hi_u32 s12, s22, s10
	s_mul_i32 s10, s22, s10
	s_add_i32 s12, s12, s11
	s_sub_u32 s10, s34, s10
	s_subb_u32 s12, 0, s12
	s_mul_i32 s3, s10, s3
	s_mul_hi_u32 s11, s10, s2
	s_mul_i32 s12, s12, s2
	s_add_i32 s3, s11, s3
	s_clause 0x1
	s_load_b64 s[58:59], s[0:1], 0x1a0
	s_load_b64 s[62:63], s[0:1], 0x0
	s_add_i32 s11, s3, s12
	s_mul_i32 s3, s20, s9
	s_mul_hi_u32 s9, s20, s8
	s_mul_i32 s8, s20, s8
	s_add_i32 s9, s9, s3
	s_sub_u32 s3, s22, s8
	s_subb_u32 s9, s23, s9
	s_mul_i32 s7, s3, s7
	s_mul_hi_u32 s8, s3, s6
	s_mul_i32 s5, s20, s5
	s_add_i32 s7, s8, s7
	s_mul_hi_u32 s8, s20, s4
	s_mul_i32 s4, s20, s4
	s_add_i32 s5, s8, s5
	s_mul_i32 s9, s9, s6
	s_lshl_b64 s[4:5], s[4:5], 1
	v_dual_mov_b32 v1, 0 :: v_dual_mov_b32 v2, 0
	s_add_i32 s7, s7, s9
	s_mul_i32 s6, s3, s6
	s_add_u32 s3, s14, s4
	s_addc_u32 s8, s15, s5
	s_lshl_b64 s[4:5], s[6:7], 1
	s_mul_i32 s10, s10, s2
	s_add_u32 s3, s3, s4
	v_cmp_gt_u64_e64 s2, s[24:25], v[0:1]
	s_addc_u32 s6, s8, s5
	v_mov_b32_e32 v3, 0
	s_lshl_b64 s[4:5], s[10:11], 1
	s_delay_alu instid0(SALU_CYCLE_1)
	s_add_u32 s27, s3, s4
	s_addc_u32 s33, s6, s5
	s_and_saveexec_b32 s4, s2
	s_cbranch_execz .LBB142_17
; %bb.14:
	s_load_b32 s3, s[18:19], 0xc
	v_dual_mov_b32 v2, 0 :: v_dual_mov_b32 v5, v1
	v_dual_mov_b32 v3, 0 :: v_dual_mov_b32 v4, v0
	s_mov_b32 s5, 0
	s_waitcnt lgkmcnt(0)
	s_and_b32 s6, s3, 0xffff
	.p2align	6
.LBB142_15:                             ; =>This Inner Loop Header: Depth=1
	v_mul_lo_u32 v8, v5, s50
	v_mul_lo_u32 v9, v4, s51
	v_mad_u64_u32 v[6:7], null, v4, s50, 0
	s_delay_alu instid0(VALU_DEP_1) | instskip(NEXT) | instid1(VALU_DEP_1)
	v_add3_u32 v7, v7, v9, v8
	v_lshlrev_b64 v[6:7], 1, v[6:7]
	s_delay_alu instid0(VALU_DEP_1) | instskip(NEXT) | instid1(VALU_DEP_2)
	v_add_co_u32 v6, vcc_lo, s27, v6
	v_add_co_ci_u32_e32 v7, vcc_lo, s33, v7, vcc_lo
	v_add_co_u32 v4, vcc_lo, v4, s6
	v_add_co_ci_u32_e32 v5, vcc_lo, 0, v5, vcc_lo
	global_load_u16 v6, v[6:7], off
	s_waitcnt vmcnt(0)
	v_lshlrev_b32_e32 v6, 16, v6
	s_delay_alu instid0(VALU_DEP_1) | instskip(SKIP_2) | instid1(VALU_DEP_2)
	v_cmp_u_f32_e32 vcc_lo, v6, v6
	v_cndmask_b32_e64 v6, 0, 1, vcc_lo
	v_cmp_le_u64_e32 vcc_lo, s[24:25], v[4:5]
	v_add_co_u32 v2, s3, v2, v6
	s_delay_alu instid0(VALU_DEP_1) | instskip(SKIP_1) | instid1(SALU_CYCLE_1)
	v_add_co_ci_u32_e64 v3, s3, 0, v3, s3
	s_or_b32 s5, vcc_lo, s5
	s_and_not1_b32 exec_lo, exec_lo, s5
	s_cbranch_execnz .LBB142_15
; %bb.16:
	s_or_b32 exec_lo, exec_lo, s5
.LBB142_17:
	s_delay_alu instid0(SALU_CYCLE_1) | instskip(SKIP_1) | instid1(VALU_DEP_1)
	s_or_b32 exec_lo, exec_lo, s4
	v_cmp_eq_u32_e64 s3, 0, v0
	s_and_saveexec_b32 s4, s3
	s_cbranch_execz .LBB142_19
; %bb.18:
	v_mov_b32_e32 v4, 0
	s_delay_alu instid0(VALU_DEP_1)
	v_mov_b32_e32 v5, v4
	ds_store_b64 v4, v[4:5] offset:5136
.LBB142_19:
	s_or_b32 exec_lo, exec_lo, s4
	s_mov_b64 s[4:5], 0
	s_mov_b32 s6, exec_lo
	s_waitcnt lgkmcnt(0)
	s_barrier
	buffer_gl0_inv
	v_cmpx_ne_u64_e32 0, v[2:3]
	s_cbranch_execz .LBB142_24
; %bb.20:
	s_mov_b32 s7, exec_lo
.LBB142_21:                             ; =>This Inner Loop Header: Depth=1
	s_delay_alu instid0(SALU_CYCLE_1) | instskip(NEXT) | instid1(SALU_CYCLE_1)
	s_ctz_i32_b32 s8, s7
	v_readlane_b32 s9, v2, s8
	v_readlane_b32 s10, v3, s8
	s_delay_alu instid0(VALU_DEP_2) | instskip(NEXT) | instid1(VALU_DEP_1)
	s_add_u32 s4, s4, s9
	s_addc_u32 s5, s5, s10
	s_lshl_b32 s8, 1, s8
	s_delay_alu instid0(SALU_CYCLE_1) | instskip(NEXT) | instid1(SALU_CYCLE_1)
	s_and_not1_b32 s7, s7, s8
	s_cmp_lg_u32 s7, 0
	s_cbranch_scc1 .LBB142_21
; %bb.22:
	v_mbcnt_lo_u32_b32 v2, exec_lo, 0
	s_mov_b32 s7, exec_lo
	s_delay_alu instid0(VALU_DEP_1)
	v_cmpx_eq_u32_e32 0, v2
	s_xor_b32 s7, exec_lo, s7
	s_cbranch_execz .LBB142_24
; %bb.23:
	v_mov_b32_e32 v2, s4
	v_dual_mov_b32 v4, 0 :: v_dual_mov_b32 v3, s5
	ds_add_u64 v4, v[2:3] offset:5136
.LBB142_24:
	s_or_b32 exec_lo, exec_lo, s6
	v_mov_b32_e32 v2, 0
	s_waitcnt lgkmcnt(0)
	s_barrier
	buffer_gl0_inv
	s_load_b32 s4, s[0:1], 0x4f8
	ds_load_b64 v[2:3], v2 offset:5136
	s_mov_b64 s[64:65], s[24:25]
	s_waitcnt lgkmcnt(0)
	s_bitcmp1_b32 s4, 0
	v_readfirstlane_b32 s0, v2
	v_readfirstlane_b32 s1, v3
	s_cselect_b32 s4, -1, 0
	s_delay_alu instid0(VALU_DEP_1) | instskip(NEXT) | instid1(VALU_DEP_1)
	v_cmp_lt_i64_e64 s5, s[0:1], 1
	s_or_b32 s4, s4, s5
	s_delay_alu instid0(SALU_CYCLE_1)
	s_and_not1_b32 vcc_lo, exec_lo, s4
	s_cbranch_vccnz .LBB142_26
; %bb.25:
	s_not_b64 s[0:1], s[0:1]
	s_delay_alu instid0(SALU_CYCLE_1) | instskip(SKIP_1) | instid1(SALU_CYCLE_1)
	s_add_u32 s0, s0, s24
	s_addc_u32 s1, s1, s25
	s_lshr_b64 s[0:1], s[0:1], 1
	s_delay_alu instid0(SALU_CYCLE_1)
	s_add_u32 s64, s0, 1
	s_addc_u32 s65, s1, 0
.LBB142_26:
	s_and_saveexec_b32 s0, s3
	s_cbranch_execz .LBB142_28
; %bb.27:
	v_dual_mov_b32 v2, 0 :: v_dual_mov_b32 v5, s25
	s_delay_alu instid0(VALU_DEP_1)
	v_dual_mov_b32 v4, s24 :: v_dual_mov_b32 v3, v2
	ds_store_b32 v2, v2 offset:5144
	ds_store_b128 v2, v[2:5] offset:5120
.LBB142_28:
	s_or_b32 exec_lo, exec_lo, s0
	v_mad_u64_u32 v[2:3], null, v0, s50, 0
	s_waitcnt lgkmcnt(0)
	s_barrier
	buffer_gl0_inv
	s_load_b32 s5, s[18:19], 0xc
	v_mbcnt_lo_u32_b32 v20, -1, 0
	v_cmp_gt_u32_e32 vcc_lo, 32, v0
	v_mad_u64_u32 v[4:5], null, v0, s51, v[3:4]
	v_dual_mov_b32 v28, 0 :: v_dual_lshlrev_b32 v21, 1, v0
	s_delay_alu instid0(VALU_DEP_4) | instskip(SKIP_2) | instid1(VALU_DEP_4)
	v_cmp_gt_i32_e64 s4, 4, v20
	v_dual_mov_b32 v13, 0 :: v_dual_lshlrev_b32 v10, 2, v0
	v_lshrrev_b32_e32 v5, 3, v0
	v_dual_mov_b32 v3, v4 :: v_dual_add_nc_u32 v22, 0xc00, v21
	s_delay_alu instid0(VALU_DEP_4) | instskip(SKIP_2) | instid1(VALU_DEP_3)
	s_and_b32 s82, vcc_lo, s4
	v_cmp_lt_u64_e64 s53, 0x600, s[24:25]
	v_cmp_gt_u32_e64 s0, 2, v0
	v_lshlrev_b64 v[2:3], 1, v[2:3]
	v_cmp_eq_u32_e64 s1, 0, v20
	v_mov_b32_e32 v11, v13
	v_and_b32_e32 v23, 0x7c, v5
	s_waitcnt lgkmcnt(0)
	s_and_b32 s35, s5, 0xffff
	s_bfe_u32 s4, s5, 0xb0005
	s_add_u32 s83, s35, -1
	s_addc_u32 s84, 0, -1
	s_add_u32 s85, s83, s24
	s_addc_u32 s69, s84, s25
	s_cmp_lt_u32 s13, s16
	v_add_co_u32 v14, vcc_lo, s27, v2
	s_cselect_b32 s6, 12, 18
	v_add_co_ci_u32_e32 v15, vcc_lo, s33, v3, vcc_lo
	v_lshlrev_b64 v[2:3], v20, -1
	s_add_u32 s70, s18, s6
	s_addc_u32 s71, s19, 0
	s_add_i32 s6, s4, -1
	s_bfe_u32 s86, s35, 0x30005
	s_cmp_gt_u32 s6, 6
	v_not_b32_e32 v24, v2
	s_cselect_b32 s87, -1, 0
	s_and_b32 s88, s4, 0x7f8
	v_cmp_gt_u16_e64 s89, s5, 31
	v_lshlrev_b32_e32 v25, 3, v0
	v_lshl_or_b32 v26, v20, 3, 0xc00
	v_mov_b32_e32 v27, 0x8000
	s_cmp_lg_u32 s86, 0
	s_mov_b32 s67, 0
	s_cselect_b32 s90, -1, 0
	s_lshl_b32 s91, s35, 1
	s_mov_b32 s97, 14
	s_movk_i32 s92, 0x3f80
	s_mov_b32 s93, 0
	s_mov_b32 s100, 0
	;; [unrolled: 1-line block ×4, first 2 shown]
                                        ; implicit-def: $sgpr94
                                        ; implicit-def: $sgpr96
                                        ; implicit-def: $sgpr95
                                        ; implicit-def: $sgpr99
                                        ; implicit-def: $sgpr101
                                        ; implicit-def: $sgpr98
	s_branch .LBB142_33
.LBB142_29:                             ;   in Loop: Header=BB142_33 Depth=1
	s_xor_b32 s100, s100, 1
	s_add_i32 s7, s97, -2
	s_cmp_eq_u32 s97, 0
	s_mov_b32 s5, 0
	s_cselect_b32 s6, -1, 0
	s_mov_b32 s97, s7
.LBB142_30:                             ;   in Loop: Header=BB142_33 Depth=1
	s_and_not1_b32 s7, s13, exec_lo
	s_and_b32 s5, s5, exec_lo
	s_and_not1_b32 s19, s19, exec_lo
	s_or_b32 s13, s7, s5
	s_and_not1_b32 s12, s12, exec_lo
	s_or_not1_b32 s15, s6, exec_lo
.LBB142_31:                             ;   in Loop: Header=BB142_33 Depth=1
	s_or_b32 exec_lo, exec_lo, s4
	s_delay_alu instid0(SALU_CYCLE_1)
	s_and_not1_b32 s4, s98, exec_lo
	s_and_b32 s5, s13, exec_lo
	s_and_not1_b32 s6, s99, exec_lo
	s_or_b32 s98, s4, s5
	s_and_not1_b32 s4, s101, exec_lo
	s_and_b32 s5, s19, exec_lo
	s_and_b32 s7, s12, exec_lo
	s_or_b32 s101, s4, s5
	s_or_b32 s99, s6, s7
	s_or_not1_b32 s19, s15, exec_lo
.LBB142_32:                             ;   in Loop: Header=BB142_33 Depth=1
	s_or_b32 exec_lo, exec_lo, s14
	s_delay_alu instid0(SALU_CYCLE_1)
	s_and_b32 s4, exec_lo, s19
	v_mov_b32_e32 v2, s102
	s_or_b32 s93, s4, s93
	s_and_not1_b32 s4, s95, exec_lo
	s_and_b32 s5, s98, exec_lo
	s_and_not1_b32 s6, s94, exec_lo
	s_or_b32 s95, s4, s5
	s_and_not1_b32 s4, s96, exec_lo
	s_and_b32 s5, s101, exec_lo
	s_and_b32 s7, s99, exec_lo
	s_or_b32 s96, s4, s5
	s_or_b32 s94, s6, s7
	s_and_not1_b32 exec_lo, exec_lo, s93
	s_cbranch_execz .LBB142_298
.LBB142_33:                             ; =>This Loop Header: Depth=1
                                        ;     Child Loop BB142_38 Depth 2
                                        ;     Child Loop BB142_56 Depth 2
	;; [unrolled: 1-line block ×16, first 2 shown]
	ds_load_b128 v[2:5], v13 offset:5120
	s_waitcnt lgkmcnt(0)
	v_readfirstlane_b32 s73, v3
	v_readfirstlane_b32 s72, v2
	s_delay_alu instid0(VALU_DEP_1)
	s_cmp_lg_u64 s[72:73], 0
	s_cbranch_scc1 .LBB142_63
; %bb.34:                               ;   in Loop: Header=BB142_33 Depth=1
	s_and_b32 vcc_lo, exec_lo, s53
	s_cbranch_vccz .LBB142_46
; %bb.35:                               ;   in Loop: Header=BB142_33 Depth=1
	v_cmp_gt_u64_e32 vcc_lo, 0x601, v[4:5]
	s_mov_b32 s6, 0
	s_mov_b32 s4, 0
	s_cbranch_vccz .LBB142_47
; %bb.36:                               ;   in Loop: Header=BB142_33 Depth=1
	global_load_u16 v2, v13, s[70:71]
	global_load_u16 v5, v[14:15], off
	s_mov_b32 s7, 0
	s_waitcnt vmcnt(1)
	v_dual_mov_b32 v3, v1 :: v_dual_and_b32 v4, 0xffff, v2
	v_mov_b32_e32 v2, v0
	s_branch .LBB142_38
.LBB142_37:                             ;   in Loop: Header=BB142_38 Depth=2
	s_or_b32 exec_lo, exec_lo, s5
	v_mov_b32_e32 v5, v6
	s_and_not1_b32 exec_lo, exec_lo, s7
	s_cbranch_execz .LBB142_48
.LBB142_38:                             ;   Parent Loop BB142_33 Depth=1
                                        ; =>  This Inner Loop Header: Depth=2
	s_delay_alu instid0(VALU_DEP_1) | instskip(NEXT) | instid1(VALU_DEP_3)
	v_add_co_u32 v2, vcc_lo, v2, v4
	v_add_co_ci_u32_e32 v3, vcc_lo, 0, v3, vcc_lo
	s_waitcnt lgkmcnt(0)
	v_dual_mov_b32 v7, 0 :: v_dual_mov_b32 v6, 0
	s_mov_b32 s5, exec_lo
	s_delay_alu instid0(VALU_DEP_2)
	v_cmp_le_u64_e32 vcc_lo, s[24:25], v[2:3]
	v_cmpx_gt_u64_e64 s[24:25], v[2:3]
	s_cbranch_execz .LBB142_40
; %bb.39:                               ;   in Loop: Header=BB142_38 Depth=2
	v_mul_lo_u32 v6, v3, s50
	v_mul_lo_u32 v12, v2, s51
	v_mad_u64_u32 v[8:9], null, v2, s50, 0
	s_delay_alu instid0(VALU_DEP_1) | instskip(NEXT) | instid1(VALU_DEP_1)
	v_add3_u32 v9, v9, v12, v6
	v_lshlrev_b64 v[8:9], 1, v[8:9]
	s_delay_alu instid0(VALU_DEP_1) | instskip(NEXT) | instid1(VALU_DEP_1)
	v_add_co_u32 v8, s4, s27, v8
	v_add_co_ci_u32_e64 v9, s4, s33, v9, s4
	global_load_u16 v6, v[8:9], off
.LBB142_40:                             ;   in Loop: Header=BB142_38 Depth=2
	s_or_b32 exec_lo, exec_lo, s5
	s_waitcnt vmcnt(0)
	v_cmp_lt_i16_e64 s4, -1, v5
	v_and_b32_e32 v8, 0xffff, v5
	v_lshlrev_b32_e32 v12, 16, v5
	s_delay_alu instid0(VALU_DEP_3) | instskip(NEXT) | instid1(VALU_DEP_2)
	v_cndmask_b32_e64 v9, 0xffff, v27, s4
	v_cmp_o_f32_e64 s4, v12, v12
	s_delay_alu instid0(VALU_DEP_2) | instskip(NEXT) | instid1(VALU_DEP_1)
	v_xor_b32_e32 v8, v9, v8
	v_cndmask_b32_e64 v8, 0xffff, v8, s4
	s_delay_alu instid0(VALU_DEP_1) | instskip(NEXT) | instid1(VALU_DEP_1)
	v_and_b32_e32 v8, s103, v8
	v_cmp_eq_u32_e64 s4, s102, v8
	s_delay_alu instid0(VALU_DEP_1) | instskip(SKIP_1) | instid1(SALU_CYCLE_1)
	s_cmp_lg_u32 s4, 0
	s_cselect_b32 s5, -1, 0
	s_and_b32 s5, s1, s5
	s_delay_alu instid0(SALU_CYCLE_1)
	s_and_saveexec_b32 s8, s5
	s_cbranch_execz .LBB142_44
; %bb.41:                               ;   in Loop: Header=BB142_38 Depth=2
	s_mov_b32 s11, exec_lo
	s_bcnt1_i32_b32 s9, s4
	v_mbcnt_lo_u32_b32 v7, s11, 0
	s_mov_b32 s10, exec_lo
                                        ; implicit-def: $vgpr8
	s_delay_alu instid0(VALU_DEP_1)
	v_cmpx_eq_u32_e32 0, v7
	s_cbranch_execz .LBB142_43
; %bb.42:                               ;   in Loop: Header=BB142_38 Depth=2
	s_bcnt1_i32_b32 s5, s11
	s_delay_alu instid0(SALU_CYCLE_1) | instskip(NEXT) | instid1(SALU_CYCLE_1)
	s_mul_i32 s5, s9, s5
	v_mov_b32_e32 v8, s5
	ds_add_rtn_u32 v8, v13, v8 offset:5144
.LBB142_43:                             ;   in Loop: Header=BB142_38 Depth=2
	s_or_b32 exec_lo, exec_lo, s10
	s_waitcnt lgkmcnt(0)
	v_readfirstlane_b32 s5, v8
	s_delay_alu instid0(VALU_DEP_1)
	v_mad_u32_u24 v7, s9, v7, s5
.LBB142_44:                             ;   in Loop: Header=BB142_38 Depth=2
	s_or_b32 exec_lo, exec_lo, s8
	ds_bpermute_b32 v7, v13, v7
	s_and_b32 s5, exec_lo, vcc_lo
	s_delay_alu instid0(SALU_CYCLE_1)
	s_or_b32 s7, s5, s7
	s_and_saveexec_b32 s5, s4
	s_cbranch_execz .LBB142_37
; %bb.45:                               ;   in Loop: Header=BB142_38 Depth=2
	v_and_b32_e32 v8, s4, v24
	s_delay_alu instid0(VALU_DEP_1) | instskip(NEXT) | instid1(VALU_DEP_1)
	v_bcnt_u32_b32 v8, v8, 0
	v_lshlrev_b32_e32 v8, 1, v8
	s_waitcnt lgkmcnt(0)
	s_delay_alu instid0(VALU_DEP_1)
	v_lshl_add_u32 v7, v7, 1, v8
	ds_store_b16 v7, v5
	s_branch .LBB142_37
.LBB142_46:                             ;   in Loop: Header=BB142_33 Depth=1
	s_mov_b32 s4, 0
                                        ; implicit-def: $sgpr72_sgpr73
	s_cbranch_execnz .LBB142_51
	s_branch .LBB142_61
.LBB142_47:                             ;   in Loop: Header=BB142_33 Depth=1
	s_mov_b64 s[72:73], 0
	s_and_b32 vcc_lo, exec_lo, s6
	s_cbranch_vccnz .LBB142_51
	s_branch .LBB142_61
.LBB142_48:                             ;   in Loop: Header=BB142_33 Depth=1
	s_or_b32 exec_lo, exec_lo, s7
	s_waitcnt lgkmcnt(0)
	s_barrier
	buffer_gl0_inv
	s_and_saveexec_b32 s4, s3
	s_cbranch_execz .LBB142_50
; %bb.49:                               ;   in Loop: Header=BB142_33 Depth=1
	ds_load_b32 v2, v13 offset:5144
	s_waitcnt lgkmcnt(0)
	v_ashrrev_i32_e32 v3, 31, v2
	ds_store_b64 v13, v[2:3] offset:5120
.LBB142_50:                             ;   in Loop: Header=BB142_33 Depth=1
	s_or_b32 exec_lo, exec_lo, s4
	s_waitcnt lgkmcnt(0)
	s_mov_b32 s4, -1
	s_barrier
	s_mov_b64 s[72:73], 0
	s_and_b32 vcc_lo, exec_lo, s6
	s_cbranch_vccz .LBB142_61
.LBB142_51:                             ;   in Loop: Header=BB142_33 Depth=1
	v_mov_b32_e32 v4, 0
	s_and_saveexec_b32 s4, s2
	s_cbranch_execz .LBB142_53
; %bb.52:                               ;   in Loop: Header=BB142_33 Depth=1
	global_load_u16 v4, v[14:15], off
.LBB142_53:                             ;   in Loop: Header=BB142_33 Depth=1
	s_or_b32 exec_lo, exec_lo, s4
	s_and_saveexec_b32 s5, s2
	s_cbranch_execz .LBB142_58
; %bb.54:                               ;   in Loop: Header=BB142_33 Depth=1
	global_load_u16 v2, v13, s[70:71]
	s_mov_b32 s6, 0
	s_waitcnt vmcnt(0)
	v_dual_mov_b32 v6, v21 :: v_dual_and_b32 v5, 0xffff, v2
	v_dual_mov_b32 v3, v1 :: v_dual_mov_b32 v2, v0
	s_delay_alu instid0(VALU_DEP_2)
	v_lshlrev_b32_e32 v7, 1, v5
	s_set_inst_prefetch_distance 0x1
	s_branch .LBB142_56
	.p2align	6
.LBB142_55:                             ;   in Loop: Header=BB142_56 Depth=2
	s_or_b32 exec_lo, exec_lo, s7
	ds_store_b16 v6, v4
	v_add_nc_u32_e32 v6, v6, v7
	s_waitcnt vmcnt(0)
	v_mov_b32_e32 v4, v8
	s_and_b32 s4, exec_lo, vcc_lo
	s_delay_alu instid0(SALU_CYCLE_1) | instskip(NEXT) | instid1(SALU_CYCLE_1)
	s_or_b32 s6, s4, s6
	s_and_not1_b32 exec_lo, exec_lo, s6
	s_cbranch_execz .LBB142_58
.LBB142_56:                             ;   Parent Loop BB142_33 Depth=1
                                        ; =>  This Inner Loop Header: Depth=2
	s_delay_alu instid0(VALU_DEP_2) | instskip(SKIP_3) | instid1(VALU_DEP_2)
	v_add_co_u32 v2, vcc_lo, v2, v5
	v_add_co_ci_u32_e32 v3, vcc_lo, 0, v3, vcc_lo
	v_mov_b32_e32 v8, 0
	s_mov_b32 s7, exec_lo
	v_cmp_le_u64_e32 vcc_lo, s[24:25], v[2:3]
	v_cmpx_gt_u64_e64 s[24:25], v[2:3]
	s_cbranch_execz .LBB142_55
; %bb.57:                               ;   in Loop: Header=BB142_56 Depth=2
	v_mul_lo_u32 v12, v3, s50
	v_mul_lo_u32 v16, v2, s51
	v_mad_u64_u32 v[8:9], null, v2, s50, 0
	s_delay_alu instid0(VALU_DEP_1) | instskip(NEXT) | instid1(VALU_DEP_1)
	v_add3_u32 v9, v9, v16, v12
	v_lshlrev_b64 v[8:9], 1, v[8:9]
	s_delay_alu instid0(VALU_DEP_1) | instskip(NEXT) | instid1(VALU_DEP_1)
	v_add_co_u32 v8, s4, s27, v8
	v_add_co_ci_u32_e64 v9, s4, s33, v9, s4
	global_load_u16 v8, v[8:9], off
	s_branch .LBB142_55
.LBB142_58:                             ;   in Loop: Header=BB142_33 Depth=1
	s_set_inst_prefetch_distance 0x2
	s_or_b32 exec_lo, exec_lo, s5
	s_waitcnt vmcnt(0) lgkmcnt(0)
	s_barrier
	buffer_gl0_inv
	s_and_saveexec_b32 s4, s3
	s_cbranch_execz .LBB142_60
; %bb.59:                               ;   in Loop: Header=BB142_33 Depth=1
	v_dual_mov_b32 v2, s24 :: v_dual_mov_b32 v3, s25
	ds_store_b64 v13, v[2:3] offset:5120
.LBB142_60:                             ;   in Loop: Header=BB142_33 Depth=1
	s_or_b32 exec_lo, exec_lo, s4
	s_mov_b32 s4, -1
	s_waitcnt lgkmcnt(0)
	s_barrier
                                        ; implicit-def: $sgpr72_sgpr73
.LBB142_61:                             ;   in Loop: Header=BB142_33 Depth=1
	s_and_b32 vcc_lo, exec_lo, s4
	s_cbranch_vccz .LBB142_63
; %bb.62:                               ;   in Loop: Header=BB142_33 Depth=1
	buffer_gl0_inv
	ds_load_b64 v[2:3], v13 offset:5120
	s_waitcnt lgkmcnt(0)
	v_readfirstlane_b32 s72, v2
.LBB142_63:                             ;   in Loop: Header=BB142_33 Depth=1
	s_delay_alu instid0(VALU_DEP_1)
	s_cmp_lt_i32 s72, 1
	s_cbranch_scc0 .LBB142_78
; %bb.64:                               ;   in Loop: Header=BB142_33 Depth=1
	global_load_u16 v29, v13, s[70:71]
	s_mov_b32 s5, s25
	s_waitcnt vmcnt(0)
	v_readfirstlane_b32 s4, v29
	s_delay_alu instid0(VALU_DEP_1)
	s_and_b32 s6, 0xffff, s4
	s_mov_b32 s4, s67
	s_lshl_b32 s66, s6, 2
	s_cmp_lg_u64 s[4:5], 0
	s_cbranch_scc0 .LBB142_98
; %bb.65:                               ;   in Loop: Header=BB142_33 Depth=1
	v_cvt_f32_u32_e32 v2, s66
	s_sub_u32 s6, 0, s66
	s_subb_u32 s7, 0, 0
	s_delay_alu instid0(VALU_DEP_1) | instskip(NEXT) | instid1(VALU_DEP_1)
	v_fmac_f32_e64 v2, 0, 0x4f800000
	v_rcp_f32_e32 v2, v2
	s_waitcnt_depctr 0xfff
	v_mul_f32_e32 v2, 0x5f7ffffc, v2
	s_delay_alu instid0(VALU_DEP_1) | instskip(NEXT) | instid1(VALU_DEP_1)
	v_mul_f32_e32 v3, 0x2f800000, v2
	v_trunc_f32_e32 v3, v3
	s_delay_alu instid0(VALU_DEP_1) | instskip(SKIP_1) | instid1(VALU_DEP_2)
	v_fmac_f32_e32 v2, 0xcf800000, v3
	v_cvt_u32_f32_e32 v3, v3
	v_cvt_u32_f32_e32 v2, v2
	s_delay_alu instid0(VALU_DEP_2) | instskip(NEXT) | instid1(VALU_DEP_2)
	v_readfirstlane_b32 s4, v3
	v_readfirstlane_b32 s5, v2
	s_delay_alu instid0(VALU_DEP_2) | instskip(NEXT) | instid1(VALU_DEP_1)
	s_mul_i32 s8, s6, s4
	s_mul_hi_u32 s10, s6, s5
	s_mul_i32 s9, s7, s5
	s_add_i32 s8, s10, s8
	s_mul_i32 s11, s6, s5
	s_add_i32 s8, s8, s9
	s_mul_hi_u32 s10, s5, s11
	s_mul_hi_u32 s12, s4, s11
	s_mul_i32 s9, s4, s11
	s_mul_hi_u32 s11, s5, s8
	s_mul_i32 s5, s5, s8
	s_mul_hi_u32 s13, s4, s8
	s_add_u32 s5, s10, s5
	s_addc_u32 s10, 0, s11
	s_add_u32 s5, s5, s9
	s_mul_i32 s8, s4, s8
	s_addc_u32 s5, s10, s12
	s_addc_u32 s9, s13, 0
	s_add_u32 s5, s5, s8
	s_addc_u32 s8, 0, s9
	v_add_co_u32 v2, s5, v2, s5
	s_delay_alu instid0(VALU_DEP_1) | instskip(SKIP_1) | instid1(VALU_DEP_1)
	s_cmp_lg_u32 s5, 0
	s_addc_u32 s4, s4, s8
	v_readfirstlane_b32 s5, v2
	s_mul_i32 s8, s6, s4
	s_delay_alu instid0(VALU_DEP_1)
	s_mul_hi_u32 s9, s6, s5
	s_mul_i32 s7, s7, s5
	s_add_i32 s8, s9, s8
	s_mul_i32 s6, s6, s5
	s_add_i32 s8, s8, s7
	s_mul_hi_u32 s9, s4, s6
	s_mul_i32 s10, s4, s6
	s_mul_hi_u32 s6, s5, s6
	s_mul_hi_u32 s11, s5, s8
	s_mul_i32 s5, s5, s8
	s_mul_hi_u32 s7, s4, s8
	s_add_u32 s5, s6, s5
	s_addc_u32 s6, 0, s11
	s_add_u32 s5, s5, s10
	s_mul_i32 s8, s4, s8
	s_addc_u32 s5, s6, s9
	s_addc_u32 s6, s7, 0
	s_add_u32 s5, s5, s8
	s_addc_u32 s6, 0, s6
	v_add_co_u32 v2, s5, v2, s5
	s_delay_alu instid0(VALU_DEP_1) | instskip(SKIP_1) | instid1(VALU_DEP_1)
	s_cmp_lg_u32 s5, 0
	s_addc_u32 s4, s4, s6
	v_readfirstlane_b32 s5, v2
	s_mul_i32 s7, s24, s4
	s_mul_hi_u32 s6, s24, s4
	s_mul_hi_u32 s8, s25, s4
	s_mul_i32 s4, s25, s4
	s_mul_hi_u32 s9, s24, s5
	s_mul_hi_u32 s10, s25, s5
	s_mul_i32 s5, s25, s5
	s_add_u32 s7, s9, s7
	s_addc_u32 s6, 0, s6
	s_add_u32 s5, s7, s5
	s_addc_u32 s5, s6, s10
	s_addc_u32 s6, s8, 0
	s_add_u32 s4, s5, s4
	s_addc_u32 s5, 0, s6
	s_mul_hi_u32 s6, s66, s4
	s_mul_i32 s4, s66, s4
	s_mul_i32 s5, s66, s5
	v_sub_co_u32 v2, s4, s24, s4
	s_add_i32 s6, s6, s5
	s_cmp_lg_u32 s4, 0
	s_delay_alu instid0(VALU_DEP_1) | instskip(SKIP_2) | instid1(VALU_DEP_1)
	v_sub_co_u32 v3, s4, v2, s66
	s_subb_u32 s5, s25, s6
	s_cmp_lg_u32 s4, 0
	v_cmp_le_u32_e32 vcc_lo, s66, v3
	v_sub_co_u32 v4, s4, v3, s66
	s_subb_u32 s6, s5, 0
	s_cmp_lg_u32 s4, 0
	v_cndmask_b32_e64 v5, 0, -1, vcc_lo
	s_subb_u32 s4, s6, 0
	s_cmp_eq_u32 s6, 0
	v_mov_b32_e32 v7, s4
	s_cselect_b32 vcc_lo, -1, 0
	s_cmp_eq_u32 s5, 0
	v_cndmask_b32_e32 v5, -1, v5, vcc_lo
	v_cmp_le_u32_e32 vcc_lo, s66, v2
	s_cselect_b32 s4, -1, 0
	v_cndmask_b32_e64 v6, 0, -1, vcc_lo
	s_delay_alu instid0(VALU_DEP_3) | instskip(NEXT) | instid1(VALU_DEP_2)
	v_cmp_ne_u32_e32 vcc_lo, 0, v5
	v_cndmask_b32_e64 v5, -1, v6, s4
	v_cndmask_b32_e32 v6, s6, v7, vcc_lo
	v_cndmask_b32_e32 v4, v3, v4, vcc_lo
	s_delay_alu instid0(VALU_DEP_3) | instskip(NEXT) | instid1(VALU_DEP_3)
	v_cmp_ne_u32_e32 vcc_lo, 0, v5
	v_cndmask_b32_e32 v3, s5, v6, vcc_lo
	s_delay_alu instid0(VALU_DEP_3)
	v_cndmask_b32_e32 v2, v2, v4, vcc_lo
	s_cbranch_execnz .LBB142_67
.LBB142_66:                             ;   in Loop: Header=BB142_33 Depth=1
	v_cvt_f32_u32_e32 v2, s66
	s_sub_i32 s4, 0, s66
	s_delay_alu instid0(VALU_DEP_1) | instskip(SKIP_2) | instid1(VALU_DEP_1)
	v_rcp_iflag_f32_e32 v2, v2
	s_waitcnt_depctr 0xfff
	v_mul_f32_e32 v2, 0x4f7ffffe, v2
	v_cvt_u32_f32_e32 v2, v2
	s_delay_alu instid0(VALU_DEP_1) | instskip(NEXT) | instid1(VALU_DEP_1)
	v_mul_lo_u32 v3, s4, v2
	v_mul_hi_u32 v3, v2, v3
	s_delay_alu instid0(VALU_DEP_1) | instskip(NEXT) | instid1(VALU_DEP_1)
	v_add_nc_u32_e32 v2, v2, v3
	v_mul_hi_u32 v2, s24, v2
	s_delay_alu instid0(VALU_DEP_1) | instskip(NEXT) | instid1(VALU_DEP_1)
	v_mul_lo_u32 v2, v2, s66
	v_sub_nc_u32_e32 v2, s24, v2
	s_delay_alu instid0(VALU_DEP_1) | instskip(SKIP_1) | instid1(VALU_DEP_2)
	v_subrev_nc_u32_e32 v3, s66, v2
	v_cmp_le_u32_e32 vcc_lo, s66, v2
	v_cndmask_b32_e32 v2, v2, v3, vcc_lo
	s_delay_alu instid0(VALU_DEP_1) | instskip(SKIP_1) | instid1(VALU_DEP_2)
	v_subrev_nc_u32_e32 v3, s66, v2
	v_cmp_le_u32_e32 vcc_lo, s66, v2
	v_cndmask_b32_e32 v12, v2, v3, vcc_lo
	s_delay_alu instid0(VALU_DEP_1)
	v_dual_mov_b32 v2, v12 :: v_dual_mov_b32 v3, v13
.LBB142_67:                             ;   in Loop: Header=BB142_33 Depth=1
	s_delay_alu instid0(VALU_DEP_1) | instskip(NEXT) | instid1(VALU_DEP_2)
	v_sub_co_u32 v16, vcc_lo, s24, v2
	v_sub_co_ci_u32_e32 v17, vcc_lo, s25, v3, vcc_lo
	v_mov_b32_e32 v2, 0
	v_mov_b32_e32 v3, 0
	s_mov_b64 s[22:23], 0
	s_mov_b32 s68, exec_lo
	s_delay_alu instid0(VALU_DEP_1)
	v_dual_mov_b32 v5, v3 :: v_dual_mov_b32 v4, v2
	v_dual_mov_b32 v7, v3 :: v_dual_mov_b32 v6, v2
	;; [unrolled: 1-line block ×3, first 2 shown]
	v_cmpx_gt_u64_e64 v[16:17], v[10:11]
	s_cbranch_execz .LBB142_71
; %bb.68:                               ;   in Loop: Header=BB142_33 Depth=1
	v_dual_mov_b32 v19, v11 :: v_dual_mov_b32 v18, v10
	s_and_b32 s80, s97, 0xfe
	s_mov_b32 s73, 0
	s_mov_b64 s[74:75], 0
	s_mov_b64 s[76:77], 0
	;; [unrolled: 1-line block ×3, first 2 shown]
.LBB142_69:                             ;   Parent Loop BB142_33 Depth=1
                                        ; =>  This Inner Loop Header: Depth=2
	v_mul_lo_u32 v4, v19, s50
	v_mul_lo_u32 v5, v18, s51
	v_mad_u64_u32 v[2:3], null, v18, s50, 0
	s_lshl_b64 s[4:5], s[50:51], 1
	s_delay_alu instid0(VALU_DEP_1) | instskip(NEXT) | instid1(VALU_DEP_1)
	v_add3_u32 v3, v3, v5, v4
	v_lshlrev_b64 v[2:3], 1, v[2:3]
	s_delay_alu instid0(VALU_DEP_1) | instskip(NEXT) | instid1(VALU_DEP_2)
	v_add_co_u32 v2, vcc_lo, s27, v2
	v_add_co_ci_u32_e32 v3, vcc_lo, s33, v3, vcc_lo
	s_delay_alu instid0(VALU_DEP_2) | instskip(NEXT) | instid1(VALU_DEP_2)
	v_add_co_u32 v4, vcc_lo, v2, s4
	v_add_co_ci_u32_e32 v5, vcc_lo, s5, v3, vcc_lo
	s_clause 0x1
	global_load_u16 v6, v[2:3], off
	global_load_u16 v7, v[4:5], off
	v_add_co_u32 v2, vcc_lo, v4, s4
	v_add_co_ci_u32_e32 v3, vcc_lo, s5, v5, vcc_lo
	global_load_u16 v4, v[2:3], off
	v_add_co_u32 v2, vcc_lo, v2, s4
	v_add_co_ci_u32_e32 v3, vcc_lo, s5, v3, vcc_lo
	v_add_co_u32 v18, vcc_lo, v18, s66
	v_add_co_ci_u32_e32 v19, vcc_lo, 0, v19, vcc_lo
	global_load_u16 v2, v[2:3], off
	v_cmp_ge_u64_e32 vcc_lo, v[18:19], v[16:17]
	s_waitcnt vmcnt(3)
	v_cmp_lt_i16_e64 s4, -1, v6
	v_and_b32_e32 v3, 0xffff, v6
	v_lshlrev_b32_e32 v6, 16, v6
	s_waitcnt vmcnt(2)
	v_and_b32_e32 v8, 0xffff, v7
	v_cndmask_b32_e64 v5, 0xffff, v27, s4
	v_cmp_lt_i16_e64 s4, -1, v7
	s_waitcnt vmcnt(1)
	v_cmp_lt_i16_e64 s5, -1, v4
	s_delay_alu instid0(VALU_DEP_3) | instskip(NEXT) | instid1(VALU_DEP_3)
	v_xor_b32_e32 v3, v5, v3
	v_cndmask_b32_e64 v9, 0xffff, v27, s4
	v_cmp_o_f32_e64 s4, v6, v6
	v_lshlrev_b32_e32 v5, 16, v7
	v_and_b32_e32 v7, 0xffff, v4
	v_lshlrev_b32_e32 v4, 16, v4
	v_xor_b32_e32 v6, v9, v8
	v_cndmask_b32_e64 v3, 0xffff, v3, s4
	v_cmp_o_f32_e64 s4, v5, v5
	v_cndmask_b32_e64 v8, 0xffff, v27, s5
	s_delay_alu instid0(VALU_DEP_3) | instskip(NEXT) | instid1(VALU_DEP_3)
	v_and_b32_e32 v9, s103, v3
	v_cndmask_b32_e64 v5, 0xffff, v6, s4
	s_waitcnt vmcnt(0)
	v_cmp_lt_i16_e64 s4, -1, v2
	v_xor_b32_e32 v6, v8, v7
	v_and_b32_e32 v7, 0xffff, v2
	v_lshlrev_b32_e32 v2, 16, v2
	v_bfe_u32 v3, v3, s80, 2
	v_cndmask_b32_e64 v8, 0xffff, v27, s4
	v_cmp_o_f32_e64 s4, v4, v4
	s_delay_alu instid0(VALU_DEP_4) | instskip(NEXT) | instid1(VALU_DEP_4)
	v_cmp_o_f32_e64 s9, v2, v2
	v_cmp_eq_u32_e64 s5, 0, v3
	v_cmp_eq_u32_e64 s6, 1, v3
	s_delay_alu instid0(VALU_DEP_4)
	v_cndmask_b32_e64 v4, 0xffff, v6, s4
	v_xor_b32_e32 v6, v8, v7
	v_cmp_eq_u32_e64 s4, s102, v9
	v_and_b32_e32 v7, s103, v5
	v_bfe_u32 v5, v5, s80, 2
	v_cmp_eq_u32_e64 s7, 2, v3
	v_cmp_eq_u32_e64 s8, 3, v3
	v_cndmask_b32_e64 v2, 0xffff, v6, s9
	v_and_b32_e32 v3, s103, v4
	v_cmp_eq_u32_e64 s9, s102, v7
	v_bfe_u32 v4, v4, s80, 2
	v_cmp_eq_u32_e64 s10, 0, v5
	s_and_b32 s5, s4, s5
	v_cmp_eq_u32_e64 s13, s102, v3
	v_cndmask_b32_e64 v6, 0, 1, s5
	v_and_b32_e32 v3, s103, v2
	v_bfe_u32 v2, v2, s80, 2
	v_cmp_eq_u32_e64 s14, 0, v4
	s_and_b32 s10, s9, s10
	v_cmp_eq_u32_e64 s5, 1, v5
	v_cmp_eq_u32_e64 s11, 2, v5
	;; [unrolled: 1-line block ×3, first 2 shown]
	v_cmp_ne_u32_e64 s15, 0, v6
	v_cndmask_b32_e64 v5, 0, 1, s10
	v_cmp_eq_u32_e64 s18, s102, v3
	v_cmp_eq_u32_e64 s19, 0, v2
	s_and_b32 s14, s13, s14
	s_bcnt1_i32_b32 s81, s15
	v_cmp_ne_u32_e64 s15, 0, v5
	v_cndmask_b32_e64 v3, 0, 1, s14
	s_and_b32 s19, s18, s19
	v_cmp_eq_u32_e64 s14, 1, v2
	v_cmp_eq_u32_e64 s20, 2, v2
	;; [unrolled: 1-line block ×3, first 2 shown]
	v_cndmask_b32_e64 v2, 0, 1, s19
	s_bcnt1_i32_b32 s19, s15
	v_cmp_ne_u32_e64 s15, 0, v3
	s_add_i32 s81, s19, s81
	v_cmp_eq_u32_e64 s10, 1, v4
	v_cmp_ne_u32_e64 s19, 0, v2
	v_cmp_eq_u32_e64 s16, 2, v4
	s_bcnt1_i32_b32 s15, s15
	v_cmp_eq_u32_e64 s17, 3, v4
	s_add_i32 s15, s81, s15
	s_bcnt1_i32_b32 s19, s19
	s_delay_alu instid0(SALU_CYCLE_1) | instskip(NEXT) | instid1(SALU_CYCLE_1)
	s_add_i32 s15, s15, s19
	s_add_u32 s78, s78, s15
	s_addc_u32 s79, s79, 0
	s_and_b32 s6, s4, s6
	s_and_b32 s5, s9, s5
	v_cndmask_b32_e64 v2, 0, 1, s6
	v_cndmask_b32_e64 v3, 0, 1, s5
	s_and_b32 s5, s13, s10
	s_delay_alu instid0(SALU_CYCLE_1) | instskip(SKIP_1) | instid1(VALU_DEP_2)
	v_cndmask_b32_e64 v4, 0, 1, s5
	s_and_b32 s5, s18, s14
	v_cmp_ne_u32_e64 s6, 0, v3
	v_cndmask_b32_e64 v5, 0, 1, s5
	v_cmp_ne_u32_e64 s5, 0, v2
	v_cmp_ne_u32_e64 s10, 0, v4
	s_delay_alu instid0(VALU_DEP_4) | instskip(NEXT) | instid1(VALU_DEP_3)
	s_bcnt1_i32_b32 s6, s6
	v_cmp_ne_u32_e64 s14, 0, v5
	s_delay_alu instid0(VALU_DEP_3) | instskip(NEXT) | instid1(VALU_DEP_2)
	s_bcnt1_i32_b32 s5, s5
	s_bcnt1_i32_b32 s10, s10
	s_add_i32 s5, s6, s5
	s_delay_alu instid0(VALU_DEP_1) | instskip(SKIP_1) | instid1(SALU_CYCLE_1)
	s_bcnt1_i32_b32 s14, s14
	s_add_i32 s5, s5, s10
	s_add_i32 s5, s5, s14
	s_delay_alu instid0(SALU_CYCLE_1) | instskip(SKIP_2) | instid1(SALU_CYCLE_1)
	s_add_u32 s76, s76, s5
	s_addc_u32 s77, s77, 0
	s_and_b32 s5, s4, s7
	v_cndmask_b32_e64 v2, 0, 1, s5
	s_and_b32 s5, s9, s11
	s_delay_alu instid0(SALU_CYCLE_1) | instskip(SKIP_1) | instid1(SALU_CYCLE_1)
	v_cndmask_b32_e64 v3, 0, 1, s5
	s_and_b32 s5, s13, s16
	v_cndmask_b32_e64 v4, 0, 1, s5
	s_and_b32 s5, s18, s20
	s_delay_alu instid0(VALU_DEP_2) | instskip(SKIP_3) | instid1(VALU_DEP_4)
	v_cmp_ne_u32_e64 s6, 0, v3
	v_cndmask_b32_e64 v5, 0, 1, s5
	v_cmp_ne_u32_e64 s5, 0, v2
	v_cmp_ne_u32_e64 s7, 0, v4
	s_bcnt1_i32_b32 s6, s6
	s_delay_alu instid0(VALU_DEP_3) | instskip(NEXT) | instid1(VALU_DEP_3)
	v_cmp_ne_u32_e64 s10, 0, v5
	s_bcnt1_i32_b32 s5, s5
	s_delay_alu instid0(VALU_DEP_2) | instskip(SKIP_1) | instid1(VALU_DEP_1)
	s_bcnt1_i32_b32 s7, s7
	s_add_i32 s5, s6, s5
	s_bcnt1_i32_b32 s10, s10
	s_add_i32 s5, s5, s7
	s_delay_alu instid0(SALU_CYCLE_1) | instskip(NEXT) | instid1(SALU_CYCLE_1)
	s_add_i32 s5, s5, s10
	s_add_u32 s74, s74, s5
	s_addc_u32 s75, s75, 0
	s_and_b32 s4, s4, s8
	v_mov_b32_e32 v6, s74
	v_cndmask_b32_e64 v2, 0, 1, s4
	s_and_b32 s4, s9, s12
	v_mov_b32_e32 v7, s75
	v_cndmask_b32_e64 v3, 0, 1, s4
	s_and_b32 s4, s13, s17
	s_delay_alu instid0(SALU_CYCLE_1) | instskip(SKIP_1) | instid1(VALU_DEP_2)
	v_cndmask_b32_e64 v4, 0, 1, s4
	s_and_b32 s4, s18, s21
	v_cmp_ne_u32_e64 s5, 0, v3
	v_cndmask_b32_e64 v5, 0, 1, s4
	v_cmp_ne_u32_e64 s4, 0, v2
	v_cmp_ne_u32_e64 s6, 0, v4
	v_mov_b32_e32 v2, s78
	s_bcnt1_i32_b32 s5, s5
	v_cmp_ne_u32_e64 s7, 0, v5
	s_bcnt1_i32_b32 s4, s4
	s_bcnt1_i32_b32 s6, s6
	s_add_i32 s4, s5, s4
	v_mov_b32_e32 v4, s76
	s_bcnt1_i32_b32 s5, s7
	s_add_i32 s4, s4, s6
	v_mov_b32_e32 v3, s79
	s_add_i32 s4, s4, s5
	v_mov_b32_e32 v5, s77
	s_add_u32 s22, s22, s4
	s_addc_u32 s23, s23, 0
	s_delay_alu instid0(SALU_CYCLE_1) | instskip(SKIP_1) | instid1(SALU_CYCLE_1)
	v_dual_mov_b32 v8, s22 :: v_dual_mov_b32 v9, s23
	s_or_b32 s73, vcc_lo, s73
	s_and_not1_b32 exec_lo, exec_lo, s73
	s_cbranch_execnz .LBB142_69
; %bb.70:                               ;   in Loop: Header=BB142_33 Depth=1
	s_or_b32 exec_lo, exec_lo, s73
.LBB142_71:                             ;   in Loop: Header=BB142_33 Depth=1
	s_delay_alu instid0(SALU_CYCLE_1) | instskip(SKIP_3) | instid1(VALU_DEP_2)
	s_or_b32 exec_lo, exec_lo, s68
	v_add_co_u32 v16, vcc_lo, v16, v0
	v_add_co_ci_u32_e32 v17, vcc_lo, 0, v17, vcc_lo
	v_dual_mov_b32 v19, 0 :: v_dual_and_b32 v12, 0xffff, v29
	v_cmp_gt_u64_e32 vcc_lo, s[24:25], v[16:17]
	s_and_saveexec_b32 s5, vcc_lo
	s_cbranch_execz .LBB142_73
; %bb.72:                               ;   in Loop: Header=BB142_33 Depth=1
	v_mul_lo_u32 v29, v17, s50
	v_mul_lo_u32 v30, v16, s51
	v_mad_u64_u32 v[18:19], null, v16, s50, 0
	s_delay_alu instid0(VALU_DEP_1) | instskip(NEXT) | instid1(VALU_DEP_1)
	v_add3_u32 v19, v19, v30, v29
	v_lshlrev_b64 v[18:19], 1, v[18:19]
	s_delay_alu instid0(VALU_DEP_1) | instskip(NEXT) | instid1(VALU_DEP_1)
	v_add_co_u32 v18, s4, s27, v18
	v_add_co_ci_u32_e64 v19, s4, s33, v19, s4
	global_load_u16 v19, v[18:19], off
.LBB142_73:                             ;   in Loop: Header=BB142_33 Depth=1
	s_or_b32 exec_lo, exec_lo, s5
	s_and_saveexec_b32 s8, vcc_lo
	s_cbranch_execz .LBB142_80
; %bb.74:                               ;   in Loop: Header=BB142_33 Depth=1
	s_and_b32 s10, s97, 0xfe
	s_mov_b32 s9, 0
	s_branch .LBB142_76
.LBB142_75:                             ;   in Loop: Header=BB142_76 Depth=2
	s_or_b32 exec_lo, exec_lo, s5
	s_waitcnt vmcnt(0)
	v_cmp_lt_i16_e64 s4, -1, v19
	v_and_b32_e32 v29, 0xffff, v19
	v_lshlrev_b32_e32 v19, 16, v19
	s_and_b32 s6, exec_lo, vcc_lo
	s_delay_alu instid0(SALU_CYCLE_1) | instskip(SKIP_1) | instid1(VALU_DEP_2)
	s_or_b32 s9, s6, s9
	v_cndmask_b32_e64 v30, 0xffff, v27, s4
	v_cmp_o_f32_e64 s4, v19, v19
	s_delay_alu instid0(VALU_DEP_2) | instskip(NEXT) | instid1(VALU_DEP_1)
	v_xor_b32_e32 v29, v30, v29
	v_cndmask_b32_e64 v19, 0xffff, v29, s4
	s_delay_alu instid0(VALU_DEP_1) | instskip(SKIP_1) | instid1(VALU_DEP_2)
	v_and_b32_e32 v29, s103, v19
	v_bfe_u32 v19, v19, s10, 2
	v_cmp_eq_u32_e64 s4, s102, v29
	s_delay_alu instid0(VALU_DEP_2) | instskip(SKIP_2) | instid1(VALU_DEP_3)
	v_cmp_eq_u32_e64 s5, 0, v19
	v_cmp_eq_u32_e32 vcc_lo, 1, v19
	v_cmp_eq_u32_e64 s6, 2, v19
	s_and_b32 s5, s4, s5
	s_delay_alu instid0(SALU_CYCLE_1) | instskip(SKIP_4) | instid1(SALU_CYCLE_1)
	v_cndmask_b32_e64 v29, 0, 1, s5
	s_and_b32 s5, s4, vcc_lo
	v_cmp_eq_u32_e32 vcc_lo, 3, v19
	v_cndmask_b32_e64 v30, 0, 1, s5
	s_and_b32 s5, s4, s6
	v_cndmask_b32_e64 v31, 0, 1, s5
	v_cmp_ne_u32_e64 s5, 0, v29
	s_delay_alu instid0(VALU_DEP_3) | instskip(SKIP_1) | instid1(SALU_CYCLE_1)
	v_cmp_ne_u32_e64 s6, 0, v30
	s_and_b32 s4, s4, vcc_lo
	v_cndmask_b32_e64 v19, 0, 1, s4
	s_delay_alu instid0(VALU_DEP_3)
	s_bcnt1_i32_b32 s4, s5
	v_cmp_ne_u32_e64 s7, 0, v31
	v_add_co_u32 v2, vcc_lo, v2, s4
	s_bcnt1_i32_b32 s5, s6
	v_add_co_ci_u32_e32 v3, vcc_lo, 0, v3, vcc_lo
	v_add_co_u32 v4, vcc_lo, v4, s5
	v_add_co_ci_u32_e32 v5, vcc_lo, 0, v5, vcc_lo
	s_bcnt1_i32_b32 s6, s7
	v_cmp_ne_u32_e32 vcc_lo, 0, v19
	v_add_co_u32 v6, s4, v6, s6
	s_delay_alu instid0(VALU_DEP_1)
	v_add_co_ci_u32_e64 v7, s4, 0, v7, s4
	s_bcnt1_i32_b32 s4, vcc_lo
	v_mov_b32_e32 v19, v18
	v_add_co_u32 v8, vcc_lo, v8, s4
	v_add_co_ci_u32_e32 v9, vcc_lo, 0, v9, vcc_lo
	s_and_not1_b32 exec_lo, exec_lo, s9
	s_cbranch_execz .LBB142_79
.LBB142_76:                             ;   Parent Loop BB142_33 Depth=1
                                        ; =>  This Inner Loop Header: Depth=2
	v_add_co_u32 v16, vcc_lo, v16, v12
	v_add_co_ci_u32_e32 v17, vcc_lo, 0, v17, vcc_lo
	v_mov_b32_e32 v18, 0
	s_mov_b32 s5, exec_lo
	s_delay_alu instid0(VALU_DEP_2)
	v_cmp_le_u64_e32 vcc_lo, s[24:25], v[16:17]
	v_cmpx_gt_u64_e64 s[24:25], v[16:17]
	s_cbranch_execz .LBB142_75
; %bb.77:                               ;   in Loop: Header=BB142_76 Depth=2
	v_mul_lo_u32 v18, v17, s50
	v_mul_lo_u32 v31, v16, s51
	v_mad_u64_u32 v[29:30], null, v16, s50, 0
	s_delay_alu instid0(VALU_DEP_1) | instskip(NEXT) | instid1(VALU_DEP_1)
	v_add3_u32 v30, v30, v31, v18
	v_lshlrev_b64 v[29:30], 1, v[29:30]
	s_delay_alu instid0(VALU_DEP_1) | instskip(NEXT) | instid1(VALU_DEP_1)
	v_add_co_u32 v29, s4, s27, v29
	v_add_co_ci_u32_e64 v30, s4, s33, v30, s4
	global_load_u16 v18, v[29:30], off
	s_branch .LBB142_75
.LBB142_78:                             ;   in Loop: Header=BB142_33 Depth=1
                                        ; implicit-def: $vgpr8_vgpr9
                                        ; implicit-def: $vgpr4_vgpr5
	s_cbranch_execnz .LBB142_81
	s_branch .LBB142_90
.LBB142_79:                             ;   in Loop: Header=BB142_33 Depth=1
	s_or_b32 exec_lo, exec_lo, s9
.LBB142_80:                             ;   in Loop: Header=BB142_33 Depth=1
	s_delay_alu instid0(SALU_CYCLE_1)
	s_or_b32 exec_lo, exec_lo, s8
	s_branch .LBB142_90
.LBB142_81:                             ;   in Loop: Header=BB142_33 Depth=1
	global_load_u16 v8, v13, s[70:71]
	s_mov_b64 s[74:75], 0
	s_mov_b32 s73, exec_lo
	s_waitcnt vmcnt(0)
	v_readfirstlane_b32 s4, v8
	v_and_b32_e32 v18, 0xffff, v8
	s_delay_alu instid0(VALU_DEP_2) | instskip(NEXT) | instid1(SALU_CYCLE_1)
	s_and_b32 s4, 0xffff, s4
	s_lshl_b32 s68, s4, 2
	s_delay_alu instid0(SALU_CYCLE_1) | instskip(SKIP_1) | instid1(VALU_DEP_1)
	v_cvt_f32_u32_e32 v2, s68
	s_sub_i32 s5, 0, s68
	v_rcp_iflag_f32_e32 v2, v2
	s_waitcnt_depctr 0xfff
	v_mul_f32_e32 v2, 0x4f7ffffe, v2
	s_delay_alu instid0(VALU_DEP_1) | instskip(NEXT) | instid1(VALU_DEP_1)
	v_cvt_u32_f32_e32 v2, v2
	v_readfirstlane_b32 s4, v2
	v_mov_b32_e32 v2, 0
	v_mov_b32_e32 v3, 0
	s_delay_alu instid0(VALU_DEP_3) | instskip(NEXT) | instid1(VALU_DEP_1)
	s_mul_i32 s5, s5, s4
	v_dual_mov_b32 v5, v3 :: v_dual_mov_b32 v4, v2
	s_mul_hi_u32 s5, s4, s5
	v_dual_mov_b32 v7, v3 :: v_dual_mov_b32 v6, v2
	s_add_i32 s4, s4, s5
	v_dual_mov_b32 v9, v3 :: v_dual_mov_b32 v8, v2
	s_mul_hi_u32 s4, s72, s4
	s_delay_alu instid0(SALU_CYCLE_1) | instskip(NEXT) | instid1(SALU_CYCLE_1)
	s_mul_i32 s4, s4, s68
	s_sub_i32 s4, s72, s4
	s_delay_alu instid0(SALU_CYCLE_1) | instskip(SKIP_2) | instid1(SALU_CYCLE_1)
	s_sub_i32 s5, s4, s68
	s_cmp_ge_u32 s4, s68
	s_cselect_b32 s4, s5, s4
	s_sub_i32 s5, s4, s68
	s_cmp_ge_u32 s4, s68
	s_cselect_b32 s4, s5, s4
	s_delay_alu instid0(SALU_CYCLE_1) | instskip(NEXT) | instid1(SALU_CYCLE_1)
	s_sub_i32 s66, s72, s4
	v_cmpx_gt_u32_e64 s66, v10
	s_cbranch_execz .LBB142_85
; %bb.82:                               ;   in Loop: Header=BB142_33 Depth=1
	v_dual_mov_b32 v19, v25 :: v_dual_lshlrev_b32 v12, 3, v18
	v_dual_mov_b32 v17, v11 :: v_dual_mov_b32 v16, v10
	s_and_b32 s104, s97, 0xfe
	s_mov_b32 vcc_hi, 0
	s_mov_b64 s[76:77], 0
	s_mov_b64 s[78:79], 0
	s_mov_b64 s[80:81], 0
.LBB142_83:                             ;   Parent Loop BB142_33 Depth=1
                                        ; =>  This Inner Loop Header: Depth=2
	ds_load_b64 v[2:3], v19
	v_add_co_u32 v16, s5, v16, s68
	s_delay_alu instid0(VALU_DEP_1) | instskip(NEXT) | instid1(VALU_DEP_1)
	v_add_co_ci_u32_e64 v17, s5, 0, v17, s5
	v_cmp_le_u64_e64 s5, s[66:67], v[16:17]
	s_waitcnt lgkmcnt(0)
	v_lshrrev_b32_e32 v4, 16, v2
	v_cmp_lt_i16_e32 vcc_lo, -1, v2
	v_lshlrev_b32_e32 v9, 16, v3
	v_lshrrev_b32_e32 v5, 16, v3
	v_and_b32_e32 v6, 0xffff, v2
	v_cmp_lt_i16_e64 s4, -1, v3
	v_and_b32_e32 v8, 0xffff, v3
	v_cmp_o_f32_e64 s6, v9, v9
	v_cndmask_b32_e32 v9, 0xffff, v27, vcc_lo
	v_cmp_lt_i16_e32 vcc_lo, -1, v4
	v_lshlrev_b32_e32 v7, 16, v2
	v_and_b32_e32 v2, 0xffff0000, v2
	v_and_b32_e32 v3, 0xffff0000, v3
	s_delay_alu instid0(VALU_DEP_2)
	v_cmp_o_f32_e64 s9, v2, v2
	v_cndmask_b32_e32 v2, 0xffff, v27, vcc_lo
	v_cmp_o_f32_e64 s7, v7, v7
	v_cndmask_b32_e64 v7, 0xffff, v27, s4
	v_cmp_lt_i16_e64 s4, -1, v5
	v_cmp_o_f32_e64 s8, v3, v3
	v_xor_b32_e32 v3, v9, v6
	v_xor_b32_e32 v2, v2, v4
	;; [unrolled: 1-line block ×3, first 2 shown]
	v_cndmask_b32_e64 v6, 0xffff, v27, s4
	s_delay_alu instid0(VALU_DEP_4) | instskip(NEXT) | instid1(VALU_DEP_4)
	v_cndmask_b32_e64 v3, 0xffff, v3, s7
	v_cndmask_b32_e64 v2, 0xffff, v2, s9
	s_delay_alu instid0(VALU_DEP_3) | instskip(SKIP_1) | instid1(VALU_DEP_4)
	v_xor_b32_e32 v4, v6, v5
	v_cndmask_b32_e64 v5, 0xffff, v7, s6
	v_and_b32_e32 v6, s103, v3
	v_bfe_u32 v3, v3, s104, 2
	s_delay_alu instid0(VALU_DEP_4) | instskip(NEXT) | instid1(VALU_DEP_4)
	v_cndmask_b32_e64 v4, 0xffff, v4, s8
	v_and_b32_e32 v7, s103, v5
	s_delay_alu instid0(VALU_DEP_4)
	v_cmp_eq_u32_e32 vcc_lo, s102, v6
	v_and_b32_e32 v6, s103, v2
	v_bfe_u32 v2, v2, s104, 2
	v_bfe_u32 v5, v5, s104, 2
	v_cmp_eq_u32_e64 s4, s102, v7
	v_and_b32_e32 v7, s103, v4
	v_bfe_u32 v4, v4, s104, 2
	v_cmp_eq_u32_e64 s6, 0, v3
	v_cmp_eq_u32_e64 s14, s102, v6
	;; [unrolled: 1-line block ×6, first 2 shown]
	s_and_b32 s22, vcc_lo, s6
	s_and_b32 s16, s14, s16
	s_and_b32 s23, s4, s7
	v_cmp_eq_u32_e64 s6, 1, v2
	v_cmp_eq_u32_e64 s7, 1, v4
	;; [unrolled: 1-line block ×6, first 2 shown]
	v_cndmask_b32_e64 v2, 0, 1, s22
	v_cndmask_b32_e64 v4, 0, 1, s16
	v_cmp_eq_u32_e64 s8, 1, v3
	v_cmp_eq_u32_e64 s10, 2, v3
	;; [unrolled: 1-line block ×3, first 2 shown]
	v_cndmask_b32_e64 v3, 0, 1, s23
	s_and_b32 s17, s15, s17
	v_cmp_eq_u32_e64 s9, 1, v5
	v_cmp_eq_u32_e64 s11, 2, v5
	;; [unrolled: 1-line block ×3, first 2 shown]
	v_cndmask_b32_e64 v5, 0, 1, s17
	v_cmp_ne_u32_e64 s16, 0, v2
	v_cmp_ne_u32_e64 s22, 0, v4
	v_cmp_ne_u32_e64 s17, 0, v3
	s_delay_alu instid0(VALU_DEP_4) | instskip(NEXT) | instid1(VALU_DEP_4)
	v_cmp_ne_u32_e64 s23, 0, v5
	s_bcnt1_i32_b32 s16, s16
	s_delay_alu instid0(VALU_DEP_3) | instskip(NEXT) | instid1(VALU_DEP_2)
	s_bcnt1_i32_b32 s22, s22
	s_bcnt1_i32_b32 s17, s17
	s_add_i32 s16, s22, s16
	s_bcnt1_i32_b32 s23, s23
	s_add_i32 s16, s16, s17
	s_delay_alu instid0(SALU_CYCLE_1) | instskip(NEXT) | instid1(SALU_CYCLE_1)
	s_add_i32 s16, s16, s23
	s_add_u32 s80, s80, s16
	s_addc_u32 s81, s81, 0
	s_and_b32 s8, vcc_lo, s8
	s_and_b32 s6, s14, s6
	s_and_b32 s9, s4, s9
	v_cndmask_b32_e64 v2, 0, 1, s8
	v_cndmask_b32_e64 v3, 0, 1, s6
	s_and_b32 s7, s15, s7
	v_cndmask_b32_e64 v4, 0, 1, s9
	v_cndmask_b32_e64 v5, 0, 1, s7
	v_cmp_ne_u32_e64 s6, 0, v2
	v_cmp_ne_u32_e64 s7, 0, v3
	s_delay_alu instid0(VALU_DEP_4) | instskip(NEXT) | instid1(VALU_DEP_4)
	v_cmp_ne_u32_e64 s8, 0, v4
	v_cmp_ne_u32_e64 s9, 0, v5
	s_delay_alu instid0(VALU_DEP_4) | instskip(NEXT) | instid1(VALU_DEP_3)
	s_bcnt1_i32_b32 s6, s6
	s_bcnt1_i32_b32 s7, s7
	s_delay_alu instid0(VALU_DEP_2) | instskip(SKIP_3) | instid1(SALU_CYCLE_1)
	s_bcnt1_i32_b32 s8, s8
	s_add_i32 s6, s7, s6
	s_bcnt1_i32_b32 s9, s9
	s_add_i32 s6, s6, s8
	s_add_i32 s6, s6, s9
	s_delay_alu instid0(SALU_CYCLE_1)
	s_add_u32 s78, s78, s6
	s_addc_u32 s79, s79, 0
	s_and_b32 s6, vcc_lo, s10
	s_and_b32 s7, s14, s18
	s_and_b32 s8, s4, s11
	v_cndmask_b32_e64 v2, 0, 1, s6
	v_cndmask_b32_e64 v3, 0, 1, s7
	s_and_b32 s9, s15, s19
	v_cndmask_b32_e64 v4, 0, 1, s8
	v_cndmask_b32_e64 v5, 0, 1, s9
	v_cmp_ne_u32_e64 s6, 0, v2
	v_cmp_ne_u32_e64 s7, 0, v3
	s_delay_alu instid0(VALU_DEP_4) | instskip(NEXT) | instid1(VALU_DEP_4)
	v_cmp_ne_u32_e64 s8, 0, v4
	v_cmp_ne_u32_e64 s9, 0, v5
	s_delay_alu instid0(VALU_DEP_4) | instskip(NEXT) | instid1(VALU_DEP_3)
	s_bcnt1_i32_b32 s6, s6
	s_bcnt1_i32_b32 s7, s7
	s_delay_alu instid0(VALU_DEP_2) | instskip(SKIP_3) | instid1(SALU_CYCLE_1)
	s_bcnt1_i32_b32 s8, s8
	s_add_i32 s6, s7, s6
	s_bcnt1_i32_b32 s9, s9
	s_add_i32 s6, s6, s8
	s_add_i32 s6, s6, s9
	s_delay_alu instid0(SALU_CYCLE_1)
	s_add_u32 s76, s76, s6
	s_addc_u32 s77, s77, 0
	s_and_b32 s6, vcc_lo, s12
	s_and_b32 s7, s14, s20
	s_and_b32 s4, s4, s13
	v_cndmask_b32_e64 v2, 0, 1, s6
	v_cndmask_b32_e64 v3, 0, 1, s7
	s_and_b32 s8, s15, s21
	v_cndmask_b32_e64 v4, 0, 1, s4
	v_cndmask_b32_e64 v5, 0, 1, s8
	v_cmp_ne_u32_e32 vcc_lo, 0, v2
	v_cmp_ne_u32_e64 s4, 0, v3
	v_dual_mov_b32 v6, s76 :: v_dual_add_nc_u32 v19, v19, v12
	v_cmp_ne_u32_e64 s6, 0, v4
	v_cmp_ne_u32_e64 s7, 0, v5
	s_bcnt1_i32_b32 s8, vcc_lo
	s_bcnt1_i32_b32 s4, s4
	v_mov_b32_e32 v2, s80
	s_bcnt1_i32_b32 s6, s6
	s_add_i32 s4, s4, s8
	s_bcnt1_i32_b32 s7, s7
	s_add_i32 s4, s4, s6
	v_mov_b32_e32 v4, s78
	s_add_i32 s4, s4, s7
	v_mov_b32_e32 v3, s81
	s_add_u32 s74, s74, s4
	s_addc_u32 s75, s75, 0
	v_dual_mov_b32 v8, s74 :: v_dual_mov_b32 v5, s79
	v_mov_b32_e32 v7, s77
	v_mov_b32_e32 v9, s75
	s_or_b32 vcc_hi, s5, vcc_hi
	s_delay_alu instid0(SALU_CYCLE_1)
	s_and_not1_b32 exec_lo, exec_lo, vcc_hi
	s_cbranch_execnz .LBB142_83
; %bb.84:                               ;   in Loop: Header=BB142_33 Depth=1
	s_or_b32 exec_lo, exec_lo, vcc_hi
.LBB142_85:                             ;   in Loop: Header=BB142_33 Depth=1
	s_delay_alu instid0(SALU_CYCLE_1) | instskip(SKIP_2) | instid1(VALU_DEP_1)
	s_or_b32 exec_lo, exec_lo, s73
	v_add_nc_u32_e32 v12, s66, v0
	s_mov_b32 s9, exec_lo
	v_cmpx_gt_u32_e64 s72, v12
	s_cbranch_execz .LBB142_89
; %bb.86:                               ;   in Loop: Header=BB142_33 Depth=1
	v_mov_b32_e32 v17, v13
	v_dual_mov_b32 v16, v12 :: v_dual_lshlrev_b32 v19, 1, v12
	v_lshlrev_b32_e32 v29, 1, v18
	s_mov_b32 s11, 0
	s_and_b32 s10, s72, 0x7fffffff
	s_and_b32 s13, s97, 0xfe
	s_mov_b32 s12, s11
.LBB142_87:                             ;   Parent Loop BB142_33 Depth=1
                                        ; =>  This Inner Loop Header: Depth=2
	ds_load_u16 v12, v19
	v_add_co_u32 v16, vcc_lo, v16, v18
	v_add_co_ci_u32_e32 v17, vcc_lo, 0, v17, vcc_lo
	v_add_nc_u32_e32 v19, v19, v29
	s_delay_alu instid0(VALU_DEP_2) | instskip(SKIP_4) | instid1(VALU_DEP_3)
	v_cmp_le_u64_e32 vcc_lo, s[10:11], v[16:17]
	s_waitcnt lgkmcnt(0)
	v_cmp_lt_i16_e64 s4, -1, v12
	v_and_b32_e32 v30, 0xffff, v12
	v_lshlrev_b32_e32 v12, 16, v12
	v_cndmask_b32_e64 v31, 0xffff, v27, s4
	s_delay_alu instid0(VALU_DEP_2) | instskip(NEXT) | instid1(VALU_DEP_2)
	v_cmp_o_f32_e64 s4, v12, v12
	v_xor_b32_e32 v30, v31, v30
	s_delay_alu instid0(VALU_DEP_1) | instskip(NEXT) | instid1(VALU_DEP_1)
	v_cndmask_b32_e64 v12, 0xffff, v30, s4
	v_and_b32_e32 v30, s103, v12
	v_bfe_u32 v12, v12, s13, 2
	s_delay_alu instid0(VALU_DEP_2) | instskip(NEXT) | instid1(VALU_DEP_2)
	v_cmp_eq_u32_e64 s4, s102, v30
	v_cmp_eq_u32_e64 s5, 0, v12
	;; [unrolled: 1-line block ×5, first 2 shown]
	s_delay_alu instid0(VALU_DEP_4) | instskip(NEXT) | instid1(SALU_CYCLE_1)
	s_and_b32 s5, s4, s5
	v_cndmask_b32_e64 v12, 0, 1, s5
	s_and_b32 s5, s4, s6
	s_delay_alu instid0(SALU_CYCLE_1)
	v_cndmask_b32_e64 v30, 0, 1, s5
	s_and_b32 s5, s4, s7
	s_and_b32 s4, s4, s8
	v_cndmask_b32_e64 v31, 0, 1, s5
	v_cndmask_b32_e64 v32, 0, 1, s4
	v_cmp_ne_u32_e64 s4, 0, v12
	v_cmp_ne_u32_e64 s5, 0, v30
	s_delay_alu instid0(VALU_DEP_4) | instskip(NEXT) | instid1(VALU_DEP_4)
	v_cmp_ne_u32_e64 s6, 0, v31
	v_cmp_ne_u32_e64 s7, 0, v32
	s_delay_alu instid0(VALU_DEP_4) | instskip(NEXT) | instid1(VALU_DEP_3)
	s_bcnt1_i32_b32 s4, s4
	s_bcnt1_i32_b32 s5, s5
	v_add_co_u32 v2, s4, v2, s4
	s_delay_alu instid0(VALU_DEP_1)
	v_add_co_ci_u32_e64 v3, s4, 0, v3, s4
	v_add_co_u32 v4, s4, v4, s5
	s_bcnt1_i32_b32 s6, s6
	v_add_co_ci_u32_e64 v5, s4, 0, v5, s4
	v_add_co_u32 v6, s4, v6, s6
	s_bcnt1_i32_b32 s7, s7
	v_add_co_ci_u32_e64 v7, s4, 0, v7, s4
	v_add_co_u32 v8, s4, v8, s7
	s_delay_alu instid0(VALU_DEP_1) | instskip(SKIP_1) | instid1(SALU_CYCLE_1)
	v_add_co_ci_u32_e64 v9, s4, 0, v9, s4
	s_or_b32 s12, vcc_lo, s12
	s_and_not1_b32 exec_lo, exec_lo, s12
	s_cbranch_execnz .LBB142_87
; %bb.88:                               ;   in Loop: Header=BB142_33 Depth=1
	s_or_b32 exec_lo, exec_lo, s12
.LBB142_89:                             ;   in Loop: Header=BB142_33 Depth=1
	s_delay_alu instid0(SALU_CYCLE_1)
	s_or_b32 exec_lo, exec_lo, s9
.LBB142_90:                             ;   in Loop: Header=BB142_33 Depth=1
	s_lshl_b32 s4, s100, 7
	s_and_saveexec_b32 s5, s1
	s_cbranch_execz .LBB142_92
; %bb.91:                               ;   in Loop: Header=BB142_33 Depth=1
	v_or_b32_e32 v12, s4, v23
	s_delay_alu instid0(VALU_DEP_1)
	v_lshlrev_b32_e32 v12, 3, v12
	ds_store_b128 v12, v[2:5] offset:3072
	ds_store_b128 v12, v[6:9] offset:3088
.LBB142_92:                             ;   in Loop: Header=BB142_33 Depth=1
	s_or_b32 exec_lo, exec_lo, s5
	s_waitcnt vmcnt(0) lgkmcnt(0)
	s_barrier
	buffer_gl0_inv
	s_and_saveexec_b32 s5, s82
	s_cbranch_execz .LBB142_103
; %bb.93:                               ;   in Loop: Header=BB142_33 Depth=1
	v_mov_b32_e32 v2, 0
	v_mov_b32_e32 v3, 0
	s_and_not1_b32 vcc_lo, exec_lo, s89
	s_cbranch_vccnz .LBB142_102
; %bb.94:                               ;   in Loop: Header=BB142_33 Depth=1
	v_mov_b32_e32 v2, 0
	v_mov_b32_e32 v3, 0
	s_and_not1_b32 vcc_lo, exec_lo, s87
	s_cbranch_vccnz .LBB142_99
; %bb.95:                               ;   in Loop: Header=BB142_33 Depth=1
	v_lshl_add_u32 v4, s100, 10, v26
	s_mov_b32 s6, 0
	s_set_inst_prefetch_distance 0x1
	.p2align	6
.LBB142_96:                             ;   Parent Loop BB142_33 Depth=1
                                        ; =>  This Inner Loop Header: Depth=2
	ds_load_2addr_b64 v[5:8], v4 offset1:4
	ds_load_2addr_b64 v[16:19], v4 offset0:8 offset1:12
	ds_load_2addr_b64 v[29:32], v4 offset0:16 offset1:20
	s_add_i32 s6, s6, 8
	s_delay_alu instid0(SALU_CYCLE_1) | instskip(SKIP_3) | instid1(VALU_DEP_2)
	s_cmp_eq_u32 s88, s6
	s_waitcnt lgkmcnt(2)
	v_add_co_u32 v2, vcc_lo, v5, v2
	v_add_co_ci_u32_e32 v3, vcc_lo, v6, v3, vcc_lo
	v_add_co_u32 v2, vcc_lo, v7, v2
	s_delay_alu instid0(VALU_DEP_2)
	v_add_co_ci_u32_e32 v3, vcc_lo, v8, v3, vcc_lo
	ds_load_2addr_b64 v[5:8], v4 offset0:24 offset1:28
	s_waitcnt lgkmcnt(2)
	v_add_co_u32 v2, vcc_lo, v16, v2
	v_add_co_ci_u32_e32 v3, vcc_lo, v17, v3, vcc_lo
	v_add_nc_u32_e32 v4, 0x100, v4
	s_delay_alu instid0(VALU_DEP_3) | instskip(NEXT) | instid1(VALU_DEP_3)
	v_add_co_u32 v2, vcc_lo, v18, v2
	v_add_co_ci_u32_e32 v3, vcc_lo, v19, v3, vcc_lo
	s_waitcnt lgkmcnt(1)
	s_delay_alu instid0(VALU_DEP_2) | instskip(NEXT) | instid1(VALU_DEP_2)
	v_add_co_u32 v2, vcc_lo, v29, v2
	v_add_co_ci_u32_e32 v3, vcc_lo, v30, v3, vcc_lo
	s_delay_alu instid0(VALU_DEP_2) | instskip(NEXT) | instid1(VALU_DEP_2)
	v_add_co_u32 v2, vcc_lo, v31, v2
	v_add_co_ci_u32_e32 v3, vcc_lo, v32, v3, vcc_lo
	s_waitcnt lgkmcnt(0)
	s_delay_alu instid0(VALU_DEP_2) | instskip(NEXT) | instid1(VALU_DEP_2)
	v_add_co_u32 v2, vcc_lo, v5, v2
	v_add_co_ci_u32_e32 v3, vcc_lo, v6, v3, vcc_lo
	s_delay_alu instid0(VALU_DEP_2) | instskip(NEXT) | instid1(VALU_DEP_2)
	v_add_co_u32 v2, vcc_lo, v7, v2
	v_add_co_ci_u32_e32 v3, vcc_lo, v8, v3, vcc_lo
	s_cbranch_scc0 .LBB142_96
; %bb.97:                               ;   in Loop: Header=BB142_33 Depth=1
	s_set_inst_prefetch_distance 0x2
	s_mov_b32 s6, s88
	s_and_not1_b32 vcc_lo, exec_lo, s90
	s_cbranch_vccz .LBB142_100
	s_branch .LBB142_102
.LBB142_98:                             ;   in Loop: Header=BB142_33 Depth=1
                                        ; implicit-def: $vgpr2_vgpr3
	s_branch .LBB142_66
.LBB142_99:                             ;   in Loop: Header=BB142_33 Depth=1
	s_mov_b32 s6, 0
	s_and_not1_b32 vcc_lo, exec_lo, s90
	s_cbranch_vccnz .LBB142_102
.LBB142_100:                            ;   in Loop: Header=BB142_33 Depth=1
	s_lshl_b32 s7, s100, 10
	s_lshl_b32 s6, s6, 5
	s_delay_alu instid0(SALU_CYCLE_1)
	v_add3_u32 v4, s7, s6, v26
	s_mov_b32 s6, s86
.LBB142_101:                            ;   Parent Loop BB142_33 Depth=1
                                        ; =>  This Inner Loop Header: Depth=2
	ds_load_b64 v[5:6], v4
	v_add_nc_u32_e32 v4, 32, v4
	s_add_i32 s6, s6, -1
	s_delay_alu instid0(SALU_CYCLE_1)
	s_cmp_lg_u32 s6, 0
	s_waitcnt lgkmcnt(0)
	v_add_co_u32 v2, vcc_lo, v5, v2
	v_add_co_ci_u32_e32 v3, vcc_lo, v6, v3, vcc_lo
	s_cbranch_scc1 .LBB142_101
.LBB142_102:                            ;   in Loop: Header=BB142_33 Depth=1
	v_add_lshl_u32 v4, s4, v20, 3
	ds_store_b64 v4, v[2:3] offset:3072
.LBB142_103:                            ;   in Loop: Header=BB142_33 Depth=1
	s_or_b32 exec_lo, exec_lo, s5
	s_lshl_b32 s4, s4, 3
	s_waitcnt lgkmcnt(0)
	v_mov_b32_e32 v6, s4
	s_barrier
	buffer_gl0_inv
	s_and_b32 s17, s97, 0xfe
	s_mov_b32 s19, -1
	ds_load_b128 v[2:5], v6 offset:3072
	ds_load_b128 v[6:9], v6 offset:3088
	s_lshl_b32 s16, 3, s17
	s_delay_alu instid0(SALU_CYCLE_1)
	s_not_b32 s18, s16
	s_waitcnt lgkmcnt(1)
	v_readfirstlane_b32 s13, v3
	v_readfirstlane_b32 s12, v2
	v_readfirstlane_b32 s10, v4
	v_readfirstlane_b32 s11, v5
	s_waitcnt lgkmcnt(0)
	v_readfirstlane_b32 s8, v6
	v_readfirstlane_b32 s9, v7
	s_cmp_eq_u64 s[12:13], 1
	v_readfirstlane_b32 s6, v8
	s_cselect_b32 s4, -1, 0
	s_cmp_eq_u64 s[64:65], 1
	v_readfirstlane_b32 s7, v9
	s_cselect_b32 s5, -1, 0
	s_delay_alu instid0(SALU_CYCLE_1) | instskip(NEXT) | instid1(SALU_CYCLE_1)
	s_and_b32 s20, s4, s5
	s_and_b32 vcc_lo, exec_lo, s20
	s_cbranch_vccz .LBB142_118
; %bb.104:                              ;   in Loop: Header=BB142_33 Depth=1
	ds_load_b64 v[2:3], v13 offset:5120
	s_waitcnt lgkmcnt(0)
	s_barrier
	buffer_gl0_inv
	v_readfirstlane_b32 s14, v2
	v_readfirstlane_b32 s15, v3
	s_and_saveexec_b32 s4, s0
	s_cbranch_execz .LBB142_106
; %bb.105:                              ;   in Loop: Header=BB142_33 Depth=1
	ds_store_b16 v22, v13
.LBB142_106:                            ;   in Loop: Header=BB142_33 Depth=1
	s_or_b32 exec_lo, exec_lo, s4
	s_and_b32 s102, s102, s18
	s_or_b32 s103, s103, s16
	s_cmp_eq_u64 s[14:15], 0
	s_waitcnt lgkmcnt(0)
	s_barrier
	buffer_gl0_inv
	s_cbranch_scc1 .LBB142_119
; %bb.107:                              ;   in Loop: Header=BB142_33 Depth=1
	s_add_u32 s21, s83, s14
	s_addc_u32 s5, s84, s15
	s_mov_b32 s4, s67
	s_delay_alu instid0(SALU_CYCLE_1)
	s_cmp_lg_u64 s[4:5], 0
	s_cbranch_scc0 .LBB142_164
; %bb.108:                              ;   in Loop: Header=BB142_33 Depth=1
	v_cvt_f32_u32_e32 v2, s35
	s_sub_u32 s23, 0, s35
	s_subb_u32 s66, 0, 0
	s_delay_alu instid0(VALU_DEP_1) | instskip(NEXT) | instid1(VALU_DEP_1)
	v_fmac_f32_e64 v2, 0, 0x4f800000
	v_rcp_f32_e32 v2, v2
	s_waitcnt_depctr 0xfff
	v_mul_f32_e32 v2, 0x5f7ffffc, v2
	s_delay_alu instid0(VALU_DEP_1) | instskip(NEXT) | instid1(VALU_DEP_1)
	v_mul_f32_e32 v3, 0x2f800000, v2
	v_trunc_f32_e32 v3, v3
	s_delay_alu instid0(VALU_DEP_1) | instskip(SKIP_1) | instid1(VALU_DEP_2)
	v_fmac_f32_e32 v2, 0xcf800000, v3
	v_cvt_u32_f32_e32 v3, v3
	v_cvt_u32_f32_e32 v2, v2
	s_delay_alu instid0(VALU_DEP_2) | instskip(NEXT) | instid1(VALU_DEP_2)
	v_readfirstlane_b32 s4, v3
	v_readfirstlane_b32 s22, v2
	s_delay_alu instid0(VALU_DEP_2) | instskip(NEXT) | instid1(VALU_DEP_1)
	s_mul_i32 s68, s23, s4
	s_mul_hi_u32 s73, s23, s22
	s_mul_i32 s72, s66, s22
	s_add_i32 s68, s73, s68
	s_mul_i32 s74, s23, s22
	s_add_i32 s68, s68, s72
	s_mul_hi_u32 s73, s22, s74
	s_mul_hi_u32 s75, s4, s74
	s_mul_i32 s72, s4, s74
	s_mul_hi_u32 s74, s22, s68
	s_mul_i32 s22, s22, s68
	s_mul_hi_u32 s76, s4, s68
	s_add_u32 s22, s73, s22
	s_addc_u32 s73, 0, s74
	s_add_u32 s22, s22, s72
	s_mul_i32 s68, s4, s68
	s_addc_u32 s22, s73, s75
	s_addc_u32 s72, s76, 0
	s_add_u32 s22, s22, s68
	s_addc_u32 s68, 0, s72
	v_add_co_u32 v2, s22, v2, s22
	s_delay_alu instid0(VALU_DEP_1) | instskip(SKIP_1) | instid1(VALU_DEP_1)
	s_cmp_lg_u32 s22, 0
	s_addc_u32 s4, s4, s68
	v_readfirstlane_b32 s22, v2
	s_mul_i32 s68, s23, s4
	s_delay_alu instid0(VALU_DEP_1)
	s_mul_hi_u32 s72, s23, s22
	s_mul_i32 s66, s66, s22
	s_add_i32 s68, s72, s68
	s_mul_i32 s23, s23, s22
	s_add_i32 s68, s68, s66
	s_mul_hi_u32 s72, s4, s23
	s_mul_i32 s73, s4, s23
	s_mul_hi_u32 s23, s22, s23
	s_mul_hi_u32 s74, s22, s68
	s_mul_i32 s22, s22, s68
	s_mul_hi_u32 s66, s4, s68
	s_add_u32 s22, s23, s22
	s_addc_u32 s23, 0, s74
	s_add_u32 s22, s22, s73
	s_mul_i32 s68, s4, s68
	s_addc_u32 s22, s23, s72
	s_addc_u32 s23, s66, 0
	s_add_u32 s22, s22, s68
	s_addc_u32 s23, 0, s23
	v_add_co_u32 v2, s22, v2, s22
	s_delay_alu instid0(VALU_DEP_1) | instskip(SKIP_1) | instid1(VALU_DEP_1)
	s_cmp_lg_u32 s22, 0
	s_addc_u32 s4, s4, s23
	v_readfirstlane_b32 s22, v2
	s_mul_i32 s66, s21, s4
	s_mul_hi_u32 s23, s21, s4
	s_mul_hi_u32 s68, s5, s4
	s_mul_i32 s4, s5, s4
	s_mul_hi_u32 s72, s21, s22
	s_mul_hi_u32 s73, s5, s22
	s_mul_i32 s22, s5, s22
	s_add_u32 s66, s72, s66
	s_addc_u32 s23, 0, s23
	s_add_u32 s22, s66, s22
	s_addc_u32 s22, s23, s73
	s_addc_u32 s23, s68, 0
	s_add_u32 s4, s22, s4
	s_addc_u32 s22, 0, s23
	s_mul_hi_u32 s23, s35, s4
	s_mul_i32 s4, s35, s4
	s_mul_i32 s22, s35, s22
	v_sub_co_u32 v2, s4, s21, s4
	s_add_i32 s23, s23, s22
	s_cmp_lg_u32 s4, 0
	s_delay_alu instid0(VALU_DEP_1) | instskip(SKIP_2) | instid1(VALU_DEP_1)
	v_sub_co_u32 v3, s4, v2, s35
	s_subb_u32 s22, s5, s23
	s_cmp_lg_u32 s4, 0
	v_cmp_le_u32_e32 vcc_lo, s35, v3
	v_sub_co_u32 v4, s4, v3, s35
	s_subb_u32 s23, s22, 0
	s_cmp_lg_u32 s4, 0
	v_cndmask_b32_e64 v5, 0, -1, vcc_lo
	s_subb_u32 s4, s23, 0
	s_cmp_eq_u32 s23, 0
	v_mov_b32_e32 v7, s4
	s_cselect_b32 vcc_lo, -1, 0
	s_cmp_eq_u32 s22, 0
	v_cndmask_b32_e32 v5, -1, v5, vcc_lo
	v_cmp_le_u32_e32 vcc_lo, s35, v2
	s_cselect_b32 s4, -1, 0
	v_cndmask_b32_e64 v6, 0, -1, vcc_lo
	s_delay_alu instid0(VALU_DEP_3) | instskip(NEXT) | instid1(VALU_DEP_2)
	v_cmp_ne_u32_e32 vcc_lo, 0, v5
	v_cndmask_b32_e64 v5, -1, v6, s4
	v_cndmask_b32_e32 v6, s23, v7, vcc_lo
	v_cndmask_b32_e32 v4, v3, v4, vcc_lo
	s_delay_alu instid0(VALU_DEP_3) | instskip(NEXT) | instid1(VALU_DEP_3)
	v_cmp_ne_u32_e32 vcc_lo, 0, v5
	v_cndmask_b32_e32 v3, s22, v6, vcc_lo
	s_delay_alu instid0(VALU_DEP_3)
	v_cndmask_b32_e32 v2, v2, v4, vcc_lo
	s_cbranch_execnz .LBB142_110
.LBB142_109:                            ;   in Loop: Header=BB142_33 Depth=1
	v_cvt_f32_u32_e32 v2, s35
	s_sub_i32 s4, 0, s35
	s_delay_alu instid0(VALU_DEP_1) | instskip(SKIP_2) | instid1(VALU_DEP_1)
	v_rcp_iflag_f32_e32 v2, v2
	s_waitcnt_depctr 0xfff
	v_mul_f32_e32 v2, 0x4f7ffffe, v2
	v_cvt_u32_f32_e32 v2, v2
	s_delay_alu instid0(VALU_DEP_1) | instskip(NEXT) | instid1(VALU_DEP_1)
	v_mul_lo_u32 v3, s4, v2
	v_mul_hi_u32 v3, v2, v3
	s_delay_alu instid0(VALU_DEP_1) | instskip(NEXT) | instid1(VALU_DEP_1)
	v_add_nc_u32_e32 v2, v2, v3
	v_mul_hi_u32 v2, s21, v2
	s_delay_alu instid0(VALU_DEP_1) | instskip(NEXT) | instid1(VALU_DEP_1)
	v_mul_lo_u32 v2, v2, s35
	v_sub_nc_u32_e32 v2, s21, v2
	s_delay_alu instid0(VALU_DEP_1) | instskip(SKIP_1) | instid1(VALU_DEP_2)
	v_subrev_nc_u32_e32 v3, s35, v2
	v_cmp_le_u32_e32 vcc_lo, s35, v2
	v_cndmask_b32_e32 v2, v2, v3, vcc_lo
	s_delay_alu instid0(VALU_DEP_1) | instskip(SKIP_1) | instid1(VALU_DEP_2)
	v_subrev_nc_u32_e32 v3, s35, v2
	v_cmp_le_u32_e32 vcc_lo, s35, v2
	v_cndmask_b32_e32 v12, v2, v3, vcc_lo
	s_delay_alu instid0(VALU_DEP_1)
	v_dual_mov_b32 v2, v12 :: v_dual_mov_b32 v3, v13
.LBB142_110:                            ;   in Loop: Header=BB142_33 Depth=1
	s_delay_alu instid0(VALU_DEP_1) | instskip(NEXT) | instid1(VALU_DEP_2)
	v_sub_co_u32 v2, vcc_lo, s21, v2
	v_sub_co_ci_u32_e32 v3, vcc_lo, s5, v3, vcc_lo
	s_mov_b32 s4, 0
	s_mov_b32 s5, exec_lo
                                        ; implicit-def: $vgpr28
	s_delay_alu instid0(VALU_DEP_1)
	v_cmpx_gt_u64_e64 v[2:3], v[0:1]
	s_cbranch_execz .LBB142_121
; %bb.111:                              ;   in Loop: Header=BB142_33 Depth=1
	v_mov_b32_e32 v6, v21
	v_dual_mov_b32 v5, v1 :: v_dual_mov_b32 v4, v0
	s_mov_b32 s21, 0
                                        ; implicit-def: $sgpr22
	s_branch .LBB142_113
.LBB142_112:                            ;   in Loop: Header=BB142_113 Depth=2
	s_or_b32 exec_lo, exec_lo, s4
	s_waitcnt lgkmcnt(0)
	s_barrier
	buffer_gl0_inv
	ds_load_b32 v7, v13 offset:3072
	v_add_co_u32 v4, vcc_lo, v4, s35
	v_add_co_ci_u32_e32 v5, vcc_lo, 0, v5, vcc_lo
	v_add_nc_u32_e32 v6, s91, v6
	s_waitcnt lgkmcnt(0)
	s_barrier
	s_delay_alu instid0(VALU_DEP_2) | instskip(SKIP_2) | instid1(VALU_DEP_1)
	v_cmp_ge_u64_e32 vcc_lo, v[4:5], v[2:3]
	buffer_gl0_inv
	v_and_b32_e32 v8, 0x7fff, v7
	v_cmp_ne_u16_e64 s4, 0, v8
	s_delay_alu instid0(VALU_DEP_1) | instskip(NEXT) | instid1(SALU_CYCLE_1)
	s_or_b32 s23, vcc_lo, s4
	s_and_b32 s23, exec_lo, s23
	s_delay_alu instid0(SALU_CYCLE_1) | instskip(SKIP_2) | instid1(SALU_CYCLE_1)
	s_or_b32 s21, s23, s21
	s_and_not1_b32 s22, s22, exec_lo
	s_and_b32 s4, s4, exec_lo
	s_or_b32 s22, s22, s4
	s_and_not1_b32 exec_lo, exec_lo, s21
	s_cbranch_execz .LBB142_120
.LBB142_113:                            ;   Parent Loop BB142_33 Depth=1
                                        ; =>  This Inner Loop Header: Depth=2
	s_delay_alu instid0(VALU_DEP_1)
	v_cmp_gt_u64_e32 vcc_lo, s[14:15], v[4:5]
	v_mov_b32_e32 v7, 0
	s_and_saveexec_b32 s4, vcc_lo
	s_cbranch_execz .LBB142_115
; %bb.114:                              ;   in Loop: Header=BB142_113 Depth=2
	ds_load_u16 v7, v6
.LBB142_115:                            ;   in Loop: Header=BB142_113 Depth=2
	s_or_b32 exec_lo, exec_lo, s4
	s_and_saveexec_b32 s4, vcc_lo
	s_cbranch_execz .LBB142_112
; %bb.116:                              ;   in Loop: Header=BB142_113 Depth=2
	s_waitcnt lgkmcnt(0)
	v_cmp_lt_i16_e32 vcc_lo, -1, v7
	v_and_b32_e32 v8, 0xffff, v7
	v_lshlrev_b32_e32 v12, 16, v7
	v_cndmask_b32_e32 v9, 0xffff, v27, vcc_lo
	s_delay_alu instid0(VALU_DEP_2) | instskip(NEXT) | instid1(VALU_DEP_2)
	v_cmp_o_f32_e32 vcc_lo, v12, v12
	v_xor_b32_e32 v8, v9, v8
	s_delay_alu instid0(VALU_DEP_1) | instskip(NEXT) | instid1(VALU_DEP_1)
	v_cndmask_b32_e32 v8, 0xffff, v8, vcc_lo
	v_and_b32_e32 v8, s103, v8
	s_delay_alu instid0(VALU_DEP_1)
	v_cmp_eq_u32_e32 vcc_lo, s102, v8
	s_and_b32 exec_lo, exec_lo, vcc_lo
	s_cbranch_execz .LBB142_112
; %bb.117:                              ;   in Loop: Header=BB142_113 Depth=2
	v_perm_b32 v7, v7, s92, 0x5040100
	ds_store_b32 v13, v7 offset:3072
	s_branch .LBB142_112
.LBB142_118:                            ;   in Loop: Header=BB142_33 Depth=1
	s_mov_b32 s4, -1
                                        ; implicit-def: $sgpr5
                                        ; implicit-def: $sgpr15
                                        ; implicit-def: $sgpr14
	s_branch .LBB142_135
.LBB142_119:                            ;   in Loop: Header=BB142_33 Depth=1
	s_mov_b32 s5, -1
	s_mov_b32 s4, 0
                                        ; implicit-def: $sgpr14
                                        ; implicit-def: $vgpr28
	s_mov_b32 s15, s5
	s_cbranch_execnz .LBB142_122
	s_branch .LBB142_135
.LBB142_120:                            ;   in Loop: Header=BB142_33 Depth=1
	s_or_b32 exec_lo, exec_lo, s21
	v_lshrrev_b32_e32 v28, 16, v7
	s_and_b32 s4, s22, exec_lo
.LBB142_121:                            ;   in Loop: Header=BB142_33 Depth=1
	s_or_b32 exec_lo, exec_lo, s5
	s_mov_b32 s14, -1
	s_mov_b32 s5, 0
	s_delay_alu instid0(SALU_CYCLE_1)
	s_mov_b32 s15, s5
	s_branch .LBB142_135
.LBB142_122:                            ;   in Loop: Header=BB142_33 Depth=1
	s_mov_b32 s68, s67
	s_delay_alu instid0(SALU_CYCLE_1)
	s_cmp_lg_u64 s[68:69], 0
	s_cbranch_scc0 .LBB142_165
; %bb.123:                              ;   in Loop: Header=BB142_33 Depth=1
	v_cvt_f32_u32_e32 v2, s35
	s_sub_u32 s14, 0, s35
	s_subb_u32 s15, 0, 0
	s_delay_alu instid0(VALU_DEP_1) | instskip(NEXT) | instid1(VALU_DEP_1)
	v_fmac_f32_e64 v2, 0, 0x4f800000
	v_rcp_f32_e32 v2, v2
	s_waitcnt_depctr 0xfff
	v_mul_f32_e32 v2, 0x5f7ffffc, v2
	s_delay_alu instid0(VALU_DEP_1) | instskip(NEXT) | instid1(VALU_DEP_1)
	v_mul_f32_e32 v3, 0x2f800000, v2
	v_trunc_f32_e32 v3, v3
	s_delay_alu instid0(VALU_DEP_1) | instskip(SKIP_1) | instid1(VALU_DEP_2)
	v_fmac_f32_e32 v2, 0xcf800000, v3
	v_cvt_u32_f32_e32 v3, v3
	v_cvt_u32_f32_e32 v2, v2
	s_delay_alu instid0(VALU_DEP_2) | instskip(NEXT) | instid1(VALU_DEP_2)
	v_readfirstlane_b32 s4, v3
	v_readfirstlane_b32 s5, v2
	s_delay_alu instid0(VALU_DEP_2) | instskip(NEXT) | instid1(VALU_DEP_1)
	s_mul_i32 s21, s14, s4
	s_mul_hi_u32 s23, s14, s5
	s_mul_i32 s22, s15, s5
	s_add_i32 s21, s23, s21
	s_mul_i32 s66, s14, s5
	s_add_i32 s21, s21, s22
	s_mul_hi_u32 s23, s5, s66
	s_mul_hi_u32 s68, s4, s66
	s_mul_i32 s22, s4, s66
	s_mul_hi_u32 s66, s5, s21
	s_mul_i32 s5, s5, s21
	s_mul_hi_u32 s72, s4, s21
	s_add_u32 s5, s23, s5
	s_addc_u32 s23, 0, s66
	s_add_u32 s5, s5, s22
	s_mul_i32 s21, s4, s21
	s_addc_u32 s5, s23, s68
	s_addc_u32 s22, s72, 0
	s_add_u32 s5, s5, s21
	s_addc_u32 s21, 0, s22
	v_add_co_u32 v2, s5, v2, s5
	s_delay_alu instid0(VALU_DEP_1) | instskip(SKIP_1) | instid1(VALU_DEP_1)
	s_cmp_lg_u32 s5, 0
	s_addc_u32 s4, s4, s21
	v_readfirstlane_b32 s5, v2
	s_mul_i32 s21, s14, s4
	s_delay_alu instid0(VALU_DEP_1)
	s_mul_hi_u32 s22, s14, s5
	s_mul_i32 s15, s15, s5
	s_add_i32 s21, s22, s21
	s_mul_i32 s14, s14, s5
	s_add_i32 s21, s21, s15
	s_mul_hi_u32 s22, s4, s14
	s_mul_i32 s23, s4, s14
	s_mul_hi_u32 s14, s5, s14
	s_mul_hi_u32 s66, s5, s21
	s_mul_i32 s5, s5, s21
	s_mul_hi_u32 s15, s4, s21
	s_add_u32 s5, s14, s5
	s_addc_u32 s14, 0, s66
	s_add_u32 s5, s5, s23
	s_mul_i32 s21, s4, s21
	s_addc_u32 s5, s14, s22
	s_addc_u32 s14, s15, 0
	s_add_u32 s5, s5, s21
	s_addc_u32 s14, 0, s14
	v_add_co_u32 v2, s5, v2, s5
	s_delay_alu instid0(VALU_DEP_1) | instskip(SKIP_1) | instid1(VALU_DEP_1)
	s_cmp_lg_u32 s5, 0
	s_addc_u32 s4, s4, s14
	v_readfirstlane_b32 s5, v2
	s_mul_i32 s15, s85, s4
	s_mul_hi_u32 s14, s85, s4
	s_mul_hi_u32 s21, s69, s4
	s_mul_i32 s4, s69, s4
	s_mul_hi_u32 s22, s85, s5
	s_mul_hi_u32 s23, s69, s5
	s_mul_i32 s5, s69, s5
	s_add_u32 s15, s22, s15
	s_addc_u32 s14, 0, s14
	s_add_u32 s5, s15, s5
	s_addc_u32 s5, s14, s23
	s_addc_u32 s14, s21, 0
	s_add_u32 s4, s5, s4
	s_addc_u32 s5, 0, s14
	s_mul_hi_u32 s14, s35, s4
	s_mul_i32 s4, s35, s4
	s_mul_i32 s5, s35, s5
	v_sub_co_u32 v2, s4, s85, s4
	s_add_i32 s14, s14, s5
	s_cmp_lg_u32 s4, 0
	s_delay_alu instid0(VALU_DEP_1) | instskip(SKIP_2) | instid1(VALU_DEP_1)
	v_sub_co_u32 v3, s4, v2, s35
	s_subb_u32 s5, s69, s14
	s_cmp_lg_u32 s4, 0
	v_cmp_le_u32_e32 vcc_lo, s35, v3
	v_sub_co_u32 v4, s4, v3, s35
	s_subb_u32 s14, s5, 0
	s_cmp_lg_u32 s4, 0
	v_cndmask_b32_e64 v5, 0, -1, vcc_lo
	s_subb_u32 s4, s14, 0
	s_cmp_eq_u32 s14, 0
	v_mov_b32_e32 v7, s4
	s_cselect_b32 vcc_lo, -1, 0
	s_cmp_eq_u32 s5, 0
	v_cndmask_b32_e32 v5, -1, v5, vcc_lo
	v_cmp_le_u32_e32 vcc_lo, s35, v2
	s_cselect_b32 s4, -1, 0
	v_cndmask_b32_e64 v6, 0, -1, vcc_lo
	s_delay_alu instid0(VALU_DEP_3) | instskip(NEXT) | instid1(VALU_DEP_2)
	v_cmp_ne_u32_e32 vcc_lo, 0, v5
	v_cndmask_b32_e64 v5, -1, v6, s4
	v_cndmask_b32_e32 v6, s14, v7, vcc_lo
	v_cndmask_b32_e32 v4, v3, v4, vcc_lo
	s_delay_alu instid0(VALU_DEP_3) | instskip(NEXT) | instid1(VALU_DEP_3)
	v_cmp_ne_u32_e32 vcc_lo, 0, v5
	v_cndmask_b32_e32 v3, s5, v6, vcc_lo
	s_delay_alu instid0(VALU_DEP_3)
	v_cndmask_b32_e32 v2, v2, v4, vcc_lo
	s_cbranch_execnz .LBB142_125
.LBB142_124:                            ;   in Loop: Header=BB142_33 Depth=1
	v_cvt_f32_u32_e32 v2, s35
	s_sub_i32 s4, 0, s35
	s_delay_alu instid0(VALU_DEP_1) | instskip(SKIP_2) | instid1(VALU_DEP_1)
	v_rcp_iflag_f32_e32 v2, v2
	s_waitcnt_depctr 0xfff
	v_mul_f32_e32 v2, 0x4f7ffffe, v2
	v_cvt_u32_f32_e32 v2, v2
	s_delay_alu instid0(VALU_DEP_1) | instskip(NEXT) | instid1(VALU_DEP_1)
	v_mul_lo_u32 v3, s4, v2
	v_mul_hi_u32 v3, v2, v3
	s_delay_alu instid0(VALU_DEP_1) | instskip(NEXT) | instid1(VALU_DEP_1)
	v_add_nc_u32_e32 v2, v2, v3
	v_mul_hi_u32 v2, s85, v2
	s_delay_alu instid0(VALU_DEP_1) | instskip(NEXT) | instid1(VALU_DEP_1)
	v_mul_lo_u32 v2, v2, s35
	v_sub_nc_u32_e32 v2, s85, v2
	s_delay_alu instid0(VALU_DEP_1) | instskip(SKIP_1) | instid1(VALU_DEP_2)
	v_subrev_nc_u32_e32 v3, s35, v2
	v_cmp_le_u32_e32 vcc_lo, s35, v2
	v_cndmask_b32_e32 v2, v2, v3, vcc_lo
	s_delay_alu instid0(VALU_DEP_1) | instskip(SKIP_1) | instid1(VALU_DEP_2)
	v_subrev_nc_u32_e32 v3, s35, v2
	v_cmp_le_u32_e32 vcc_lo, s35, v2
	v_cndmask_b32_e32 v12, v2, v3, vcc_lo
	s_delay_alu instid0(VALU_DEP_1)
	v_dual_mov_b32 v2, v12 :: v_dual_mov_b32 v3, v13
.LBB142_125:                            ;   in Loop: Header=BB142_33 Depth=1
	s_delay_alu instid0(VALU_DEP_1) | instskip(NEXT) | instid1(VALU_DEP_2)
	v_sub_co_u32 v2, vcc_lo, s85, v2
	v_sub_co_ci_u32_e32 v3, vcc_lo, s69, v3, vcc_lo
	s_mov_b32 s4, 0
	s_mov_b32 s5, exec_lo
                                        ; implicit-def: $vgpr28
	s_delay_alu instid0(VALU_DEP_1)
	v_cmpx_gt_u64_e64 v[2:3], v[0:1]
	s_cbranch_execz .LBB142_134
; %bb.126:                              ;   in Loop: Header=BB142_33 Depth=1
	v_dual_mov_b32 v5, v1 :: v_dual_mov_b32 v4, v0
	s_mov_b32 s14, 0
                                        ; implicit-def: $sgpr15
	s_branch .LBB142_128
.LBB142_127:                            ;   in Loop: Header=BB142_128 Depth=2
	s_or_b32 exec_lo, exec_lo, s4
	s_waitcnt vmcnt(0) lgkmcnt(0)
	s_barrier
	buffer_gl0_inv
	ds_load_b32 v6, v13 offset:3072
	v_add_co_u32 v4, vcc_lo, v4, s35
	v_add_co_ci_u32_e32 v5, vcc_lo, 0, v5, vcc_lo
	s_waitcnt lgkmcnt(0)
	s_barrier
	buffer_gl0_inv
	v_cmp_ge_u64_e32 vcc_lo, v[4:5], v[2:3]
	v_and_b32_e32 v7, 0x7fff, v6
	s_delay_alu instid0(VALU_DEP_1) | instskip(NEXT) | instid1(VALU_DEP_1)
	v_cmp_ne_u16_e64 s4, 0, v7
	s_or_b32 s21, vcc_lo, s4
	s_delay_alu instid0(SALU_CYCLE_1) | instskip(NEXT) | instid1(SALU_CYCLE_1)
	s_and_b32 s21, exec_lo, s21
	s_or_b32 s14, s21, s14
	s_and_not1_b32 s15, s15, exec_lo
	s_and_b32 s4, s4, exec_lo
	s_delay_alu instid0(SALU_CYCLE_1)
	s_or_b32 s15, s15, s4
	s_and_not1_b32 exec_lo, exec_lo, s14
	s_cbranch_execz .LBB142_133
.LBB142_128:                            ;   Parent Loop BB142_33 Depth=1
                                        ; =>  This Inner Loop Header: Depth=2
	s_delay_alu instid0(VALU_DEP_1)
	v_cmp_gt_u64_e32 vcc_lo, s[24:25], v[4:5]
	v_mov_b32_e32 v6, 0
	s_and_saveexec_b32 s21, vcc_lo
	s_cbranch_execz .LBB142_130
; %bb.129:                              ;   in Loop: Header=BB142_128 Depth=2
	v_mul_lo_u32 v8, v5, s50
	v_mul_lo_u32 v9, v4, s51
	v_mad_u64_u32 v[6:7], null, v4, s50, 0
	s_delay_alu instid0(VALU_DEP_1) | instskip(NEXT) | instid1(VALU_DEP_1)
	v_add3_u32 v7, v7, v9, v8
	v_lshlrev_b64 v[6:7], 1, v[6:7]
	s_delay_alu instid0(VALU_DEP_1) | instskip(NEXT) | instid1(VALU_DEP_1)
	v_add_co_u32 v6, s4, s27, v6
	v_add_co_ci_u32_e64 v7, s4, s33, v7, s4
	global_load_u16 v6, v[6:7], off
.LBB142_130:                            ;   in Loop: Header=BB142_128 Depth=2
	s_or_b32 exec_lo, exec_lo, s21
	s_and_saveexec_b32 s4, vcc_lo
	s_cbranch_execz .LBB142_127
; %bb.131:                              ;   in Loop: Header=BB142_128 Depth=2
	s_waitcnt vmcnt(0)
	v_cmp_lt_i16_e32 vcc_lo, -1, v6
	v_and_b32_e32 v7, 0xffff, v6
	v_dual_cndmask_b32 v8, 0xffff, v27 :: v_dual_lshlrev_b32 v9, 16, v6
	s_delay_alu instid0(VALU_DEP_1) | instskip(NEXT) | instid1(VALU_DEP_2)
	v_cmp_o_f32_e32 vcc_lo, v9, v9
	v_xor_b32_e32 v7, v8, v7
	s_delay_alu instid0(VALU_DEP_1) | instskip(NEXT) | instid1(VALU_DEP_1)
	v_cndmask_b32_e32 v7, 0xffff, v7, vcc_lo
	v_and_b32_e32 v7, s103, v7
	s_delay_alu instid0(VALU_DEP_1)
	v_cmp_eq_u32_e32 vcc_lo, s102, v7
	s_and_b32 exec_lo, exec_lo, vcc_lo
	s_cbranch_execz .LBB142_127
; %bb.132:                              ;   in Loop: Header=BB142_128 Depth=2
	v_perm_b32 v6, v6, s92, 0x5040100
	ds_store_b32 v13, v6 offset:3072
	s_branch .LBB142_127
.LBB142_133:                            ;   in Loop: Header=BB142_33 Depth=1
	s_or_b32 exec_lo, exec_lo, s14
	v_lshrrev_b32_e32 v28, 16, v6
	s_and_b32 s4, s15, exec_lo
.LBB142_134:                            ;   in Loop: Header=BB142_33 Depth=1
	s_or_b32 exec_lo, exec_lo, s5
	s_mov_b32 s15, -1
	s_mov_b32 s5, 0
	s_mov_b32 s14, 0
.LBB142_135:                            ;   in Loop: Header=BB142_33 Depth=1
	s_and_not1_b32 s21, s98, exec_lo
	s_and_b32 s5, s5, exec_lo
	s_and_b32 s15, s15, exec_lo
	s_or_b32 s98, s21, s5
	s_and_not1_b32 s5, s101, exec_lo
	s_and_not1_b32 s21, s99, exec_lo
	s_and_b32 s14, s14, exec_lo
	s_or_b32 s101, s5, s15
	s_or_b32 s99, s21, s14
	s_and_saveexec_b32 s14, s4
	s_cbranch_execz .LBB142_32
; %bb.136:                              ;   in Loop: Header=BB142_33 Depth=1
	s_xor_b32 s4, s20, -1
	s_mov_b32 s66, 1
	s_and_not1_b32 vcc_lo, exec_lo, s4
	s_cbranch_vccnz .LBB142_147
; %bb.137:                              ;   in Loop: Header=BB142_33 Depth=1
	v_cmp_gt_u64_e64 s4, s[64:65], s[12:13]
                                        ; implicit-def: $sgpr66
                                        ; implicit-def: $sgpr5
                                        ; implicit-def: $sgpr15
	s_delay_alu instid0(VALU_DEP_1)
	s_and_b32 vcc_lo, exec_lo, s4
	s_mov_b32 s4, -1
	s_cbranch_vccnz .LBB142_143
; %bb.138:                              ;   in Loop: Header=BB142_33 Depth=1
	ds_load_b64 v[2:3], v13 offset:5120
	s_waitcnt lgkmcnt(0)
	v_cmp_ne_u64_e32 vcc_lo, 0, v[2:3]
	s_cbranch_vccnz .LBB142_142
; %bb.139:                              ;   in Loop: Header=BB142_33 Depth=1
	s_and_saveexec_b32 s4, s3
	s_cbranch_execz .LBB142_141
; %bb.140:                              ;   in Loop: Header=BB142_33 Depth=1
	v_dual_mov_b32 v2, s12 :: v_dual_mov_b32 v3, s13
	ds_store_b64 v13, v[2:3] offset:5128
.LBB142_141:                            ;   in Loop: Header=BB142_33 Depth=1
	s_or_b32 exec_lo, exec_lo, s4
	s_waitcnt lgkmcnt(0)
	s_barrier
	buffer_gl0_inv
.LBB142_142:                            ;   in Loop: Header=BB142_33 Depth=1
	s_and_b32 s5, s102, s18
	s_or_b32 s15, s103, s16
	s_mov_b32 s4, 0
	s_mov_b32 s66, 8
.LBB142_143:                            ;   in Loop: Header=BB142_33 Depth=1
	s_and_not1_b32 vcc_lo, exec_lo, s4
	s_cbranch_vccnz .LBB142_145
; %bb.144:                              ;   in Loop: Header=BB142_33 Depth=1
	s_sub_u32 s64, s64, s12
	s_subb_u32 s65, s65, s13
	s_mov_b32 s4, -1
	s_mov_b32 s66, 0
	s_mov_b32 s5, s102
	;; [unrolled: 1-line block ×3, first 2 shown]
.LBB142_145:                            ;   in Loop: Header=BB142_33 Depth=1
	s_delay_alu instid0(SALU_CYCLE_1)
	s_mov_b32 s103, s15
	s_mov_b32 s102, s5
	s_and_b32 vcc_lo, exec_lo, s4
	s_mov_b32 s15, -1
	s_cbranch_vccnz .LBB142_148
.LBB142_146:                            ;   in Loop: Header=BB142_33 Depth=1
	s_mov_b32 s5, -1
                                        ; implicit-def: $sgpr12
                                        ; implicit-def: $sgpr19
                                        ; implicit-def: $sgpr13
	s_delay_alu instid0(SALU_CYCLE_1) | instskip(NEXT) | instid1(SALU_CYCLE_1)
	s_and_saveexec_b32 s4, s5
	s_xor_b32 s4, exec_lo, s4
	s_cbranch_execz .LBB142_31
	s_branch .LBB142_294
.LBB142_147:                            ;   in Loop: Header=BB142_33 Depth=1
	s_mov_b64 s[64:65], 1
	s_mov_b32 s15, -1
	s_branch .LBB142_146
.LBB142_148:                            ;   in Loop: Header=BB142_33 Depth=1
	s_cmp_eq_u64 s[10:11], 1
	s_cselect_b32 s4, -1, 0
	s_cmp_eq_u64 s[64:65], 1
	s_cselect_b32 s5, -1, 0
	s_delay_alu instid0(SALU_CYCLE_1)
	s_and_b32 s21, s4, s5
	s_mov_b32 s4, -1
	s_and_b32 vcc_lo, exec_lo, s21
	s_cbranch_vccz .LBB142_163
; %bb.149:                              ;   in Loop: Header=BB142_33 Depth=1
	ds_load_b64 v[2:3], v13 offset:5120
	s_waitcnt lgkmcnt(0)
	s_barrier
	buffer_gl0_inv
	v_readfirstlane_b32 s12, v2
	v_readfirstlane_b32 s13, v3
	s_and_saveexec_b32 s4, s0
	s_cbranch_execz .LBB142_151
; %bb.150:                              ;   in Loop: Header=BB142_33 Depth=1
	ds_store_b16 v22, v13
.LBB142_151:                            ;   in Loop: Header=BB142_33 Depth=1
	s_or_b32 exec_lo, exec_lo, s4
	s_lshl_b32 s4, 1, s17
	s_and_b32 s5, s102, s18
	s_or_b32 s103, s103, s16
	s_or_b32 s102, s5, s4
	s_cmp_eq_u64 s[12:13], 0
	s_waitcnt lgkmcnt(0)
	s_barrier
	buffer_gl0_inv
	s_cbranch_scc1 .LBB142_166
; %bb.152:                              ;   in Loop: Header=BB142_33 Depth=1
	s_add_u32 s19, s83, s12
	s_addc_u32 s5, s84, s13
	s_mov_b32 s4, s67
	s_delay_alu instid0(SALU_CYCLE_1)
	s_cmp_lg_u64 s[4:5], 0
	s_cbranch_scc0 .LBB142_211
; %bb.153:                              ;   in Loop: Header=BB142_33 Depth=1
	v_cvt_f32_u32_e32 v2, s35
	s_sub_u32 s22, 0, s35
	s_subb_u32 s23, 0, 0
	s_delay_alu instid0(VALU_DEP_1) | instskip(NEXT) | instid1(VALU_DEP_1)
	v_fmac_f32_e64 v2, 0, 0x4f800000
	v_rcp_f32_e32 v2, v2
	s_waitcnt_depctr 0xfff
	v_mul_f32_e32 v2, 0x5f7ffffc, v2
	s_delay_alu instid0(VALU_DEP_1) | instskip(NEXT) | instid1(VALU_DEP_1)
	v_mul_f32_e32 v3, 0x2f800000, v2
	v_trunc_f32_e32 v3, v3
	s_delay_alu instid0(VALU_DEP_1) | instskip(SKIP_1) | instid1(VALU_DEP_2)
	v_fmac_f32_e32 v2, 0xcf800000, v3
	v_cvt_u32_f32_e32 v3, v3
	v_cvt_u32_f32_e32 v2, v2
	s_delay_alu instid0(VALU_DEP_2) | instskip(NEXT) | instid1(VALU_DEP_2)
	v_readfirstlane_b32 s4, v3
	v_readfirstlane_b32 s20, v2
	s_delay_alu instid0(VALU_DEP_2) | instskip(NEXT) | instid1(VALU_DEP_1)
	s_mul_i32 s66, s22, s4
	s_mul_hi_u32 s72, s22, s20
	s_mul_i32 s68, s23, s20
	s_add_i32 s66, s72, s66
	s_mul_i32 s73, s22, s20
	s_add_i32 s66, s66, s68
	s_mul_hi_u32 s72, s20, s73
	s_mul_hi_u32 s74, s4, s73
	s_mul_i32 s68, s4, s73
	s_mul_hi_u32 s73, s20, s66
	s_mul_i32 s20, s20, s66
	s_mul_hi_u32 s75, s4, s66
	s_add_u32 s20, s72, s20
	s_addc_u32 s72, 0, s73
	s_add_u32 s20, s20, s68
	s_mul_i32 s66, s4, s66
	s_addc_u32 s20, s72, s74
	s_addc_u32 s68, s75, 0
	s_add_u32 s20, s20, s66
	s_addc_u32 s66, 0, s68
	v_add_co_u32 v2, s20, v2, s20
	s_delay_alu instid0(VALU_DEP_1) | instskip(SKIP_1) | instid1(VALU_DEP_1)
	s_cmp_lg_u32 s20, 0
	s_addc_u32 s4, s4, s66
	v_readfirstlane_b32 s20, v2
	s_mul_i32 s66, s22, s4
	s_delay_alu instid0(VALU_DEP_1)
	s_mul_hi_u32 s68, s22, s20
	s_mul_i32 s23, s23, s20
	s_add_i32 s66, s68, s66
	s_mul_i32 s22, s22, s20
	s_add_i32 s66, s66, s23
	s_mul_hi_u32 s68, s4, s22
	s_mul_i32 s72, s4, s22
	s_mul_hi_u32 s22, s20, s22
	s_mul_hi_u32 s73, s20, s66
	s_mul_i32 s20, s20, s66
	s_mul_hi_u32 s23, s4, s66
	s_add_u32 s20, s22, s20
	s_addc_u32 s22, 0, s73
	s_add_u32 s20, s20, s72
	s_mul_i32 s66, s4, s66
	s_addc_u32 s20, s22, s68
	s_addc_u32 s22, s23, 0
	s_add_u32 s20, s20, s66
	s_addc_u32 s22, 0, s22
	v_add_co_u32 v2, s20, v2, s20
	s_delay_alu instid0(VALU_DEP_1) | instskip(SKIP_1) | instid1(VALU_DEP_1)
	s_cmp_lg_u32 s20, 0
	s_addc_u32 s4, s4, s22
	v_readfirstlane_b32 s20, v2
	s_mul_i32 s23, s19, s4
	s_mul_hi_u32 s22, s19, s4
	s_mul_hi_u32 s66, s5, s4
	s_mul_i32 s4, s5, s4
	s_mul_hi_u32 s68, s19, s20
	s_mul_hi_u32 s72, s5, s20
	s_mul_i32 s20, s5, s20
	s_add_u32 s23, s68, s23
	s_addc_u32 s22, 0, s22
	s_add_u32 s20, s23, s20
	s_addc_u32 s20, s22, s72
	s_addc_u32 s22, s66, 0
	s_add_u32 s4, s20, s4
	s_addc_u32 s20, 0, s22
	s_mul_hi_u32 s22, s35, s4
	s_mul_i32 s4, s35, s4
	s_mul_i32 s20, s35, s20
	v_sub_co_u32 v2, s4, s19, s4
	s_add_i32 s22, s22, s20
	s_cmp_lg_u32 s4, 0
	s_delay_alu instid0(VALU_DEP_1) | instskip(SKIP_2) | instid1(VALU_DEP_1)
	v_sub_co_u32 v3, s4, v2, s35
	s_subb_u32 s20, s5, s22
	s_cmp_lg_u32 s4, 0
	v_cmp_le_u32_e32 vcc_lo, s35, v3
	v_sub_co_u32 v4, s4, v3, s35
	s_subb_u32 s22, s20, 0
	s_cmp_lg_u32 s4, 0
	v_cndmask_b32_e64 v5, 0, -1, vcc_lo
	s_subb_u32 s4, s22, 0
	s_cmp_eq_u32 s22, 0
	v_mov_b32_e32 v7, s4
	s_cselect_b32 vcc_lo, -1, 0
	s_cmp_eq_u32 s20, 0
	v_cndmask_b32_e32 v5, -1, v5, vcc_lo
	v_cmp_le_u32_e32 vcc_lo, s35, v2
	s_cselect_b32 s4, -1, 0
	v_cndmask_b32_e64 v6, 0, -1, vcc_lo
	s_delay_alu instid0(VALU_DEP_3) | instskip(NEXT) | instid1(VALU_DEP_2)
	v_cmp_ne_u32_e32 vcc_lo, 0, v5
	v_cndmask_b32_e64 v5, -1, v6, s4
	v_cndmask_b32_e32 v6, s22, v7, vcc_lo
	v_cndmask_b32_e32 v4, v3, v4, vcc_lo
	s_delay_alu instid0(VALU_DEP_3) | instskip(NEXT) | instid1(VALU_DEP_3)
	v_cmp_ne_u32_e32 vcc_lo, 0, v5
	v_cndmask_b32_e32 v3, s20, v6, vcc_lo
	s_delay_alu instid0(VALU_DEP_3)
	v_cndmask_b32_e32 v2, v2, v4, vcc_lo
	s_cbranch_execnz .LBB142_155
.LBB142_154:                            ;   in Loop: Header=BB142_33 Depth=1
	v_cvt_f32_u32_e32 v2, s35
	s_sub_i32 s4, 0, s35
	s_delay_alu instid0(VALU_DEP_1) | instskip(SKIP_2) | instid1(VALU_DEP_1)
	v_rcp_iflag_f32_e32 v2, v2
	s_waitcnt_depctr 0xfff
	v_mul_f32_e32 v2, 0x4f7ffffe, v2
	v_cvt_u32_f32_e32 v2, v2
	s_delay_alu instid0(VALU_DEP_1) | instskip(NEXT) | instid1(VALU_DEP_1)
	v_mul_lo_u32 v3, s4, v2
	v_mul_hi_u32 v3, v2, v3
	s_delay_alu instid0(VALU_DEP_1) | instskip(NEXT) | instid1(VALU_DEP_1)
	v_add_nc_u32_e32 v2, v2, v3
	v_mul_hi_u32 v2, s19, v2
	s_delay_alu instid0(VALU_DEP_1) | instskip(NEXT) | instid1(VALU_DEP_1)
	v_mul_lo_u32 v2, v2, s35
	v_sub_nc_u32_e32 v2, s19, v2
	s_delay_alu instid0(VALU_DEP_1) | instskip(SKIP_1) | instid1(VALU_DEP_2)
	v_subrev_nc_u32_e32 v3, s35, v2
	v_cmp_le_u32_e32 vcc_lo, s35, v2
	v_cndmask_b32_e32 v2, v2, v3, vcc_lo
	s_delay_alu instid0(VALU_DEP_1) | instskip(SKIP_1) | instid1(VALU_DEP_2)
	v_subrev_nc_u32_e32 v3, s35, v2
	v_cmp_le_u32_e32 vcc_lo, s35, v2
	v_cndmask_b32_e32 v12, v2, v3, vcc_lo
	s_delay_alu instid0(VALU_DEP_1)
	v_dual_mov_b32 v2, v12 :: v_dual_mov_b32 v3, v13
.LBB142_155:                            ;   in Loop: Header=BB142_33 Depth=1
	s_delay_alu instid0(VALU_DEP_1) | instskip(NEXT) | instid1(VALU_DEP_2)
	v_sub_co_u32 v2, vcc_lo, s19, v2
	v_sub_co_ci_u32_e32 v3, vcc_lo, s5, v3, vcc_lo
	s_mov_b32 s4, 0
	s_mov_b32 s5, exec_lo
                                        ; implicit-def: $vgpr28
	s_delay_alu instid0(VALU_DEP_1)
	v_cmpx_gt_u64_e64 v[2:3], v[0:1]
	s_cbranch_execz .LBB142_168
; %bb.156:                              ;   in Loop: Header=BB142_33 Depth=1
	v_mov_b32_e32 v6, v21
	v_dual_mov_b32 v5, v1 :: v_dual_mov_b32 v4, v0
	s_mov_b32 s19, 0
                                        ; implicit-def: $sgpr20
	s_branch .LBB142_158
.LBB142_157:                            ;   in Loop: Header=BB142_158 Depth=2
	s_or_b32 exec_lo, exec_lo, s4
	s_waitcnt lgkmcnt(0)
	s_barrier
	buffer_gl0_inv
	ds_load_b32 v7, v13 offset:3072
	v_add_co_u32 v4, vcc_lo, v4, s35
	v_add_co_ci_u32_e32 v5, vcc_lo, 0, v5, vcc_lo
	v_add_nc_u32_e32 v6, s91, v6
	s_waitcnt lgkmcnt(0)
	s_barrier
	s_delay_alu instid0(VALU_DEP_2) | instskip(SKIP_2) | instid1(VALU_DEP_1)
	v_cmp_ge_u64_e32 vcc_lo, v[4:5], v[2:3]
	buffer_gl0_inv
	v_and_b32_e32 v8, 0x7fff, v7
	v_cmp_ne_u16_e64 s4, 0, v8
	s_delay_alu instid0(VALU_DEP_1) | instskip(NEXT) | instid1(SALU_CYCLE_1)
	s_or_b32 s22, vcc_lo, s4
	s_and_b32 s22, exec_lo, s22
	s_delay_alu instid0(SALU_CYCLE_1) | instskip(SKIP_2) | instid1(SALU_CYCLE_1)
	s_or_b32 s19, s22, s19
	s_and_not1_b32 s20, s20, exec_lo
	s_and_b32 s4, s4, exec_lo
	s_or_b32 s20, s20, s4
	s_and_not1_b32 exec_lo, exec_lo, s19
	s_cbranch_execz .LBB142_167
.LBB142_158:                            ;   Parent Loop BB142_33 Depth=1
                                        ; =>  This Inner Loop Header: Depth=2
	s_delay_alu instid0(VALU_DEP_1)
	v_cmp_gt_u64_e32 vcc_lo, s[12:13], v[4:5]
	v_mov_b32_e32 v7, 0
	s_and_saveexec_b32 s4, vcc_lo
	s_cbranch_execz .LBB142_160
; %bb.159:                              ;   in Loop: Header=BB142_158 Depth=2
	ds_load_u16 v7, v6
.LBB142_160:                            ;   in Loop: Header=BB142_158 Depth=2
	s_or_b32 exec_lo, exec_lo, s4
	s_and_saveexec_b32 s4, vcc_lo
	s_cbranch_execz .LBB142_157
; %bb.161:                              ;   in Loop: Header=BB142_158 Depth=2
	s_waitcnt lgkmcnt(0)
	v_cmp_lt_i16_e32 vcc_lo, -1, v7
	v_and_b32_e32 v8, 0xffff, v7
	v_lshlrev_b32_e32 v12, 16, v7
	v_cndmask_b32_e32 v9, 0xffff, v27, vcc_lo
	s_delay_alu instid0(VALU_DEP_2) | instskip(NEXT) | instid1(VALU_DEP_2)
	v_cmp_o_f32_e32 vcc_lo, v12, v12
	v_xor_b32_e32 v8, v9, v8
	s_delay_alu instid0(VALU_DEP_1) | instskip(NEXT) | instid1(VALU_DEP_1)
	v_cndmask_b32_e32 v8, 0xffff, v8, vcc_lo
	v_and_b32_e32 v8, s103, v8
	s_delay_alu instid0(VALU_DEP_1)
	v_cmp_eq_u32_e32 vcc_lo, s102, v8
	s_and_b32 exec_lo, exec_lo, vcc_lo
	s_cbranch_execz .LBB142_157
; %bb.162:                              ;   in Loop: Header=BB142_158 Depth=2
	v_perm_b32 v7, v7, s92, 0x5040100
	ds_store_b32 v13, v7 offset:3072
	s_branch .LBB142_157
.LBB142_163:                            ;   in Loop: Header=BB142_33 Depth=1
                                        ; implicit-def: $sgpr13
                                        ; implicit-def: $sgpr19
                                        ; implicit-def: $sgpr12
	s_branch .LBB142_182
.LBB142_164:                            ;   in Loop: Header=BB142_33 Depth=1
                                        ; implicit-def: $vgpr2_vgpr3
	s_branch .LBB142_109
.LBB142_165:                            ;   in Loop: Header=BB142_33 Depth=1
                                        ; implicit-def: $vgpr2_vgpr3
	s_branch .LBB142_124
.LBB142_166:                            ;   in Loop: Header=BB142_33 Depth=1
	s_mov_b32 s13, -1
	s_mov_b32 s4, 0
                                        ; implicit-def: $sgpr12
                                        ; implicit-def: $vgpr28
	s_mov_b32 s19, s13
	s_cbranch_execnz .LBB142_169
	s_branch .LBB142_182
.LBB142_167:                            ;   in Loop: Header=BB142_33 Depth=1
	s_or_b32 exec_lo, exec_lo, s19
	v_lshrrev_b32_e32 v28, 16, v7
	s_and_b32 s4, s20, exec_lo
.LBB142_168:                            ;   in Loop: Header=BB142_33 Depth=1
	s_or_b32 exec_lo, exec_lo, s5
	s_mov_b32 s12, -1
	s_mov_b32 s13, 0
	s_delay_alu instid0(SALU_CYCLE_1)
	s_mov_b32 s19, s13
	s_branch .LBB142_182
.LBB142_169:                            ;   in Loop: Header=BB142_33 Depth=1
	s_mov_b32 s68, s67
	s_delay_alu instid0(SALU_CYCLE_1)
	s_cmp_lg_u64 s[68:69], 0
	s_cbranch_scc0 .LBB142_212
; %bb.170:                              ;   in Loop: Header=BB142_33 Depth=1
	v_cvt_f32_u32_e32 v2, s35
	s_sub_u32 s12, 0, s35
	s_subb_u32 s13, 0, 0
	s_delay_alu instid0(VALU_DEP_1) | instskip(NEXT) | instid1(VALU_DEP_1)
	v_fmac_f32_e64 v2, 0, 0x4f800000
	v_rcp_f32_e32 v2, v2
	s_waitcnt_depctr 0xfff
	v_mul_f32_e32 v2, 0x5f7ffffc, v2
	s_delay_alu instid0(VALU_DEP_1) | instskip(NEXT) | instid1(VALU_DEP_1)
	v_mul_f32_e32 v3, 0x2f800000, v2
	v_trunc_f32_e32 v3, v3
	s_delay_alu instid0(VALU_DEP_1) | instskip(SKIP_1) | instid1(VALU_DEP_2)
	v_fmac_f32_e32 v2, 0xcf800000, v3
	v_cvt_u32_f32_e32 v3, v3
	v_cvt_u32_f32_e32 v2, v2
	s_delay_alu instid0(VALU_DEP_2) | instskip(NEXT) | instid1(VALU_DEP_2)
	v_readfirstlane_b32 s4, v3
	v_readfirstlane_b32 s5, v2
	s_delay_alu instid0(VALU_DEP_2) | instskip(NEXT) | instid1(VALU_DEP_1)
	s_mul_i32 s19, s12, s4
	s_mul_hi_u32 s22, s12, s5
	s_mul_i32 s20, s13, s5
	s_add_i32 s19, s22, s19
	s_mul_i32 s23, s12, s5
	s_add_i32 s19, s19, s20
	s_mul_hi_u32 s22, s5, s23
	s_mul_hi_u32 s66, s4, s23
	s_mul_i32 s20, s4, s23
	s_mul_hi_u32 s23, s5, s19
	s_mul_i32 s5, s5, s19
	s_mul_hi_u32 s68, s4, s19
	s_add_u32 s5, s22, s5
	s_addc_u32 s22, 0, s23
	s_add_u32 s5, s5, s20
	s_mul_i32 s19, s4, s19
	s_addc_u32 s5, s22, s66
	s_addc_u32 s20, s68, 0
	s_add_u32 s5, s5, s19
	s_addc_u32 s19, 0, s20
	v_add_co_u32 v2, s5, v2, s5
	s_delay_alu instid0(VALU_DEP_1) | instskip(SKIP_1) | instid1(VALU_DEP_1)
	s_cmp_lg_u32 s5, 0
	s_addc_u32 s4, s4, s19
	v_readfirstlane_b32 s5, v2
	s_mul_i32 s19, s12, s4
	s_delay_alu instid0(VALU_DEP_1)
	s_mul_hi_u32 s20, s12, s5
	s_mul_i32 s13, s13, s5
	s_add_i32 s19, s20, s19
	s_mul_i32 s12, s12, s5
	s_add_i32 s19, s19, s13
	s_mul_hi_u32 s20, s4, s12
	s_mul_i32 s22, s4, s12
	s_mul_hi_u32 s12, s5, s12
	s_mul_hi_u32 s23, s5, s19
	s_mul_i32 s5, s5, s19
	s_mul_hi_u32 s13, s4, s19
	s_add_u32 s5, s12, s5
	s_addc_u32 s12, 0, s23
	s_add_u32 s5, s5, s22
	s_mul_i32 s19, s4, s19
	s_addc_u32 s5, s12, s20
	s_addc_u32 s12, s13, 0
	s_add_u32 s5, s5, s19
	s_addc_u32 s12, 0, s12
	v_add_co_u32 v2, s5, v2, s5
	s_delay_alu instid0(VALU_DEP_1) | instskip(SKIP_1) | instid1(VALU_DEP_1)
	s_cmp_lg_u32 s5, 0
	s_addc_u32 s4, s4, s12
	v_readfirstlane_b32 s5, v2
	s_mul_i32 s13, s85, s4
	s_mul_hi_u32 s12, s85, s4
	s_mul_hi_u32 s19, s69, s4
	s_mul_i32 s4, s69, s4
	s_mul_hi_u32 s20, s85, s5
	s_mul_hi_u32 s22, s69, s5
	s_mul_i32 s5, s69, s5
	s_add_u32 s13, s20, s13
	s_addc_u32 s12, 0, s12
	s_add_u32 s5, s13, s5
	s_addc_u32 s5, s12, s22
	s_addc_u32 s12, s19, 0
	s_add_u32 s4, s5, s4
	s_addc_u32 s5, 0, s12
	s_mul_hi_u32 s12, s35, s4
	s_mul_i32 s4, s35, s4
	s_mul_i32 s5, s35, s5
	v_sub_co_u32 v2, s4, s85, s4
	s_add_i32 s12, s12, s5
	s_cmp_lg_u32 s4, 0
	s_delay_alu instid0(VALU_DEP_1) | instskip(SKIP_2) | instid1(VALU_DEP_1)
	v_sub_co_u32 v3, s4, v2, s35
	s_subb_u32 s5, s69, s12
	s_cmp_lg_u32 s4, 0
	v_cmp_le_u32_e32 vcc_lo, s35, v3
	v_sub_co_u32 v4, s4, v3, s35
	s_subb_u32 s12, s5, 0
	s_cmp_lg_u32 s4, 0
	v_cndmask_b32_e64 v5, 0, -1, vcc_lo
	s_subb_u32 s4, s12, 0
	s_cmp_eq_u32 s12, 0
	v_mov_b32_e32 v7, s4
	s_cselect_b32 vcc_lo, -1, 0
	s_cmp_eq_u32 s5, 0
	v_cndmask_b32_e32 v5, -1, v5, vcc_lo
	v_cmp_le_u32_e32 vcc_lo, s35, v2
	s_cselect_b32 s4, -1, 0
	v_cndmask_b32_e64 v6, 0, -1, vcc_lo
	s_delay_alu instid0(VALU_DEP_3) | instskip(NEXT) | instid1(VALU_DEP_2)
	v_cmp_ne_u32_e32 vcc_lo, 0, v5
	v_cndmask_b32_e64 v5, -1, v6, s4
	v_cndmask_b32_e32 v6, s12, v7, vcc_lo
	v_cndmask_b32_e32 v4, v3, v4, vcc_lo
	s_delay_alu instid0(VALU_DEP_3) | instskip(NEXT) | instid1(VALU_DEP_3)
	v_cmp_ne_u32_e32 vcc_lo, 0, v5
	v_cndmask_b32_e32 v3, s5, v6, vcc_lo
	s_delay_alu instid0(VALU_DEP_3)
	v_cndmask_b32_e32 v2, v2, v4, vcc_lo
	s_cbranch_execnz .LBB142_172
.LBB142_171:                            ;   in Loop: Header=BB142_33 Depth=1
	v_cvt_f32_u32_e32 v2, s35
	s_sub_i32 s4, 0, s35
	s_delay_alu instid0(VALU_DEP_1) | instskip(SKIP_2) | instid1(VALU_DEP_1)
	v_rcp_iflag_f32_e32 v2, v2
	s_waitcnt_depctr 0xfff
	v_mul_f32_e32 v2, 0x4f7ffffe, v2
	v_cvt_u32_f32_e32 v2, v2
	s_delay_alu instid0(VALU_DEP_1) | instskip(NEXT) | instid1(VALU_DEP_1)
	v_mul_lo_u32 v3, s4, v2
	v_mul_hi_u32 v3, v2, v3
	s_delay_alu instid0(VALU_DEP_1) | instskip(NEXT) | instid1(VALU_DEP_1)
	v_add_nc_u32_e32 v2, v2, v3
	v_mul_hi_u32 v2, s85, v2
	s_delay_alu instid0(VALU_DEP_1) | instskip(NEXT) | instid1(VALU_DEP_1)
	v_mul_lo_u32 v2, v2, s35
	v_sub_nc_u32_e32 v2, s85, v2
	s_delay_alu instid0(VALU_DEP_1) | instskip(SKIP_1) | instid1(VALU_DEP_2)
	v_subrev_nc_u32_e32 v3, s35, v2
	v_cmp_le_u32_e32 vcc_lo, s35, v2
	v_cndmask_b32_e32 v2, v2, v3, vcc_lo
	s_delay_alu instid0(VALU_DEP_1) | instskip(SKIP_1) | instid1(VALU_DEP_2)
	v_subrev_nc_u32_e32 v3, s35, v2
	v_cmp_le_u32_e32 vcc_lo, s35, v2
	v_cndmask_b32_e32 v12, v2, v3, vcc_lo
	s_delay_alu instid0(VALU_DEP_1)
	v_dual_mov_b32 v2, v12 :: v_dual_mov_b32 v3, v13
.LBB142_172:                            ;   in Loop: Header=BB142_33 Depth=1
	s_delay_alu instid0(VALU_DEP_1) | instskip(NEXT) | instid1(VALU_DEP_2)
	v_sub_co_u32 v2, vcc_lo, s85, v2
	v_sub_co_ci_u32_e32 v3, vcc_lo, s69, v3, vcc_lo
	s_mov_b32 s4, 0
	s_mov_b32 s5, exec_lo
                                        ; implicit-def: $vgpr28
	s_delay_alu instid0(VALU_DEP_1)
	v_cmpx_gt_u64_e64 v[2:3], v[0:1]
	s_cbranch_execz .LBB142_181
; %bb.173:                              ;   in Loop: Header=BB142_33 Depth=1
	v_dual_mov_b32 v5, v1 :: v_dual_mov_b32 v4, v0
	s_mov_b32 s12, 0
                                        ; implicit-def: $sgpr13
	s_branch .LBB142_175
.LBB142_174:                            ;   in Loop: Header=BB142_175 Depth=2
	s_or_b32 exec_lo, exec_lo, s4
	s_waitcnt vmcnt(0) lgkmcnt(0)
	s_barrier
	buffer_gl0_inv
	ds_load_b32 v6, v13 offset:3072
	v_add_co_u32 v4, vcc_lo, v4, s35
	v_add_co_ci_u32_e32 v5, vcc_lo, 0, v5, vcc_lo
	s_waitcnt lgkmcnt(0)
	s_barrier
	buffer_gl0_inv
	v_cmp_ge_u64_e32 vcc_lo, v[4:5], v[2:3]
	v_and_b32_e32 v7, 0x7fff, v6
	s_delay_alu instid0(VALU_DEP_1) | instskip(NEXT) | instid1(VALU_DEP_1)
	v_cmp_ne_u16_e64 s4, 0, v7
	s_or_b32 s19, vcc_lo, s4
	s_delay_alu instid0(SALU_CYCLE_1) | instskip(NEXT) | instid1(SALU_CYCLE_1)
	s_and_b32 s19, exec_lo, s19
	s_or_b32 s12, s19, s12
	s_and_not1_b32 s13, s13, exec_lo
	s_and_b32 s4, s4, exec_lo
	s_delay_alu instid0(SALU_CYCLE_1)
	s_or_b32 s13, s13, s4
	s_and_not1_b32 exec_lo, exec_lo, s12
	s_cbranch_execz .LBB142_180
.LBB142_175:                            ;   Parent Loop BB142_33 Depth=1
                                        ; =>  This Inner Loop Header: Depth=2
	s_delay_alu instid0(VALU_DEP_1)
	v_cmp_gt_u64_e32 vcc_lo, s[24:25], v[4:5]
	v_mov_b32_e32 v6, 0
	s_and_saveexec_b32 s19, vcc_lo
	s_cbranch_execz .LBB142_177
; %bb.176:                              ;   in Loop: Header=BB142_175 Depth=2
	v_mul_lo_u32 v8, v5, s50
	v_mul_lo_u32 v9, v4, s51
	v_mad_u64_u32 v[6:7], null, v4, s50, 0
	s_delay_alu instid0(VALU_DEP_1) | instskip(NEXT) | instid1(VALU_DEP_1)
	v_add3_u32 v7, v7, v9, v8
	v_lshlrev_b64 v[6:7], 1, v[6:7]
	s_delay_alu instid0(VALU_DEP_1) | instskip(NEXT) | instid1(VALU_DEP_1)
	v_add_co_u32 v6, s4, s27, v6
	v_add_co_ci_u32_e64 v7, s4, s33, v7, s4
	global_load_u16 v6, v[6:7], off
.LBB142_177:                            ;   in Loop: Header=BB142_175 Depth=2
	s_or_b32 exec_lo, exec_lo, s19
	s_and_saveexec_b32 s4, vcc_lo
	s_cbranch_execz .LBB142_174
; %bb.178:                              ;   in Loop: Header=BB142_175 Depth=2
	s_waitcnt vmcnt(0)
	v_cmp_lt_i16_e32 vcc_lo, -1, v6
	v_and_b32_e32 v7, 0xffff, v6
	v_dual_cndmask_b32 v8, 0xffff, v27 :: v_dual_lshlrev_b32 v9, 16, v6
	s_delay_alu instid0(VALU_DEP_1) | instskip(NEXT) | instid1(VALU_DEP_2)
	v_cmp_o_f32_e32 vcc_lo, v9, v9
	v_xor_b32_e32 v7, v8, v7
	s_delay_alu instid0(VALU_DEP_1) | instskip(NEXT) | instid1(VALU_DEP_1)
	v_cndmask_b32_e32 v7, 0xffff, v7, vcc_lo
	v_and_b32_e32 v7, s103, v7
	s_delay_alu instid0(VALU_DEP_1)
	v_cmp_eq_u32_e32 vcc_lo, s102, v7
	s_and_b32 exec_lo, exec_lo, vcc_lo
	s_cbranch_execz .LBB142_174
; %bb.179:                              ;   in Loop: Header=BB142_175 Depth=2
	v_perm_b32 v6, v6, s92, 0x5040100
	ds_store_b32 v13, v6 offset:3072
	s_branch .LBB142_174
.LBB142_180:                            ;   in Loop: Header=BB142_33 Depth=1
	s_or_b32 exec_lo, exec_lo, s12
	v_lshrrev_b32_e32 v28, 16, v6
	s_and_b32 s4, s13, exec_lo
.LBB142_181:                            ;   in Loop: Header=BB142_33 Depth=1
	s_or_b32 exec_lo, exec_lo, s5
	s_mov_b32 s19, -1
	s_mov_b32 s13, 0
	s_mov_b32 s12, 0
.LBB142_182:                            ;   in Loop: Header=BB142_33 Depth=1
	s_mov_b32 s5, 0
                                        ; implicit-def: $sgpr66
	s_and_saveexec_b32 s20, s4
	s_cbranch_execz .LBB142_293
; %bb.183:                              ;   in Loop: Header=BB142_33 Depth=1
	s_xor_b32 s4, s21, -1
	s_mov_b32 s66, 1
	s_and_not1_b32 vcc_lo, exec_lo, s4
	s_cbranch_vccnz .LBB142_194
; %bb.184:                              ;   in Loop: Header=BB142_33 Depth=1
	v_cmp_gt_u64_e64 s4, s[64:65], s[10:11]
                                        ; implicit-def: $sgpr66
                                        ; implicit-def: $sgpr5
                                        ; implicit-def: $sgpr21
	s_delay_alu instid0(VALU_DEP_1)
	s_and_b32 vcc_lo, exec_lo, s4
	s_mov_b32 s4, -1
	s_cbranch_vccnz .LBB142_190
; %bb.185:                              ;   in Loop: Header=BB142_33 Depth=1
	ds_load_b64 v[2:3], v13 offset:5120
	s_waitcnt lgkmcnt(0)
	v_cmp_ne_u64_e32 vcc_lo, 0, v[2:3]
	s_cbranch_vccnz .LBB142_189
; %bb.186:                              ;   in Loop: Header=BB142_33 Depth=1
	s_and_saveexec_b32 s4, s3
	s_cbranch_execz .LBB142_188
; %bb.187:                              ;   in Loop: Header=BB142_33 Depth=1
	v_dual_mov_b32 v2, s10 :: v_dual_mov_b32 v3, s11
	ds_store_b64 v13, v[2:3] offset:5128
.LBB142_188:                            ;   in Loop: Header=BB142_33 Depth=1
	s_or_b32 exec_lo, exec_lo, s4
	s_waitcnt lgkmcnt(0)
	s_barrier
	buffer_gl0_inv
.LBB142_189:                            ;   in Loop: Header=BB142_33 Depth=1
	s_lshl_b32 s4, 1, s17
	s_and_b32 s5, s102, s18
	s_or_b32 s21, s103, s16
	s_or_b32 s5, s5, s4
	s_mov_b32 s4, 0
	s_mov_b32 s66, 8
.LBB142_190:                            ;   in Loop: Header=BB142_33 Depth=1
	s_and_not1_b32 vcc_lo, exec_lo, s4
	s_cbranch_vccnz .LBB142_192
; %bb.191:                              ;   in Loop: Header=BB142_33 Depth=1
	s_sub_u32 s64, s64, s10
	s_subb_u32 s65, s65, s11
	s_mov_b32 s4, -1
	s_mov_b32 s66, 0
	s_mov_b32 s5, s102
	;; [unrolled: 1-line block ×3, first 2 shown]
.LBB142_192:                            ;   in Loop: Header=BB142_33 Depth=1
	s_delay_alu instid0(SALU_CYCLE_1)
	s_mov_b32 s103, s21
	s_mov_b32 s102, s5
	s_and_not1_b32 vcc_lo, exec_lo, s4
	s_mov_b32 s5, -1
	s_cbranch_vccz .LBB142_195
.LBB142_193:                            ;   in Loop: Header=BB142_33 Depth=1
                                        ; implicit-def: $sgpr11
                                        ; implicit-def: $sgpr21
                                        ; implicit-def: $sgpr10
	s_branch .LBB142_292
.LBB142_194:                            ;   in Loop: Header=BB142_33 Depth=1
	s_mov_b64 s[64:65], 1
	s_mov_b32 s5, -1
	s_cbranch_execnz .LBB142_193
.LBB142_195:                            ;   in Loop: Header=BB142_33 Depth=1
	s_cmp_eq_u64 s[8:9], 1
	s_cselect_b32 s4, -1, 0
	s_cmp_eq_u64 s[64:65], 1
	s_cselect_b32 s5, -1, 0
	s_delay_alu instid0(SALU_CYCLE_1)
	s_and_b32 s23, s4, s5
	s_mov_b32 s4, -1
	s_and_b32 vcc_lo, exec_lo, s23
	s_cbranch_vccz .LBB142_210
; %bb.196:                              ;   in Loop: Header=BB142_33 Depth=1
	ds_load_b64 v[2:3], v13 offset:5120
	s_waitcnt lgkmcnt(0)
	s_barrier
	buffer_gl0_inv
	v_readfirstlane_b32 s10, v2
	v_readfirstlane_b32 s11, v3
	s_and_saveexec_b32 s4, s0
	s_cbranch_execz .LBB142_198
; %bb.197:                              ;   in Loop: Header=BB142_33 Depth=1
	ds_store_b16 v22, v13
.LBB142_198:                            ;   in Loop: Header=BB142_33 Depth=1
	s_or_b32 exec_lo, exec_lo, s4
	s_lshl_b32 s4, 2, s17
	s_and_b32 s5, s102, s18
	s_or_b32 s103, s103, s16
	s_or_b32 s102, s5, s4
	s_cmp_eq_u64 s[10:11], 0
	s_waitcnt lgkmcnt(0)
	s_barrier
	buffer_gl0_inv
	s_cbranch_scc1 .LBB142_213
; %bb.199:                              ;   in Loop: Header=BB142_33 Depth=1
	s_add_u32 s21, s83, s10
	s_addc_u32 s5, s84, s11
	s_mov_b32 s4, s67
	s_delay_alu instid0(SALU_CYCLE_1)
	s_cmp_lg_u64 s[4:5], 0
	s_cbranch_scc0 .LBB142_258
; %bb.200:                              ;   in Loop: Header=BB142_33 Depth=1
	v_cvt_f32_u32_e32 v2, s35
	s_sub_u32 s66, 0, s35
	s_subb_u32 s68, 0, 0
	s_delay_alu instid0(VALU_DEP_1) | instskip(NEXT) | instid1(VALU_DEP_1)
	v_fmac_f32_e64 v2, 0, 0x4f800000
	v_rcp_f32_e32 v2, v2
	s_waitcnt_depctr 0xfff
	v_mul_f32_e32 v2, 0x5f7ffffc, v2
	s_delay_alu instid0(VALU_DEP_1) | instskip(NEXT) | instid1(VALU_DEP_1)
	v_mul_f32_e32 v3, 0x2f800000, v2
	v_trunc_f32_e32 v3, v3
	s_delay_alu instid0(VALU_DEP_1) | instskip(SKIP_1) | instid1(VALU_DEP_2)
	v_fmac_f32_e32 v2, 0xcf800000, v3
	v_cvt_u32_f32_e32 v3, v3
	v_cvt_u32_f32_e32 v2, v2
	s_delay_alu instid0(VALU_DEP_2) | instskip(NEXT) | instid1(VALU_DEP_2)
	v_readfirstlane_b32 s4, v3
	v_readfirstlane_b32 s22, v2
	s_delay_alu instid0(VALU_DEP_2) | instskip(NEXT) | instid1(VALU_DEP_1)
	s_mul_i32 s72, s66, s4
	s_mul_hi_u32 s74, s66, s22
	s_mul_i32 s73, s68, s22
	s_add_i32 s72, s74, s72
	s_mul_i32 s75, s66, s22
	s_add_i32 s72, s72, s73
	s_mul_hi_u32 s74, s22, s75
	s_mul_hi_u32 s76, s4, s75
	s_mul_i32 s73, s4, s75
	s_mul_hi_u32 s75, s22, s72
	s_mul_i32 s22, s22, s72
	s_mul_hi_u32 s77, s4, s72
	s_add_u32 s22, s74, s22
	s_addc_u32 s74, 0, s75
	s_add_u32 s22, s22, s73
	s_mul_i32 s72, s4, s72
	s_addc_u32 s22, s74, s76
	s_addc_u32 s73, s77, 0
	s_add_u32 s22, s22, s72
	s_addc_u32 s72, 0, s73
	v_add_co_u32 v2, s22, v2, s22
	s_delay_alu instid0(VALU_DEP_1) | instskip(SKIP_1) | instid1(VALU_DEP_1)
	s_cmp_lg_u32 s22, 0
	s_addc_u32 s4, s4, s72
	v_readfirstlane_b32 s22, v2
	s_mul_i32 s72, s66, s4
	s_delay_alu instid0(VALU_DEP_1)
	s_mul_hi_u32 s73, s66, s22
	s_mul_i32 s68, s68, s22
	s_add_i32 s72, s73, s72
	s_mul_i32 s66, s66, s22
	s_add_i32 s72, s72, s68
	s_mul_hi_u32 s73, s4, s66
	s_mul_i32 s74, s4, s66
	s_mul_hi_u32 s66, s22, s66
	s_mul_hi_u32 s75, s22, s72
	s_mul_i32 s22, s22, s72
	s_mul_hi_u32 s68, s4, s72
	s_add_u32 s22, s66, s22
	s_addc_u32 s66, 0, s75
	s_add_u32 s22, s22, s74
	s_mul_i32 s72, s4, s72
	s_addc_u32 s22, s66, s73
	s_addc_u32 s66, s68, 0
	s_add_u32 s22, s22, s72
	s_addc_u32 s66, 0, s66
	v_add_co_u32 v2, s22, v2, s22
	s_delay_alu instid0(VALU_DEP_1) | instskip(SKIP_1) | instid1(VALU_DEP_1)
	s_cmp_lg_u32 s22, 0
	s_addc_u32 s4, s4, s66
	v_readfirstlane_b32 s22, v2
	s_mul_i32 s68, s21, s4
	s_mul_hi_u32 s66, s21, s4
	s_mul_hi_u32 s72, s5, s4
	s_mul_i32 s4, s5, s4
	s_mul_hi_u32 s73, s21, s22
	s_mul_hi_u32 s74, s5, s22
	s_mul_i32 s22, s5, s22
	s_add_u32 s68, s73, s68
	s_addc_u32 s66, 0, s66
	s_add_u32 s22, s68, s22
	s_addc_u32 s22, s66, s74
	s_addc_u32 s66, s72, 0
	s_add_u32 s4, s22, s4
	s_addc_u32 s22, 0, s66
	s_mul_hi_u32 s66, s35, s4
	s_mul_i32 s4, s35, s4
	s_mul_i32 s22, s35, s22
	v_sub_co_u32 v2, s4, s21, s4
	s_add_i32 s66, s66, s22
	s_cmp_lg_u32 s4, 0
	s_delay_alu instid0(VALU_DEP_1) | instskip(SKIP_2) | instid1(VALU_DEP_1)
	v_sub_co_u32 v3, s4, v2, s35
	s_subb_u32 s22, s5, s66
	s_cmp_lg_u32 s4, 0
	v_cmp_le_u32_e32 vcc_lo, s35, v3
	v_sub_co_u32 v4, s4, v3, s35
	s_subb_u32 s66, s22, 0
	s_cmp_lg_u32 s4, 0
	v_cndmask_b32_e64 v5, 0, -1, vcc_lo
	s_subb_u32 s4, s66, 0
	s_cmp_eq_u32 s66, 0
	v_mov_b32_e32 v7, s4
	s_cselect_b32 vcc_lo, -1, 0
	s_cmp_eq_u32 s22, 0
	v_cndmask_b32_e32 v5, -1, v5, vcc_lo
	v_cmp_le_u32_e32 vcc_lo, s35, v2
	s_cselect_b32 s4, -1, 0
	v_cndmask_b32_e64 v6, 0, -1, vcc_lo
	s_delay_alu instid0(VALU_DEP_3) | instskip(NEXT) | instid1(VALU_DEP_2)
	v_cmp_ne_u32_e32 vcc_lo, 0, v5
	v_cndmask_b32_e64 v5, -1, v6, s4
	v_cndmask_b32_e32 v6, s66, v7, vcc_lo
	v_cndmask_b32_e32 v4, v3, v4, vcc_lo
	s_delay_alu instid0(VALU_DEP_3) | instskip(NEXT) | instid1(VALU_DEP_3)
	v_cmp_ne_u32_e32 vcc_lo, 0, v5
	v_cndmask_b32_e32 v3, s22, v6, vcc_lo
	s_delay_alu instid0(VALU_DEP_3)
	v_cndmask_b32_e32 v2, v2, v4, vcc_lo
	s_cbranch_execnz .LBB142_202
.LBB142_201:                            ;   in Loop: Header=BB142_33 Depth=1
	v_cvt_f32_u32_e32 v2, s35
	s_sub_i32 s4, 0, s35
	s_delay_alu instid0(VALU_DEP_1) | instskip(SKIP_2) | instid1(VALU_DEP_1)
	v_rcp_iflag_f32_e32 v2, v2
	s_waitcnt_depctr 0xfff
	v_mul_f32_e32 v2, 0x4f7ffffe, v2
	v_cvt_u32_f32_e32 v2, v2
	s_delay_alu instid0(VALU_DEP_1) | instskip(NEXT) | instid1(VALU_DEP_1)
	v_mul_lo_u32 v3, s4, v2
	v_mul_hi_u32 v3, v2, v3
	s_delay_alu instid0(VALU_DEP_1) | instskip(NEXT) | instid1(VALU_DEP_1)
	v_add_nc_u32_e32 v2, v2, v3
	v_mul_hi_u32 v2, s21, v2
	s_delay_alu instid0(VALU_DEP_1) | instskip(NEXT) | instid1(VALU_DEP_1)
	v_mul_lo_u32 v2, v2, s35
	v_sub_nc_u32_e32 v2, s21, v2
	s_delay_alu instid0(VALU_DEP_1) | instskip(SKIP_1) | instid1(VALU_DEP_2)
	v_subrev_nc_u32_e32 v3, s35, v2
	v_cmp_le_u32_e32 vcc_lo, s35, v2
	v_cndmask_b32_e32 v2, v2, v3, vcc_lo
	s_delay_alu instid0(VALU_DEP_1) | instskip(SKIP_1) | instid1(VALU_DEP_2)
	v_subrev_nc_u32_e32 v3, s35, v2
	v_cmp_le_u32_e32 vcc_lo, s35, v2
	v_cndmask_b32_e32 v12, v2, v3, vcc_lo
	s_delay_alu instid0(VALU_DEP_1)
	v_dual_mov_b32 v2, v12 :: v_dual_mov_b32 v3, v13
.LBB142_202:                            ;   in Loop: Header=BB142_33 Depth=1
	s_delay_alu instid0(VALU_DEP_1) | instskip(NEXT) | instid1(VALU_DEP_2)
	v_sub_co_u32 v2, vcc_lo, s21, v2
	v_sub_co_ci_u32_e32 v3, vcc_lo, s5, v3, vcc_lo
	s_mov_b32 s4, 0
	s_mov_b32 s5, exec_lo
                                        ; implicit-def: $vgpr28
	s_delay_alu instid0(VALU_DEP_1)
	v_cmpx_gt_u64_e64 v[2:3], v[0:1]
	s_cbranch_execz .LBB142_215
; %bb.203:                              ;   in Loop: Header=BB142_33 Depth=1
	v_mov_b32_e32 v6, v21
	v_dual_mov_b32 v5, v1 :: v_dual_mov_b32 v4, v0
	s_mov_b32 s21, 0
                                        ; implicit-def: $sgpr22
	s_branch .LBB142_205
.LBB142_204:                            ;   in Loop: Header=BB142_205 Depth=2
	s_or_b32 exec_lo, exec_lo, s4
	s_waitcnt lgkmcnt(0)
	s_barrier
	buffer_gl0_inv
	ds_load_b32 v7, v13 offset:3072
	v_add_co_u32 v4, vcc_lo, v4, s35
	v_add_co_ci_u32_e32 v5, vcc_lo, 0, v5, vcc_lo
	v_add_nc_u32_e32 v6, s91, v6
	s_waitcnt lgkmcnt(0)
	s_barrier
	s_delay_alu instid0(VALU_DEP_2) | instskip(SKIP_2) | instid1(VALU_DEP_1)
	v_cmp_ge_u64_e32 vcc_lo, v[4:5], v[2:3]
	buffer_gl0_inv
	v_and_b32_e32 v8, 0x7fff, v7
	v_cmp_ne_u16_e64 s4, 0, v8
	s_delay_alu instid0(VALU_DEP_1) | instskip(NEXT) | instid1(SALU_CYCLE_1)
	s_or_b32 s66, vcc_lo, s4
	s_and_b32 s66, exec_lo, s66
	s_delay_alu instid0(SALU_CYCLE_1) | instskip(SKIP_2) | instid1(SALU_CYCLE_1)
	s_or_b32 s21, s66, s21
	s_and_not1_b32 s22, s22, exec_lo
	s_and_b32 s4, s4, exec_lo
	s_or_b32 s22, s22, s4
	s_and_not1_b32 exec_lo, exec_lo, s21
	s_cbranch_execz .LBB142_214
.LBB142_205:                            ;   Parent Loop BB142_33 Depth=1
                                        ; =>  This Inner Loop Header: Depth=2
	s_delay_alu instid0(VALU_DEP_1)
	v_cmp_gt_u64_e32 vcc_lo, s[10:11], v[4:5]
	v_mov_b32_e32 v7, 0
	s_and_saveexec_b32 s4, vcc_lo
	s_cbranch_execz .LBB142_207
; %bb.206:                              ;   in Loop: Header=BB142_205 Depth=2
	ds_load_u16 v7, v6
.LBB142_207:                            ;   in Loop: Header=BB142_205 Depth=2
	s_or_b32 exec_lo, exec_lo, s4
	s_and_saveexec_b32 s4, vcc_lo
	s_cbranch_execz .LBB142_204
; %bb.208:                              ;   in Loop: Header=BB142_205 Depth=2
	s_waitcnt lgkmcnt(0)
	v_cmp_lt_i16_e32 vcc_lo, -1, v7
	v_and_b32_e32 v8, 0xffff, v7
	v_lshlrev_b32_e32 v12, 16, v7
	v_cndmask_b32_e32 v9, 0xffff, v27, vcc_lo
	s_delay_alu instid0(VALU_DEP_2) | instskip(NEXT) | instid1(VALU_DEP_2)
	v_cmp_o_f32_e32 vcc_lo, v12, v12
	v_xor_b32_e32 v8, v9, v8
	s_delay_alu instid0(VALU_DEP_1) | instskip(NEXT) | instid1(VALU_DEP_1)
	v_cndmask_b32_e32 v8, 0xffff, v8, vcc_lo
	v_and_b32_e32 v8, s103, v8
	s_delay_alu instid0(VALU_DEP_1)
	v_cmp_eq_u32_e32 vcc_lo, s102, v8
	s_and_b32 exec_lo, exec_lo, vcc_lo
	s_cbranch_execz .LBB142_204
; %bb.209:                              ;   in Loop: Header=BB142_205 Depth=2
	v_perm_b32 v7, v7, s92, 0x5040100
	ds_store_b32 v13, v7 offset:3072
	s_branch .LBB142_204
.LBB142_210:                            ;   in Loop: Header=BB142_33 Depth=1
                                        ; implicit-def: $sgpr10
                                        ; implicit-def: $sgpr21
                                        ; implicit-def: $sgpr11
	s_branch .LBB142_229
.LBB142_211:                            ;   in Loop: Header=BB142_33 Depth=1
                                        ; implicit-def: $vgpr2_vgpr3
	s_branch .LBB142_154
.LBB142_212:                            ;   in Loop: Header=BB142_33 Depth=1
                                        ; implicit-def: $vgpr2_vgpr3
	s_branch .LBB142_171
.LBB142_213:                            ;   in Loop: Header=BB142_33 Depth=1
	s_mov_b32 s10, -1
	s_mov_b32 s4, 0
                                        ; implicit-def: $sgpr11
                                        ; implicit-def: $vgpr28
	s_mov_b32 s21, s10
	s_cbranch_execnz .LBB142_216
	s_branch .LBB142_229
.LBB142_214:                            ;   in Loop: Header=BB142_33 Depth=1
	s_or_b32 exec_lo, exec_lo, s21
	v_lshrrev_b32_e32 v28, 16, v7
	s_and_b32 s4, s22, exec_lo
.LBB142_215:                            ;   in Loop: Header=BB142_33 Depth=1
	s_or_b32 exec_lo, exec_lo, s5
	s_mov_b32 s11, -1
	s_mov_b32 s10, 0
	s_delay_alu instid0(SALU_CYCLE_1)
	s_mov_b32 s21, s10
	s_branch .LBB142_229
.LBB142_216:                            ;   in Loop: Header=BB142_33 Depth=1
	s_mov_b32 s68, s67
	s_delay_alu instid0(SALU_CYCLE_1)
	s_cmp_lg_u64 s[68:69], 0
	s_cbranch_scc0 .LBB142_259
; %bb.217:                              ;   in Loop: Header=BB142_33 Depth=1
	v_cvt_f32_u32_e32 v2, s35
	s_sub_u32 s10, 0, s35
	s_subb_u32 s11, 0, 0
	s_delay_alu instid0(VALU_DEP_1) | instskip(NEXT) | instid1(VALU_DEP_1)
	v_fmac_f32_e64 v2, 0, 0x4f800000
	v_rcp_f32_e32 v2, v2
	s_waitcnt_depctr 0xfff
	v_mul_f32_e32 v2, 0x5f7ffffc, v2
	s_delay_alu instid0(VALU_DEP_1) | instskip(NEXT) | instid1(VALU_DEP_1)
	v_mul_f32_e32 v3, 0x2f800000, v2
	v_trunc_f32_e32 v3, v3
	s_delay_alu instid0(VALU_DEP_1) | instskip(SKIP_1) | instid1(VALU_DEP_2)
	v_fmac_f32_e32 v2, 0xcf800000, v3
	v_cvt_u32_f32_e32 v3, v3
	v_cvt_u32_f32_e32 v2, v2
	s_delay_alu instid0(VALU_DEP_2) | instskip(NEXT) | instid1(VALU_DEP_2)
	v_readfirstlane_b32 s4, v3
	v_readfirstlane_b32 s5, v2
	s_delay_alu instid0(VALU_DEP_2) | instskip(NEXT) | instid1(VALU_DEP_1)
	s_mul_i32 s21, s10, s4
	s_mul_hi_u32 s66, s10, s5
	s_mul_i32 s22, s11, s5
	s_add_i32 s21, s66, s21
	s_mul_i32 s68, s10, s5
	s_add_i32 s21, s21, s22
	s_mul_hi_u32 s66, s5, s68
	s_mul_hi_u32 s72, s4, s68
	s_mul_i32 s22, s4, s68
	s_mul_hi_u32 s68, s5, s21
	s_mul_i32 s5, s5, s21
	s_mul_hi_u32 s73, s4, s21
	s_add_u32 s5, s66, s5
	s_addc_u32 s66, 0, s68
	s_add_u32 s5, s5, s22
	s_mul_i32 s21, s4, s21
	s_addc_u32 s5, s66, s72
	s_addc_u32 s22, s73, 0
	s_add_u32 s5, s5, s21
	s_addc_u32 s21, 0, s22
	v_add_co_u32 v2, s5, v2, s5
	s_delay_alu instid0(VALU_DEP_1) | instskip(SKIP_1) | instid1(VALU_DEP_1)
	s_cmp_lg_u32 s5, 0
	s_addc_u32 s4, s4, s21
	v_readfirstlane_b32 s5, v2
	s_mul_i32 s21, s10, s4
	s_delay_alu instid0(VALU_DEP_1)
	s_mul_hi_u32 s22, s10, s5
	s_mul_i32 s11, s11, s5
	s_add_i32 s21, s22, s21
	s_mul_i32 s10, s10, s5
	s_add_i32 s21, s21, s11
	s_mul_hi_u32 s22, s4, s10
	s_mul_i32 s66, s4, s10
	s_mul_hi_u32 s10, s5, s10
	s_mul_hi_u32 s68, s5, s21
	s_mul_i32 s5, s5, s21
	s_mul_hi_u32 s11, s4, s21
	s_add_u32 s5, s10, s5
	s_addc_u32 s10, 0, s68
	s_add_u32 s5, s5, s66
	s_mul_i32 s21, s4, s21
	s_addc_u32 s5, s10, s22
	s_addc_u32 s10, s11, 0
	s_add_u32 s5, s5, s21
	s_addc_u32 s10, 0, s10
	v_add_co_u32 v2, s5, v2, s5
	s_delay_alu instid0(VALU_DEP_1) | instskip(SKIP_1) | instid1(VALU_DEP_1)
	s_cmp_lg_u32 s5, 0
	s_addc_u32 s4, s4, s10
	v_readfirstlane_b32 s5, v2
	s_mul_i32 s11, s85, s4
	s_mul_hi_u32 s10, s85, s4
	s_mul_hi_u32 s21, s69, s4
	s_mul_i32 s4, s69, s4
	s_mul_hi_u32 s22, s85, s5
	s_mul_hi_u32 s66, s69, s5
	s_mul_i32 s5, s69, s5
	s_add_u32 s11, s22, s11
	s_addc_u32 s10, 0, s10
	s_add_u32 s5, s11, s5
	s_addc_u32 s5, s10, s66
	s_addc_u32 s10, s21, 0
	s_add_u32 s4, s5, s4
	s_addc_u32 s5, 0, s10
	s_mul_hi_u32 s10, s35, s4
	s_mul_i32 s4, s35, s4
	s_mul_i32 s5, s35, s5
	v_sub_co_u32 v2, s4, s85, s4
	s_add_i32 s10, s10, s5
	s_cmp_lg_u32 s4, 0
	s_delay_alu instid0(VALU_DEP_1) | instskip(SKIP_2) | instid1(VALU_DEP_1)
	v_sub_co_u32 v3, s4, v2, s35
	s_subb_u32 s5, s69, s10
	s_cmp_lg_u32 s4, 0
	v_cmp_le_u32_e32 vcc_lo, s35, v3
	v_sub_co_u32 v4, s4, v3, s35
	s_subb_u32 s10, s5, 0
	s_cmp_lg_u32 s4, 0
	v_cndmask_b32_e64 v5, 0, -1, vcc_lo
	s_subb_u32 s4, s10, 0
	s_cmp_eq_u32 s10, 0
	v_mov_b32_e32 v7, s4
	s_cselect_b32 vcc_lo, -1, 0
	s_cmp_eq_u32 s5, 0
	v_cndmask_b32_e32 v5, -1, v5, vcc_lo
	v_cmp_le_u32_e32 vcc_lo, s35, v2
	s_cselect_b32 s4, -1, 0
	v_cndmask_b32_e64 v6, 0, -1, vcc_lo
	s_delay_alu instid0(VALU_DEP_3) | instskip(NEXT) | instid1(VALU_DEP_2)
	v_cmp_ne_u32_e32 vcc_lo, 0, v5
	v_cndmask_b32_e64 v5, -1, v6, s4
	v_cndmask_b32_e32 v6, s10, v7, vcc_lo
	v_cndmask_b32_e32 v4, v3, v4, vcc_lo
	s_delay_alu instid0(VALU_DEP_3) | instskip(NEXT) | instid1(VALU_DEP_3)
	v_cmp_ne_u32_e32 vcc_lo, 0, v5
	v_cndmask_b32_e32 v3, s5, v6, vcc_lo
	s_delay_alu instid0(VALU_DEP_3)
	v_cndmask_b32_e32 v2, v2, v4, vcc_lo
	s_cbranch_execnz .LBB142_219
.LBB142_218:                            ;   in Loop: Header=BB142_33 Depth=1
	v_cvt_f32_u32_e32 v2, s35
	s_sub_i32 s4, 0, s35
	s_delay_alu instid0(VALU_DEP_1) | instskip(SKIP_2) | instid1(VALU_DEP_1)
	v_rcp_iflag_f32_e32 v2, v2
	s_waitcnt_depctr 0xfff
	v_mul_f32_e32 v2, 0x4f7ffffe, v2
	v_cvt_u32_f32_e32 v2, v2
	s_delay_alu instid0(VALU_DEP_1) | instskip(NEXT) | instid1(VALU_DEP_1)
	v_mul_lo_u32 v3, s4, v2
	v_mul_hi_u32 v3, v2, v3
	s_delay_alu instid0(VALU_DEP_1) | instskip(NEXT) | instid1(VALU_DEP_1)
	v_add_nc_u32_e32 v2, v2, v3
	v_mul_hi_u32 v2, s85, v2
	s_delay_alu instid0(VALU_DEP_1) | instskip(NEXT) | instid1(VALU_DEP_1)
	v_mul_lo_u32 v2, v2, s35
	v_sub_nc_u32_e32 v2, s85, v2
	s_delay_alu instid0(VALU_DEP_1) | instskip(SKIP_1) | instid1(VALU_DEP_2)
	v_subrev_nc_u32_e32 v3, s35, v2
	v_cmp_le_u32_e32 vcc_lo, s35, v2
	v_cndmask_b32_e32 v2, v2, v3, vcc_lo
	s_delay_alu instid0(VALU_DEP_1) | instskip(SKIP_1) | instid1(VALU_DEP_2)
	v_subrev_nc_u32_e32 v3, s35, v2
	v_cmp_le_u32_e32 vcc_lo, s35, v2
	v_cndmask_b32_e32 v12, v2, v3, vcc_lo
	s_delay_alu instid0(VALU_DEP_1)
	v_dual_mov_b32 v2, v12 :: v_dual_mov_b32 v3, v13
.LBB142_219:                            ;   in Loop: Header=BB142_33 Depth=1
	s_delay_alu instid0(VALU_DEP_1) | instskip(NEXT) | instid1(VALU_DEP_2)
	v_sub_co_u32 v2, vcc_lo, s85, v2
	v_sub_co_ci_u32_e32 v3, vcc_lo, s69, v3, vcc_lo
	s_mov_b32 s4, 0
	s_mov_b32 s5, exec_lo
                                        ; implicit-def: $vgpr28
	s_delay_alu instid0(VALU_DEP_1)
	v_cmpx_gt_u64_e64 v[2:3], v[0:1]
	s_cbranch_execz .LBB142_228
; %bb.220:                              ;   in Loop: Header=BB142_33 Depth=1
	v_dual_mov_b32 v5, v1 :: v_dual_mov_b32 v4, v0
	s_mov_b32 s10, 0
                                        ; implicit-def: $sgpr11
	s_branch .LBB142_222
.LBB142_221:                            ;   in Loop: Header=BB142_222 Depth=2
	s_or_b32 exec_lo, exec_lo, s4
	s_waitcnt vmcnt(0) lgkmcnt(0)
	s_barrier
	buffer_gl0_inv
	ds_load_b32 v6, v13 offset:3072
	v_add_co_u32 v4, vcc_lo, v4, s35
	v_add_co_ci_u32_e32 v5, vcc_lo, 0, v5, vcc_lo
	s_waitcnt lgkmcnt(0)
	s_barrier
	buffer_gl0_inv
	v_cmp_ge_u64_e32 vcc_lo, v[4:5], v[2:3]
	v_and_b32_e32 v7, 0x7fff, v6
	s_delay_alu instid0(VALU_DEP_1) | instskip(NEXT) | instid1(VALU_DEP_1)
	v_cmp_ne_u16_e64 s4, 0, v7
	s_or_b32 s21, vcc_lo, s4
	s_delay_alu instid0(SALU_CYCLE_1) | instskip(NEXT) | instid1(SALU_CYCLE_1)
	s_and_b32 s21, exec_lo, s21
	s_or_b32 s10, s21, s10
	s_and_not1_b32 s11, s11, exec_lo
	s_and_b32 s4, s4, exec_lo
	s_delay_alu instid0(SALU_CYCLE_1)
	s_or_b32 s11, s11, s4
	s_and_not1_b32 exec_lo, exec_lo, s10
	s_cbranch_execz .LBB142_227
.LBB142_222:                            ;   Parent Loop BB142_33 Depth=1
                                        ; =>  This Inner Loop Header: Depth=2
	s_delay_alu instid0(VALU_DEP_1)
	v_cmp_gt_u64_e32 vcc_lo, s[24:25], v[4:5]
	v_mov_b32_e32 v6, 0
	s_and_saveexec_b32 s21, vcc_lo
	s_cbranch_execz .LBB142_224
; %bb.223:                              ;   in Loop: Header=BB142_222 Depth=2
	v_mul_lo_u32 v8, v5, s50
	v_mul_lo_u32 v9, v4, s51
	v_mad_u64_u32 v[6:7], null, v4, s50, 0
	s_delay_alu instid0(VALU_DEP_1) | instskip(NEXT) | instid1(VALU_DEP_1)
	v_add3_u32 v7, v7, v9, v8
	v_lshlrev_b64 v[6:7], 1, v[6:7]
	s_delay_alu instid0(VALU_DEP_1) | instskip(NEXT) | instid1(VALU_DEP_1)
	v_add_co_u32 v6, s4, s27, v6
	v_add_co_ci_u32_e64 v7, s4, s33, v7, s4
	global_load_u16 v6, v[6:7], off
.LBB142_224:                            ;   in Loop: Header=BB142_222 Depth=2
	s_or_b32 exec_lo, exec_lo, s21
	s_and_saveexec_b32 s4, vcc_lo
	s_cbranch_execz .LBB142_221
; %bb.225:                              ;   in Loop: Header=BB142_222 Depth=2
	s_waitcnt vmcnt(0)
	v_cmp_lt_i16_e32 vcc_lo, -1, v6
	v_and_b32_e32 v7, 0xffff, v6
	v_dual_cndmask_b32 v8, 0xffff, v27 :: v_dual_lshlrev_b32 v9, 16, v6
	s_delay_alu instid0(VALU_DEP_1) | instskip(NEXT) | instid1(VALU_DEP_2)
	v_cmp_o_f32_e32 vcc_lo, v9, v9
	v_xor_b32_e32 v7, v8, v7
	s_delay_alu instid0(VALU_DEP_1) | instskip(NEXT) | instid1(VALU_DEP_1)
	v_cndmask_b32_e32 v7, 0xffff, v7, vcc_lo
	v_and_b32_e32 v7, s103, v7
	s_delay_alu instid0(VALU_DEP_1)
	v_cmp_eq_u32_e32 vcc_lo, s102, v7
	s_and_b32 exec_lo, exec_lo, vcc_lo
	s_cbranch_execz .LBB142_221
; %bb.226:                              ;   in Loop: Header=BB142_222 Depth=2
	v_perm_b32 v6, v6, s92, 0x5040100
	ds_store_b32 v13, v6 offset:3072
	s_branch .LBB142_221
.LBB142_227:                            ;   in Loop: Header=BB142_33 Depth=1
	s_or_b32 exec_lo, exec_lo, s10
	v_lshrrev_b32_e32 v28, 16, v6
	s_and_b32 s4, s11, exec_lo
.LBB142_228:                            ;   in Loop: Header=BB142_33 Depth=1
	s_or_b32 exec_lo, exec_lo, s5
	s_mov_b32 s21, -1
	s_mov_b32 s10, 0
	s_mov_b32 s11, 0
.LBB142_229:                            ;   in Loop: Header=BB142_33 Depth=1
	s_mov_b32 s5, 0
                                        ; implicit-def: $sgpr66
	s_and_saveexec_b32 s22, s4
	s_cbranch_execz .LBB142_291
; %bb.230:                              ;   in Loop: Header=BB142_33 Depth=1
	s_xor_b32 s4, s23, -1
	s_mov_b32 s66, 1
	s_and_not1_b32 vcc_lo, exec_lo, s4
	s_cbranch_vccnz .LBB142_241
; %bb.231:                              ;   in Loop: Header=BB142_33 Depth=1
	v_cmp_gt_u64_e64 s4, s[64:65], s[8:9]
                                        ; implicit-def: $sgpr66
                                        ; implicit-def: $sgpr5
                                        ; implicit-def: $sgpr23
	s_delay_alu instid0(VALU_DEP_1)
	s_and_b32 vcc_lo, exec_lo, s4
	s_mov_b32 s4, -1
	s_cbranch_vccnz .LBB142_237
; %bb.232:                              ;   in Loop: Header=BB142_33 Depth=1
	ds_load_b64 v[2:3], v13 offset:5120
	s_waitcnt lgkmcnt(0)
	v_cmp_ne_u64_e32 vcc_lo, 0, v[2:3]
	s_cbranch_vccnz .LBB142_236
; %bb.233:                              ;   in Loop: Header=BB142_33 Depth=1
	s_and_saveexec_b32 s4, s3
	s_cbranch_execz .LBB142_235
; %bb.234:                              ;   in Loop: Header=BB142_33 Depth=1
	v_dual_mov_b32 v2, s8 :: v_dual_mov_b32 v3, s9
	ds_store_b64 v13, v[2:3] offset:5128
.LBB142_235:                            ;   in Loop: Header=BB142_33 Depth=1
	s_or_b32 exec_lo, exec_lo, s4
	s_waitcnt lgkmcnt(0)
	s_barrier
	buffer_gl0_inv
.LBB142_236:                            ;   in Loop: Header=BB142_33 Depth=1
	s_lshl_b32 s4, 2, s17
	s_and_b32 s5, s102, s18
	s_or_b32 s23, s103, s16
	s_or_b32 s5, s5, s4
	s_mov_b32 s4, 0
	s_mov_b32 s66, 8
.LBB142_237:                            ;   in Loop: Header=BB142_33 Depth=1
	s_and_not1_b32 vcc_lo, exec_lo, s4
	s_cbranch_vccnz .LBB142_239
; %bb.238:                              ;   in Loop: Header=BB142_33 Depth=1
	s_sub_u32 s64, s64, s8
	s_subb_u32 s65, s65, s9
	s_mov_b32 s4, -1
	s_mov_b32 s66, 0
	s_mov_b32 s5, s102
	;; [unrolled: 1-line block ×3, first 2 shown]
.LBB142_239:                            ;   in Loop: Header=BB142_33 Depth=1
	s_delay_alu instid0(SALU_CYCLE_1)
	s_mov_b32 s103, s23
	s_mov_b32 s102, s5
	s_and_not1_b32 vcc_lo, exec_lo, s4
	s_mov_b32 s72, -1
	s_cbranch_vccz .LBB142_242
.LBB142_240:                            ;   in Loop: Header=BB142_33 Depth=1
                                        ; implicit-def: $sgpr8
                                        ; implicit-def: $sgpr18
                                        ; implicit-def: $sgpr9
	s_branch .LBB142_290
.LBB142_241:                            ;   in Loop: Header=BB142_33 Depth=1
	s_mov_b64 s[64:65], 1
	s_mov_b32 s72, -1
	s_cbranch_execnz .LBB142_240
.LBB142_242:                            ;   in Loop: Header=BB142_33 Depth=1
	s_cmp_eq_u64 s[6:7], 1
	s_mov_b32 s23, -1
	s_cselect_b32 s4, -1, 0
	s_cmp_eq_u64 s[64:65], 1
	s_cselect_b32 s5, -1, 0
	s_delay_alu instid0(SALU_CYCLE_1) | instskip(NEXT) | instid1(SALU_CYCLE_1)
	s_and_b32 s17, s4, s5
	s_and_b32 vcc_lo, exec_lo, s17
	s_cbranch_vccz .LBB142_257
; %bb.243:                              ;   in Loop: Header=BB142_33 Depth=1
	ds_load_b64 v[2:3], v13 offset:5120
	s_waitcnt lgkmcnt(0)
	s_barrier
	buffer_gl0_inv
	v_readfirstlane_b32 s8, v2
	v_readfirstlane_b32 s9, v3
	s_and_saveexec_b32 s4, s0
	s_cbranch_execz .LBB142_245
; %bb.244:                              ;   in Loop: Header=BB142_33 Depth=1
	ds_store_b16 v22, v13
.LBB142_245:                            ;   in Loop: Header=BB142_33 Depth=1
	s_or_b32 exec_lo, exec_lo, s4
	s_or_b32 s102, s102, s16
	s_or_b32 s103, s103, s16
	s_cmp_eq_u64 s[8:9], 0
	s_waitcnt lgkmcnt(0)
	s_barrier
	buffer_gl0_inv
	s_cbranch_scc1 .LBB142_260
; %bb.246:                              ;   in Loop: Header=BB142_33 Depth=1
	s_add_u32 s18, s83, s8
	s_addc_u32 s5, s84, s9
	s_mov_b32 s4, s67
	s_delay_alu instid0(SALU_CYCLE_1)
	s_cmp_lg_u64 s[4:5], 0
	s_cbranch_scc0 .LBB142_296
; %bb.247:                              ;   in Loop: Header=BB142_33 Depth=1
	v_cvt_f32_u32_e32 v2, s35
	s_sub_u32 s66, 0, s35
	s_subb_u32 s68, 0, 0
	s_delay_alu instid0(VALU_DEP_1) | instskip(NEXT) | instid1(VALU_DEP_1)
	v_fmac_f32_e64 v2, 0, 0x4f800000
	v_rcp_f32_e32 v2, v2
	s_waitcnt_depctr 0xfff
	v_mul_f32_e32 v2, 0x5f7ffffc, v2
	s_delay_alu instid0(VALU_DEP_1) | instskip(NEXT) | instid1(VALU_DEP_1)
	v_mul_f32_e32 v3, 0x2f800000, v2
	v_trunc_f32_e32 v3, v3
	s_delay_alu instid0(VALU_DEP_1) | instskip(SKIP_1) | instid1(VALU_DEP_2)
	v_fmac_f32_e32 v2, 0xcf800000, v3
	v_cvt_u32_f32_e32 v3, v3
	v_cvt_u32_f32_e32 v2, v2
	s_delay_alu instid0(VALU_DEP_2) | instskip(NEXT) | instid1(VALU_DEP_2)
	v_readfirstlane_b32 s4, v3
	v_readfirstlane_b32 s23, v2
	s_delay_alu instid0(VALU_DEP_2) | instskip(NEXT) | instid1(VALU_DEP_1)
	s_mul_i32 s72, s66, s4
	s_mul_hi_u32 s74, s66, s23
	s_mul_i32 s73, s68, s23
	s_add_i32 s72, s74, s72
	s_mul_i32 s75, s66, s23
	s_add_i32 s72, s72, s73
	s_mul_hi_u32 s74, s23, s75
	s_mul_hi_u32 s76, s4, s75
	s_mul_i32 s73, s4, s75
	s_mul_hi_u32 s75, s23, s72
	s_mul_i32 s23, s23, s72
	s_mul_hi_u32 s77, s4, s72
	s_add_u32 s23, s74, s23
	s_addc_u32 s74, 0, s75
	s_add_u32 s23, s23, s73
	s_mul_i32 s72, s4, s72
	s_addc_u32 s23, s74, s76
	s_addc_u32 s73, s77, 0
	s_add_u32 s23, s23, s72
	s_addc_u32 s72, 0, s73
	v_add_co_u32 v2, s23, v2, s23
	s_delay_alu instid0(VALU_DEP_1) | instskip(SKIP_1) | instid1(VALU_DEP_1)
	s_cmp_lg_u32 s23, 0
	s_addc_u32 s4, s4, s72
	v_readfirstlane_b32 s23, v2
	s_mul_i32 s72, s66, s4
	s_delay_alu instid0(VALU_DEP_1)
	s_mul_hi_u32 s73, s66, s23
	s_mul_i32 s68, s68, s23
	s_add_i32 s72, s73, s72
	s_mul_i32 s66, s66, s23
	s_add_i32 s72, s72, s68
	s_mul_hi_u32 s73, s4, s66
	s_mul_i32 s74, s4, s66
	s_mul_hi_u32 s66, s23, s66
	s_mul_hi_u32 s75, s23, s72
	s_mul_i32 s23, s23, s72
	s_mul_hi_u32 s68, s4, s72
	s_add_u32 s23, s66, s23
	s_addc_u32 s66, 0, s75
	s_add_u32 s23, s23, s74
	s_mul_i32 s72, s4, s72
	s_addc_u32 s23, s66, s73
	s_addc_u32 s66, s68, 0
	s_add_u32 s23, s23, s72
	s_addc_u32 s66, 0, s66
	v_add_co_u32 v2, s23, v2, s23
	s_delay_alu instid0(VALU_DEP_1) | instskip(SKIP_1) | instid1(VALU_DEP_1)
	s_cmp_lg_u32 s23, 0
	s_addc_u32 s4, s4, s66
	v_readfirstlane_b32 s23, v2
	s_mul_i32 s68, s18, s4
	s_mul_hi_u32 s66, s18, s4
	s_mul_hi_u32 s72, s5, s4
	s_mul_i32 s4, s5, s4
	s_mul_hi_u32 s73, s18, s23
	s_mul_hi_u32 s74, s5, s23
	s_mul_i32 s23, s5, s23
	s_add_u32 s68, s73, s68
	s_addc_u32 s66, 0, s66
	s_add_u32 s23, s68, s23
	s_addc_u32 s23, s66, s74
	s_addc_u32 s66, s72, 0
	s_add_u32 s4, s23, s4
	s_addc_u32 s23, 0, s66
	s_mul_hi_u32 s66, s35, s4
	s_mul_i32 s4, s35, s4
	s_mul_i32 s23, s35, s23
	v_sub_co_u32 v2, s4, s18, s4
	s_add_i32 s66, s66, s23
	s_cmp_lg_u32 s4, 0
	s_delay_alu instid0(VALU_DEP_1) | instskip(SKIP_2) | instid1(VALU_DEP_1)
	v_sub_co_u32 v3, s4, v2, s35
	s_subb_u32 s23, s5, s66
	s_cmp_lg_u32 s4, 0
	v_cmp_le_u32_e32 vcc_lo, s35, v3
	v_sub_co_u32 v4, s4, v3, s35
	s_subb_u32 s66, s23, 0
	s_cmp_lg_u32 s4, 0
	v_cndmask_b32_e64 v5, 0, -1, vcc_lo
	s_subb_u32 s4, s66, 0
	s_cmp_eq_u32 s66, 0
	v_mov_b32_e32 v7, s4
	s_cselect_b32 vcc_lo, -1, 0
	s_cmp_eq_u32 s23, 0
	v_cndmask_b32_e32 v5, -1, v5, vcc_lo
	v_cmp_le_u32_e32 vcc_lo, s35, v2
	s_cselect_b32 s4, -1, 0
	v_cndmask_b32_e64 v6, 0, -1, vcc_lo
	s_delay_alu instid0(VALU_DEP_3) | instskip(NEXT) | instid1(VALU_DEP_2)
	v_cmp_ne_u32_e32 vcc_lo, 0, v5
	v_cndmask_b32_e64 v5, -1, v6, s4
	v_cndmask_b32_e32 v6, s66, v7, vcc_lo
	v_cndmask_b32_e32 v4, v3, v4, vcc_lo
	s_delay_alu instid0(VALU_DEP_3) | instskip(NEXT) | instid1(VALU_DEP_3)
	v_cmp_ne_u32_e32 vcc_lo, 0, v5
	v_cndmask_b32_e32 v3, s23, v6, vcc_lo
	s_delay_alu instid0(VALU_DEP_3)
	v_cndmask_b32_e32 v2, v2, v4, vcc_lo
	s_cbranch_execnz .LBB142_249
.LBB142_248:                            ;   in Loop: Header=BB142_33 Depth=1
	v_cvt_f32_u32_e32 v2, s35
	s_sub_i32 s4, 0, s35
	s_delay_alu instid0(VALU_DEP_1) | instskip(SKIP_2) | instid1(VALU_DEP_1)
	v_rcp_iflag_f32_e32 v2, v2
	s_waitcnt_depctr 0xfff
	v_mul_f32_e32 v2, 0x4f7ffffe, v2
	v_cvt_u32_f32_e32 v2, v2
	s_delay_alu instid0(VALU_DEP_1) | instskip(NEXT) | instid1(VALU_DEP_1)
	v_mul_lo_u32 v3, s4, v2
	v_mul_hi_u32 v3, v2, v3
	s_delay_alu instid0(VALU_DEP_1) | instskip(NEXT) | instid1(VALU_DEP_1)
	v_add_nc_u32_e32 v2, v2, v3
	v_mul_hi_u32 v2, s18, v2
	s_delay_alu instid0(VALU_DEP_1) | instskip(NEXT) | instid1(VALU_DEP_1)
	v_mul_lo_u32 v2, v2, s35
	v_sub_nc_u32_e32 v2, s18, v2
	s_delay_alu instid0(VALU_DEP_1) | instskip(SKIP_1) | instid1(VALU_DEP_2)
	v_subrev_nc_u32_e32 v3, s35, v2
	v_cmp_le_u32_e32 vcc_lo, s35, v2
	v_cndmask_b32_e32 v2, v2, v3, vcc_lo
	s_delay_alu instid0(VALU_DEP_1) | instskip(SKIP_1) | instid1(VALU_DEP_2)
	v_subrev_nc_u32_e32 v3, s35, v2
	v_cmp_le_u32_e32 vcc_lo, s35, v2
	v_cndmask_b32_e32 v12, v2, v3, vcc_lo
	s_delay_alu instid0(VALU_DEP_1)
	v_dual_mov_b32 v2, v12 :: v_dual_mov_b32 v3, v13
.LBB142_249:                            ;   in Loop: Header=BB142_33 Depth=1
	s_delay_alu instid0(VALU_DEP_1) | instskip(NEXT) | instid1(VALU_DEP_2)
	v_sub_co_u32 v2, vcc_lo, s18, v2
	v_sub_co_ci_u32_e32 v3, vcc_lo, s5, v3, vcc_lo
	s_mov_b32 s23, 0
	s_mov_b32 s5, exec_lo
                                        ; implicit-def: $vgpr28
	s_delay_alu instid0(VALU_DEP_1)
	v_cmpx_gt_u64_e64 v[2:3], v[0:1]
	s_cbranch_execz .LBB142_262
; %bb.250:                              ;   in Loop: Header=BB142_33 Depth=1
	v_mov_b32_e32 v6, v21
	v_dual_mov_b32 v5, v1 :: v_dual_mov_b32 v4, v0
	s_mov_b32 s18, 0
                                        ; implicit-def: $sgpr23
	s_branch .LBB142_252
.LBB142_251:                            ;   in Loop: Header=BB142_252 Depth=2
	s_or_b32 exec_lo, exec_lo, s4
	s_waitcnt lgkmcnt(0)
	s_barrier
	buffer_gl0_inv
	ds_load_b32 v7, v13 offset:3072
	v_add_co_u32 v4, vcc_lo, v4, s35
	v_add_co_ci_u32_e32 v5, vcc_lo, 0, v5, vcc_lo
	v_add_nc_u32_e32 v6, s91, v6
	s_waitcnt lgkmcnt(0)
	s_barrier
	s_delay_alu instid0(VALU_DEP_2) | instskip(SKIP_2) | instid1(VALU_DEP_1)
	v_cmp_ge_u64_e32 vcc_lo, v[4:5], v[2:3]
	buffer_gl0_inv
	v_and_b32_e32 v8, 0x7fff, v7
	v_cmp_ne_u16_e64 s4, 0, v8
	s_delay_alu instid0(VALU_DEP_1) | instskip(NEXT) | instid1(SALU_CYCLE_1)
	s_or_b32 s66, vcc_lo, s4
	s_and_b32 s66, exec_lo, s66
	s_delay_alu instid0(SALU_CYCLE_1) | instskip(SKIP_2) | instid1(SALU_CYCLE_1)
	s_or_b32 s18, s66, s18
	s_and_not1_b32 s23, s23, exec_lo
	s_and_b32 s4, s4, exec_lo
	s_or_b32 s23, s23, s4
	s_and_not1_b32 exec_lo, exec_lo, s18
	s_cbranch_execz .LBB142_261
.LBB142_252:                            ;   Parent Loop BB142_33 Depth=1
                                        ; =>  This Inner Loop Header: Depth=2
	s_delay_alu instid0(VALU_DEP_1)
	v_cmp_gt_u64_e32 vcc_lo, s[8:9], v[4:5]
	v_mov_b32_e32 v7, 0
	s_and_saveexec_b32 s4, vcc_lo
	s_cbranch_execz .LBB142_254
; %bb.253:                              ;   in Loop: Header=BB142_252 Depth=2
	ds_load_u16 v7, v6
.LBB142_254:                            ;   in Loop: Header=BB142_252 Depth=2
	s_or_b32 exec_lo, exec_lo, s4
	s_and_saveexec_b32 s4, vcc_lo
	s_cbranch_execz .LBB142_251
; %bb.255:                              ;   in Loop: Header=BB142_252 Depth=2
	s_waitcnt lgkmcnt(0)
	v_cmp_lt_i16_e32 vcc_lo, -1, v7
	v_and_b32_e32 v8, 0xffff, v7
	v_lshlrev_b32_e32 v12, 16, v7
	v_cndmask_b32_e32 v9, 0xffff, v27, vcc_lo
	s_delay_alu instid0(VALU_DEP_2) | instskip(NEXT) | instid1(VALU_DEP_2)
	v_cmp_o_f32_e32 vcc_lo, v12, v12
	v_xor_b32_e32 v8, v9, v8
	s_delay_alu instid0(VALU_DEP_1) | instskip(NEXT) | instid1(VALU_DEP_1)
	v_cndmask_b32_e32 v8, 0xffff, v8, vcc_lo
	v_and_b32_e32 v8, s103, v8
	s_delay_alu instid0(VALU_DEP_1)
	v_cmp_eq_u32_e32 vcc_lo, s102, v8
	s_and_b32 exec_lo, exec_lo, vcc_lo
	s_cbranch_execz .LBB142_251
; %bb.256:                              ;   in Loop: Header=BB142_252 Depth=2
	v_perm_b32 v7, v7, s92, 0x5040100
	ds_store_b32 v13, v7 offset:3072
	s_branch .LBB142_251
.LBB142_257:                            ;   in Loop: Header=BB142_33 Depth=1
                                        ; implicit-def: $sgpr8
                                        ; implicit-def: $sgpr18
                                        ; implicit-def: $sgpr9
	s_branch .LBB142_276
.LBB142_258:                            ;   in Loop: Header=BB142_33 Depth=1
                                        ; implicit-def: $vgpr2_vgpr3
	s_branch .LBB142_201
.LBB142_259:                            ;   in Loop: Header=BB142_33 Depth=1
                                        ; implicit-def: $vgpr2_vgpr3
	s_branch .LBB142_218
.LBB142_260:                            ;   in Loop: Header=BB142_33 Depth=1
	s_mov_b32 s8, -1
	s_mov_b32 s23, 0
                                        ; implicit-def: $sgpr9
                                        ; implicit-def: $vgpr28
	s_mov_b32 s18, s8
	s_cbranch_execnz .LBB142_263
	s_branch .LBB142_276
.LBB142_261:                            ;   in Loop: Header=BB142_33 Depth=1
	s_or_b32 exec_lo, exec_lo, s18
	v_lshrrev_b32_e32 v28, 16, v7
	s_and_b32 s23, s23, exec_lo
.LBB142_262:                            ;   in Loop: Header=BB142_33 Depth=1
	s_or_b32 exec_lo, exec_lo, s5
	s_mov_b32 s9, -1
	s_mov_b32 s8, 0
	s_delay_alu instid0(SALU_CYCLE_1)
	s_mov_b32 s18, s8
	s_branch .LBB142_276
.LBB142_263:                            ;   in Loop: Header=BB142_33 Depth=1
	s_mov_b32 s68, s67
	s_delay_alu instid0(SALU_CYCLE_1)
	s_cmp_lg_u64 s[68:69], 0
	s_cbranch_scc0 .LBB142_297
; %bb.264:                              ;   in Loop: Header=BB142_33 Depth=1
	v_cvt_f32_u32_e32 v2, s35
	s_sub_u32 s8, 0, s35
	s_subb_u32 s9, 0, 0
	s_delay_alu instid0(VALU_DEP_1) | instskip(NEXT) | instid1(VALU_DEP_1)
	v_fmac_f32_e64 v2, 0, 0x4f800000
	v_rcp_f32_e32 v2, v2
	s_waitcnt_depctr 0xfff
	v_mul_f32_e32 v2, 0x5f7ffffc, v2
	s_delay_alu instid0(VALU_DEP_1) | instskip(NEXT) | instid1(VALU_DEP_1)
	v_mul_f32_e32 v3, 0x2f800000, v2
	v_trunc_f32_e32 v3, v3
	s_delay_alu instid0(VALU_DEP_1) | instskip(SKIP_1) | instid1(VALU_DEP_2)
	v_fmac_f32_e32 v2, 0xcf800000, v3
	v_cvt_u32_f32_e32 v3, v3
	v_cvt_u32_f32_e32 v2, v2
	s_delay_alu instid0(VALU_DEP_2) | instskip(NEXT) | instid1(VALU_DEP_2)
	v_readfirstlane_b32 s4, v3
	v_readfirstlane_b32 s5, v2
	s_delay_alu instid0(VALU_DEP_2) | instskip(NEXT) | instid1(VALU_DEP_1)
	s_mul_i32 s18, s8, s4
	s_mul_hi_u32 s66, s8, s5
	s_mul_i32 s23, s9, s5
	s_add_i32 s18, s66, s18
	s_mul_i32 s68, s8, s5
	s_add_i32 s18, s18, s23
	s_mul_hi_u32 s66, s5, s68
	s_mul_hi_u32 s72, s4, s68
	s_mul_i32 s23, s4, s68
	s_mul_hi_u32 s68, s5, s18
	s_mul_i32 s5, s5, s18
	s_mul_hi_u32 s73, s4, s18
	s_add_u32 s5, s66, s5
	s_addc_u32 s66, 0, s68
	s_add_u32 s5, s5, s23
	s_mul_i32 s18, s4, s18
	s_addc_u32 s5, s66, s72
	s_addc_u32 s23, s73, 0
	s_add_u32 s5, s5, s18
	s_addc_u32 s18, 0, s23
	v_add_co_u32 v2, s5, v2, s5
	s_delay_alu instid0(VALU_DEP_1) | instskip(SKIP_1) | instid1(VALU_DEP_1)
	s_cmp_lg_u32 s5, 0
	s_addc_u32 s4, s4, s18
	v_readfirstlane_b32 s5, v2
	s_mul_i32 s18, s8, s4
	s_delay_alu instid0(VALU_DEP_1)
	s_mul_hi_u32 s23, s8, s5
	s_mul_i32 s9, s9, s5
	s_add_i32 s18, s23, s18
	s_mul_i32 s8, s8, s5
	s_add_i32 s18, s18, s9
	s_mul_hi_u32 s23, s4, s8
	s_mul_i32 s66, s4, s8
	s_mul_hi_u32 s8, s5, s8
	s_mul_hi_u32 s68, s5, s18
	s_mul_i32 s5, s5, s18
	s_mul_hi_u32 s9, s4, s18
	s_add_u32 s5, s8, s5
	s_addc_u32 s8, 0, s68
	s_add_u32 s5, s5, s66
	s_mul_i32 s18, s4, s18
	s_addc_u32 s5, s8, s23
	s_addc_u32 s8, s9, 0
	s_add_u32 s5, s5, s18
	s_addc_u32 s8, 0, s8
	v_add_co_u32 v2, s5, v2, s5
	s_delay_alu instid0(VALU_DEP_1) | instskip(SKIP_1) | instid1(VALU_DEP_1)
	s_cmp_lg_u32 s5, 0
	s_addc_u32 s4, s4, s8
	v_readfirstlane_b32 s5, v2
	s_mul_i32 s9, s85, s4
	s_mul_hi_u32 s8, s85, s4
	s_mul_hi_u32 s18, s69, s4
	s_mul_i32 s4, s69, s4
	s_mul_hi_u32 s23, s85, s5
	s_mul_hi_u32 s66, s69, s5
	s_mul_i32 s5, s69, s5
	s_add_u32 s9, s23, s9
	s_addc_u32 s8, 0, s8
	s_add_u32 s5, s9, s5
	s_addc_u32 s5, s8, s66
	s_addc_u32 s8, s18, 0
	s_add_u32 s4, s5, s4
	s_addc_u32 s5, 0, s8
	s_mul_hi_u32 s8, s35, s4
	s_mul_i32 s4, s35, s4
	s_mul_i32 s5, s35, s5
	v_sub_co_u32 v2, s4, s85, s4
	s_add_i32 s8, s8, s5
	s_cmp_lg_u32 s4, 0
	s_delay_alu instid0(VALU_DEP_1) | instskip(SKIP_2) | instid1(VALU_DEP_1)
	v_sub_co_u32 v3, s4, v2, s35
	s_subb_u32 s5, s69, s8
	s_cmp_lg_u32 s4, 0
	v_cmp_le_u32_e32 vcc_lo, s35, v3
	v_sub_co_u32 v4, s4, v3, s35
	s_subb_u32 s8, s5, 0
	s_cmp_lg_u32 s4, 0
	v_cndmask_b32_e64 v5, 0, -1, vcc_lo
	s_subb_u32 s4, s8, 0
	s_cmp_eq_u32 s8, 0
	v_mov_b32_e32 v7, s4
	s_cselect_b32 vcc_lo, -1, 0
	s_cmp_eq_u32 s5, 0
	v_cndmask_b32_e32 v5, -1, v5, vcc_lo
	v_cmp_le_u32_e32 vcc_lo, s35, v2
	s_cselect_b32 s4, -1, 0
	v_cndmask_b32_e64 v6, 0, -1, vcc_lo
	s_delay_alu instid0(VALU_DEP_3) | instskip(NEXT) | instid1(VALU_DEP_2)
	v_cmp_ne_u32_e32 vcc_lo, 0, v5
	v_cndmask_b32_e64 v5, -1, v6, s4
	v_cndmask_b32_e32 v6, s8, v7, vcc_lo
	v_cndmask_b32_e32 v4, v3, v4, vcc_lo
	s_delay_alu instid0(VALU_DEP_3) | instskip(NEXT) | instid1(VALU_DEP_3)
	v_cmp_ne_u32_e32 vcc_lo, 0, v5
	v_cndmask_b32_e32 v3, s5, v6, vcc_lo
	s_delay_alu instid0(VALU_DEP_3)
	v_cndmask_b32_e32 v2, v2, v4, vcc_lo
	s_cbranch_execnz .LBB142_266
.LBB142_265:                            ;   in Loop: Header=BB142_33 Depth=1
	v_cvt_f32_u32_e32 v2, s35
	s_sub_i32 s4, 0, s35
	s_delay_alu instid0(VALU_DEP_1) | instskip(SKIP_2) | instid1(VALU_DEP_1)
	v_rcp_iflag_f32_e32 v2, v2
	s_waitcnt_depctr 0xfff
	v_mul_f32_e32 v2, 0x4f7ffffe, v2
	v_cvt_u32_f32_e32 v2, v2
	s_delay_alu instid0(VALU_DEP_1) | instskip(NEXT) | instid1(VALU_DEP_1)
	v_mul_lo_u32 v3, s4, v2
	v_mul_hi_u32 v3, v2, v3
	s_delay_alu instid0(VALU_DEP_1) | instskip(NEXT) | instid1(VALU_DEP_1)
	v_add_nc_u32_e32 v2, v2, v3
	v_mul_hi_u32 v2, s85, v2
	s_delay_alu instid0(VALU_DEP_1) | instskip(NEXT) | instid1(VALU_DEP_1)
	v_mul_lo_u32 v2, v2, s35
	v_sub_nc_u32_e32 v2, s85, v2
	s_delay_alu instid0(VALU_DEP_1) | instskip(SKIP_1) | instid1(VALU_DEP_2)
	v_subrev_nc_u32_e32 v3, s35, v2
	v_cmp_le_u32_e32 vcc_lo, s35, v2
	v_cndmask_b32_e32 v2, v2, v3, vcc_lo
	s_delay_alu instid0(VALU_DEP_1) | instskip(SKIP_1) | instid1(VALU_DEP_2)
	v_subrev_nc_u32_e32 v3, s35, v2
	v_cmp_le_u32_e32 vcc_lo, s35, v2
	v_cndmask_b32_e32 v12, v2, v3, vcc_lo
	s_delay_alu instid0(VALU_DEP_1)
	v_dual_mov_b32 v2, v12 :: v_dual_mov_b32 v3, v13
.LBB142_266:                            ;   in Loop: Header=BB142_33 Depth=1
	s_delay_alu instid0(VALU_DEP_1) | instskip(NEXT) | instid1(VALU_DEP_2)
	v_sub_co_u32 v2, vcc_lo, s85, v2
	v_sub_co_ci_u32_e32 v3, vcc_lo, s69, v3, vcc_lo
	s_mov_b32 s23, 0
	s_mov_b32 s5, exec_lo
                                        ; implicit-def: $vgpr28
	s_delay_alu instid0(VALU_DEP_1)
	v_cmpx_gt_u64_e64 v[2:3], v[0:1]
	s_cbranch_execz .LBB142_275
; %bb.267:                              ;   in Loop: Header=BB142_33 Depth=1
	v_dual_mov_b32 v5, v1 :: v_dual_mov_b32 v4, v0
	s_mov_b32 s8, 0
                                        ; implicit-def: $sgpr9
	s_branch .LBB142_269
.LBB142_268:                            ;   in Loop: Header=BB142_269 Depth=2
	s_or_b32 exec_lo, exec_lo, s4
	s_waitcnt vmcnt(0) lgkmcnt(0)
	s_barrier
	buffer_gl0_inv
	ds_load_b32 v6, v13 offset:3072
	v_add_co_u32 v4, vcc_lo, v4, s35
	v_add_co_ci_u32_e32 v5, vcc_lo, 0, v5, vcc_lo
	s_waitcnt lgkmcnt(0)
	s_barrier
	buffer_gl0_inv
	v_cmp_ge_u64_e32 vcc_lo, v[4:5], v[2:3]
	v_and_b32_e32 v7, 0x7fff, v6
	s_delay_alu instid0(VALU_DEP_1) | instskip(NEXT) | instid1(VALU_DEP_1)
	v_cmp_ne_u16_e64 s4, 0, v7
	s_or_b32 s18, vcc_lo, s4
	s_delay_alu instid0(SALU_CYCLE_1) | instskip(NEXT) | instid1(SALU_CYCLE_1)
	s_and_b32 s18, exec_lo, s18
	s_or_b32 s8, s18, s8
	s_and_not1_b32 s9, s9, exec_lo
	s_and_b32 s4, s4, exec_lo
	s_delay_alu instid0(SALU_CYCLE_1)
	s_or_b32 s9, s9, s4
	s_and_not1_b32 exec_lo, exec_lo, s8
	s_cbranch_execz .LBB142_274
.LBB142_269:                            ;   Parent Loop BB142_33 Depth=1
                                        ; =>  This Inner Loop Header: Depth=2
	s_delay_alu instid0(VALU_DEP_1)
	v_cmp_gt_u64_e32 vcc_lo, s[24:25], v[4:5]
	v_mov_b32_e32 v6, 0
	s_and_saveexec_b32 s18, vcc_lo
	s_cbranch_execz .LBB142_271
; %bb.270:                              ;   in Loop: Header=BB142_269 Depth=2
	v_mul_lo_u32 v8, v5, s50
	v_mul_lo_u32 v9, v4, s51
	v_mad_u64_u32 v[6:7], null, v4, s50, 0
	s_delay_alu instid0(VALU_DEP_1) | instskip(NEXT) | instid1(VALU_DEP_1)
	v_add3_u32 v7, v7, v9, v8
	v_lshlrev_b64 v[6:7], 1, v[6:7]
	s_delay_alu instid0(VALU_DEP_1) | instskip(NEXT) | instid1(VALU_DEP_1)
	v_add_co_u32 v6, s4, s27, v6
	v_add_co_ci_u32_e64 v7, s4, s33, v7, s4
	global_load_u16 v6, v[6:7], off
.LBB142_271:                            ;   in Loop: Header=BB142_269 Depth=2
	s_or_b32 exec_lo, exec_lo, s18
	s_and_saveexec_b32 s4, vcc_lo
	s_cbranch_execz .LBB142_268
; %bb.272:                              ;   in Loop: Header=BB142_269 Depth=2
	s_waitcnt vmcnt(0)
	v_cmp_lt_i16_e32 vcc_lo, -1, v6
	v_and_b32_e32 v7, 0xffff, v6
	v_dual_cndmask_b32 v8, 0xffff, v27 :: v_dual_lshlrev_b32 v9, 16, v6
	s_delay_alu instid0(VALU_DEP_1) | instskip(NEXT) | instid1(VALU_DEP_2)
	v_cmp_o_f32_e32 vcc_lo, v9, v9
	v_xor_b32_e32 v7, v8, v7
	s_delay_alu instid0(VALU_DEP_1) | instskip(NEXT) | instid1(VALU_DEP_1)
	v_cndmask_b32_e32 v7, 0xffff, v7, vcc_lo
	v_and_b32_e32 v7, s103, v7
	s_delay_alu instid0(VALU_DEP_1)
	v_cmp_eq_u32_e32 vcc_lo, s102, v7
	s_and_b32 exec_lo, exec_lo, vcc_lo
	s_cbranch_execz .LBB142_268
; %bb.273:                              ;   in Loop: Header=BB142_269 Depth=2
	v_perm_b32 v6, v6, s92, 0x5040100
	ds_store_b32 v13, v6 offset:3072
	s_branch .LBB142_268
.LBB142_274:                            ;   in Loop: Header=BB142_33 Depth=1
	s_or_b32 exec_lo, exec_lo, s8
	v_lshrrev_b32_e32 v28, 16, v6
	s_and_b32 s23, s9, exec_lo
.LBB142_275:                            ;   in Loop: Header=BB142_33 Depth=1
	s_or_b32 exec_lo, exec_lo, s5
	s_mov_b32 s18, -1
	s_mov_b32 s8, 0
	s_mov_b32 s9, 0
.LBB142_276:                            ;   in Loop: Header=BB142_33 Depth=1
	s_mov_b32 s72, 0
                                        ; implicit-def: $sgpr66
                                        ; implicit-def: $sgpr4_sgpr5
	s_and_saveexec_b32 s68, s23
	s_cbranch_execz .LBB142_289
; %bb.277:                              ;   in Loop: Header=BB142_33 Depth=1
	s_xor_b32 s17, s17, -1
	s_mov_b64 s[4:5], 1
	s_and_not1_b32 vcc_lo, exec_lo, s17
	s_mov_b32 s66, 1
	s_cbranch_vccnz .LBB142_288
; %bb.278:                              ;   in Loop: Header=BB142_33 Depth=1
	v_cmp_gt_u64_e64 s4, s[64:65], s[6:7]
	s_delay_alu instid0(VALU_DEP_1)
	s_and_b32 vcc_lo, exec_lo, s4
	s_cbranch_vccnz .LBB142_284
; %bb.279:                              ;   in Loop: Header=BB142_33 Depth=1
	ds_load_b64 v[2:3], v13 offset:5120
	s_waitcnt lgkmcnt(0)
	v_cmp_ne_u64_e32 vcc_lo, 0, v[2:3]
	s_cbranch_vccnz .LBB142_283
; %bb.280:                              ;   in Loop: Header=BB142_33 Depth=1
	s_and_saveexec_b32 s4, s3
	s_cbranch_execz .LBB142_282
; %bb.281:                              ;   in Loop: Header=BB142_33 Depth=1
	v_dual_mov_b32 v2, s6 :: v_dual_mov_b32 v3, s7
	ds_store_b64 v13, v[2:3] offset:5128
.LBB142_282:                            ;   in Loop: Header=BB142_33 Depth=1
	s_or_b32 exec_lo, exec_lo, s4
	s_waitcnt lgkmcnt(0)
	s_barrier
	buffer_gl0_inv
.LBB142_283:                            ;   in Loop: Header=BB142_33 Depth=1
	s_or_b32 s17, s102, s16
	s_or_b32 s16, s103, s16
	s_mov_b32 s4, 0
	s_mov_b32 s66, 8
	s_branch .LBB142_285
.LBB142_284:                            ;   in Loop: Header=BB142_33 Depth=1
	s_mov_b32 s4, -1
                                        ; implicit-def: $sgpr66
                                        ; implicit-def: $sgpr17
                                        ; implicit-def: $sgpr16
.LBB142_285:                            ;   in Loop: Header=BB142_33 Depth=1
	s_delay_alu instid0(SALU_CYCLE_1)
	s_and_not1_b32 vcc_lo, exec_lo, s4
	s_cbranch_vccnz .LBB142_287
; %bb.286:                              ;   in Loop: Header=BB142_33 Depth=1
	s_sub_u32 s64, s64, s6
	s_subb_u32 s65, s65, s7
	s_mov_b32 s66, 8
	s_mov_b32 s17, s102
	;; [unrolled: 1-line block ×3, first 2 shown]
.LBB142_287:                            ;   in Loop: Header=BB142_33 Depth=1
	s_mov_b64 s[4:5], s[64:65]
	s_mov_b32 s102, s17
	s_mov_b32 s103, s16
.LBB142_288:                            ;   in Loop: Header=BB142_33 Depth=1
	s_mov_b32 s72, exec_lo
.LBB142_289:                            ;   in Loop: Header=BB142_33 Depth=1
	s_or_b32 exec_lo, exec_lo, s68
	s_mov_b64 s[64:65], s[4:5]
.LBB142_290:                            ;   in Loop: Header=BB142_33 Depth=1
	s_and_not1_b32 s4, s10, exec_lo
	s_and_b32 s5, s8, exec_lo
	s_and_not1_b32 s6, s11, exec_lo
	s_or_b32 s10, s4, s5
	s_and_not1_b32 s4, s21, exec_lo
	s_and_b32 s5, s18, exec_lo
	s_and_b32 s7, s9, exec_lo
	s_or_b32 s21, s4, s5
	s_or_b32 s11, s6, s7
	s_and_b32 s5, s72, exec_lo
.LBB142_291:                            ;   in Loop: Header=BB142_33 Depth=1
	s_or_b32 exec_lo, exec_lo, s22
.LBB142_292:                            ;   in Loop: Header=BB142_33 Depth=1
	s_delay_alu instid0(SALU_CYCLE_1)
	s_and_not1_b32 s4, s13, exec_lo
	s_and_b32 s6, s10, exec_lo
	s_and_not1_b32 s7, s12, exec_lo
	s_or_b32 s13, s4, s6
	s_and_not1_b32 s4, s19, exec_lo
	s_and_b32 s6, s21, exec_lo
	s_and_b32 s8, s11, exec_lo
	s_or_b32 s19, s4, s6
	s_or_b32 s12, s7, s8
	s_and_b32 s5, s5, exec_lo
.LBB142_293:                            ;   in Loop: Header=BB142_33 Depth=1
	s_or_b32 exec_lo, exec_lo, s20
	s_and_saveexec_b32 s4, s5
	s_delay_alu instid0(SALU_CYCLE_1)
	s_xor_b32 s4, exec_lo, s4
	s_cbranch_execz .LBB142_31
.LBB142_294:                            ;   in Loop: Header=BB142_33 Depth=1
	s_and_b32 s5, s66, -9
	s_delay_alu instid0(SALU_CYCLE_1)
	s_cmp_eq_u32 s5, 0
	s_cbranch_scc1 .LBB142_29
; %bb.295:                              ;   in Loop: Header=BB142_33 Depth=1
	s_mov_b32 s5, -1
	s_mov_b32 s6, -1
                                        ; implicit-def: $sgpr103
                                        ; implicit-def: $sgpr64_sgpr65
                                        ; implicit-def: $sgpr97
                                        ; implicit-def: $sgpr100
	s_branch .LBB142_30
.LBB142_296:                            ;   in Loop: Header=BB142_33 Depth=1
                                        ; implicit-def: $vgpr2_vgpr3
	s_branch .LBB142_248
.LBB142_297:                            ;   in Loop: Header=BB142_33 Depth=1
                                        ; implicit-def: $vgpr2_vgpr3
	s_branch .LBB142_265
.LBB142_298:
	s_or_b32 exec_lo, exec_lo, s93
	s_xor_b32 s3, s96, -1
	s_xor_b32 s1, s94, -1
	;; [unrolled: 1-line block ×3, first 2 shown]
	s_mov_b32 s0, 0
	s_and_saveexec_b32 s5, s1
	s_delay_alu instid0(SALU_CYCLE_1)
	s_xor_b32 s1, exec_lo, s5
	s_cbranch_execz .LBB142_312
; %bb.299:
	s_and_saveexec_b32 s0, s3
	s_delay_alu instid0(SALU_CYCLE_1)
	s_xor_b32 s3, exec_lo, s0
	s_cbranch_execz .LBB142_310
; %bb.300:
	s_and_saveexec_b32 s0, s4
	s_delay_alu instid0(SALU_CYCLE_1)
	s_xor_b32 s0, exec_lo, s0
; %bb.301:
	v_and_b32_e32 v3, 0x8000, v2
	v_mov_b32_e32 v4, 0xffff
	s_delay_alu instid0(VALU_DEP_2) | instskip(NEXT) | instid1(VALU_DEP_2)
	v_cmp_eq_u32_e32 vcc_lo, 0, v3
	v_cndmask_b32_e32 v3, 0x8000, v4, vcc_lo
	s_delay_alu instid0(VALU_DEP_1)
	v_xor_b32_e32 v28, v3, v2
; %bb.302:
	s_or_b32 exec_lo, exec_lo, s0
	s_mul_i32 s0, s52, s37
	s_mul_hi_u32 s4, s52, s36
	s_mul_i32 s5, s52, s36
	s_add_i32 s4, s4, s0
	s_sub_u32 s0, s54, s5
	s_subb_u32 s4, s55, s4
	s_mul_i32 s5, s0, s47
	s_mul_hi_u32 s6, s0, s46
	s_mul_i32 s4, s4, s46
	s_add_i32 s5, s6, s5
	s_mul_i32 s6, s52, s45
	s_mul_hi_u32 s7, s52, s44
	s_add_i32 s5, s5, s4
	s_mul_i32 s4, s0, s46
	s_add_i32 s7, s7, s6
	s_mul_i32 s0, s54, s39
	s_mul_hi_u32 s6, s54, s38
	s_mul_i32 s8, s54, s38
	s_add_i32 s0, s6, s0
	s_sub_u32 s8, s34, s8
	s_subb_u32 s0, 0, s0
	s_mul_i32 s9, s8, s61
	s_mul_hi_u32 s10, s8, s60
	s_mul_i32 s6, s52, s44
	s_add_i32 s9, s10, s9
	s_mul_i32 s0, s0, s60
	s_lshl_b64 s[6:7], s[6:7], 1
	s_add_i32 s9, s9, s0
	s_add_u32 s0, s62, s6
	s_addc_u32 s6, s63, s7
	s_lshl_b64 s[4:5], s[4:5], 1
	s_mul_i32 s8, s8, s60
	s_add_u32 s0, s0, s4
	s_addc_u32 s6, s6, s5
	s_lshl_b64 s[4:5], s[8:9], 1
	v_mov_b32_e32 v2, 0
	s_add_u32 s4, s0, s4
	s_addc_u32 s5, s6, s5
	global_store_b16 v2, v28, s[4:5]
	s_and_saveexec_b32 s4, s2
	s_cbranch_execz .LBB142_309
; %bb.303:
	v_lshlrev_b32_e32 v4, 16, v28
	s_mov_b32 s2, 0
                                        ; implicit-def: $sgpr5
                                        ; implicit-def: $sgpr8
                                        ; implicit-def: $sgpr7
	s_delay_alu instid0(VALU_DEP_1)
	v_cmp_u_f32_e32 vcc_lo, v4, v4
	s_xor_b32 s6, vcc_lo, -1
	s_set_inst_prefetch_distance 0x1
	s_branch .LBB142_305
	.p2align	6
.LBB142_304:                            ;   in Loop: Header=BB142_305 Depth=1
	s_or_b32 exec_lo, exec_lo, s0
	s_delay_alu instid0(SALU_CYCLE_1) | instskip(NEXT) | instid1(SALU_CYCLE_1)
	s_and_b32 s0, exec_lo, s8
	s_or_b32 s2, s0, s2
	s_and_not1_b32 s0, s5, exec_lo
	s_and_b32 s5, s7, exec_lo
	s_delay_alu instid0(SALU_CYCLE_1)
	s_or_b32 s5, s0, s5
	s_and_not1_b32 exec_lo, exec_lo, s2
	s_cbranch_execz .LBB142_307
.LBB142_305:                            ; =>This Inner Loop Header: Depth=1
	v_dual_mov_b32 v3, v1 :: v_dual_mov_b32 v2, v0
	s_or_b32 s7, s7, exec_lo
	s_or_b32 s8, s8, exec_lo
	s_delay_alu instid0(VALU_DEP_1) | instskip(NEXT) | instid1(VALU_DEP_2)
	v_mul_lo_u32 v5, v3, s50
	v_mul_lo_u32 v6, v2, s51
	v_mad_u64_u32 v[0:1], null, v2, s50, 0
	s_delay_alu instid0(VALU_DEP_1) | instskip(NEXT) | instid1(VALU_DEP_1)
	v_add3_u32 v1, v1, v6, v5
	v_lshlrev_b64 v[0:1], 1, v[0:1]
	s_delay_alu instid0(VALU_DEP_1) | instskip(NEXT) | instid1(VALU_DEP_2)
	v_add_co_u32 v0, vcc_lo, s27, v0
	v_add_co_ci_u32_e32 v1, vcc_lo, s33, v1, vcc_lo
	global_load_u16 v0, v[0:1], off
	s_waitcnt vmcnt(0)
	v_lshlrev_b32_e32 v0, 16, v0
	s_delay_alu instid0(VALU_DEP_1)
	v_cmp_o_f32_e32 vcc_lo, v0, v0
	v_cmp_neq_f32_e64 s0, v0, v4
                                        ; implicit-def: $vgpr0_vgpr1
	s_or_b32 s9, s6, vcc_lo
	s_delay_alu instid0(VALU_DEP_1) | instid1(SALU_CYCLE_1)
	s_and_b32 s9, s0, s9
	s_delay_alu instid0(SALU_CYCLE_1)
	s_and_saveexec_b32 s0, s9
	s_cbranch_execz .LBB142_304
; %bb.306:                              ;   in Loop: Header=BB142_305 Depth=1
	v_add_co_u32 v0, vcc_lo, v2, s35
	v_add_co_ci_u32_e32 v1, vcc_lo, 0, v3, vcc_lo
	s_and_not1_b32 s8, s8, exec_lo
	s_and_not1_b32 s7, s7, exec_lo
	s_delay_alu instid0(VALU_DEP_1) | instskip(SKIP_1) | instid1(SALU_CYCLE_1)
	v_cmp_le_u64_e32 vcc_lo, s[24:25], v[0:1]
	s_and_b32 s9, vcc_lo, exec_lo
	s_or_b32 s8, s8, s9
	s_branch .LBB142_304
.LBB142_307:
	s_set_inst_prefetch_distance 0x2
	s_or_b32 exec_lo, exec_lo, s2
	s_and_saveexec_b32 s0, s5
	s_delay_alu instid0(SALU_CYCLE_1)
	s_xor_b32 s0, exec_lo, s0
	s_cbranch_execz .LBB142_309
; %bb.308:
	s_mul_i32 s0, s26, s29
	s_mul_hi_u32 s2, s26, s28
	s_mul_i32 s5, s26, s28
	s_add_i32 s2, s2, s0
	s_sub_u32 s0, s48, s5
	s_subb_u32 s2, s49, s2
	s_mul_i32 s5, s0, s43
	s_mul_hi_u32 s6, s0, s42
	s_mul_i32 s2, s2, s42
	s_add_i32 s5, s6, s5
	s_mul_i32 s6, s0, s42
	s_add_i32 s7, s5, s2
	s_mul_i32 s2, s26, s41
	s_mul_hi_u32 s5, s26, s40
	s_mul_i32 s0, s48, s31
	s_add_i32 s9, s5, s2
	s_mul_hi_u32 s2, s48, s30
	s_mul_i32 s5, s48, s30
	s_add_i32 s2, s2, s0
	s_sub_u32 s0, s34, s5
	s_subb_u32 s2, 0, s2
	s_mul_i32 s5, s0, s57
	s_mul_hi_u32 s10, s0, s56
	s_mul_i32 s8, s26, s40
	s_add_i32 s5, s10, s5
	s_mul_i32 s2, s2, s56
	s_lshl_b64 s[8:9], s[8:9], 3
	s_add_i32 s11, s5, s2
	s_add_u32 s2, s58, s8
	s_addc_u32 s5, s59, s9
	s_lshl_b64 s[6:7], s[6:7], 3
	s_mul_i32 s10, s0, s56
	s_add_u32 s0, s2, s6
	s_addc_u32 s2, s5, s7
	s_lshl_b64 s[6:7], s[10:11], 3
	v_mov_b32_e32 v0, 0
	s_add_u32 s6, s0, s6
	s_addc_u32 s7, s2, s7
	global_store_b64 v0, v[2:3], s[6:7]
.LBB142_309:
	s_or_b32 exec_lo, exec_lo, s4
.LBB142_310:
	s_or_saveexec_b32 s0, s3
	s_mov_b32 s2, 0
	s_xor_b32 exec_lo, exec_lo, s0
	s_cbranch_execnz .LBB142_318
.LBB142_311:
	s_or_b32 exec_lo, exec_lo, s0
	s_delay_alu instid0(SALU_CYCLE_1)
	s_and_b32 s0, s2, exec_lo
.LBB142_312:
	s_and_not1_saveexec_b32 s1, s1
	s_cbranch_execnz .LBB142_316
; %bb.313:
	s_or_b32 exec_lo, exec_lo, s1
	s_and_saveexec_b32 s1, s0
.LBB142_314:
	; divergent unreachable
.LBB142_315:
	s_nop 0
	s_sendmsg sendmsg(MSG_DEALLOC_VGPRS)
	s_endpgm
.LBB142_316:
	s_cbranch_execnz .LBB142_320
; %bb.317:
	s_or_b32 s0, s0, exec_lo
	s_or_b32 exec_lo, exec_lo, s1
	s_and_saveexec_b32 s1, s0
	s_cbranch_execnz .LBB142_314
	s_branch .LBB142_315
.LBB142_318:
	s_cbranch_execnz .LBB142_322
; %bb.319:
	s_mov_b32 s2, exec_lo
	s_branch .LBB142_311
.LBB142_320:
	s_trap 2
	s_sendmsg_rtn_b32 s0, sendmsg(MSG_RTN_GET_DOORBELL)
	s_mov_b32 ttmp2, m0
	s_waitcnt lgkmcnt(0)
	s_and_b32 s0, s0, 0x3ff
	s_delay_alu instid0(SALU_CYCLE_1) | instskip(NEXT) | instid1(SALU_CYCLE_1)
	s_bitset1_b32 s0, 10
	s_mov_b32 m0, s0
	s_sendmsg sendmsg(MSG_INTERRUPT)
	s_mov_b32 m0, ttmp2
.LBB142_321:                            ; =>This Inner Loop Header: Depth=1
	s_sethalt 5
	s_branch .LBB142_321
.LBB142_322:
	s_trap 2
	s_sendmsg_rtn_b32 s0, sendmsg(MSG_RTN_GET_DOORBELL)
	s_mov_b32 ttmp2, m0
	s_waitcnt lgkmcnt(0)
	s_and_b32 s0, s0, 0x3ff
	s_delay_alu instid0(SALU_CYCLE_1) | instskip(NEXT) | instid1(SALU_CYCLE_1)
	s_bitset1_b32 s0, 10
	s_mov_b32 m0, s0
	s_sendmsg sendmsg(MSG_INTERRUPT)
	s_mov_b32 m0, ttmp2
.LBB142_323:                            ; =>This Inner Loop Header: Depth=1
	s_sethalt 5
	s_branch .LBB142_323
	.section	.rodata,"a",@progbits
	.p2align	6, 0x0
	.amdhsa_kernel _ZN2at6native12_GLOBAL__N_112gatherMedianIN3c108BFloat16EmLi3EEEvNS_4cuda6detail10TensorInfoIT_T0_EENS7_IlS9_EENS7_IKS8_S9_EES9_S9_S9_b
		.amdhsa_group_segment_fixed_size 5152
		.amdhsa_private_segment_fixed_size 0
		.amdhsa_kernarg_size 1536
		.amdhsa_user_sgpr_count 13
		.amdhsa_user_sgpr_dispatch_ptr 0
		.amdhsa_user_sgpr_queue_ptr 0
		.amdhsa_user_sgpr_kernarg_segment_ptr 1
		.amdhsa_user_sgpr_dispatch_id 0
		.amdhsa_user_sgpr_private_segment_size 0
		.amdhsa_wavefront_size32 1
		.amdhsa_uses_dynamic_stack 0
		.amdhsa_enable_private_segment 0
		.amdhsa_system_sgpr_workgroup_id_x 1
		.amdhsa_system_sgpr_workgroup_id_y 1
		.amdhsa_system_sgpr_workgroup_id_z 1
		.amdhsa_system_sgpr_workgroup_info 0
		.amdhsa_system_vgpr_workitem_id 0
		.amdhsa_next_free_vgpr 33
		.amdhsa_next_free_sgpr 105
		.amdhsa_reserve_vcc 1
		.amdhsa_float_round_mode_32 0
		.amdhsa_float_round_mode_16_64 0
		.amdhsa_float_denorm_mode_32 3
		.amdhsa_float_denorm_mode_16_64 3
		.amdhsa_dx10_clamp 1
		.amdhsa_ieee_mode 1
		.amdhsa_fp16_overflow 0
		.amdhsa_workgroup_processor_mode 1
		.amdhsa_memory_ordered 1
		.amdhsa_forward_progress 0
		.amdhsa_shared_vgpr_count 0
		.amdhsa_exception_fp_ieee_invalid_op 0
		.amdhsa_exception_fp_denorm_src 0
		.amdhsa_exception_fp_ieee_div_zero 0
		.amdhsa_exception_fp_ieee_overflow 0
		.amdhsa_exception_fp_ieee_underflow 0
		.amdhsa_exception_fp_ieee_inexact 0
		.amdhsa_exception_int_div_zero 0
	.end_amdhsa_kernel
	.section	.text._ZN2at6native12_GLOBAL__N_112gatherMedianIN3c108BFloat16EmLi3EEEvNS_4cuda6detail10TensorInfoIT_T0_EENS7_IlS9_EENS7_IKS8_S9_EES9_S9_S9_b,"axG",@progbits,_ZN2at6native12_GLOBAL__N_112gatherMedianIN3c108BFloat16EmLi3EEEvNS_4cuda6detail10TensorInfoIT_T0_EENS7_IlS9_EENS7_IKS8_S9_EES9_S9_S9_b,comdat
.Lfunc_end142:
	.size	_ZN2at6native12_GLOBAL__N_112gatherMedianIN3c108BFloat16EmLi3EEEvNS_4cuda6detail10TensorInfoIT_T0_EENS7_IlS9_EENS7_IKS8_S9_EES9_S9_S9_b, .Lfunc_end142-_ZN2at6native12_GLOBAL__N_112gatherMedianIN3c108BFloat16EmLi3EEEvNS_4cuda6detail10TensorInfoIT_T0_EENS7_IlS9_EENS7_IKS8_S9_EES9_S9_S9_b
                                        ; -- End function
	.section	.AMDGPU.csdata,"",@progbits
; Kernel info:
; codeLenInByte = 19020
; NumSgprs: 107
; NumVgprs: 33
; ScratchSize: 0
; MemoryBound: 0
; FloatMode: 240
; IeeeMode: 1
; LDSByteSize: 5152 bytes/workgroup (compile time only)
; SGPRBlocks: 13
; VGPRBlocks: 4
; NumSGPRsForWavesPerEU: 107
; NumVGPRsForWavesPerEU: 33
; Occupancy: 16
; WaveLimiterHint : 1
; COMPUTE_PGM_RSRC2:SCRATCH_EN: 0
; COMPUTE_PGM_RSRC2:USER_SGPR: 13
; COMPUTE_PGM_RSRC2:TRAP_HANDLER: 0
; COMPUTE_PGM_RSRC2:TGID_X_EN: 1
; COMPUTE_PGM_RSRC2:TGID_Y_EN: 1
; COMPUTE_PGM_RSRC2:TGID_Z_EN: 1
; COMPUTE_PGM_RSRC2:TIDIG_COMP_CNT: 0
	.section	.text._ZN2at6native12_GLOBAL__N_112gatherMedianIN3c108BFloat16EmLin1EEEvNS_4cuda6detail10TensorInfoIT_T0_EENS7_IlS9_EENS7_IKS8_S9_EES9_S9_S9_b,"axG",@progbits,_ZN2at6native12_GLOBAL__N_112gatherMedianIN3c108BFloat16EmLin1EEEvNS_4cuda6detail10TensorInfoIT_T0_EENS7_IlS9_EENS7_IKS8_S9_EES9_S9_S9_b,comdat
	.globl	_ZN2at6native12_GLOBAL__N_112gatherMedianIN3c108BFloat16EmLin1EEEvNS_4cuda6detail10TensorInfoIT_T0_EENS7_IlS9_EENS7_IKS8_S9_EES9_S9_S9_b ; -- Begin function _ZN2at6native12_GLOBAL__N_112gatherMedianIN3c108BFloat16EmLin1EEEvNS_4cuda6detail10TensorInfoIT_T0_EENS7_IlS9_EENS7_IKS8_S9_EES9_S9_S9_b
	.p2align	8
	.type	_ZN2at6native12_GLOBAL__N_112gatherMedianIN3c108BFloat16EmLin1EEEvNS_4cuda6detail10TensorInfoIT_T0_EENS7_IlS9_EENS7_IKS8_S9_EES9_S9_S9_b,@function
_ZN2at6native12_GLOBAL__N_112gatherMedianIN3c108BFloat16EmLin1EEEvNS_4cuda6detail10TensorInfoIT_T0_EENS7_IlS9_EENS7_IKS8_S9_EES9_S9_S9_b: ; @_ZN2at6native12_GLOBAL__N_112gatherMedianIN3c108BFloat16EmLin1EEEvNS_4cuda6detail10TensorInfoIT_T0_EENS7_IlS9_EENS7_IKS8_S9_EES9_S9_S9_b
; %bb.0:
	s_clause 0x1
	s_load_b64 s[6:7], s[0:1], 0x500
	s_load_b128 s[24:27], s[0:1], 0x4e0
	s_add_u32 s8, s0, 0x500
	s_addc_u32 s9, s1, 0
	s_mov_b32 s3, 0
	s_waitcnt lgkmcnt(0)
	s_mul_i32 s2, s7, s15
	s_delay_alu instid0(SALU_CYCLE_1) | instskip(NEXT) | instid1(SALU_CYCLE_1)
	s_add_i32 s2, s2, s14
	s_mul_i32 s2, s2, s6
	s_delay_alu instid0(SALU_CYCLE_1) | instskip(NEXT) | instid1(SALU_CYCLE_1)
	s_add_i32 s2, s2, s13
	v_cmp_ge_u64_e64 s4, s[2:3], s[26:27]
	s_delay_alu instid0(VALU_DEP_1)
	s_and_b32 vcc_lo, exec_lo, s4
	s_cbranch_vccnz .LBB143_328
; %bb.1:
	s_clause 0x1
	s_load_b32 s5, s[0:1], 0x198
	s_load_b64 s[28:29], s[0:1], 0x4f0
	s_mov_b64 s[26:27], 0
	s_mov_b64 s[34:35], s[2:3]
	s_waitcnt lgkmcnt(0)
	s_cmp_lt_i32 s5, 2
	s_cbranch_scc1 .LBB143_9
; %bb.2:
	s_mov_b32 s4, 0
	s_add_i32 s10, s5, -1
	s_mov_b32 s11, s4
	s_add_i32 s7, s5, 1
	s_lshl_b64 s[10:11], s[10:11], 3
	s_mov_b64 s[14:15], s[2:3]
	s_add_u32 s5, s10, s0
	s_addc_u32 s11, s11, s1
	s_add_u32 s10, s5, 8
	s_addc_u32 s11, s11, 0
.LBB143_3:                              ; =>This Inner Loop Header: Depth=1
	s_load_b64 s[16:17], s[10:11], 0x0
                                        ; implicit-def: $sgpr34_sgpr35
	s_waitcnt lgkmcnt(0)
	s_or_b64 s[18:19], s[14:15], s[16:17]
	s_delay_alu instid0(SALU_CYCLE_1) | instskip(NEXT) | instid1(SALU_CYCLE_1)
	s_mov_b32 s5, s19
	s_cmp_lg_u64 s[4:5], 0
	s_mov_b32 s5, -1
	s_cbranch_scc0 .LBB143_5
; %bb.4:                                ;   in Loop: Header=BB143_3 Depth=1
	v_cvt_f32_u32_e32 v1, s16
	v_cvt_f32_u32_e32 v2, s17
	s_sub_u32 s18, 0, s16
	s_subb_u32 s19, 0, s17
	s_waitcnt_depctr 0xfff
	v_fmac_f32_e32 v1, 0x4f800000, v2
	s_delay_alu instid0(VALU_DEP_1) | instskip(SKIP_2) | instid1(VALU_DEP_1)
	v_rcp_f32_e32 v1, v1
	s_waitcnt_depctr 0xfff
	v_mul_f32_e32 v1, 0x5f7ffffc, v1
	v_mul_f32_e32 v2, 0x2f800000, v1
	s_delay_alu instid0(VALU_DEP_1) | instskip(NEXT) | instid1(VALU_DEP_1)
	v_trunc_f32_e32 v2, v2
	v_fmac_f32_e32 v1, 0xcf800000, v2
	v_cvt_u32_f32_e32 v2, v2
	s_delay_alu instid0(VALU_DEP_2) | instskip(NEXT) | instid1(VALU_DEP_2)
	v_cvt_u32_f32_e32 v1, v1
	v_readfirstlane_b32 s5, v2
	s_delay_alu instid0(VALU_DEP_2) | instskip(NEXT) | instid1(VALU_DEP_2)
	v_readfirstlane_b32 s12, v1
	s_mul_i32 s20, s18, s5
	s_delay_alu instid0(VALU_DEP_1)
	s_mul_hi_u32 s22, s18, s12
	s_mul_i32 s21, s19, s12
	s_add_i32 s20, s22, s20
	s_mul_i32 s23, s18, s12
	s_add_i32 s20, s20, s21
	s_mul_hi_u32 s22, s12, s23
	s_mul_hi_u32 s30, s5, s23
	s_mul_i32 s21, s5, s23
	s_mul_hi_u32 s23, s12, s20
	s_mul_i32 s12, s12, s20
	s_mul_hi_u32 s31, s5, s20
	s_add_u32 s12, s22, s12
	s_addc_u32 s22, 0, s23
	s_add_u32 s12, s12, s21
	s_mul_i32 s20, s5, s20
	s_addc_u32 s12, s22, s30
	s_addc_u32 s21, s31, 0
	s_add_u32 s12, s12, s20
	s_addc_u32 s20, 0, s21
	v_add_co_u32 v1, s12, v1, s12
	s_delay_alu instid0(VALU_DEP_1) | instskip(SKIP_1) | instid1(VALU_DEP_1)
	s_cmp_lg_u32 s12, 0
	s_addc_u32 s5, s5, s20
	v_readfirstlane_b32 s12, v1
	s_mul_i32 s20, s18, s5
	s_delay_alu instid0(VALU_DEP_1)
	s_mul_hi_u32 s21, s18, s12
	s_mul_i32 s19, s19, s12
	s_add_i32 s20, s21, s20
	s_mul_i32 s18, s18, s12
	s_add_i32 s20, s20, s19
	s_mul_hi_u32 s21, s5, s18
	s_mul_i32 s22, s5, s18
	s_mul_hi_u32 s18, s12, s18
	s_mul_hi_u32 s23, s12, s20
	s_mul_i32 s12, s12, s20
	s_mul_hi_u32 s19, s5, s20
	s_add_u32 s12, s18, s12
	s_addc_u32 s18, 0, s23
	s_add_u32 s12, s12, s22
	s_mul_i32 s20, s5, s20
	s_addc_u32 s12, s18, s21
	s_addc_u32 s18, s19, 0
	s_add_u32 s12, s12, s20
	s_addc_u32 s18, 0, s18
	v_add_co_u32 v1, s12, v1, s12
	s_delay_alu instid0(VALU_DEP_1) | instskip(SKIP_1) | instid1(VALU_DEP_1)
	s_cmp_lg_u32 s12, 0
	s_addc_u32 s5, s5, s18
	v_readfirstlane_b32 s12, v1
	s_mul_i32 s19, s14, s5
	s_mul_hi_u32 s18, s14, s5
	s_mul_hi_u32 s20, s15, s5
	s_mul_i32 s5, s15, s5
	s_mul_hi_u32 s21, s14, s12
	s_mul_hi_u32 s22, s15, s12
	s_mul_i32 s12, s15, s12
	s_add_u32 s19, s21, s19
	s_addc_u32 s18, 0, s18
	s_add_u32 s12, s19, s12
	s_addc_u32 s12, s18, s22
	s_addc_u32 s18, s20, 0
	s_add_u32 s12, s12, s5
	s_addc_u32 s18, 0, s18
	s_mul_hi_u32 s5, s16, s12
	s_mul_i32 s20, s16, s18
	s_mul_i32 s21, s16, s12
	s_add_i32 s5, s5, s20
	v_sub_co_u32 v1, s20, s14, s21
	s_mul_i32 s19, s17, s12
	s_delay_alu instid0(SALU_CYCLE_1) | instskip(NEXT) | instid1(VALU_DEP_1)
	s_add_i32 s5, s5, s19
	v_sub_co_u32 v2, s21, v1, s16
	s_sub_i32 s19, s15, s5
	s_cmp_lg_u32 s20, 0
	s_subb_u32 s19, s19, s17
	s_cmp_lg_u32 s21, 0
	v_readfirstlane_b32 s21, v2
	s_subb_u32 s19, s19, 0
	s_delay_alu instid0(SALU_CYCLE_1) | instskip(SKIP_1) | instid1(VALU_DEP_1)
	s_cmp_ge_u32 s19, s17
	s_cselect_b32 s22, -1, 0
	s_cmp_ge_u32 s21, s16
	s_cselect_b32 s21, -1, 0
	s_cmp_eq_u32 s19, s17
	s_cselect_b32 s19, s21, s22
	s_add_u32 s21, s12, 1
	s_addc_u32 s22, s18, 0
	s_add_u32 s23, s12, 2
	s_addc_u32 s30, s18, 0
	s_cmp_lg_u32 s19, 0
	s_cselect_b32 s19, s23, s21
	s_cselect_b32 s21, s30, s22
	s_cmp_lg_u32 s20, 0
	v_readfirstlane_b32 s20, v1
	s_subb_u32 s5, s15, s5
	s_delay_alu instid0(SALU_CYCLE_1) | instskip(SKIP_1) | instid1(VALU_DEP_1)
	s_cmp_ge_u32 s5, s17
	s_cselect_b32 s22, -1, 0
	s_cmp_ge_u32 s20, s16
	s_cselect_b32 s20, -1, 0
	s_cmp_eq_u32 s5, s17
	s_cselect_b32 s5, s20, s22
	s_delay_alu instid0(SALU_CYCLE_1)
	s_cmp_lg_u32 s5, 0
	s_mov_b32 s5, 0
	s_cselect_b32 s35, s21, s18
	s_cselect_b32 s34, s19, s12
.LBB143_5:                              ;   in Loop: Header=BB143_3 Depth=1
	s_and_not1_b32 vcc_lo, exec_lo, s5
	s_cbranch_vccnz .LBB143_7
; %bb.6:                                ;   in Loop: Header=BB143_3 Depth=1
	v_cvt_f32_u32_e32 v1, s16
	s_sub_i32 s12, 0, s16
	s_mov_b32 s35, s4
	s_waitcnt_depctr 0xfff
	v_rcp_iflag_f32_e32 v1, v1
	s_waitcnt_depctr 0xfff
	v_mul_f32_e32 v1, 0x4f7ffffe, v1
	s_delay_alu instid0(VALU_DEP_1) | instskip(NEXT) | instid1(VALU_DEP_1)
	v_cvt_u32_f32_e32 v1, v1
	v_readfirstlane_b32 s5, v1
	s_delay_alu instid0(VALU_DEP_1) | instskip(NEXT) | instid1(SALU_CYCLE_1)
	s_mul_i32 s12, s12, s5
	s_mul_hi_u32 s12, s5, s12
	s_delay_alu instid0(SALU_CYCLE_1) | instskip(NEXT) | instid1(SALU_CYCLE_1)
	s_add_i32 s5, s5, s12
	s_mul_hi_u32 s5, s14, s5
	s_delay_alu instid0(SALU_CYCLE_1) | instskip(SKIP_2) | instid1(SALU_CYCLE_1)
	s_mul_i32 s12, s5, s16
	s_add_i32 s18, s5, 1
	s_sub_i32 s12, s14, s12
	s_sub_i32 s19, s12, s16
	s_cmp_ge_u32 s12, s16
	s_cselect_b32 s5, s18, s5
	s_cselect_b32 s12, s19, s12
	s_add_i32 s18, s5, 1
	s_cmp_ge_u32 s12, s16
	s_cselect_b32 s34, s18, s5
.LBB143_7:                              ;   in Loop: Header=BB143_3 Depth=1
	s_load_b64 s[18:19], s[10:11], 0xc8
	s_mul_i32 s5, s34, s17
	s_mul_hi_u32 s12, s34, s16
	s_mul_i32 s17, s35, s16
	s_add_i32 s5, s12, s5
	s_mul_i32 s12, s34, s16
	s_add_i32 s5, s5, s17
	s_sub_u32 s12, s14, s12
	s_subb_u32 s5, s15, s5
	s_waitcnt lgkmcnt(0)
	s_mul_i32 s5, s18, s5
	s_mul_hi_u32 s14, s18, s12
	s_mul_i32 s15, s19, s12
	s_add_i32 s5, s14, s5
	s_mul_i32 s12, s18, s12
	s_add_i32 s5, s5, s15
	s_add_u32 s26, s12, s26
	s_addc_u32 s27, s5, s27
	s_add_i32 s7, s7, -1
	s_add_u32 s10, s10, -8
	s_addc_u32 s11, s11, -1
	s_cmp_gt_u32 s7, 2
	s_cbranch_scc0 .LBB143_9
; %bb.8:                                ;   in Loop: Header=BB143_3 Depth=1
	s_mov_b64 s[14:15], s[34:35]
	s_branch .LBB143_3
.LBB143_9:
	s_clause 0x1
	s_load_b32 s7, s[0:1], 0x338
	s_load_b64 s[36:37], s[0:1], 0xd0
	s_add_u32 s4, s0, 0x1a0
	s_addc_u32 s5, s1, 0
	s_mov_b64 s[30:31], 0
	s_mov_b64 s[38:39], s[2:3]
	s_waitcnt lgkmcnt(0)
	s_cmp_lt_i32 s7, 2
	s_cbranch_scc1 .LBB143_17
; %bb.10:
	s_mov_b32 s10, 0
	s_add_i32 s14, s7, -1
	s_mov_b32 s15, s10
	s_add_i32 s7, s7, 1
	s_lshl_b64 s[14:15], s[14:15], 3
	s_mov_b64 s[16:17], s[2:3]
	s_add_u32 s11, s14, s4
	s_addc_u32 s12, s15, s5
	s_add_u32 s14, s11, 8
	s_addc_u32 s15, s12, 0
.LBB143_11:                             ; =>This Inner Loop Header: Depth=1
	s_load_b64 s[18:19], s[14:15], 0x0
                                        ; implicit-def: $sgpr38_sgpr39
	s_waitcnt lgkmcnt(0)
	s_or_b64 s[20:21], s[16:17], s[18:19]
	s_delay_alu instid0(SALU_CYCLE_1) | instskip(NEXT) | instid1(SALU_CYCLE_1)
	s_mov_b32 s11, s21
	s_cmp_lg_u64 s[10:11], 0
	s_mov_b32 s11, -1
	s_cbranch_scc0 .LBB143_13
; %bb.12:                               ;   in Loop: Header=BB143_11 Depth=1
	v_cvt_f32_u32_e32 v1, s18
	v_cvt_f32_u32_e32 v2, s19
	s_sub_u32 s20, 0, s18
	s_subb_u32 s21, 0, s19
	s_waitcnt_depctr 0xfff
	v_fmac_f32_e32 v1, 0x4f800000, v2
	s_delay_alu instid0(VALU_DEP_1) | instskip(SKIP_2) | instid1(VALU_DEP_1)
	v_rcp_f32_e32 v1, v1
	s_waitcnt_depctr 0xfff
	v_mul_f32_e32 v1, 0x5f7ffffc, v1
	v_mul_f32_e32 v2, 0x2f800000, v1
	s_delay_alu instid0(VALU_DEP_1) | instskip(NEXT) | instid1(VALU_DEP_1)
	v_trunc_f32_e32 v2, v2
	v_fmac_f32_e32 v1, 0xcf800000, v2
	v_cvt_u32_f32_e32 v2, v2
	s_delay_alu instid0(VALU_DEP_2) | instskip(NEXT) | instid1(VALU_DEP_2)
	v_cvt_u32_f32_e32 v1, v1
	v_readfirstlane_b32 s11, v2
	s_delay_alu instid0(VALU_DEP_2) | instskip(NEXT) | instid1(VALU_DEP_2)
	v_readfirstlane_b32 s12, v1
	s_mul_i32 s22, s20, s11
	s_delay_alu instid0(VALU_DEP_1)
	s_mul_hi_u32 s33, s20, s12
	s_mul_i32 s23, s21, s12
	s_add_i32 s22, s33, s22
	s_mul_i32 s38, s20, s12
	s_add_i32 s22, s22, s23
	s_mul_hi_u32 s33, s12, s38
	s_mul_hi_u32 s39, s11, s38
	s_mul_i32 s23, s11, s38
	s_mul_hi_u32 s38, s12, s22
	s_mul_i32 s12, s12, s22
	s_mul_hi_u32 s40, s11, s22
	s_add_u32 s12, s33, s12
	s_addc_u32 s33, 0, s38
	s_add_u32 s12, s12, s23
	s_mul_i32 s22, s11, s22
	s_addc_u32 s12, s33, s39
	s_addc_u32 s23, s40, 0
	s_add_u32 s12, s12, s22
	s_addc_u32 s22, 0, s23
	v_add_co_u32 v1, s12, v1, s12
	s_delay_alu instid0(VALU_DEP_1) | instskip(SKIP_1) | instid1(VALU_DEP_1)
	s_cmp_lg_u32 s12, 0
	s_addc_u32 s11, s11, s22
	v_readfirstlane_b32 s12, v1
	s_mul_i32 s22, s20, s11
	s_delay_alu instid0(VALU_DEP_1)
	s_mul_hi_u32 s23, s20, s12
	s_mul_i32 s21, s21, s12
	s_add_i32 s22, s23, s22
	s_mul_i32 s20, s20, s12
	s_add_i32 s22, s22, s21
	s_mul_hi_u32 s23, s11, s20
	s_mul_i32 s33, s11, s20
	s_mul_hi_u32 s20, s12, s20
	s_mul_hi_u32 s38, s12, s22
	s_mul_i32 s12, s12, s22
	s_mul_hi_u32 s21, s11, s22
	s_add_u32 s12, s20, s12
	s_addc_u32 s20, 0, s38
	s_add_u32 s12, s12, s33
	s_mul_i32 s22, s11, s22
	s_addc_u32 s12, s20, s23
	s_addc_u32 s20, s21, 0
	s_add_u32 s12, s12, s22
	s_addc_u32 s20, 0, s20
	v_add_co_u32 v1, s12, v1, s12
	s_delay_alu instid0(VALU_DEP_1) | instskip(SKIP_1) | instid1(VALU_DEP_1)
	s_cmp_lg_u32 s12, 0
	s_addc_u32 s11, s11, s20
	v_readfirstlane_b32 s12, v1
	s_mul_i32 s21, s16, s11
	s_mul_hi_u32 s20, s16, s11
	s_mul_hi_u32 s22, s17, s11
	s_mul_i32 s11, s17, s11
	s_mul_hi_u32 s23, s16, s12
	s_mul_hi_u32 s33, s17, s12
	s_mul_i32 s12, s17, s12
	s_add_u32 s21, s23, s21
	s_addc_u32 s20, 0, s20
	s_add_u32 s12, s21, s12
	s_addc_u32 s12, s20, s33
	s_addc_u32 s20, s22, 0
	s_add_u32 s12, s12, s11
	s_addc_u32 s20, 0, s20
	s_mul_hi_u32 s11, s18, s12
	s_mul_i32 s22, s18, s20
	s_mul_i32 s23, s18, s12
	s_add_i32 s11, s11, s22
	v_sub_co_u32 v1, s22, s16, s23
	s_mul_i32 s21, s19, s12
	s_delay_alu instid0(SALU_CYCLE_1) | instskip(NEXT) | instid1(VALU_DEP_1)
	s_add_i32 s11, s11, s21
	v_sub_co_u32 v2, s23, v1, s18
	s_sub_i32 s21, s17, s11
	s_cmp_lg_u32 s22, 0
	s_subb_u32 s21, s21, s19
	s_cmp_lg_u32 s23, 0
	v_readfirstlane_b32 s23, v2
	s_subb_u32 s21, s21, 0
	s_delay_alu instid0(SALU_CYCLE_1) | instskip(SKIP_1) | instid1(VALU_DEP_1)
	s_cmp_ge_u32 s21, s19
	s_cselect_b32 s33, -1, 0
	s_cmp_ge_u32 s23, s18
	s_cselect_b32 s23, -1, 0
	s_cmp_eq_u32 s21, s19
	s_cselect_b32 s21, s23, s33
	s_add_u32 s23, s12, 1
	s_addc_u32 s33, s20, 0
	s_add_u32 s38, s12, 2
	s_addc_u32 s39, s20, 0
	s_cmp_lg_u32 s21, 0
	s_cselect_b32 s21, s38, s23
	s_cselect_b32 s23, s39, s33
	s_cmp_lg_u32 s22, 0
	v_readfirstlane_b32 s22, v1
	s_subb_u32 s11, s17, s11
	s_delay_alu instid0(SALU_CYCLE_1) | instskip(SKIP_1) | instid1(VALU_DEP_1)
	s_cmp_ge_u32 s11, s19
	s_cselect_b32 s33, -1, 0
	s_cmp_ge_u32 s22, s18
	s_cselect_b32 s22, -1, 0
	s_cmp_eq_u32 s11, s19
	s_cselect_b32 s11, s22, s33
	s_delay_alu instid0(SALU_CYCLE_1)
	s_cmp_lg_u32 s11, 0
	s_mov_b32 s11, 0
	s_cselect_b32 s39, s23, s20
	s_cselect_b32 s38, s21, s12
.LBB143_13:                             ;   in Loop: Header=BB143_11 Depth=1
	s_and_not1_b32 vcc_lo, exec_lo, s11
	s_cbranch_vccnz .LBB143_15
; %bb.14:                               ;   in Loop: Header=BB143_11 Depth=1
	v_cvt_f32_u32_e32 v1, s18
	s_sub_i32 s12, 0, s18
	s_mov_b32 s39, s10
	s_waitcnt_depctr 0xfff
	v_rcp_iflag_f32_e32 v1, v1
	s_waitcnt_depctr 0xfff
	v_mul_f32_e32 v1, 0x4f7ffffe, v1
	s_delay_alu instid0(VALU_DEP_1) | instskip(NEXT) | instid1(VALU_DEP_1)
	v_cvt_u32_f32_e32 v1, v1
	v_readfirstlane_b32 s11, v1
	s_delay_alu instid0(VALU_DEP_1) | instskip(NEXT) | instid1(SALU_CYCLE_1)
	s_mul_i32 s12, s12, s11
	s_mul_hi_u32 s12, s11, s12
	s_delay_alu instid0(SALU_CYCLE_1) | instskip(NEXT) | instid1(SALU_CYCLE_1)
	s_add_i32 s11, s11, s12
	s_mul_hi_u32 s11, s16, s11
	s_delay_alu instid0(SALU_CYCLE_1) | instskip(SKIP_2) | instid1(SALU_CYCLE_1)
	s_mul_i32 s12, s11, s18
	s_add_i32 s20, s11, 1
	s_sub_i32 s12, s16, s12
	s_sub_i32 s21, s12, s18
	s_cmp_ge_u32 s12, s18
	s_cselect_b32 s11, s20, s11
	s_cselect_b32 s12, s21, s12
	s_add_i32 s20, s11, 1
	s_cmp_ge_u32 s12, s18
	s_cselect_b32 s38, s20, s11
.LBB143_15:                             ;   in Loop: Header=BB143_11 Depth=1
	s_load_b64 s[20:21], s[14:15], 0xc8
	s_mul_i32 s11, s38, s19
	s_mul_hi_u32 s12, s38, s18
	s_mul_i32 s19, s39, s18
	s_add_i32 s11, s12, s11
	s_mul_i32 s12, s38, s18
	s_add_i32 s11, s11, s19
	s_sub_u32 s12, s16, s12
	s_subb_u32 s11, s17, s11
	s_waitcnt lgkmcnt(0)
	s_mul_i32 s11, s20, s11
	s_mul_hi_u32 s16, s20, s12
	s_mul_i32 s17, s21, s12
	s_add_i32 s11, s16, s11
	s_mul_i32 s12, s20, s12
	s_add_i32 s11, s11, s17
	s_add_u32 s30, s12, s30
	s_addc_u32 s31, s11, s31
	s_add_i32 s7, s7, -1
	s_add_u32 s14, s14, -8
	s_addc_u32 s15, s15, -1
	s_cmp_gt_u32 s7, 2
	s_cbranch_scc0 .LBB143_17
; %bb.16:                               ;   in Loop: Header=BB143_11 Depth=1
	s_mov_b64 s[16:17], s[38:39]
	s_branch .LBB143_11
.LBB143_17:
	s_clause 0x1
	s_load_b32 s7, s[0:1], 0x4d8
	s_load_b64 s[40:41], s[4:5], 0xd0
	s_add_u32 s11, s0, 0x340
	s_addc_u32 s12, s1, 0
	s_mov_b64 s[4:5], 0
	s_waitcnt lgkmcnt(0)
	s_cmp_lt_i32 s7, 2
	s_cbranch_scc1 .LBB143_25
; %bb.18:
	s_mov_b32 s10, 0
	s_add_i32 s4, s7, -1
	s_mov_b32 s5, s10
	s_add_i32 s7, s7, 1
	s_lshl_b64 s[4:5], s[4:5], 3
	s_delay_alu instid0(SALU_CYCLE_1)
	s_add_u32 s4, s4, s11
	s_addc_u32 s5, s5, s12
	s_add_u32 s14, s4, 8
	s_addc_u32 s15, s5, 0
	s_mov_b64 s[4:5], 0
.LBB143_19:                             ; =>This Inner Loop Header: Depth=1
	s_load_b64 s[16:17], s[14:15], 0x0
	s_waitcnt lgkmcnt(0)
	s_or_b64 s[18:19], s[2:3], s[16:17]
	s_delay_alu instid0(SALU_CYCLE_1) | instskip(NEXT) | instid1(SALU_CYCLE_1)
	s_mov_b32 s11, s19
                                        ; implicit-def: $sgpr18_sgpr19
	s_cmp_lg_u64 s[10:11], 0
	s_mov_b32 s11, -1
	s_cbranch_scc0 .LBB143_21
; %bb.20:                               ;   in Loop: Header=BB143_19 Depth=1
	v_cvt_f32_u32_e32 v1, s16
	v_cvt_f32_u32_e32 v2, s17
	s_sub_u32 s18, 0, s16
	s_subb_u32 s19, 0, s17
	s_waitcnt_depctr 0xfff
	v_fmac_f32_e32 v1, 0x4f800000, v2
	s_delay_alu instid0(VALU_DEP_1) | instskip(SKIP_2) | instid1(VALU_DEP_1)
	v_rcp_f32_e32 v1, v1
	s_waitcnt_depctr 0xfff
	v_mul_f32_e32 v1, 0x5f7ffffc, v1
	v_mul_f32_e32 v2, 0x2f800000, v1
	s_delay_alu instid0(VALU_DEP_1) | instskip(NEXT) | instid1(VALU_DEP_1)
	v_trunc_f32_e32 v2, v2
	v_fmac_f32_e32 v1, 0xcf800000, v2
	v_cvt_u32_f32_e32 v2, v2
	s_delay_alu instid0(VALU_DEP_2) | instskip(NEXT) | instid1(VALU_DEP_2)
	v_cvt_u32_f32_e32 v1, v1
	v_readfirstlane_b32 s11, v2
	s_delay_alu instid0(VALU_DEP_2) | instskip(NEXT) | instid1(VALU_DEP_2)
	v_readfirstlane_b32 s12, v1
	s_mul_i32 s20, s18, s11
	s_delay_alu instid0(VALU_DEP_1)
	s_mul_hi_u32 s22, s18, s12
	s_mul_i32 s21, s19, s12
	s_add_i32 s20, s22, s20
	s_mul_i32 s23, s18, s12
	s_add_i32 s20, s20, s21
	s_mul_hi_u32 s22, s12, s23
	s_mul_hi_u32 s33, s11, s23
	s_mul_i32 s21, s11, s23
	s_mul_hi_u32 s23, s12, s20
	s_mul_i32 s12, s12, s20
	s_mul_hi_u32 s42, s11, s20
	s_add_u32 s12, s22, s12
	s_addc_u32 s22, 0, s23
	s_add_u32 s12, s12, s21
	s_mul_i32 s20, s11, s20
	s_addc_u32 s12, s22, s33
	s_addc_u32 s21, s42, 0
	s_add_u32 s12, s12, s20
	s_addc_u32 s20, 0, s21
	v_add_co_u32 v1, s12, v1, s12
	s_delay_alu instid0(VALU_DEP_1) | instskip(SKIP_1) | instid1(VALU_DEP_1)
	s_cmp_lg_u32 s12, 0
	s_addc_u32 s11, s11, s20
	v_readfirstlane_b32 s12, v1
	s_mul_i32 s20, s18, s11
	s_delay_alu instid0(VALU_DEP_1)
	s_mul_hi_u32 s21, s18, s12
	s_mul_i32 s19, s19, s12
	s_add_i32 s20, s21, s20
	s_mul_i32 s18, s18, s12
	s_add_i32 s20, s20, s19
	s_mul_hi_u32 s21, s11, s18
	s_mul_i32 s22, s11, s18
	s_mul_hi_u32 s18, s12, s18
	s_mul_hi_u32 s23, s12, s20
	s_mul_i32 s12, s12, s20
	s_mul_hi_u32 s19, s11, s20
	s_add_u32 s12, s18, s12
	s_addc_u32 s18, 0, s23
	s_add_u32 s12, s12, s22
	s_mul_i32 s20, s11, s20
	s_addc_u32 s12, s18, s21
	s_addc_u32 s18, s19, 0
	s_add_u32 s12, s12, s20
	s_addc_u32 s18, 0, s18
	v_add_co_u32 v1, s12, v1, s12
	s_delay_alu instid0(VALU_DEP_1) | instskip(SKIP_1) | instid1(VALU_DEP_1)
	s_cmp_lg_u32 s12, 0
	s_addc_u32 s11, s11, s18
	v_readfirstlane_b32 s12, v1
	s_mul_i32 s19, s2, s11
	s_mul_hi_u32 s18, s2, s11
	s_mul_hi_u32 s20, s3, s11
	s_mul_i32 s11, s3, s11
	s_mul_hi_u32 s21, s2, s12
	s_mul_hi_u32 s22, s3, s12
	s_mul_i32 s12, s3, s12
	s_add_u32 s19, s21, s19
	s_addc_u32 s18, 0, s18
	s_add_u32 s12, s19, s12
	s_addc_u32 s12, s18, s22
	s_addc_u32 s18, s20, 0
	s_add_u32 s12, s12, s11
	s_addc_u32 s18, 0, s18
	s_mul_hi_u32 s11, s16, s12
	s_mul_i32 s20, s16, s18
	s_mul_i32 s21, s16, s12
	s_add_i32 s11, s11, s20
	v_sub_co_u32 v1, s20, s2, s21
	s_mul_i32 s19, s17, s12
	s_delay_alu instid0(SALU_CYCLE_1) | instskip(NEXT) | instid1(VALU_DEP_1)
	s_add_i32 s11, s11, s19
	v_sub_co_u32 v2, s21, v1, s16
	s_sub_i32 s19, s3, s11
	s_cmp_lg_u32 s20, 0
	s_subb_u32 s19, s19, s17
	s_cmp_lg_u32 s21, 0
	v_readfirstlane_b32 s21, v2
	s_subb_u32 s19, s19, 0
	s_delay_alu instid0(SALU_CYCLE_1) | instskip(SKIP_1) | instid1(VALU_DEP_1)
	s_cmp_ge_u32 s19, s17
	s_cselect_b32 s22, -1, 0
	s_cmp_ge_u32 s21, s16
	s_cselect_b32 s21, -1, 0
	s_cmp_eq_u32 s19, s17
	s_cselect_b32 s19, s21, s22
	s_add_u32 s21, s12, 1
	s_addc_u32 s22, s18, 0
	s_add_u32 s23, s12, 2
	s_addc_u32 s33, s18, 0
	s_cmp_lg_u32 s19, 0
	s_cselect_b32 s21, s23, s21
	s_cselect_b32 s19, s33, s22
	s_cmp_lg_u32 s20, 0
	v_readfirstlane_b32 s20, v1
	s_subb_u32 s11, s3, s11
	s_delay_alu instid0(SALU_CYCLE_1) | instskip(SKIP_1) | instid1(VALU_DEP_1)
	s_cmp_ge_u32 s11, s17
	s_cselect_b32 s22, -1, 0
	s_cmp_ge_u32 s20, s16
	s_cselect_b32 s20, -1, 0
	s_cmp_eq_u32 s11, s17
	s_cselect_b32 s11, s20, s22
	s_delay_alu instid0(SALU_CYCLE_1)
	s_cmp_lg_u32 s11, 0
	s_mov_b32 s11, 0
	s_cselect_b32 s19, s19, s18
	s_cselect_b32 s18, s21, s12
.LBB143_21:                             ;   in Loop: Header=BB143_19 Depth=1
	s_and_not1_b32 vcc_lo, exec_lo, s11
	s_cbranch_vccnz .LBB143_23
; %bb.22:                               ;   in Loop: Header=BB143_19 Depth=1
	v_cvt_f32_u32_e32 v1, s16
	s_sub_i32 s12, 0, s16
	s_waitcnt_depctr 0xfff
	v_rcp_iflag_f32_e32 v1, v1
	s_waitcnt_depctr 0xfff
	v_mul_f32_e32 v1, 0x4f7ffffe, v1
	s_delay_alu instid0(VALU_DEP_1) | instskip(NEXT) | instid1(VALU_DEP_1)
	v_cvt_u32_f32_e32 v1, v1
	v_readfirstlane_b32 s11, v1
	s_delay_alu instid0(VALU_DEP_1) | instskip(NEXT) | instid1(SALU_CYCLE_1)
	s_mul_i32 s12, s12, s11
	s_mul_hi_u32 s12, s11, s12
	s_delay_alu instid0(SALU_CYCLE_1) | instskip(NEXT) | instid1(SALU_CYCLE_1)
	s_add_i32 s11, s11, s12
	s_mul_hi_u32 s11, s2, s11
	s_delay_alu instid0(SALU_CYCLE_1) | instskip(SKIP_2) | instid1(SALU_CYCLE_1)
	s_mul_i32 s12, s11, s16
	s_add_i32 s18, s11, 1
	s_sub_i32 s12, s2, s12
	s_sub_i32 s19, s12, s16
	s_cmp_ge_u32 s12, s16
	s_cselect_b32 s11, s18, s11
	s_cselect_b32 s12, s19, s12
	s_add_i32 s18, s11, 1
	s_cmp_ge_u32 s12, s16
	s_mov_b32 s19, s10
	s_cselect_b32 s18, s18, s11
.LBB143_23:                             ;   in Loop: Header=BB143_19 Depth=1
	s_load_b64 s[20:21], s[14:15], 0xc8
	s_mul_i32 s11, s18, s17
	s_mul_hi_u32 s12, s18, s16
	s_mul_i32 s17, s19, s16
	s_add_i32 s11, s12, s11
	s_mul_i32 s12, s18, s16
	s_add_i32 s11, s11, s17
	s_sub_u32 s2, s2, s12
	s_subb_u32 s3, s3, s11
	s_waitcnt lgkmcnt(0)
	s_mul_i32 s3, s20, s3
	s_mul_hi_u32 s11, s20, s2
	s_mul_i32 s12, s21, s2
	s_add_i32 s3, s11, s3
	s_mul_i32 s2, s20, s2
	s_add_i32 s3, s3, s12
	s_add_u32 s4, s2, s4
	s_addc_u32 s5, s3, s5
	s_add_i32 s7, s7, -1
	s_add_u32 s14, s14, -8
	s_addc_u32 s15, s15, -1
	s_cmp_gt_u32 s7, 2
	s_cbranch_scc0 .LBB143_26
; %bb.24:                               ;   in Loop: Header=BB143_19 Depth=1
	s_mov_b64 s[2:3], s[18:19]
	s_branch .LBB143_19
.LBB143_25:
	s_mov_b64 s[18:19], s[2:3]
.LBB143_26:
	s_clause 0x3
	s_load_b64 s[14:15], s[0:1], 0x410
	s_load_b64 s[44:45], s[0:1], 0x0
	;; [unrolled: 1-line block ×4, first 2 shown]
	v_dual_mov_b32 v1, 0 :: v_dual_mov_b32 v2, 0
	v_mov_b32_e32 v3, 0
	s_delay_alu instid0(VALU_DEP_2)
	v_cmp_gt_u64_e64 s2, s[24:25], v[0:1]
	s_waitcnt lgkmcnt(0)
	s_mul_i32 s3, s14, s19
	s_mul_hi_u32 s7, s14, s18
	s_mul_i32 s12, s15, s18
	s_add_i32 s3, s7, s3
	s_mul_i32 s14, s14, s18
	s_add_i32 s15, s3, s12
	s_and_saveexec_b32 s7, s2
	s_cbranch_execz .LBB143_30
; %bb.27:
	v_mad_u64_u32 v[4:5], null, s28, v0, 0
	s_load_b32 s3, s[8:9], 0xc
	s_lshl_b64 s[18:19], s[4:5], 1
	s_lshl_b64 s[16:17], s[14:15], 1
	s_delay_alu instid0(VALU_DEP_1) | instskip(NEXT) | instid1(VALU_DEP_1)
	v_mov_b32_e32 v2, v5
	v_mad_u64_u32 v[5:6], null, s29, v0, v[2:3]
	v_dual_mov_b32 v2, 0 :: v_dual_mov_b32 v7, v1
	v_dual_mov_b32 v3, 0 :: v_dual_mov_b32 v6, v0
	s_delay_alu instid0(VALU_DEP_3)
	v_lshlrev_b64 v[4:5], 1, v[4:5]
	s_waitcnt lgkmcnt(0)
	s_and_b32 s12, s3, 0xffff
	s_add_u32 s3, s10, s18
	s_addc_u32 s18, s11, s19
	s_add_u32 s3, s3, s16
	s_addc_u32 s16, s18, s17
	v_add_co_u32 v4, vcc_lo, s3, v4
	s_mul_i32 s19, s29, s12
	s_mul_hi_u32 s20, s28, s12
	v_add_co_ci_u32_e32 v5, vcc_lo, s16, v5, vcc_lo
	s_add_i32 s17, s20, s19
	s_mul_i32 s16, s28, s12
	s_mov_b32 s18, 0
	s_lshl_b64 s[16:17], s[16:17], 1
	.p2align	6
.LBB143_28:                             ; =>This Inner Loop Header: Depth=1
	global_load_u16 v8, v[4:5], off
	v_add_co_u32 v6, vcc_lo, v6, s12
	v_add_co_ci_u32_e32 v7, vcc_lo, 0, v7, vcc_lo
	v_add_co_u32 v4, vcc_lo, v4, s16
	v_add_co_ci_u32_e32 v5, vcc_lo, s17, v5, vcc_lo
	s_waitcnt vmcnt(0)
	v_lshlrev_b32_e32 v8, 16, v8
	s_delay_alu instid0(VALU_DEP_1) | instskip(SKIP_2) | instid1(VALU_DEP_2)
	v_cmp_u_f32_e32 vcc_lo, v8, v8
	v_cndmask_b32_e64 v8, 0, 1, vcc_lo
	v_cmp_le_u64_e32 vcc_lo, s[24:25], v[6:7]
	v_add_co_u32 v2, s3, v2, v8
	s_delay_alu instid0(VALU_DEP_1) | instskip(SKIP_1) | instid1(SALU_CYCLE_1)
	v_add_co_ci_u32_e64 v3, s3, 0, v3, s3
	s_or_b32 s18, vcc_lo, s18
	s_and_not1_b32 exec_lo, exec_lo, s18
	s_cbranch_execnz .LBB143_28
; %bb.29:
	s_or_b32 exec_lo, exec_lo, s18
.LBB143_30:
	s_delay_alu instid0(SALU_CYCLE_1) | instskip(SKIP_1) | instid1(VALU_DEP_1)
	s_or_b32 exec_lo, exec_lo, s7
	v_cmp_eq_u32_e64 s3, 0, v0
	s_and_saveexec_b32 s7, s3
	s_cbranch_execz .LBB143_32
; %bb.31:
	v_mov_b32_e32 v4, 0
	s_delay_alu instid0(VALU_DEP_1)
	v_mov_b32_e32 v5, v4
	ds_store_b64 v4, v[4:5] offset:5136
.LBB143_32:
	s_or_b32 exec_lo, exec_lo, s7
	s_mov_b64 s[16:17], 0
	s_mov_b32 s7, exec_lo
	s_waitcnt lgkmcnt(0)
	s_barrier
	buffer_gl0_inv
	v_cmpx_ne_u64_e32 0, v[2:3]
	s_cbranch_execz .LBB143_37
; %bb.33:
	s_mov_b32 s12, exec_lo
.LBB143_34:                             ; =>This Inner Loop Header: Depth=1
	s_delay_alu instid0(SALU_CYCLE_1) | instskip(NEXT) | instid1(SALU_CYCLE_1)
	s_ctz_i32_b32 s18, s12
	v_readlane_b32 s19, v2, s18
	v_readlane_b32 s20, v3, s18
	s_delay_alu instid0(VALU_DEP_2) | instskip(NEXT) | instid1(VALU_DEP_1)
	s_add_u32 s16, s16, s19
	s_addc_u32 s17, s17, s20
	s_lshl_b32 s18, 1, s18
	s_delay_alu instid0(SALU_CYCLE_1) | instskip(NEXT) | instid1(SALU_CYCLE_1)
	s_and_not1_b32 s12, s12, s18
	s_cmp_lg_u32 s12, 0
	s_cbranch_scc1 .LBB143_34
; %bb.35:
	v_mbcnt_lo_u32_b32 v2, exec_lo, 0
	s_mov_b32 s12, exec_lo
	s_delay_alu instid0(VALU_DEP_1)
	v_cmpx_eq_u32_e32 0, v2
	s_xor_b32 s12, exec_lo, s12
	s_cbranch_execz .LBB143_37
; %bb.36:
	v_mov_b32_e32 v2, s16
	v_dual_mov_b32 v4, 0 :: v_dual_mov_b32 v3, s17
	ds_add_u64 v4, v[2:3] offset:5136
.LBB143_37:
	s_or_b32 exec_lo, exec_lo, s7
	v_mov_b32_e32 v2, 0
	s_waitcnt lgkmcnt(0)
	s_barrier
	buffer_gl0_inv
	s_load_b32 s7, s[0:1], 0x4f8
	ds_load_b64 v[2:3], v2 offset:5136
	s_mov_b64 s[50:51], s[24:25]
	s_waitcnt lgkmcnt(0)
	s_bitcmp1_b32 s7, 0
	v_readfirstlane_b32 s0, v2
	v_readfirstlane_b32 s1, v3
	s_cselect_b32 s7, -1, 0
	s_delay_alu instid0(VALU_DEP_1) | instskip(NEXT) | instid1(VALU_DEP_1)
	v_cmp_lt_i64_e64 s12, s[0:1], 1
	s_or_b32 s7, s7, s12
	s_delay_alu instid0(SALU_CYCLE_1)
	s_and_not1_b32 vcc_lo, exec_lo, s7
	s_cbranch_vccnz .LBB143_39
; %bb.38:
	s_not_b64 s[0:1], s[0:1]
	s_delay_alu instid0(SALU_CYCLE_1) | instskip(SKIP_1) | instid1(SALU_CYCLE_1)
	s_add_u32 s0, s0, s24
	s_addc_u32 s1, s1, s25
	s_lshr_b64 s[0:1], s[0:1], 1
	s_delay_alu instid0(SALU_CYCLE_1)
	s_add_u32 s50, s0, 1
	s_addc_u32 s51, s1, 0
.LBB143_39:
	s_and_saveexec_b32 s0, s3
	s_cbranch_execz .LBB143_41
; %bb.40:
	v_dual_mov_b32 v2, 0 :: v_dual_mov_b32 v5, s25
	s_delay_alu instid0(VALU_DEP_1)
	v_dual_mov_b32 v4, s24 :: v_dual_mov_b32 v3, v2
	ds_store_b32 v2, v2 offset:5144
	ds_store_b128 v2, v[2:5] offset:5120
.LBB143_41:
	s_or_b32 exec_lo, exec_lo, s0
	s_lshl_b64 s[48:49], s[4:5], 1
	s_waitcnt lgkmcnt(0)
	s_barrier
	buffer_gl0_inv
	s_load_b32 s5, s[8:9], 0xc
	v_dual_mov_b32 v15, 0 :: v_dual_lshlrev_b32 v12, 2, v0
	v_lshlrev_b32_e32 v42, 3, v0
	v_mbcnt_lo_u32_b32 v38, -1, 0
	v_mad_u64_u32 v[2:3], null, v0, s28, 0
	s_delay_alu instid0(VALU_DEP_4)
	v_mov_b32_e32 v13, v15
	s_lshl_b64 s[14:15], s[14:15], 1
	v_or_b32_e32 v11, 6, v42
	v_or_b32_e32 v14, 4, v42
	v_cmp_gt_u32_e32 vcc_lo, 32, v0
	s_add_u32 s16, s10, s14
	v_cmp_gt_i32_e64 s4, 4, v38
	v_lshrrev_b32_e32 v6, 3, v0
	v_or_b32_e32 v24, 2, v42
	s_addc_u32 s17, s11, s15
	s_add_u32 s75, s16, s48
	v_mad_u64_u32 v[18:19], null, s28, v11, s[16:17]
	v_mad_u64_u32 v[20:21], null, s28, v14, s[16:17]
	s_addc_u32 s76, s17, s49
	s_waitcnt lgkmcnt(0)
	s_and_b32 s33, s5, 0xffff
	v_mad_u64_u32 v[4:5], null, v0, s29, v[3:4]
	s_and_b32 s77, vcc_lo, s4
	s_bfe_u32 s4, s5, 0xb0005
	v_mad_u64_u32 v[22:23], null, s28, v24, s[16:17]
	v_and_b32_e32 v41, 0x7c, v6
	v_lshlrev_b64 v[6:7], v38, -1
	s_add_u32 s78, s33, -1
	s_addc_u32 s79, 0, -1
	s_add_u32 s80, s78, s24
	s_addc_u32 s55, s79, s25
	s_delay_alu instid0(VALU_DEP_3)
	v_mov_b32_e32 v8, v23
	s_cmp_lt_u32 s13, s6
	v_lshlrev_b32_e32 v39, 1, v0
	v_not_b32_e32 v43, v6
	v_dual_mov_b32 v6, v19 :: v_dual_mov_b32 v7, v21
	v_mov_b32_e32 v46, 0
	s_cselect_b32 s6, 12, 18
	v_dual_mov_b32 v3, v4 :: v_dual_add_nc_u32 v40, 0xc00, v39
	s_add_u32 s56, s8, s6
	s_addc_u32 s57, s9, 0
	s_add_i32 s6, s4, -1
	s_bfe_u32 s81, s33, 0x30005
	v_mad_u64_u32 v[9:10], null, s29, v11, v[6:7]
	s_cmp_gt_u32 s6, 6
	v_lshlrev_b64 v[4:5], 1, v[2:3]
	s_cselect_b32 s82, -1, 0
	s_and_b32 s83, s4, 0x7f8
	s_cmp_lg_u32 s81, 0
	v_lshlrev_b64 v[2:3], 3, v[2:3]
	s_cselect_b32 s85, -1, 0
	s_add_u32 s4, s14, s48
	v_mad_u64_u32 v[10:11], null, s29, v14, v[7:8]
	v_cmp_gt_u16_e64 s84, s5, 31
	s_addc_u32 s5, s15, s49
	v_add_co_u32 v16, vcc_lo, s75, v4
	v_mad_u64_u32 v[6:7], null, s29, v24, v[8:9]
	s_add_u32 s58, s10, s4
	s_addc_u32 s59, s11, s5
	s_lshl_b64 s[60:61], s[28:29], 1
	s_lshl_b64 s[62:63], s[28:29], 3
	s_lshl_b32 s86, s33, 1
	v_add_co_ci_u32_e32 v17, vcc_lo, s76, v5, vcc_lo
	s_add_u32 s4, s10, s48
	v_add_co_u32 v24, vcc_lo, s16, v2
	s_addc_u32 s5, s11, s49
	s_add_u32 s6, s4, s14
	v_add_co_ci_u32_e32 v25, vcc_lo, s17, v3, vcc_lo
	v_mov_b32_e32 v21, v10
	s_addc_u32 s8, s5, s15
	v_add_co_u32 v10, vcc_lo, s6, v4
	v_cmp_lt_u64_e64 s74, 0x600, s[24:25]
	s_mul_i32 s4, s29, s33
	s_mul_hi_u32 s7, s28, s33
	v_cmp_gt_u32_e64 s0, 2, v0
	v_cmp_eq_u32_e64 s1, 0, v38
	v_mov_b32_e32 v19, v9
	v_mov_b32_e32 v23, v6
	v_lshl_or_b32 v44, v38, 3, 0xc00
	v_add_co_ci_u32_e32 v11, vcc_lo, s8, v5, vcc_lo
	v_mov_b32_e32 v45, 0x8000
	s_add_i32 s5, s7, s4
	s_mul_i32 s4, s28, s33
	s_mov_b32 s53, 0
	s_lshl_b64 s[46:47], s[4:5], 1
	s_mov_b32 s92, 14
	s_movk_i32 s87, 0x3f80
	s_mov_b32 s88, 0
	s_mov_b32 s95, 0
	;; [unrolled: 1-line block ×4, first 2 shown]
                                        ; implicit-def: $sgpr89
                                        ; implicit-def: $sgpr91
                                        ; implicit-def: $sgpr90
                                        ; implicit-def: $sgpr94
                                        ; implicit-def: $sgpr96
                                        ; implicit-def: $sgpr93
	s_branch .LBB143_46
.LBB143_42:                             ;   in Loop: Header=BB143_46 Depth=1
	s_xor_b32 s95, s95, 1
	s_add_i32 s7, s92, -2
	s_cmp_eq_u32 s92, 0
	s_mov_b32 s5, 0
	s_cselect_b32 s6, -1, 0
	s_mov_b32 s92, s7
.LBB143_43:                             ;   in Loop: Header=BB143_46 Depth=1
	s_and_not1_b32 s7, s13, exec_lo
	s_and_b32 s5, s5, exec_lo
	s_and_not1_b32 s19, s19, exec_lo
	s_or_b32 s13, s7, s5
	s_and_not1_b32 s12, s12, exec_lo
	s_or_not1_b32 s15, s6, exec_lo
.LBB143_44:                             ;   in Loop: Header=BB143_46 Depth=1
	s_or_b32 exec_lo, exec_lo, s4
	s_delay_alu instid0(SALU_CYCLE_1)
	s_and_not1_b32 s4, s93, exec_lo
	s_and_b32 s5, s13, exec_lo
	s_and_not1_b32 s6, s94, exec_lo
	s_or_b32 s93, s4, s5
	s_and_not1_b32 s4, s96, exec_lo
	s_and_b32 s5, s19, exec_lo
	s_and_b32 s7, s12, exec_lo
	s_or_b32 s96, s4, s5
	s_or_b32 s94, s6, s7
	s_or_not1_b32 s19, s15, exec_lo
.LBB143_45:                             ;   in Loop: Header=BB143_46 Depth=1
	s_or_b32 exec_lo, exec_lo, s14
	s_delay_alu instid0(SALU_CYCLE_1)
	s_and_b32 s4, exec_lo, s19
	v_mov_b32_e32 v2, s97
	s_or_b32 s88, s4, s88
	s_and_not1_b32 s4, s90, exec_lo
	s_and_b32 s5, s93, exec_lo
	s_and_not1_b32 s6, s89, exec_lo
	s_or_b32 s90, s4, s5
	s_and_not1_b32 s4, s91, exec_lo
	s_and_b32 s5, s96, exec_lo
	s_and_b32 s7, s94, exec_lo
	s_or_b32 s91, s4, s5
	s_or_b32 s89, s6, s7
	s_and_not1_b32 exec_lo, exec_lo, s88
	s_cbranch_execz .LBB143_311
.LBB143_46:                             ; =>This Loop Header: Depth=1
                                        ;     Child Loop BB143_51 Depth 2
                                        ;     Child Loop BB143_69 Depth 2
	;; [unrolled: 1-line block ×16, first 2 shown]
	ds_load_b128 v[2:5], v15 offset:5120
	s_waitcnt lgkmcnt(0)
	v_readfirstlane_b32 s65, v3
	v_readfirstlane_b32 s64, v2
	s_delay_alu instid0(VALU_DEP_1)
	s_cmp_lg_u64 s[64:65], 0
	s_cbranch_scc1 .LBB143_76
; %bb.47:                               ;   in Loop: Header=BB143_46 Depth=1
	s_and_b32 vcc_lo, exec_lo, s74
	s_cbranch_vccz .LBB143_59
; %bb.48:                               ;   in Loop: Header=BB143_46 Depth=1
	v_cmp_gt_u64_e32 vcc_lo, 0x601, v[4:5]
	s_mov_b32 s6, 0
	s_mov_b32 s4, 0
	s_cbranch_vccz .LBB143_60
; %bb.49:                               ;   in Loop: Header=BB143_46 Depth=1
	global_load_u16 v6, v15, s[56:57]
	global_load_u16 v7, v[16:17], off
	s_mov_b32 s8, 0
	s_waitcnt vmcnt(1)
	v_readfirstlane_b32 s4, v6
	v_and_b32_e32 v6, 0xffff, v6
	s_delay_alu instid0(VALU_DEP_2) | instskip(NEXT) | instid1(SALU_CYCLE_1)
	s_and_b32 s4, 0xffff, s4
	v_add_nc_u32_e32 v8, s4, v0
	s_mul_i32 s5, s61, s4
	s_mul_hi_u32 s7, s60, s4
	s_mul_i32 s9, s60, s4
	s_add_i32 s7, s7, s5
	v_mad_u64_u32 v[2:3], null, s60, v8, s[58:59]
	s_delay_alu instid0(VALU_DEP_1) | instskip(NEXT) | instid1(VALU_DEP_1)
	v_mad_u64_u32 v[4:5], null, s61, v8, v[3:4]
	v_mov_b32_e32 v3, v4
	v_dual_mov_b32 v5, v1 :: v_dual_mov_b32 v4, v0
	s_branch .LBB143_51
.LBB143_50:                             ;   in Loop: Header=BB143_51 Depth=2
	s_or_b32 exec_lo, exec_lo, s5
	v_add_co_u32 v2, vcc_lo, v2, s9
	v_add_co_ci_u32_e32 v3, vcc_lo, s7, v3, vcc_lo
	v_mov_b32_e32 v7, v8
	s_and_not1_b32 exec_lo, exec_lo, s8
	s_cbranch_execz .LBB143_61
.LBB143_51:                             ;   Parent Loop BB143_46 Depth=1
                                        ; =>  This Inner Loop Header: Depth=2
	s_delay_alu instid0(VALU_DEP_1) | instskip(NEXT) | instid1(VALU_DEP_2)
	v_add_co_u32 v4, vcc_lo, v4, v6
	v_add_co_ci_u32_e32 v5, vcc_lo, 0, v5, vcc_lo
	s_waitcnt lgkmcnt(0)
	v_dual_mov_b32 v9, 0 :: v_dual_mov_b32 v8, 0
	s_mov_b32 s5, exec_lo
	s_delay_alu instid0(VALU_DEP_2)
	v_cmp_le_u64_e32 vcc_lo, s[24:25], v[4:5]
	v_cmpx_gt_u64_e64 s[24:25], v[4:5]
	s_cbranch_execz .LBB143_53
; %bb.52:                               ;   in Loop: Header=BB143_51 Depth=2
	global_load_u16 v8, v[2:3], off
.LBB143_53:                             ;   in Loop: Header=BB143_51 Depth=2
	s_or_b32 exec_lo, exec_lo, s5
	s_waitcnt vmcnt(0)
	v_cmp_lt_i16_e64 s4, -1, v7
	v_and_b32_e32 v14, 0xffff, v7
	v_lshlrev_b32_e32 v27, 16, v7
	s_delay_alu instid0(VALU_DEP_3) | instskip(NEXT) | instid1(VALU_DEP_2)
	v_cndmask_b32_e64 v26, 0xffff, v45, s4
	v_cmp_o_f32_e64 s4, v27, v27
	s_delay_alu instid0(VALU_DEP_2) | instskip(NEXT) | instid1(VALU_DEP_1)
	v_xor_b32_e32 v14, v26, v14
	v_cndmask_b32_e64 v14, 0xffff, v14, s4
	s_delay_alu instid0(VALU_DEP_1) | instskip(NEXT) | instid1(VALU_DEP_1)
	v_and_b32_e32 v14, s98, v14
	v_cmp_eq_u32_e64 s4, s97, v14
	s_delay_alu instid0(VALU_DEP_1) | instskip(SKIP_1) | instid1(SALU_CYCLE_1)
	s_cmp_lg_u32 s4, 0
	s_cselect_b32 s5, -1, 0
	s_and_b32 s5, s1, s5
	s_delay_alu instid0(SALU_CYCLE_1)
	s_and_saveexec_b32 s10, s5
	s_cbranch_execz .LBB143_57
; %bb.54:                               ;   in Loop: Header=BB143_51 Depth=2
	s_mov_b32 s13, exec_lo
	s_bcnt1_i32_b32 s11, s4
	v_mbcnt_lo_u32_b32 v9, s13, 0
	s_mov_b32 s12, exec_lo
                                        ; implicit-def: $vgpr14
	s_delay_alu instid0(VALU_DEP_1)
	v_cmpx_eq_u32_e32 0, v9
	s_cbranch_execz .LBB143_56
; %bb.55:                               ;   in Loop: Header=BB143_51 Depth=2
	s_bcnt1_i32_b32 s5, s13
	s_delay_alu instid0(SALU_CYCLE_1) | instskip(NEXT) | instid1(SALU_CYCLE_1)
	s_mul_i32 s5, s11, s5
	v_mov_b32_e32 v14, s5
	ds_add_rtn_u32 v14, v15, v14 offset:5144
.LBB143_56:                             ;   in Loop: Header=BB143_51 Depth=2
	s_or_b32 exec_lo, exec_lo, s12
	s_waitcnt lgkmcnt(0)
	v_readfirstlane_b32 s5, v14
	s_delay_alu instid0(VALU_DEP_1)
	v_mad_u32_u24 v9, s11, v9, s5
.LBB143_57:                             ;   in Loop: Header=BB143_51 Depth=2
	s_or_b32 exec_lo, exec_lo, s10
	ds_bpermute_b32 v9, v15, v9
	s_and_b32 s5, exec_lo, vcc_lo
	s_delay_alu instid0(SALU_CYCLE_1)
	s_or_b32 s8, s5, s8
	s_and_saveexec_b32 s5, s4
	s_cbranch_execz .LBB143_50
; %bb.58:                               ;   in Loop: Header=BB143_51 Depth=2
	v_and_b32_e32 v14, s4, v43
	s_delay_alu instid0(VALU_DEP_1) | instskip(NEXT) | instid1(VALU_DEP_1)
	v_bcnt_u32_b32 v14, v14, 0
	v_lshlrev_b32_e32 v14, 1, v14
	s_waitcnt lgkmcnt(0)
	s_delay_alu instid0(VALU_DEP_1)
	v_lshl_add_u32 v9, v9, 1, v14
	ds_store_b16 v9, v7
	s_branch .LBB143_50
.LBB143_59:                             ;   in Loop: Header=BB143_46 Depth=1
	s_mov_b32 s4, 0
                                        ; implicit-def: $sgpr64_sgpr65
	s_cbranch_execnz .LBB143_64
	s_branch .LBB143_74
.LBB143_60:                             ;   in Loop: Header=BB143_46 Depth=1
	s_mov_b64 s[64:65], 0
	s_and_b32 vcc_lo, exec_lo, s6
	s_cbranch_vccnz .LBB143_64
	s_branch .LBB143_74
.LBB143_61:                             ;   in Loop: Header=BB143_46 Depth=1
	s_or_b32 exec_lo, exec_lo, s8
	s_waitcnt lgkmcnt(0)
	s_barrier
	buffer_gl0_inv
	s_and_saveexec_b32 s4, s3
	s_cbranch_execz .LBB143_63
; %bb.62:                               ;   in Loop: Header=BB143_46 Depth=1
	ds_load_b32 v2, v15 offset:5144
	s_waitcnt lgkmcnt(0)
	v_ashrrev_i32_e32 v3, 31, v2
	ds_store_b64 v15, v[2:3] offset:5120
.LBB143_63:                             ;   in Loop: Header=BB143_46 Depth=1
	s_or_b32 exec_lo, exec_lo, s4
	s_waitcnt lgkmcnt(0)
	s_mov_b32 s4, -1
	s_barrier
	s_mov_b64 s[64:65], 0
	s_and_b32 vcc_lo, exec_lo, s6
	s_cbranch_vccz .LBB143_74
.LBB143_64:                             ;   in Loop: Header=BB143_46 Depth=1
	v_mov_b32_e32 v6, 0
	s_and_saveexec_b32 s4, s2
	s_cbranch_execz .LBB143_66
; %bb.65:                               ;   in Loop: Header=BB143_46 Depth=1
	global_load_u16 v6, v[16:17], off
.LBB143_66:                             ;   in Loop: Header=BB143_46 Depth=1
	s_or_b32 exec_lo, exec_lo, s4
	s_and_saveexec_b32 s5, s2
	s_cbranch_execz .LBB143_71
; %bb.67:                               ;   in Loop: Header=BB143_46 Depth=1
	global_load_u16 v8, v15, s[56:57]
	s_mov_b32 s9, 0
	s_waitcnt vmcnt(0)
	v_readfirstlane_b32 s4, v8
	v_and_b32_e32 v8, 0xffff, v8
	s_delay_alu instid0(VALU_DEP_2) | instskip(NEXT) | instid1(SALU_CYCLE_1)
	s_and_b32 s4, 0xffff, s4
	v_add_nc_u32_e32 v7, s4, v0
	s_mul_i32 s7, s61, s4
	s_mul_hi_u32 s8, s60, s4
	s_lshl_b32 s6, s4, 1
	s_add_i32 s7, s8, s7
	v_mad_u64_u32 v[2:3], null, s60, v7, s[58:59]
	s_mul_i32 s8, s60, s4
	s_delay_alu instid0(VALU_DEP_1) | instskip(SKIP_1) | instid1(VALU_DEP_2)
	v_mad_u64_u32 v[4:5], null, s61, v7, v[3:4]
	v_mov_b32_e32 v7, v39
	v_mov_b32_e32 v3, v4
	v_dual_mov_b32 v5, v1 :: v_dual_mov_b32 v4, v0
	s_branch .LBB143_69
	.p2align	6
.LBB143_68:                             ;   in Loop: Header=BB143_69 Depth=2
	s_or_b32 exec_lo, exec_lo, s10
	s_delay_alu instid0(SALU_CYCLE_1)
	s_and_b32 s4, exec_lo, vcc_lo
	v_add_co_u32 v2, vcc_lo, v2, s8
	ds_store_b16 v7, v6
	s_waitcnt vmcnt(0)
	v_dual_mov_b32 v6, v9 :: v_dual_add_nc_u32 v7, s6, v7
	v_add_co_ci_u32_e32 v3, vcc_lo, s7, v3, vcc_lo
	s_or_b32 s9, s4, s9
	s_delay_alu instid0(SALU_CYCLE_1)
	s_and_not1_b32 exec_lo, exec_lo, s9
	s_cbranch_execz .LBB143_71
.LBB143_69:                             ;   Parent Loop BB143_46 Depth=1
                                        ; =>  This Inner Loop Header: Depth=2
	s_delay_alu instid0(VALU_DEP_1) | instskip(NEXT) | instid1(VALU_DEP_2)
	v_add_co_u32 v4, vcc_lo, v4, v8
	v_add_co_ci_u32_e32 v5, vcc_lo, 0, v5, vcc_lo
	v_mov_b32_e32 v9, 0
	s_mov_b32 s10, exec_lo
	s_delay_alu instid0(VALU_DEP_2)
	v_cmp_le_u64_e32 vcc_lo, s[24:25], v[4:5]
	v_cmpx_gt_u64_e64 s[24:25], v[4:5]
	s_cbranch_execz .LBB143_68
; %bb.70:                               ;   in Loop: Header=BB143_69 Depth=2
	global_load_u16 v9, v[2:3], off
	s_branch .LBB143_68
.LBB143_71:                             ;   in Loop: Header=BB143_46 Depth=1
	s_or_b32 exec_lo, exec_lo, s5
	s_waitcnt vmcnt(0) lgkmcnt(0)
	s_barrier
	buffer_gl0_inv
	s_and_saveexec_b32 s4, s3
	s_cbranch_execz .LBB143_73
; %bb.72:                               ;   in Loop: Header=BB143_46 Depth=1
	v_dual_mov_b32 v2, s24 :: v_dual_mov_b32 v3, s25
	ds_store_b64 v15, v[2:3] offset:5120
.LBB143_73:                             ;   in Loop: Header=BB143_46 Depth=1
	s_or_b32 exec_lo, exec_lo, s4
	s_mov_b32 s4, -1
	s_waitcnt lgkmcnt(0)
	s_barrier
                                        ; implicit-def: $sgpr64_sgpr65
.LBB143_74:                             ;   in Loop: Header=BB143_46 Depth=1
	s_and_b32 vcc_lo, exec_lo, s4
	s_cbranch_vccz .LBB143_76
; %bb.75:                               ;   in Loop: Header=BB143_46 Depth=1
	buffer_gl0_inv
	ds_load_b64 v[2:3], v15 offset:5120
	s_waitcnt lgkmcnt(0)
	v_readfirstlane_b32 s64, v2
.LBB143_76:                             ;   in Loop: Header=BB143_46 Depth=1
	s_delay_alu instid0(VALU_DEP_1)
	s_cmp_lt_i32 s64, 1
	s_cbranch_scc0 .LBB143_91
; %bb.77:                               ;   in Loop: Header=BB143_46 Depth=1
	global_load_u16 v2, v15, s[56:57]
	s_mov_b32 s5, s25
	s_waitcnt vmcnt(0)
	v_readfirstlane_b32 s4, v2
	s_delay_alu instid0(VALU_DEP_1)
	s_and_b32 s52, s4, 0xffff
	s_mov_b32 s4, s53
	s_lshl_b32 s54, s52, 2
	s_cmp_lg_u64 s[4:5], 0
	s_cbranch_scc0 .LBB143_111
; %bb.78:                               ;   in Loop: Header=BB143_46 Depth=1
	v_cvt_f32_u32_e32 v2, s54
	s_sub_u32 s6, 0, s54
	s_subb_u32 s7, 0, 0
	s_delay_alu instid0(VALU_DEP_1) | instskip(NEXT) | instid1(VALU_DEP_1)
	v_fmac_f32_e64 v2, 0, 0x4f800000
	v_rcp_f32_e32 v2, v2
	s_waitcnt_depctr 0xfff
	v_mul_f32_e32 v2, 0x5f7ffffc, v2
	s_delay_alu instid0(VALU_DEP_1) | instskip(NEXT) | instid1(VALU_DEP_1)
	v_mul_f32_e32 v3, 0x2f800000, v2
	v_trunc_f32_e32 v3, v3
	s_delay_alu instid0(VALU_DEP_1) | instskip(SKIP_1) | instid1(VALU_DEP_2)
	v_fmac_f32_e32 v2, 0xcf800000, v3
	v_cvt_u32_f32_e32 v3, v3
	v_cvt_u32_f32_e32 v2, v2
	s_delay_alu instid0(VALU_DEP_2) | instskip(NEXT) | instid1(VALU_DEP_2)
	v_readfirstlane_b32 s4, v3
	v_readfirstlane_b32 s5, v2
	s_delay_alu instid0(VALU_DEP_2) | instskip(NEXT) | instid1(VALU_DEP_1)
	s_mul_i32 s8, s6, s4
	s_mul_hi_u32 s10, s6, s5
	s_mul_i32 s9, s7, s5
	s_add_i32 s8, s10, s8
	s_mul_i32 s11, s6, s5
	s_add_i32 s8, s8, s9
	s_mul_hi_u32 s10, s5, s11
	s_mul_hi_u32 s12, s4, s11
	s_mul_i32 s9, s4, s11
	s_mul_hi_u32 s11, s5, s8
	s_mul_i32 s5, s5, s8
	s_mul_hi_u32 s13, s4, s8
	s_add_u32 s5, s10, s5
	s_addc_u32 s10, 0, s11
	s_add_u32 s5, s5, s9
	s_mul_i32 s8, s4, s8
	s_addc_u32 s5, s10, s12
	s_addc_u32 s9, s13, 0
	s_add_u32 s5, s5, s8
	s_addc_u32 s8, 0, s9
	v_add_co_u32 v2, s5, v2, s5
	s_delay_alu instid0(VALU_DEP_1) | instskip(SKIP_1) | instid1(VALU_DEP_1)
	s_cmp_lg_u32 s5, 0
	s_addc_u32 s4, s4, s8
	v_readfirstlane_b32 s5, v2
	s_mul_i32 s8, s6, s4
	s_delay_alu instid0(VALU_DEP_1)
	s_mul_hi_u32 s9, s6, s5
	s_mul_i32 s7, s7, s5
	s_add_i32 s8, s9, s8
	s_mul_i32 s6, s6, s5
	s_add_i32 s8, s8, s7
	s_mul_hi_u32 s9, s4, s6
	s_mul_i32 s10, s4, s6
	s_mul_hi_u32 s6, s5, s6
	s_mul_hi_u32 s11, s5, s8
	s_mul_i32 s5, s5, s8
	s_mul_hi_u32 s7, s4, s8
	s_add_u32 s5, s6, s5
	s_addc_u32 s6, 0, s11
	s_add_u32 s5, s5, s10
	s_mul_i32 s8, s4, s8
	s_addc_u32 s5, s6, s9
	s_addc_u32 s6, s7, 0
	s_add_u32 s5, s5, s8
	s_addc_u32 s6, 0, s6
	v_add_co_u32 v2, s5, v2, s5
	s_delay_alu instid0(VALU_DEP_1) | instskip(SKIP_1) | instid1(VALU_DEP_1)
	s_cmp_lg_u32 s5, 0
	s_addc_u32 s4, s4, s6
	v_readfirstlane_b32 s5, v2
	s_mul_i32 s7, s24, s4
	s_mul_hi_u32 s6, s24, s4
	s_mul_hi_u32 s8, s25, s4
	s_mul_i32 s4, s25, s4
	s_mul_hi_u32 s9, s24, s5
	s_mul_hi_u32 s10, s25, s5
	s_mul_i32 s5, s25, s5
	s_add_u32 s7, s9, s7
	s_addc_u32 s6, 0, s6
	s_add_u32 s5, s7, s5
	s_addc_u32 s5, s6, s10
	s_addc_u32 s6, s8, 0
	s_add_u32 s4, s5, s4
	s_addc_u32 s5, 0, s6
	s_mul_hi_u32 s6, s54, s4
	s_mul_i32 s4, s54, s4
	s_mul_i32 s5, s54, s5
	v_sub_co_u32 v2, s4, s24, s4
	s_add_i32 s6, s6, s5
	s_cmp_lg_u32 s4, 0
	s_delay_alu instid0(VALU_DEP_1) | instskip(SKIP_2) | instid1(VALU_DEP_1)
	v_sub_co_u32 v3, s4, v2, s54
	s_subb_u32 s5, s25, s6
	s_cmp_lg_u32 s4, 0
	v_cmp_le_u32_e32 vcc_lo, s54, v3
	v_sub_co_u32 v4, s4, v3, s54
	s_subb_u32 s6, s5, 0
	s_cmp_lg_u32 s4, 0
	v_cndmask_b32_e64 v5, 0, -1, vcc_lo
	s_subb_u32 s4, s6, 0
	s_cmp_eq_u32 s6, 0
	v_mov_b32_e32 v7, s4
	s_cselect_b32 vcc_lo, -1, 0
	s_cmp_eq_u32 s5, 0
	v_cndmask_b32_e32 v5, -1, v5, vcc_lo
	v_cmp_le_u32_e32 vcc_lo, s54, v2
	s_cselect_b32 s4, -1, 0
	v_cndmask_b32_e64 v6, 0, -1, vcc_lo
	s_delay_alu instid0(VALU_DEP_3) | instskip(NEXT) | instid1(VALU_DEP_2)
	v_cmp_ne_u32_e32 vcc_lo, 0, v5
	v_cndmask_b32_e64 v5, -1, v6, s4
	v_cndmask_b32_e32 v6, s6, v7, vcc_lo
	v_cndmask_b32_e32 v4, v3, v4, vcc_lo
	s_delay_alu instid0(VALU_DEP_3) | instskip(NEXT) | instid1(VALU_DEP_3)
	v_cmp_ne_u32_e32 vcc_lo, 0, v5
	v_cndmask_b32_e32 v3, s5, v6, vcc_lo
	s_delay_alu instid0(VALU_DEP_3)
	v_cndmask_b32_e32 v2, v2, v4, vcc_lo
	s_cbranch_execnz .LBB143_80
.LBB143_79:                             ;   in Loop: Header=BB143_46 Depth=1
	v_cvt_f32_u32_e32 v2, s54
	s_sub_i32 s4, 0, s54
	s_delay_alu instid0(VALU_DEP_1) | instskip(SKIP_2) | instid1(VALU_DEP_1)
	v_rcp_iflag_f32_e32 v2, v2
	s_waitcnt_depctr 0xfff
	v_mul_f32_e32 v2, 0x4f7ffffe, v2
	v_cvt_u32_f32_e32 v2, v2
	s_delay_alu instid0(VALU_DEP_1) | instskip(NEXT) | instid1(VALU_DEP_1)
	v_mul_lo_u32 v3, s4, v2
	v_mul_hi_u32 v3, v2, v3
	s_delay_alu instid0(VALU_DEP_1) | instskip(NEXT) | instid1(VALU_DEP_1)
	v_add_nc_u32_e32 v2, v2, v3
	v_mul_hi_u32 v2, s24, v2
	s_delay_alu instid0(VALU_DEP_1) | instskip(NEXT) | instid1(VALU_DEP_1)
	v_mul_lo_u32 v2, v2, s54
	v_sub_nc_u32_e32 v2, s24, v2
	s_delay_alu instid0(VALU_DEP_1) | instskip(SKIP_1) | instid1(VALU_DEP_2)
	v_subrev_nc_u32_e32 v3, s54, v2
	v_cmp_le_u32_e32 vcc_lo, s54, v2
	v_cndmask_b32_e32 v2, v2, v3, vcc_lo
	s_delay_alu instid0(VALU_DEP_1) | instskip(SKIP_1) | instid1(VALU_DEP_2)
	v_subrev_nc_u32_e32 v3, s54, v2
	v_cmp_le_u32_e32 vcc_lo, s54, v2
	v_cndmask_b32_e32 v14, v2, v3, vcc_lo
	s_delay_alu instid0(VALU_DEP_1)
	v_dual_mov_b32 v2, v14 :: v_dual_mov_b32 v3, v15
.LBB143_80:                             ;   in Loop: Header=BB143_46 Depth=1
	s_delay_alu instid0(VALU_DEP_1) | instskip(NEXT) | instid1(VALU_DEP_2)
	v_sub_co_u32 v26, vcc_lo, s24, v2
	v_sub_co_ci_u32_e32 v27, vcc_lo, s25, v3, vcc_lo
	v_mov_b32_e32 v2, 0
	v_mov_b32_e32 v3, 0
	s_mov_b64 s[66:67], 0
	s_mov_b32 s65, exec_lo
	s_delay_alu instid0(VALU_DEP_1)
	v_dual_mov_b32 v5, v3 :: v_dual_mov_b32 v4, v2
	v_dual_mov_b32 v7, v3 :: v_dual_mov_b32 v6, v2
	;; [unrolled: 1-line block ×3, first 2 shown]
	v_cmpx_gt_u64_e64 v[26:27], v[12:13]
	s_cbranch_execz .LBB143_84
; %bb.81:                               ;   in Loop: Header=BB143_46 Depth=1
	v_dual_mov_b32 v29, v25 :: v_dual_mov_b32 v28, v24
	v_dual_mov_b32 v31, v23 :: v_dual_mov_b32 v30, v22
	;; [unrolled: 1-line block ×5, first 2 shown]
	s_mul_i32 s4, s63, s52
	s_mul_hi_u32 s5, s62, s52
	s_and_b32 s99, s92, 0xfe
	s_add_i32 s100, s5, s4
	s_mul_i32 s101, s62, s52
	s_mov_b32 s102, 0
	s_mov_b64 s[68:69], 0
	s_mov_b64 s[70:71], 0
	;; [unrolled: 1-line block ×3, first 2 shown]
.LBB143_82:                             ;   Parent Loop BB143_46 Depth=1
                                        ; =>  This Inner Loop Header: Depth=2
	v_add_co_u32 v2, vcc_lo, v28, s48
	v_add_co_ci_u32_e32 v3, vcc_lo, s49, v29, vcc_lo
	v_add_co_u32 v4, vcc_lo, v30, s48
	v_add_co_ci_u32_e32 v5, vcc_lo, s49, v31, vcc_lo
	;; [unrolled: 2-line block ×4, first 2 shown]
	global_load_u16 v2, v[2:3], off
	global_load_u16 v3, v[4:5], off
	;; [unrolled: 1-line block ×4, first 2 shown]
	v_add_co_u32 v36, vcc_lo, v36, s54
	v_add_co_ci_u32_e32 v37, vcc_lo, 0, v37, vcc_lo
	v_add_co_u32 v34, vcc_lo, v34, s101
	v_add_co_ci_u32_e32 v35, vcc_lo, s100, v35, vcc_lo
	;; [unrolled: 2-line block ×5, first 2 shown]
	v_cmp_ge_u64_e32 vcc_lo, v[36:37], v[26:27]
	s_waitcnt vmcnt(3)
	v_cmp_lt_i16_e64 s4, -1, v2
	v_and_b32_e32 v6, 0xffff, v2
	v_lshlrev_b32_e32 v2, 16, v2
	s_waitcnt vmcnt(2)
	v_and_b32_e32 v8, 0xffff, v3
	s_waitcnt vmcnt(1)
	v_and_b32_e32 v14, 0xffff, v4
	v_cndmask_b32_e64 v7, 0xffff, v45, s4
	v_cmp_lt_i16_e64 s4, -1, v3
	v_lshlrev_b32_e32 v3, 16, v3
	v_cmp_o_f32_e64 s7, v2, v2
	s_waitcnt vmcnt(0)
	v_and_b32_e32 v48, 0xffff, v5
	v_xor_b32_e32 v6, v7, v6
	v_cndmask_b32_e64 v9, 0xffff, v45, s4
	v_cmp_lt_i16_e64 s4, -1, v4
	v_lshlrev_b32_e32 v4, 16, v4
	s_delay_alu instid0(VALU_DEP_4) | instskip(NEXT) | instid1(VALU_DEP_4)
	v_cndmask_b32_e64 v2, 0xffff, v6, s7
	v_xor_b32_e32 v7, v9, v8
	s_delay_alu instid0(VALU_DEP_4)
	v_cndmask_b32_e64 v47, 0xffff, v45, s4
	v_cmp_lt_i16_e64 s4, -1, v5
	v_lshlrev_b32_e32 v5, 16, v5
	v_cmp_o_f32_e64 s5, v4, v4
	v_and_b32_e32 v6, s98, v2
	v_bfe_u32 v2, v2, s99, 2
	v_cndmask_b32_e64 v49, 0xffff, v45, s4
	v_cmp_o_f32_e64 s4, v3, v3
	v_xor_b32_e32 v3, v47, v14
	v_cmp_o_f32_e64 s6, v5, v5
	v_cmp_eq_u32_e64 s8, 0, v2
	v_xor_b32_e32 v4, v49, v48
	v_cndmask_b32_e64 v5, 0xffff, v7, s4
	v_cndmask_b32_e64 v3, 0xffff, v3, s5
	v_cmp_eq_u32_e64 s4, s97, v6
	v_cmp_eq_u32_e64 s12, 1, v2
	v_cndmask_b32_e64 v4, 0xffff, v4, s6
	v_and_b32_e32 v7, s98, v5
	v_bfe_u32 v5, v5, s99, 2
	v_and_b32_e32 v8, s98, v3
	v_bfe_u32 v3, v3, s99, 2
	;; [unrolled: 2-line block ×3, first 2 shown]
	v_cmp_eq_u32_e64 s5, s97, v7
	v_cmp_eq_u32_e64 s9, 0, v5
	;; [unrolled: 1-line block ×4, first 2 shown]
	s_and_b32 s8, s4, s8
	v_cmp_eq_u32_e64 s7, s97, v9
	v_cmp_eq_u32_e64 s11, 0, v4
	v_cmp_eq_u32_e64 s16, 2, v2
	v_cmp_eq_u32_e64 s20, 3, v2
	v_cndmask_b32_e64 v2, 0, 1, s8
	s_and_b32 s8, s5, s9
	v_cmp_eq_u32_e64 s14, 1, v3
	v_cmp_eq_u32_e64 s18, 2, v3
	v_cmp_eq_u32_e64 s22, 3, v3
	v_cndmask_b32_e64 v3, 0, 1, s8
	s_and_b32 s8, s6, s10
	v_cmp_eq_u32_e64 s15, 1, v4
	v_cmp_eq_u32_e64 s19, 2, v4
	v_cmp_eq_u32_e64 s23, 3, v4
	;; [unrolled: 5-line block ×3, first 2 shown]
	v_cndmask_b32_e64 v5, 0, 1, s8
	v_cmp_ne_u32_e64 s8, 0, v2
	v_cmp_ne_u32_e64 s9, 0, v3
	;; [unrolled: 1-line block ×3, first 2 shown]
	s_delay_alu instid0(VALU_DEP_4) | instskip(NEXT) | instid1(VALU_DEP_4)
	v_cmp_ne_u32_e64 s11, 0, v5
	s_bcnt1_i32_b32 s8, s8
	s_delay_alu instid0(VALU_DEP_3) | instskip(NEXT) | instid1(VALU_DEP_2)
	s_bcnt1_i32_b32 s9, s9
	s_bcnt1_i32_b32 s10, s10
	s_add_i32 s8, s9, s8
	s_bcnt1_i32_b32 s11, s11
	s_add_i32 s8, s8, s10
	s_delay_alu instid0(SALU_CYCLE_1) | instskip(NEXT) | instid1(SALU_CYCLE_1)
	s_add_i32 s8, s8, s11
	s_add_u32 s72, s72, s8
	s_addc_u32 s73, s73, 0
	s_and_b32 s8, s4, s12
	s_delay_alu instid0(SALU_CYCLE_1) | instskip(SKIP_1) | instid1(SALU_CYCLE_1)
	v_cndmask_b32_e64 v2, 0, 1, s8
	s_and_b32 s8, s5, s13
	v_cndmask_b32_e64 v3, 0, 1, s8
	s_and_b32 s8, s6, s14
	s_delay_alu instid0(SALU_CYCLE_1) | instskip(SKIP_1) | instid1(VALU_DEP_2)
	v_cndmask_b32_e64 v4, 0, 1, s8
	s_and_b32 s8, s7, s15
	v_cmp_ne_u32_e64 s9, 0, v3
	v_cndmask_b32_e64 v5, 0, 1, s8
	v_cmp_ne_u32_e64 s8, 0, v2
	v_cmp_ne_u32_e64 s10, 0, v4
	s_delay_alu instid0(VALU_DEP_4) | instskip(NEXT) | instid1(VALU_DEP_3)
	s_bcnt1_i32_b32 s9, s9
	v_cmp_ne_u32_e64 s11, 0, v5
	s_delay_alu instid0(VALU_DEP_3) | instskip(NEXT) | instid1(VALU_DEP_2)
	s_bcnt1_i32_b32 s8, s8
	s_bcnt1_i32_b32 s10, s10
	s_add_i32 s8, s9, s8
	s_delay_alu instid0(VALU_DEP_1) | instskip(SKIP_1) | instid1(SALU_CYCLE_1)
	s_bcnt1_i32_b32 s11, s11
	s_add_i32 s8, s8, s10
	s_add_i32 s8, s8, s11
	s_delay_alu instid0(SALU_CYCLE_1) | instskip(SKIP_2) | instid1(SALU_CYCLE_1)
	s_add_u32 s70, s70, s8
	s_addc_u32 s71, s71, 0
	s_and_b32 s8, s4, s16
	v_cndmask_b32_e64 v2, 0, 1, s8
	s_and_b32 s8, s5, s17
	s_delay_alu instid0(SALU_CYCLE_1) | instskip(SKIP_1) | instid1(SALU_CYCLE_1)
	v_cndmask_b32_e64 v3, 0, 1, s8
	s_and_b32 s8, s6, s18
	v_cndmask_b32_e64 v4, 0, 1, s8
	s_and_b32 s8, s7, s19
	s_delay_alu instid0(VALU_DEP_2) | instskip(SKIP_3) | instid1(VALU_DEP_4)
	v_cmp_ne_u32_e64 s9, 0, v3
	v_cndmask_b32_e64 v5, 0, 1, s8
	v_cmp_ne_u32_e64 s8, 0, v2
	v_cmp_ne_u32_e64 s10, 0, v4
	s_bcnt1_i32_b32 s9, s9
	s_delay_alu instid0(VALU_DEP_3) | instskip(NEXT) | instid1(VALU_DEP_3)
	v_cmp_ne_u32_e64 s11, 0, v5
	s_bcnt1_i32_b32 s8, s8
	s_delay_alu instid0(VALU_DEP_2) | instskip(SKIP_1) | instid1(VALU_DEP_1)
	s_bcnt1_i32_b32 s10, s10
	s_add_i32 s8, s9, s8
	s_bcnt1_i32_b32 s11, s11
	s_add_i32 s8, s8, s10
	s_delay_alu instid0(SALU_CYCLE_1) | instskip(NEXT) | instid1(SALU_CYCLE_1)
	s_add_i32 s8, s8, s11
	s_add_u32 s68, s68, s8
	s_addc_u32 s69, s69, 0
	v_mov_b32_e32 v6, s68
	s_and_b32 s4, s4, s20
	v_mov_b32_e32 v7, s69
	v_cndmask_b32_e64 v2, 0, 1, s4
	s_and_b32 s4, s5, s21
	s_delay_alu instid0(SALU_CYCLE_1) | instskip(SKIP_1) | instid1(SALU_CYCLE_1)
	v_cndmask_b32_e64 v3, 0, 1, s4
	s_and_b32 s4, s6, s22
	v_cndmask_b32_e64 v4, 0, 1, s4
	s_and_b32 s4, s7, s23
	s_delay_alu instid0(VALU_DEP_2)
	v_cmp_ne_u32_e64 s5, 0, v3
	v_cndmask_b32_e64 v5, 0, 1, s4
	v_cmp_ne_u32_e64 s4, 0, v2
	v_cmp_ne_u32_e64 s6, 0, v4
	v_mov_b32_e32 v2, s72
	s_bcnt1_i32_b32 s5, s5
	v_cmp_ne_u32_e64 s7, 0, v5
	s_bcnt1_i32_b32 s4, s4
	s_bcnt1_i32_b32 s6, s6
	s_add_i32 s4, s5, s4
	v_mov_b32_e32 v4, s70
	s_bcnt1_i32_b32 s5, s7
	s_add_i32 s4, s4, s6
	v_mov_b32_e32 v3, s73
	s_add_i32 s4, s4, s5
	v_mov_b32_e32 v5, s71
	s_add_u32 s66, s66, s4
	s_addc_u32 s67, s67, 0
	s_delay_alu instid0(SALU_CYCLE_1) | instskip(SKIP_1) | instid1(SALU_CYCLE_1)
	v_dual_mov_b32 v8, s66 :: v_dual_mov_b32 v9, s67
	s_or_b32 s102, vcc_lo, s102
	s_and_not1_b32 exec_lo, exec_lo, s102
	s_cbranch_execnz .LBB143_82
; %bb.83:                               ;   in Loop: Header=BB143_46 Depth=1
	s_or_b32 exec_lo, exec_lo, s102
.LBB143_84:                             ;   in Loop: Header=BB143_46 Depth=1
	s_delay_alu instid0(SALU_CYCLE_1) | instskip(SKIP_3) | instid1(VALU_DEP_2)
	s_or_b32 exec_lo, exec_lo, s65
	v_add_co_u32 v26, vcc_lo, v26, v0
	v_add_co_ci_u32_e32 v27, vcc_lo, 0, v27, vcc_lo
	v_mov_b32_e32 v28, 0
	v_cmp_gt_u64_e32 vcc_lo, s[24:25], v[26:27]
	s_and_saveexec_b32 s5, vcc_lo
	s_cbranch_execz .LBB143_86
; %bb.85:                               ;   in Loop: Header=BB143_46 Depth=1
	v_mul_lo_u32 v14, v27, s28
	v_mul_lo_u32 v30, v26, s29
	v_mad_u64_u32 v[28:29], null, v26, s28, 0
	s_delay_alu instid0(VALU_DEP_1) | instskip(NEXT) | instid1(VALU_DEP_1)
	v_add3_u32 v29, v29, v30, v14
	v_lshlrev_b64 v[28:29], 1, v[28:29]
	s_delay_alu instid0(VALU_DEP_1) | instskip(NEXT) | instid1(VALU_DEP_1)
	v_add_co_u32 v28, s4, s75, v28
	v_add_co_ci_u32_e64 v29, s4, s76, v29, s4
	global_load_u16 v28, v[28:29], off
.LBB143_86:                             ;   in Loop: Header=BB143_46 Depth=1
	s_or_b32 exec_lo, exec_lo, s5
	s_and_saveexec_b32 s8, vcc_lo
	s_cbranch_execz .LBB143_93
; %bb.87:                               ;   in Loop: Header=BB143_46 Depth=1
	s_and_b32 s10, s92, 0xfe
	s_mov_b32 s9, 0
	s_branch .LBB143_89
.LBB143_88:                             ;   in Loop: Header=BB143_89 Depth=2
	s_or_b32 exec_lo, exec_lo, s5
	s_waitcnt vmcnt(0)
	v_cmp_lt_i16_e64 s4, -1, v28
	v_and_b32_e32 v29, 0xffff, v28
	v_lshlrev_b32_e32 v28, 16, v28
	s_and_b32 s6, exec_lo, vcc_lo
	s_delay_alu instid0(SALU_CYCLE_1) | instskip(SKIP_1) | instid1(VALU_DEP_2)
	s_or_b32 s9, s6, s9
	v_cndmask_b32_e64 v30, 0xffff, v45, s4
	v_cmp_o_f32_e64 s4, v28, v28
	s_delay_alu instid0(VALU_DEP_2) | instskip(NEXT) | instid1(VALU_DEP_1)
	v_xor_b32_e32 v29, v30, v29
	v_cndmask_b32_e64 v28, 0xffff, v29, s4
	s_delay_alu instid0(VALU_DEP_1) | instskip(SKIP_1) | instid1(VALU_DEP_2)
	v_and_b32_e32 v29, s98, v28
	v_bfe_u32 v28, v28, s10, 2
	v_cmp_eq_u32_e64 s4, s97, v29
	s_delay_alu instid0(VALU_DEP_2) | instskip(SKIP_2) | instid1(VALU_DEP_3)
	v_cmp_eq_u32_e64 s5, 0, v28
	v_cmp_eq_u32_e32 vcc_lo, 1, v28
	v_cmp_eq_u32_e64 s6, 2, v28
	s_and_b32 s5, s4, s5
	s_delay_alu instid0(SALU_CYCLE_1) | instskip(SKIP_4) | instid1(SALU_CYCLE_1)
	v_cndmask_b32_e64 v29, 0, 1, s5
	s_and_b32 s5, s4, vcc_lo
	v_cmp_eq_u32_e32 vcc_lo, 3, v28
	v_cndmask_b32_e64 v30, 0, 1, s5
	s_and_b32 s5, s4, s6
	v_cndmask_b32_e64 v31, 0, 1, s5
	v_cmp_ne_u32_e64 s5, 0, v29
	s_delay_alu instid0(VALU_DEP_3) | instskip(SKIP_1) | instid1(SALU_CYCLE_1)
	v_cmp_ne_u32_e64 s6, 0, v30
	s_and_b32 s4, s4, vcc_lo
	v_cndmask_b32_e64 v28, 0, 1, s4
	s_delay_alu instid0(VALU_DEP_3)
	s_bcnt1_i32_b32 s4, s5
	v_cmp_ne_u32_e64 s7, 0, v31
	v_add_co_u32 v2, vcc_lo, v2, s4
	s_bcnt1_i32_b32 s5, s6
	v_add_co_ci_u32_e32 v3, vcc_lo, 0, v3, vcc_lo
	v_add_co_u32 v4, vcc_lo, v4, s5
	v_add_co_ci_u32_e32 v5, vcc_lo, 0, v5, vcc_lo
	s_bcnt1_i32_b32 s6, s7
	v_cmp_ne_u32_e32 vcc_lo, 0, v28
	v_mov_b32_e32 v28, v14
	v_add_co_u32 v6, s4, v6, s6
	s_delay_alu instid0(VALU_DEP_1) | instskip(SKIP_1) | instid1(SALU_CYCLE_1)
	v_add_co_ci_u32_e64 v7, s4, 0, v7, s4
	s_bcnt1_i32_b32 s4, vcc_lo
	v_add_co_u32 v8, vcc_lo, v8, s4
	v_add_co_ci_u32_e32 v9, vcc_lo, 0, v9, vcc_lo
	s_and_not1_b32 exec_lo, exec_lo, s9
	s_cbranch_execz .LBB143_92
.LBB143_89:                             ;   Parent Loop BB143_46 Depth=1
                                        ; =>  This Inner Loop Header: Depth=2
	v_add_co_u32 v26, vcc_lo, v26, s52
	v_add_co_ci_u32_e32 v27, vcc_lo, 0, v27, vcc_lo
	v_mov_b32_e32 v14, 0
	s_mov_b32 s5, exec_lo
	s_delay_alu instid0(VALU_DEP_2)
	v_cmp_le_u64_e32 vcc_lo, s[24:25], v[26:27]
	v_cmpx_gt_u64_e64 s[24:25], v[26:27]
	s_cbranch_execz .LBB143_88
; %bb.90:                               ;   in Loop: Header=BB143_89 Depth=2
	v_mul_lo_u32 v14, v27, s28
	v_mul_lo_u32 v31, v26, s29
	v_mad_u64_u32 v[29:30], null, v26, s28, 0
	s_delay_alu instid0(VALU_DEP_1) | instskip(NEXT) | instid1(VALU_DEP_1)
	v_add3_u32 v30, v30, v31, v14
	v_lshlrev_b64 v[29:30], 1, v[29:30]
	s_delay_alu instid0(VALU_DEP_1) | instskip(NEXT) | instid1(VALU_DEP_1)
	v_add_co_u32 v29, s4, s75, v29
	v_add_co_ci_u32_e64 v30, s4, s76, v30, s4
	global_load_u16 v14, v[29:30], off
	s_branch .LBB143_88
.LBB143_91:                             ;   in Loop: Header=BB143_46 Depth=1
                                        ; implicit-def: $vgpr8_vgpr9
                                        ; implicit-def: $vgpr4_vgpr5
	s_cbranch_execnz .LBB143_94
	s_branch .LBB143_103
.LBB143_92:                             ;   in Loop: Header=BB143_46 Depth=1
	s_or_b32 exec_lo, exec_lo, s9
.LBB143_93:                             ;   in Loop: Header=BB143_46 Depth=1
	s_delay_alu instid0(SALU_CYCLE_1)
	s_or_b32 exec_lo, exec_lo, s8
	s_branch .LBB143_103
.LBB143_94:                             ;   in Loop: Header=BB143_46 Depth=1
	global_load_u16 v8, v15, s[56:57]
	s_mov_b64 s[66:67], 0
	s_mov_b32 s65, exec_lo
	s_waitcnt vmcnt(0)
	v_readfirstlane_b32 s4, v8
	v_and_b32_e32 v28, 0xffff, v8
	s_delay_alu instid0(VALU_DEP_2) | instskip(NEXT) | instid1(SALU_CYCLE_1)
	s_and_b32 s4, 0xffff, s4
	s_lshl_b32 s54, s4, 2
	s_delay_alu instid0(SALU_CYCLE_1) | instskip(SKIP_1) | instid1(VALU_DEP_1)
	v_cvt_f32_u32_e32 v2, s54
	s_sub_i32 s5, 0, s54
	v_rcp_iflag_f32_e32 v2, v2
	s_waitcnt_depctr 0xfff
	v_mul_f32_e32 v2, 0x4f7ffffe, v2
	s_delay_alu instid0(VALU_DEP_1) | instskip(NEXT) | instid1(VALU_DEP_1)
	v_cvt_u32_f32_e32 v2, v2
	v_readfirstlane_b32 s4, v2
	v_mov_b32_e32 v2, 0
	v_mov_b32_e32 v3, 0
	s_delay_alu instid0(VALU_DEP_3) | instskip(NEXT) | instid1(VALU_DEP_1)
	s_mul_i32 s5, s5, s4
	v_dual_mov_b32 v5, v3 :: v_dual_mov_b32 v4, v2
	s_mul_hi_u32 s5, s4, s5
	v_dual_mov_b32 v7, v3 :: v_dual_mov_b32 v6, v2
	s_add_i32 s4, s4, s5
	v_dual_mov_b32 v9, v3 :: v_dual_mov_b32 v8, v2
	s_mul_hi_u32 s4, s64, s4
	s_delay_alu instid0(SALU_CYCLE_1) | instskip(NEXT) | instid1(SALU_CYCLE_1)
	s_mul_i32 s4, s4, s54
	s_sub_i32 s4, s64, s4
	s_delay_alu instid0(SALU_CYCLE_1) | instskip(SKIP_2) | instid1(SALU_CYCLE_1)
	s_sub_i32 s5, s4, s54
	s_cmp_ge_u32 s4, s54
	s_cselect_b32 s4, s5, s4
	s_sub_i32 s5, s4, s54
	s_cmp_ge_u32 s4, s54
	s_cselect_b32 s4, s5, s4
	s_delay_alu instid0(SALU_CYCLE_1) | instskip(NEXT) | instid1(SALU_CYCLE_1)
	s_sub_i32 s52, s64, s4
	v_cmpx_gt_u32_e64 s52, v12
	s_cbranch_execz .LBB143_98
; %bb.95:                               ;   in Loop: Header=BB143_46 Depth=1
	v_dual_mov_b32 v29, v42 :: v_dual_lshlrev_b32 v14, 3, v28
	v_dual_mov_b32 v27, v13 :: v_dual_mov_b32 v26, v12
	s_and_b32 s99, s92, 0xfe
	s_mov_b32 s100, 0
	s_mov_b64 s[68:69], 0
	s_mov_b64 s[70:71], 0
	;; [unrolled: 1-line block ×3, first 2 shown]
.LBB143_96:                             ;   Parent Loop BB143_46 Depth=1
                                        ; =>  This Inner Loop Header: Depth=2
	ds_load_b64 v[2:3], v29
	v_add_co_u32 v26, vcc_lo, v26, s54
	v_add_co_ci_u32_e32 v27, vcc_lo, 0, v27, vcc_lo
	s_delay_alu instid0(VALU_DEP_1)
	v_cmp_le_u64_e32 vcc_lo, s[52:53], v[26:27]
	s_waitcnt lgkmcnt(0)
	v_cmp_lt_i16_e64 s4, -1, v2
	v_lshrrev_b32_e32 v4, 16, v2
	v_lshrrev_b32_e32 v5, 16, v3
	v_and_b32_e32 v6, 0xffff, v2
	v_lshlrev_b32_e32 v8, 16, v2
	v_cndmask_b32_e64 v7, 0xffff, v45, s4
	v_cmp_lt_i16_e64 s4, -1, v3
	v_and_b32_e32 v9, 0xffff, v3
	v_cmp_lt_i16_e64 s5, -1, v5
	v_lshlrev_b32_e32 v31, 16, v3
	v_and_b32_e32 v2, 0xffff0000, v2
	v_cndmask_b32_e64 v30, 0xffff, v45, s4
	v_cmp_lt_i16_e64 s4, -1, v4
	v_xor_b32_e32 v6, v7, v6
	v_and_b32_e32 v3, 0xffff0000, v3
	s_delay_alu instid0(VALU_DEP_4) | instskip(NEXT) | instid1(VALU_DEP_4)
	v_xor_b32_e32 v9, v30, v9
	v_cndmask_b32_e64 v7, 0xffff, v45, s4
	v_cndmask_b32_e64 v30, 0xffff, v45, s5
	v_cmp_o_f32_e64 s5, v8, v8
	v_cmp_o_f32_e64 s4, v31, v31
	s_delay_alu instid0(VALU_DEP_4) | instskip(NEXT) | instid1(VALU_DEP_4)
	v_xor_b32_e32 v4, v7, v4
	v_xor_b32_e32 v5, v30, v5
	s_delay_alu instid0(VALU_DEP_4) | instskip(SKIP_3) | instid1(VALU_DEP_4)
	v_cndmask_b32_e64 v6, 0xffff, v6, s5
	v_cmp_o_f32_e64 s5, v2, v2
	v_cndmask_b32_e64 v7, 0xffff, v9, s4
	v_cmp_o_f32_e64 s4, v3, v3
	v_and_b32_e32 v3, s98, v6
	s_delay_alu instid0(VALU_DEP_4) | instskip(SKIP_1) | instid1(VALU_DEP_4)
	v_cndmask_b32_e64 v2, 0xffff, v4, s5
	v_bfe_u32 v6, v6, s99, 2
	v_cndmask_b32_e64 v4, 0xffff, v5, s4
	v_and_b32_e32 v5, s98, v7
	v_bfe_u32 v7, v7, s99, 2
	v_cmp_eq_u32_e64 s4, s97, v3
	v_and_b32_e32 v3, s98, v2
	v_bfe_u32 v2, v2, s99, 2
	v_cmp_eq_u32_e64 s6, 0, v6
	v_cmp_eq_u32_e64 s5, s97, v5
	v_and_b32_e32 v5, s98, v4
	v_bfe_u32 v4, v4, s99, 2
	v_cmp_eq_u32_e64 s7, 0, v7
	v_cmp_eq_u32_e64 s14, s97, v3
	v_cmp_eq_u32_e64 s16, 0, v2
	s_and_b32 s6, s4, s6
	v_cmp_eq_u32_e64 s15, s97, v5
	v_cmp_eq_u32_e64 s17, 0, v4
	v_cndmask_b32_e64 v3, 0, 1, s6
	s_and_b32 s6, s5, s7
	s_and_b32 s16, s14, s16
	v_cndmask_b32_e64 v5, 0, 1, s6
	v_cmp_eq_u32_e64 s6, 1, v2
	v_cmp_eq_u32_e64 s18, 2, v2
	;; [unrolled: 1-line block ×3, first 2 shown]
	v_cndmask_b32_e64 v2, 0, 1, s16
	s_and_b32 s16, s15, s17
	v_cmp_eq_u32_e64 s7, 1, v4
	v_cmp_eq_u32_e64 s19, 2, v4
	;; [unrolled: 1-line block ×3, first 2 shown]
	v_cndmask_b32_e64 v4, 0, 1, s16
	v_cmp_ne_u32_e64 s16, 0, v3
	v_cmp_ne_u32_e64 s22, 0, v2
	;; [unrolled: 1-line block ×3, first 2 shown]
	v_cmp_eq_u32_e64 s8, 1, v6
	v_cmp_ne_u32_e64 s23, 0, v4
	s_bcnt1_i32_b32 s16, s16
	s_bcnt1_i32_b32 s22, s22
	;; [unrolled: 1-line block ×3, first 2 shown]
	s_add_i32 s16, s22, s16
	s_bcnt1_i32_b32 s23, s23
	s_add_i32 s16, s16, s17
	v_cmp_eq_u32_e64 s9, 1, v7
	s_add_i32 s16, s16, s23
	v_cmp_eq_u32_e64 s10, 2, v6
	s_add_u32 s72, s72, s16
	s_addc_u32 s73, s73, 0
	s_and_b32 s8, s4, s8
	s_and_b32 s6, s14, s6
	v_cndmask_b32_e64 v2, 0, 1, s8
	v_cndmask_b32_e64 v3, 0, 1, s6
	s_and_b32 s6, s5, s9
	v_cmp_eq_u32_e64 s11, 2, v7
	v_cndmask_b32_e64 v4, 0, 1, s6
	s_and_b32 s6, s15, s7
	v_cmp_ne_u32_e64 s7, 0, v3
	v_cndmask_b32_e64 v5, 0, 1, s6
	v_cmp_ne_u32_e64 s6, 0, v2
	v_cmp_ne_u32_e64 s8, 0, v4
	v_cmp_eq_u32_e64 s12, 3, v6
	s_bcnt1_i32_b32 s7, s7
	v_cmp_ne_u32_e64 s9, 0, v5
	s_bcnt1_i32_b32 s6, s6
	s_bcnt1_i32_b32 s8, s8
	s_add_i32 s6, s7, s6
	v_cmp_eq_u32_e64 s13, 3, v7
	s_bcnt1_i32_b32 s9, s9
	s_add_i32 s6, s6, s8
	v_add_nc_u32_e32 v29, v29, v14
	s_add_i32 s6, s6, s9
	s_delay_alu instid0(SALU_CYCLE_1) | instskip(SKIP_2) | instid1(SALU_CYCLE_1)
	s_add_u32 s70, s70, s6
	s_addc_u32 s71, s71, 0
	s_and_b32 s6, s4, s10
	v_cndmask_b32_e64 v2, 0, 1, s6
	s_and_b32 s6, s14, s18
	s_delay_alu instid0(SALU_CYCLE_1) | instskip(SKIP_1) | instid1(SALU_CYCLE_1)
	v_cndmask_b32_e64 v3, 0, 1, s6
	s_and_b32 s6, s5, s11
	v_cndmask_b32_e64 v4, 0, 1, s6
	s_and_b32 s6, s15, s19
	s_delay_alu instid0(VALU_DEP_2) | instskip(SKIP_3) | instid1(VALU_DEP_4)
	v_cmp_ne_u32_e64 s7, 0, v3
	v_cndmask_b32_e64 v5, 0, 1, s6
	v_cmp_ne_u32_e64 s6, 0, v2
	v_cmp_ne_u32_e64 s8, 0, v4
	s_bcnt1_i32_b32 s7, s7
	s_delay_alu instid0(VALU_DEP_3) | instskip(NEXT) | instid1(VALU_DEP_3)
	v_cmp_ne_u32_e64 s9, 0, v5
	s_bcnt1_i32_b32 s6, s6
	s_delay_alu instid0(VALU_DEP_2) | instskip(SKIP_1) | instid1(VALU_DEP_1)
	s_bcnt1_i32_b32 s8, s8
	s_add_i32 s6, s7, s6
	s_bcnt1_i32_b32 s9, s9
	s_add_i32 s6, s6, s8
	s_delay_alu instid0(SALU_CYCLE_1) | instskip(NEXT) | instid1(SALU_CYCLE_1)
	s_add_i32 s6, s6, s9
	s_add_u32 s68, s68, s6
	s_addc_u32 s69, s69, 0
	s_and_b32 s4, s4, s12
	v_mov_b32_e32 v6, s68
	v_cndmask_b32_e64 v2, 0, 1, s4
	s_and_b32 s4, s14, s20
	v_mov_b32_e32 v7, s69
	v_cndmask_b32_e64 v3, 0, 1, s4
	s_and_b32 s4, s5, s13
	s_delay_alu instid0(SALU_CYCLE_1) | instskip(SKIP_1) | instid1(VALU_DEP_2)
	v_cndmask_b32_e64 v4, 0, 1, s4
	s_and_b32 s4, s15, s21
	v_cmp_ne_u32_e64 s5, 0, v3
	v_cndmask_b32_e64 v5, 0, 1, s4
	v_cmp_ne_u32_e64 s4, 0, v2
	v_mov_b32_e32 v2, s72
	v_cmp_ne_u32_e64 s6, 0, v4
	s_bcnt1_i32_b32 s5, s5
	v_cmp_ne_u32_e64 s7, 0, v5
	s_bcnt1_i32_b32 s4, s4
	v_mov_b32_e32 v4, s70
	s_bcnt1_i32_b32 s6, s6
	s_add_i32 s4, s5, s4
	s_bcnt1_i32_b32 s5, s7
	s_add_i32 s4, s4, s6
	v_mov_b32_e32 v3, s73
	s_add_i32 s4, s4, s5
	v_mov_b32_e32 v5, s71
	s_add_u32 s66, s66, s4
	s_addc_u32 s67, s67, 0
	s_delay_alu instid0(SALU_CYCLE_1) | instskip(SKIP_1) | instid1(SALU_CYCLE_1)
	v_dual_mov_b32 v8, s66 :: v_dual_mov_b32 v9, s67
	s_or_b32 s100, vcc_lo, s100
	s_and_not1_b32 exec_lo, exec_lo, s100
	s_cbranch_execnz .LBB143_96
; %bb.97:                               ;   in Loop: Header=BB143_46 Depth=1
	s_or_b32 exec_lo, exec_lo, s100
.LBB143_98:                             ;   in Loop: Header=BB143_46 Depth=1
	s_delay_alu instid0(SALU_CYCLE_1) | instskip(SKIP_2) | instid1(VALU_DEP_1)
	s_or_b32 exec_lo, exec_lo, s65
	v_add_nc_u32_e32 v14, s52, v0
	s_mov_b32 s9, exec_lo
	v_cmpx_gt_u32_e64 s64, v14
	s_cbranch_execz .LBB143_102
; %bb.99:                               ;   in Loop: Header=BB143_46 Depth=1
	v_dual_mov_b32 v27, v15 :: v_dual_lshlrev_b32 v30, 1, v28
	v_dual_mov_b32 v26, v14 :: v_dual_lshlrev_b32 v29, 1, v14
	s_mov_b32 s11, 0
	s_and_b32 s10, s64, 0x7fffffff
	s_and_b32 s13, s92, 0xfe
	s_mov_b32 s12, s11
.LBB143_100:                            ;   Parent Loop BB143_46 Depth=1
                                        ; =>  This Inner Loop Header: Depth=2
	ds_load_u16 v14, v29
	v_add_co_u32 v26, vcc_lo, v26, v28
	v_add_co_ci_u32_e32 v27, vcc_lo, 0, v27, vcc_lo
	v_add_nc_u32_e32 v29, v29, v30
	s_delay_alu instid0(VALU_DEP_2) | instskip(SKIP_4) | instid1(VALU_DEP_3)
	v_cmp_le_u64_e32 vcc_lo, s[10:11], v[26:27]
	s_waitcnt lgkmcnt(0)
	v_cmp_lt_i16_e64 s4, -1, v14
	v_and_b32_e32 v31, 0xffff, v14
	v_lshlrev_b32_e32 v14, 16, v14
	v_cndmask_b32_e64 v32, 0xffff, v45, s4
	s_delay_alu instid0(VALU_DEP_2) | instskip(NEXT) | instid1(VALU_DEP_2)
	v_cmp_o_f32_e64 s4, v14, v14
	v_xor_b32_e32 v31, v32, v31
	s_delay_alu instid0(VALU_DEP_1) | instskip(NEXT) | instid1(VALU_DEP_1)
	v_cndmask_b32_e64 v14, 0xffff, v31, s4
	v_and_b32_e32 v31, s98, v14
	v_bfe_u32 v14, v14, s13, 2
	s_delay_alu instid0(VALU_DEP_2) | instskip(NEXT) | instid1(VALU_DEP_2)
	v_cmp_eq_u32_e64 s4, s97, v31
	v_cmp_eq_u32_e64 s5, 0, v14
	;; [unrolled: 1-line block ×5, first 2 shown]
	s_delay_alu instid0(VALU_DEP_4) | instskip(NEXT) | instid1(SALU_CYCLE_1)
	s_and_b32 s5, s4, s5
	v_cndmask_b32_e64 v14, 0, 1, s5
	s_and_b32 s5, s4, s6
	s_delay_alu instid0(SALU_CYCLE_1)
	v_cndmask_b32_e64 v31, 0, 1, s5
	s_and_b32 s5, s4, s7
	s_and_b32 s4, s4, s8
	v_cndmask_b32_e64 v32, 0, 1, s5
	v_cndmask_b32_e64 v33, 0, 1, s4
	v_cmp_ne_u32_e64 s4, 0, v14
	v_cmp_ne_u32_e64 s5, 0, v31
	s_delay_alu instid0(VALU_DEP_4) | instskip(NEXT) | instid1(VALU_DEP_4)
	v_cmp_ne_u32_e64 s6, 0, v32
	v_cmp_ne_u32_e64 s7, 0, v33
	s_delay_alu instid0(VALU_DEP_4) | instskip(NEXT) | instid1(VALU_DEP_3)
	s_bcnt1_i32_b32 s4, s4
	s_bcnt1_i32_b32 s5, s5
	v_add_co_u32 v2, s4, v2, s4
	s_delay_alu instid0(VALU_DEP_1)
	v_add_co_ci_u32_e64 v3, s4, 0, v3, s4
	v_add_co_u32 v4, s4, v4, s5
	s_bcnt1_i32_b32 s6, s6
	v_add_co_ci_u32_e64 v5, s4, 0, v5, s4
	v_add_co_u32 v6, s4, v6, s6
	s_bcnt1_i32_b32 s7, s7
	v_add_co_ci_u32_e64 v7, s4, 0, v7, s4
	v_add_co_u32 v8, s4, v8, s7
	s_delay_alu instid0(VALU_DEP_1) | instskip(SKIP_1) | instid1(SALU_CYCLE_1)
	v_add_co_ci_u32_e64 v9, s4, 0, v9, s4
	s_or_b32 s12, vcc_lo, s12
	s_and_not1_b32 exec_lo, exec_lo, s12
	s_cbranch_execnz .LBB143_100
; %bb.101:                              ;   in Loop: Header=BB143_46 Depth=1
	s_or_b32 exec_lo, exec_lo, s12
.LBB143_102:                            ;   in Loop: Header=BB143_46 Depth=1
	s_delay_alu instid0(SALU_CYCLE_1)
	s_or_b32 exec_lo, exec_lo, s9
.LBB143_103:                            ;   in Loop: Header=BB143_46 Depth=1
	s_lshl_b32 s4, s95, 7
	s_and_saveexec_b32 s5, s1
	s_cbranch_execz .LBB143_105
; %bb.104:                              ;   in Loop: Header=BB143_46 Depth=1
	v_or_b32_e32 v14, s4, v41
	s_delay_alu instid0(VALU_DEP_1)
	v_lshlrev_b32_e32 v14, 3, v14
	ds_store_b128 v14, v[2:5] offset:3072
	ds_store_b128 v14, v[6:9] offset:3088
.LBB143_105:                            ;   in Loop: Header=BB143_46 Depth=1
	s_or_b32 exec_lo, exec_lo, s5
	s_waitcnt vmcnt(0) lgkmcnt(0)
	s_barrier
	buffer_gl0_inv
	s_and_saveexec_b32 s5, s77
	s_cbranch_execz .LBB143_116
; %bb.106:                              ;   in Loop: Header=BB143_46 Depth=1
	v_mov_b32_e32 v2, 0
	v_mov_b32_e32 v3, 0
	s_and_not1_b32 vcc_lo, exec_lo, s84
	s_cbranch_vccnz .LBB143_115
; %bb.107:                              ;   in Loop: Header=BB143_46 Depth=1
	v_mov_b32_e32 v2, 0
	v_mov_b32_e32 v3, 0
	s_and_not1_b32 vcc_lo, exec_lo, s82
	s_cbranch_vccnz .LBB143_112
; %bb.108:                              ;   in Loop: Header=BB143_46 Depth=1
	v_lshl_add_u32 v4, s95, 10, v44
	s_mov_b32 s6, 0
	s_set_inst_prefetch_distance 0x1
	.p2align	6
.LBB143_109:                            ;   Parent Loop BB143_46 Depth=1
                                        ; =>  This Inner Loop Header: Depth=2
	ds_load_2addr_b64 v[5:8], v4 offset1:4
	ds_load_2addr_b64 v[26:29], v4 offset0:8 offset1:12
	ds_load_2addr_b64 v[30:33], v4 offset0:16 offset1:20
	s_add_i32 s6, s6, 8
	s_delay_alu instid0(SALU_CYCLE_1) | instskip(SKIP_3) | instid1(VALU_DEP_2)
	s_cmp_eq_u32 s83, s6
	s_waitcnt lgkmcnt(2)
	v_add_co_u32 v2, vcc_lo, v5, v2
	v_add_co_ci_u32_e32 v3, vcc_lo, v6, v3, vcc_lo
	v_add_co_u32 v2, vcc_lo, v7, v2
	s_delay_alu instid0(VALU_DEP_2)
	v_add_co_ci_u32_e32 v3, vcc_lo, v8, v3, vcc_lo
	ds_load_2addr_b64 v[5:8], v4 offset0:24 offset1:28
	s_waitcnt lgkmcnt(2)
	v_add_co_u32 v2, vcc_lo, v26, v2
	v_add_co_ci_u32_e32 v3, vcc_lo, v27, v3, vcc_lo
	v_add_nc_u32_e32 v4, 0x100, v4
	s_delay_alu instid0(VALU_DEP_3) | instskip(NEXT) | instid1(VALU_DEP_3)
	v_add_co_u32 v2, vcc_lo, v28, v2
	v_add_co_ci_u32_e32 v3, vcc_lo, v29, v3, vcc_lo
	s_waitcnt lgkmcnt(1)
	s_delay_alu instid0(VALU_DEP_2) | instskip(NEXT) | instid1(VALU_DEP_2)
	v_add_co_u32 v2, vcc_lo, v30, v2
	v_add_co_ci_u32_e32 v3, vcc_lo, v31, v3, vcc_lo
	s_delay_alu instid0(VALU_DEP_2) | instskip(NEXT) | instid1(VALU_DEP_2)
	v_add_co_u32 v2, vcc_lo, v32, v2
	v_add_co_ci_u32_e32 v3, vcc_lo, v33, v3, vcc_lo
	s_waitcnt lgkmcnt(0)
	s_delay_alu instid0(VALU_DEP_2) | instskip(NEXT) | instid1(VALU_DEP_2)
	v_add_co_u32 v2, vcc_lo, v5, v2
	v_add_co_ci_u32_e32 v3, vcc_lo, v6, v3, vcc_lo
	s_delay_alu instid0(VALU_DEP_2) | instskip(NEXT) | instid1(VALU_DEP_2)
	v_add_co_u32 v2, vcc_lo, v7, v2
	v_add_co_ci_u32_e32 v3, vcc_lo, v8, v3, vcc_lo
	s_cbranch_scc0 .LBB143_109
; %bb.110:                              ;   in Loop: Header=BB143_46 Depth=1
	s_set_inst_prefetch_distance 0x2
	s_mov_b32 s6, s83
	s_and_not1_b32 vcc_lo, exec_lo, s85
	s_cbranch_vccz .LBB143_113
	s_branch .LBB143_115
.LBB143_111:                            ;   in Loop: Header=BB143_46 Depth=1
                                        ; implicit-def: $vgpr2_vgpr3
	s_branch .LBB143_79
.LBB143_112:                            ;   in Loop: Header=BB143_46 Depth=1
	s_mov_b32 s6, 0
	s_and_not1_b32 vcc_lo, exec_lo, s85
	s_cbranch_vccnz .LBB143_115
.LBB143_113:                            ;   in Loop: Header=BB143_46 Depth=1
	s_lshl_b32 s7, s95, 10
	s_lshl_b32 s6, s6, 5
	s_delay_alu instid0(SALU_CYCLE_1)
	v_add3_u32 v4, s7, s6, v44
	s_mov_b32 s6, s81
.LBB143_114:                            ;   Parent Loop BB143_46 Depth=1
                                        ; =>  This Inner Loop Header: Depth=2
	ds_load_b64 v[5:6], v4
	v_add_nc_u32_e32 v4, 32, v4
	s_add_i32 s6, s6, -1
	s_delay_alu instid0(SALU_CYCLE_1)
	s_cmp_lg_u32 s6, 0
	s_waitcnt lgkmcnt(0)
	v_add_co_u32 v2, vcc_lo, v5, v2
	v_add_co_ci_u32_e32 v3, vcc_lo, v6, v3, vcc_lo
	s_cbranch_scc1 .LBB143_114
.LBB143_115:                            ;   in Loop: Header=BB143_46 Depth=1
	v_add_lshl_u32 v4, s4, v38, 3
	ds_store_b64 v4, v[2:3] offset:3072
.LBB143_116:                            ;   in Loop: Header=BB143_46 Depth=1
	s_or_b32 exec_lo, exec_lo, s5
	s_lshl_b32 s4, s4, 3
	s_waitcnt lgkmcnt(0)
	v_mov_b32_e32 v6, s4
	s_barrier
	buffer_gl0_inv
	s_and_b32 s17, s92, 0xfe
	s_mov_b32 s19, -1
	ds_load_b128 v[2:5], v6 offset:3072
	ds_load_b128 v[6:9], v6 offset:3088
	s_lshl_b32 s16, 3, s17
	s_delay_alu instid0(SALU_CYCLE_1)
	s_not_b32 s18, s16
	s_waitcnt lgkmcnt(1)
	v_readfirstlane_b32 s13, v3
	v_readfirstlane_b32 s12, v2
	;; [unrolled: 1-line block ×4, first 2 shown]
	s_waitcnt lgkmcnt(0)
	v_readfirstlane_b32 s8, v6
	v_readfirstlane_b32 s9, v7
	s_cmp_eq_u64 s[12:13], 1
	v_readfirstlane_b32 s6, v8
	s_cselect_b32 s4, -1, 0
	s_cmp_eq_u64 s[50:51], 1
	v_readfirstlane_b32 s7, v9
	s_cselect_b32 s5, -1, 0
	s_delay_alu instid0(SALU_CYCLE_1) | instskip(NEXT) | instid1(SALU_CYCLE_1)
	s_and_b32 s20, s4, s5
	s_and_b32 vcc_lo, exec_lo, s20
	s_cbranch_vccz .LBB143_131
; %bb.117:                              ;   in Loop: Header=BB143_46 Depth=1
	ds_load_b64 v[2:3], v15 offset:5120
	s_waitcnt lgkmcnt(0)
	s_barrier
	buffer_gl0_inv
	v_readfirstlane_b32 s14, v2
	v_readfirstlane_b32 s15, v3
	s_and_saveexec_b32 s4, s0
	s_cbranch_execz .LBB143_119
; %bb.118:                              ;   in Loop: Header=BB143_46 Depth=1
	ds_store_b16 v40, v15
.LBB143_119:                            ;   in Loop: Header=BB143_46 Depth=1
	s_or_b32 exec_lo, exec_lo, s4
	s_and_b32 s97, s97, s18
	s_or_b32 s98, s98, s16
	s_cmp_eq_u64 s[14:15], 0
	s_waitcnt lgkmcnt(0)
	s_barrier
	buffer_gl0_inv
	s_cbranch_scc1 .LBB143_132
; %bb.120:                              ;   in Loop: Header=BB143_46 Depth=1
	s_add_u32 s21, s78, s14
	s_addc_u32 s5, s79, s15
	s_mov_b32 s4, s53
	s_delay_alu instid0(SALU_CYCLE_1)
	s_cmp_lg_u64 s[4:5], 0
	s_cbranch_scc0 .LBB143_177
; %bb.121:                              ;   in Loop: Header=BB143_46 Depth=1
	v_cvt_f32_u32_e32 v2, s33
	s_sub_u32 s23, 0, s33
	s_subb_u32 s52, 0, 0
	s_delay_alu instid0(VALU_DEP_1) | instskip(NEXT) | instid1(VALU_DEP_1)
	v_fmac_f32_e64 v2, 0, 0x4f800000
	v_rcp_f32_e32 v2, v2
	s_waitcnt_depctr 0xfff
	v_mul_f32_e32 v2, 0x5f7ffffc, v2
	s_delay_alu instid0(VALU_DEP_1) | instskip(NEXT) | instid1(VALU_DEP_1)
	v_mul_f32_e32 v3, 0x2f800000, v2
	v_trunc_f32_e32 v3, v3
	s_delay_alu instid0(VALU_DEP_1) | instskip(SKIP_1) | instid1(VALU_DEP_2)
	v_fmac_f32_e32 v2, 0xcf800000, v3
	v_cvt_u32_f32_e32 v3, v3
	v_cvt_u32_f32_e32 v2, v2
	s_delay_alu instid0(VALU_DEP_2) | instskip(NEXT) | instid1(VALU_DEP_2)
	v_readfirstlane_b32 s4, v3
	v_readfirstlane_b32 s22, v2
	s_delay_alu instid0(VALU_DEP_2) | instskip(NEXT) | instid1(VALU_DEP_1)
	s_mul_i32 s54, s23, s4
	s_mul_hi_u32 s65, s23, s22
	s_mul_i32 s64, s52, s22
	s_add_i32 s54, s65, s54
	s_mul_i32 s66, s23, s22
	s_add_i32 s54, s54, s64
	s_mul_hi_u32 s65, s22, s66
	s_mul_hi_u32 s67, s4, s66
	s_mul_i32 s64, s4, s66
	s_mul_hi_u32 s66, s22, s54
	s_mul_i32 s22, s22, s54
	s_mul_hi_u32 s68, s4, s54
	s_add_u32 s22, s65, s22
	s_addc_u32 s65, 0, s66
	s_add_u32 s22, s22, s64
	s_mul_i32 s54, s4, s54
	s_addc_u32 s22, s65, s67
	s_addc_u32 s64, s68, 0
	s_add_u32 s22, s22, s54
	s_addc_u32 s54, 0, s64
	v_add_co_u32 v2, s22, v2, s22
	s_delay_alu instid0(VALU_DEP_1) | instskip(SKIP_1) | instid1(VALU_DEP_1)
	s_cmp_lg_u32 s22, 0
	s_addc_u32 s4, s4, s54
	v_readfirstlane_b32 s22, v2
	s_mul_i32 s54, s23, s4
	s_delay_alu instid0(VALU_DEP_1)
	s_mul_hi_u32 s64, s23, s22
	s_mul_i32 s52, s52, s22
	s_add_i32 s54, s64, s54
	s_mul_i32 s23, s23, s22
	s_add_i32 s54, s54, s52
	s_mul_hi_u32 s64, s4, s23
	s_mul_i32 s65, s4, s23
	s_mul_hi_u32 s23, s22, s23
	s_mul_hi_u32 s66, s22, s54
	s_mul_i32 s22, s22, s54
	s_mul_hi_u32 s52, s4, s54
	s_add_u32 s22, s23, s22
	s_addc_u32 s23, 0, s66
	s_add_u32 s22, s22, s65
	s_mul_i32 s54, s4, s54
	s_addc_u32 s22, s23, s64
	s_addc_u32 s23, s52, 0
	s_add_u32 s22, s22, s54
	s_addc_u32 s23, 0, s23
	v_add_co_u32 v2, s22, v2, s22
	s_delay_alu instid0(VALU_DEP_1) | instskip(SKIP_1) | instid1(VALU_DEP_1)
	s_cmp_lg_u32 s22, 0
	s_addc_u32 s4, s4, s23
	v_readfirstlane_b32 s22, v2
	s_mul_i32 s52, s21, s4
	s_mul_hi_u32 s23, s21, s4
	s_mul_hi_u32 s54, s5, s4
	s_mul_i32 s4, s5, s4
	s_mul_hi_u32 s64, s21, s22
	s_mul_hi_u32 s65, s5, s22
	s_mul_i32 s22, s5, s22
	s_add_u32 s52, s64, s52
	s_addc_u32 s23, 0, s23
	s_add_u32 s22, s52, s22
	s_addc_u32 s22, s23, s65
	s_addc_u32 s23, s54, 0
	s_add_u32 s4, s22, s4
	s_addc_u32 s22, 0, s23
	s_mul_hi_u32 s23, s33, s4
	s_mul_i32 s4, s33, s4
	s_mul_i32 s22, s33, s22
	v_sub_co_u32 v2, s4, s21, s4
	s_add_i32 s23, s23, s22
	s_cmp_lg_u32 s4, 0
	s_delay_alu instid0(VALU_DEP_1) | instskip(SKIP_2) | instid1(VALU_DEP_1)
	v_sub_co_u32 v3, s4, v2, s33
	s_subb_u32 s22, s5, s23
	s_cmp_lg_u32 s4, 0
	v_cmp_le_u32_e32 vcc_lo, s33, v3
	v_sub_co_u32 v4, s4, v3, s33
	s_subb_u32 s23, s22, 0
	s_cmp_lg_u32 s4, 0
	v_cndmask_b32_e64 v5, 0, -1, vcc_lo
	s_subb_u32 s4, s23, 0
	s_cmp_eq_u32 s23, 0
	v_mov_b32_e32 v7, s4
	s_cselect_b32 vcc_lo, -1, 0
	s_cmp_eq_u32 s22, 0
	v_cndmask_b32_e32 v5, -1, v5, vcc_lo
	v_cmp_le_u32_e32 vcc_lo, s33, v2
	s_cselect_b32 s4, -1, 0
	v_cndmask_b32_e64 v6, 0, -1, vcc_lo
	s_delay_alu instid0(VALU_DEP_3) | instskip(NEXT) | instid1(VALU_DEP_2)
	v_cmp_ne_u32_e32 vcc_lo, 0, v5
	v_cndmask_b32_e64 v5, -1, v6, s4
	v_cndmask_b32_e32 v6, s23, v7, vcc_lo
	v_cndmask_b32_e32 v4, v3, v4, vcc_lo
	s_delay_alu instid0(VALU_DEP_3) | instskip(NEXT) | instid1(VALU_DEP_3)
	v_cmp_ne_u32_e32 vcc_lo, 0, v5
	v_cndmask_b32_e32 v3, s22, v6, vcc_lo
	s_delay_alu instid0(VALU_DEP_3)
	v_cndmask_b32_e32 v2, v2, v4, vcc_lo
	s_cbranch_execnz .LBB143_123
.LBB143_122:                            ;   in Loop: Header=BB143_46 Depth=1
	v_cvt_f32_u32_e32 v2, s33
	s_sub_i32 s4, 0, s33
	s_delay_alu instid0(VALU_DEP_1) | instskip(SKIP_2) | instid1(VALU_DEP_1)
	v_rcp_iflag_f32_e32 v2, v2
	s_waitcnt_depctr 0xfff
	v_mul_f32_e32 v2, 0x4f7ffffe, v2
	v_cvt_u32_f32_e32 v2, v2
	s_delay_alu instid0(VALU_DEP_1) | instskip(NEXT) | instid1(VALU_DEP_1)
	v_mul_lo_u32 v3, s4, v2
	v_mul_hi_u32 v3, v2, v3
	s_delay_alu instid0(VALU_DEP_1) | instskip(NEXT) | instid1(VALU_DEP_1)
	v_add_nc_u32_e32 v2, v2, v3
	v_mul_hi_u32 v2, s21, v2
	s_delay_alu instid0(VALU_DEP_1) | instskip(NEXT) | instid1(VALU_DEP_1)
	v_mul_lo_u32 v2, v2, s33
	v_sub_nc_u32_e32 v2, s21, v2
	s_delay_alu instid0(VALU_DEP_1) | instskip(SKIP_1) | instid1(VALU_DEP_2)
	v_subrev_nc_u32_e32 v3, s33, v2
	v_cmp_le_u32_e32 vcc_lo, s33, v2
	v_cndmask_b32_e32 v2, v2, v3, vcc_lo
	s_delay_alu instid0(VALU_DEP_1) | instskip(SKIP_1) | instid1(VALU_DEP_2)
	v_subrev_nc_u32_e32 v3, s33, v2
	v_cmp_le_u32_e32 vcc_lo, s33, v2
	v_cndmask_b32_e32 v14, v2, v3, vcc_lo
	s_delay_alu instid0(VALU_DEP_1)
	v_dual_mov_b32 v2, v14 :: v_dual_mov_b32 v3, v15
.LBB143_123:                            ;   in Loop: Header=BB143_46 Depth=1
	s_delay_alu instid0(VALU_DEP_1) | instskip(NEXT) | instid1(VALU_DEP_2)
	v_sub_co_u32 v2, vcc_lo, s21, v2
	v_sub_co_ci_u32_e32 v3, vcc_lo, s5, v3, vcc_lo
	s_mov_b32 s4, 0
	s_mov_b32 s5, exec_lo
                                        ; implicit-def: $vgpr46
	s_delay_alu instid0(VALU_DEP_1)
	v_cmpx_gt_u64_e64 v[2:3], v[0:1]
	s_cbranch_execz .LBB143_134
; %bb.124:                              ;   in Loop: Header=BB143_46 Depth=1
	v_dual_mov_b32 v6, v39 :: v_dual_mov_b32 v5, v1
	v_mov_b32_e32 v4, v0
	s_mov_b32 s21, 0
                                        ; implicit-def: $sgpr22
	s_branch .LBB143_126
.LBB143_125:                            ;   in Loop: Header=BB143_126 Depth=2
	s_or_b32 exec_lo, exec_lo, s4
	s_waitcnt lgkmcnt(0)
	s_barrier
	buffer_gl0_inv
	ds_load_b32 v7, v15 offset:3072
	v_add_co_u32 v4, vcc_lo, v4, s33
	v_add_co_ci_u32_e32 v5, vcc_lo, 0, v5, vcc_lo
	v_add_nc_u32_e32 v6, s86, v6
	s_waitcnt lgkmcnt(0)
	s_barrier
	s_delay_alu instid0(VALU_DEP_2) | instskip(SKIP_2) | instid1(VALU_DEP_1)
	v_cmp_ge_u64_e32 vcc_lo, v[4:5], v[2:3]
	buffer_gl0_inv
	v_and_b32_e32 v8, 0x7fff, v7
	v_cmp_ne_u16_e64 s4, 0, v8
	s_delay_alu instid0(VALU_DEP_1) | instskip(NEXT) | instid1(SALU_CYCLE_1)
	s_or_b32 s23, vcc_lo, s4
	s_and_b32 s23, exec_lo, s23
	s_delay_alu instid0(SALU_CYCLE_1) | instskip(SKIP_2) | instid1(SALU_CYCLE_1)
	s_or_b32 s21, s23, s21
	s_and_not1_b32 s22, s22, exec_lo
	s_and_b32 s4, s4, exec_lo
	s_or_b32 s22, s22, s4
	s_and_not1_b32 exec_lo, exec_lo, s21
	s_cbranch_execz .LBB143_133
.LBB143_126:                            ;   Parent Loop BB143_46 Depth=1
                                        ; =>  This Inner Loop Header: Depth=2
	s_delay_alu instid0(VALU_DEP_1)
	v_cmp_gt_u64_e32 vcc_lo, s[14:15], v[4:5]
	v_mov_b32_e32 v7, 0
	s_and_saveexec_b32 s4, vcc_lo
	s_cbranch_execz .LBB143_128
; %bb.127:                              ;   in Loop: Header=BB143_126 Depth=2
	ds_load_u16 v7, v6
.LBB143_128:                            ;   in Loop: Header=BB143_126 Depth=2
	s_or_b32 exec_lo, exec_lo, s4
	s_and_saveexec_b32 s4, vcc_lo
	s_cbranch_execz .LBB143_125
; %bb.129:                              ;   in Loop: Header=BB143_126 Depth=2
	s_waitcnt lgkmcnt(0)
	v_cmp_lt_i16_e32 vcc_lo, -1, v7
	v_and_b32_e32 v8, 0xffff, v7
	v_dual_cndmask_b32 v9, 0xffff, v45 :: v_dual_lshlrev_b32 v14, 16, v7
	s_delay_alu instid0(VALU_DEP_1) | instskip(NEXT) | instid1(VALU_DEP_2)
	v_cmp_o_f32_e32 vcc_lo, v14, v14
	v_xor_b32_e32 v8, v9, v8
	s_delay_alu instid0(VALU_DEP_1) | instskip(NEXT) | instid1(VALU_DEP_1)
	v_cndmask_b32_e32 v8, 0xffff, v8, vcc_lo
	v_and_b32_e32 v8, s98, v8
	s_delay_alu instid0(VALU_DEP_1)
	v_cmp_eq_u32_e32 vcc_lo, s97, v8
	s_and_b32 exec_lo, exec_lo, vcc_lo
	s_cbranch_execz .LBB143_125
; %bb.130:                              ;   in Loop: Header=BB143_126 Depth=2
	v_perm_b32 v7, v7, s87, 0x5040100
	ds_store_b32 v15, v7 offset:3072
	s_branch .LBB143_125
.LBB143_131:                            ;   in Loop: Header=BB143_46 Depth=1
	s_mov_b32 s4, -1
                                        ; implicit-def: $sgpr5
                                        ; implicit-def: $sgpr15
                                        ; implicit-def: $sgpr14
	s_branch .LBB143_148
.LBB143_132:                            ;   in Loop: Header=BB143_46 Depth=1
	s_mov_b32 s5, -1
	s_mov_b32 s4, 0
                                        ; implicit-def: $sgpr14
                                        ; implicit-def: $vgpr46
	s_mov_b32 s15, s5
	s_cbranch_execnz .LBB143_135
	s_branch .LBB143_148
.LBB143_133:                            ;   in Loop: Header=BB143_46 Depth=1
	s_or_b32 exec_lo, exec_lo, s21
	v_lshrrev_b32_e32 v46, 16, v7
	s_and_b32 s4, s22, exec_lo
.LBB143_134:                            ;   in Loop: Header=BB143_46 Depth=1
	s_or_b32 exec_lo, exec_lo, s5
	s_mov_b32 s14, -1
	s_mov_b32 s5, 0
	s_delay_alu instid0(SALU_CYCLE_1)
	s_mov_b32 s15, s5
	s_branch .LBB143_148
.LBB143_135:                            ;   in Loop: Header=BB143_46 Depth=1
	s_mov_b32 s54, s53
	s_delay_alu instid0(SALU_CYCLE_1)
	s_cmp_lg_u64 s[54:55], 0
	s_cbranch_scc0 .LBB143_178
; %bb.136:                              ;   in Loop: Header=BB143_46 Depth=1
	v_cvt_f32_u32_e32 v2, s33
	s_sub_u32 s14, 0, s33
	s_subb_u32 s15, 0, 0
	s_delay_alu instid0(VALU_DEP_1) | instskip(NEXT) | instid1(VALU_DEP_1)
	v_fmac_f32_e64 v2, 0, 0x4f800000
	v_rcp_f32_e32 v2, v2
	s_waitcnt_depctr 0xfff
	v_mul_f32_e32 v2, 0x5f7ffffc, v2
	s_delay_alu instid0(VALU_DEP_1) | instskip(NEXT) | instid1(VALU_DEP_1)
	v_mul_f32_e32 v3, 0x2f800000, v2
	v_trunc_f32_e32 v3, v3
	s_delay_alu instid0(VALU_DEP_1) | instskip(SKIP_1) | instid1(VALU_DEP_2)
	v_fmac_f32_e32 v2, 0xcf800000, v3
	v_cvt_u32_f32_e32 v3, v3
	v_cvt_u32_f32_e32 v2, v2
	s_delay_alu instid0(VALU_DEP_2) | instskip(NEXT) | instid1(VALU_DEP_2)
	v_readfirstlane_b32 s4, v3
	v_readfirstlane_b32 s5, v2
	s_delay_alu instid0(VALU_DEP_2) | instskip(NEXT) | instid1(VALU_DEP_1)
	s_mul_i32 s21, s14, s4
	s_mul_hi_u32 s23, s14, s5
	s_mul_i32 s22, s15, s5
	s_add_i32 s21, s23, s21
	s_mul_i32 s52, s14, s5
	s_add_i32 s21, s21, s22
	s_mul_hi_u32 s23, s5, s52
	s_mul_hi_u32 s54, s4, s52
	s_mul_i32 s22, s4, s52
	s_mul_hi_u32 s52, s5, s21
	s_mul_i32 s5, s5, s21
	s_mul_hi_u32 s64, s4, s21
	s_add_u32 s5, s23, s5
	s_addc_u32 s23, 0, s52
	s_add_u32 s5, s5, s22
	s_mul_i32 s21, s4, s21
	s_addc_u32 s5, s23, s54
	s_addc_u32 s22, s64, 0
	s_add_u32 s5, s5, s21
	s_addc_u32 s21, 0, s22
	v_add_co_u32 v2, s5, v2, s5
	s_delay_alu instid0(VALU_DEP_1) | instskip(SKIP_1) | instid1(VALU_DEP_1)
	s_cmp_lg_u32 s5, 0
	s_addc_u32 s4, s4, s21
	v_readfirstlane_b32 s5, v2
	s_mul_i32 s21, s14, s4
	s_delay_alu instid0(VALU_DEP_1)
	s_mul_hi_u32 s22, s14, s5
	s_mul_i32 s15, s15, s5
	s_add_i32 s21, s22, s21
	s_mul_i32 s14, s14, s5
	s_add_i32 s21, s21, s15
	s_mul_hi_u32 s22, s4, s14
	s_mul_i32 s23, s4, s14
	s_mul_hi_u32 s14, s5, s14
	s_mul_hi_u32 s52, s5, s21
	s_mul_i32 s5, s5, s21
	s_mul_hi_u32 s15, s4, s21
	s_add_u32 s5, s14, s5
	s_addc_u32 s14, 0, s52
	s_add_u32 s5, s5, s23
	s_mul_i32 s21, s4, s21
	s_addc_u32 s5, s14, s22
	s_addc_u32 s14, s15, 0
	s_add_u32 s5, s5, s21
	s_addc_u32 s14, 0, s14
	v_add_co_u32 v2, s5, v2, s5
	s_delay_alu instid0(VALU_DEP_1) | instskip(SKIP_1) | instid1(VALU_DEP_1)
	s_cmp_lg_u32 s5, 0
	s_addc_u32 s4, s4, s14
	v_readfirstlane_b32 s5, v2
	s_mul_i32 s15, s80, s4
	s_mul_hi_u32 s14, s80, s4
	s_mul_hi_u32 s21, s55, s4
	s_mul_i32 s4, s55, s4
	s_mul_hi_u32 s22, s80, s5
	s_mul_hi_u32 s23, s55, s5
	s_mul_i32 s5, s55, s5
	s_add_u32 s15, s22, s15
	s_addc_u32 s14, 0, s14
	s_add_u32 s5, s15, s5
	s_addc_u32 s5, s14, s23
	s_addc_u32 s14, s21, 0
	s_add_u32 s4, s5, s4
	s_addc_u32 s5, 0, s14
	s_mul_hi_u32 s14, s33, s4
	s_mul_i32 s4, s33, s4
	s_mul_i32 s5, s33, s5
	v_sub_co_u32 v2, s4, s80, s4
	s_add_i32 s14, s14, s5
	s_cmp_lg_u32 s4, 0
	s_delay_alu instid0(VALU_DEP_1) | instskip(SKIP_2) | instid1(VALU_DEP_1)
	v_sub_co_u32 v3, s4, v2, s33
	s_subb_u32 s5, s55, s14
	s_cmp_lg_u32 s4, 0
	v_cmp_le_u32_e32 vcc_lo, s33, v3
	v_sub_co_u32 v4, s4, v3, s33
	s_subb_u32 s14, s5, 0
	s_cmp_lg_u32 s4, 0
	v_cndmask_b32_e64 v5, 0, -1, vcc_lo
	s_subb_u32 s4, s14, 0
	s_cmp_eq_u32 s14, 0
	v_mov_b32_e32 v7, s4
	s_cselect_b32 vcc_lo, -1, 0
	s_cmp_eq_u32 s5, 0
	v_cndmask_b32_e32 v5, -1, v5, vcc_lo
	v_cmp_le_u32_e32 vcc_lo, s33, v2
	s_cselect_b32 s4, -1, 0
	v_cndmask_b32_e64 v6, 0, -1, vcc_lo
	s_delay_alu instid0(VALU_DEP_3) | instskip(NEXT) | instid1(VALU_DEP_2)
	v_cmp_ne_u32_e32 vcc_lo, 0, v5
	v_cndmask_b32_e64 v5, -1, v6, s4
	v_cndmask_b32_e32 v6, s14, v7, vcc_lo
	v_cndmask_b32_e32 v4, v3, v4, vcc_lo
	s_delay_alu instid0(VALU_DEP_3) | instskip(NEXT) | instid1(VALU_DEP_3)
	v_cmp_ne_u32_e32 vcc_lo, 0, v5
	v_cndmask_b32_e32 v3, s5, v6, vcc_lo
	s_delay_alu instid0(VALU_DEP_3)
	v_cndmask_b32_e32 v2, v2, v4, vcc_lo
	s_cbranch_execnz .LBB143_138
.LBB143_137:                            ;   in Loop: Header=BB143_46 Depth=1
	v_cvt_f32_u32_e32 v2, s33
	s_sub_i32 s4, 0, s33
	s_delay_alu instid0(VALU_DEP_1) | instskip(SKIP_2) | instid1(VALU_DEP_1)
	v_rcp_iflag_f32_e32 v2, v2
	s_waitcnt_depctr 0xfff
	v_mul_f32_e32 v2, 0x4f7ffffe, v2
	v_cvt_u32_f32_e32 v2, v2
	s_delay_alu instid0(VALU_DEP_1) | instskip(NEXT) | instid1(VALU_DEP_1)
	v_mul_lo_u32 v3, s4, v2
	v_mul_hi_u32 v3, v2, v3
	s_delay_alu instid0(VALU_DEP_1) | instskip(NEXT) | instid1(VALU_DEP_1)
	v_add_nc_u32_e32 v2, v2, v3
	v_mul_hi_u32 v2, s80, v2
	s_delay_alu instid0(VALU_DEP_1) | instskip(NEXT) | instid1(VALU_DEP_1)
	v_mul_lo_u32 v2, v2, s33
	v_sub_nc_u32_e32 v2, s80, v2
	s_delay_alu instid0(VALU_DEP_1) | instskip(SKIP_1) | instid1(VALU_DEP_2)
	v_subrev_nc_u32_e32 v3, s33, v2
	v_cmp_le_u32_e32 vcc_lo, s33, v2
	v_cndmask_b32_e32 v2, v2, v3, vcc_lo
	s_delay_alu instid0(VALU_DEP_1) | instskip(SKIP_1) | instid1(VALU_DEP_2)
	v_subrev_nc_u32_e32 v3, s33, v2
	v_cmp_le_u32_e32 vcc_lo, s33, v2
	v_cndmask_b32_e32 v14, v2, v3, vcc_lo
	s_delay_alu instid0(VALU_DEP_1)
	v_dual_mov_b32 v2, v14 :: v_dual_mov_b32 v3, v15
.LBB143_138:                            ;   in Loop: Header=BB143_46 Depth=1
	s_delay_alu instid0(VALU_DEP_1) | instskip(NEXT) | instid1(VALU_DEP_2)
	v_sub_co_u32 v2, vcc_lo, s80, v2
	v_sub_co_ci_u32_e32 v3, vcc_lo, s55, v3, vcc_lo
	s_mov_b32 s4, 0
	s_mov_b32 s5, exec_lo
                                        ; implicit-def: $vgpr46
	s_delay_alu instid0(VALU_DEP_1)
	v_cmpx_gt_u64_e64 v[2:3], v[0:1]
	s_cbranch_execz .LBB143_147
; %bb.139:                              ;   in Loop: Header=BB143_46 Depth=1
	v_dual_mov_b32 v4, v10 :: v_dual_mov_b32 v5, v11
	v_dual_mov_b32 v7, v1 :: v_dual_mov_b32 v6, v0
	s_mov_b32 s14, 0
                                        ; implicit-def: $sgpr15
	s_branch .LBB143_141
.LBB143_140:                            ;   in Loop: Header=BB143_141 Depth=2
	s_or_b32 exec_lo, exec_lo, s4
	s_waitcnt vmcnt(0) lgkmcnt(0)
	s_barrier
	buffer_gl0_inv
	ds_load_b32 v8, v15 offset:3072
	v_add_co_u32 v6, vcc_lo, v6, s33
	v_add_co_ci_u32_e32 v7, vcc_lo, 0, v7, vcc_lo
	s_waitcnt lgkmcnt(0)
	s_barrier
	buffer_gl0_inv
	v_cmp_ge_u64_e32 vcc_lo, v[6:7], v[2:3]
	v_and_b32_e32 v9, 0x7fff, v8
	s_delay_alu instid0(VALU_DEP_1) | instskip(NEXT) | instid1(VALU_DEP_1)
	v_cmp_ne_u16_e64 s4, 0, v9
	s_or_b32 s21, vcc_lo, s4
	v_add_co_u32 v4, vcc_lo, v4, s46
	s_and_b32 s21, exec_lo, s21
	v_add_co_ci_u32_e32 v5, vcc_lo, s47, v5, vcc_lo
	s_or_b32 s14, s21, s14
	s_and_not1_b32 s15, s15, exec_lo
	s_and_b32 s4, s4, exec_lo
	s_delay_alu instid0(SALU_CYCLE_1)
	s_or_b32 s15, s15, s4
	s_and_not1_b32 exec_lo, exec_lo, s14
	s_cbranch_execz .LBB143_146
.LBB143_141:                            ;   Parent Loop BB143_46 Depth=1
                                        ; =>  This Inner Loop Header: Depth=2
	s_delay_alu instid0(VALU_DEP_1)
	v_cmp_gt_u64_e32 vcc_lo, s[24:25], v[6:7]
	v_mov_b32_e32 v8, 0
	s_and_saveexec_b32 s4, vcc_lo
	s_cbranch_execz .LBB143_143
; %bb.142:                              ;   in Loop: Header=BB143_141 Depth=2
	global_load_u16 v8, v[4:5], off
.LBB143_143:                            ;   in Loop: Header=BB143_141 Depth=2
	s_or_b32 exec_lo, exec_lo, s4
	s_and_saveexec_b32 s4, vcc_lo
	s_cbranch_execz .LBB143_140
; %bb.144:                              ;   in Loop: Header=BB143_141 Depth=2
	s_waitcnt vmcnt(0)
	v_cmp_lt_i16_e32 vcc_lo, -1, v8
	v_dual_cndmask_b32 v14, 0xffff, v45 :: v_dual_and_b32 v9, 0xffff, v8
	s_delay_alu instid0(VALU_DEP_1) | instskip(SKIP_1) | instid1(VALU_DEP_1)
	v_xor_b32_e32 v9, v14, v9
	v_lshlrev_b32_e32 v26, 16, v8
	v_cmp_o_f32_e32 vcc_lo, v26, v26
	s_delay_alu instid0(VALU_DEP_3) | instskip(NEXT) | instid1(VALU_DEP_1)
	v_cndmask_b32_e32 v9, 0xffff, v9, vcc_lo
	v_and_b32_e32 v9, s98, v9
	s_delay_alu instid0(VALU_DEP_1)
	v_cmp_eq_u32_e32 vcc_lo, s97, v9
	s_and_b32 exec_lo, exec_lo, vcc_lo
	s_cbranch_execz .LBB143_140
; %bb.145:                              ;   in Loop: Header=BB143_141 Depth=2
	v_perm_b32 v8, v8, s87, 0x5040100
	ds_store_b32 v15, v8 offset:3072
	s_branch .LBB143_140
.LBB143_146:                            ;   in Loop: Header=BB143_46 Depth=1
	s_or_b32 exec_lo, exec_lo, s14
	v_lshrrev_b32_e32 v46, 16, v8
	s_and_b32 s4, s15, exec_lo
.LBB143_147:                            ;   in Loop: Header=BB143_46 Depth=1
	s_or_b32 exec_lo, exec_lo, s5
	s_mov_b32 s15, -1
	s_mov_b32 s5, 0
	s_mov_b32 s14, 0
.LBB143_148:                            ;   in Loop: Header=BB143_46 Depth=1
	s_and_not1_b32 s21, s93, exec_lo
	s_and_b32 s5, s5, exec_lo
	s_and_b32 s15, s15, exec_lo
	s_or_b32 s93, s21, s5
	s_and_not1_b32 s5, s96, exec_lo
	s_and_not1_b32 s21, s94, exec_lo
	s_and_b32 s14, s14, exec_lo
	s_or_b32 s96, s5, s15
	s_or_b32 s94, s21, s14
	s_and_saveexec_b32 s14, s4
	s_cbranch_execz .LBB143_45
; %bb.149:                              ;   in Loop: Header=BB143_46 Depth=1
	s_xor_b32 s4, s20, -1
	s_mov_b32 s52, 1
	s_and_not1_b32 vcc_lo, exec_lo, s4
	s_cbranch_vccnz .LBB143_160
; %bb.150:                              ;   in Loop: Header=BB143_46 Depth=1
	v_cmp_gt_u64_e64 s4, s[50:51], s[12:13]
                                        ; implicit-def: $sgpr52
                                        ; implicit-def: $sgpr5
                                        ; implicit-def: $sgpr15
	s_delay_alu instid0(VALU_DEP_1)
	s_and_b32 vcc_lo, exec_lo, s4
	s_mov_b32 s4, -1
	s_cbranch_vccnz .LBB143_156
; %bb.151:                              ;   in Loop: Header=BB143_46 Depth=1
	ds_load_b64 v[2:3], v15 offset:5120
	s_waitcnt lgkmcnt(0)
	v_cmp_ne_u64_e32 vcc_lo, 0, v[2:3]
	s_cbranch_vccnz .LBB143_155
; %bb.152:                              ;   in Loop: Header=BB143_46 Depth=1
	s_and_saveexec_b32 s4, s3
	s_cbranch_execz .LBB143_154
; %bb.153:                              ;   in Loop: Header=BB143_46 Depth=1
	v_dual_mov_b32 v2, s12 :: v_dual_mov_b32 v3, s13
	ds_store_b64 v15, v[2:3] offset:5128
.LBB143_154:                            ;   in Loop: Header=BB143_46 Depth=1
	s_or_b32 exec_lo, exec_lo, s4
	s_waitcnt lgkmcnt(0)
	s_barrier
	buffer_gl0_inv
.LBB143_155:                            ;   in Loop: Header=BB143_46 Depth=1
	s_and_b32 s5, s97, s18
	s_or_b32 s15, s98, s16
	s_mov_b32 s4, 0
	s_mov_b32 s52, 8
.LBB143_156:                            ;   in Loop: Header=BB143_46 Depth=1
	s_and_not1_b32 vcc_lo, exec_lo, s4
	s_cbranch_vccnz .LBB143_158
; %bb.157:                              ;   in Loop: Header=BB143_46 Depth=1
	s_sub_u32 s50, s50, s12
	s_subb_u32 s51, s51, s13
	s_mov_b32 s4, -1
	s_mov_b32 s52, 0
	s_mov_b32 s5, s97
	;; [unrolled: 1-line block ×3, first 2 shown]
.LBB143_158:                            ;   in Loop: Header=BB143_46 Depth=1
	s_delay_alu instid0(SALU_CYCLE_1)
	s_mov_b32 s98, s15
	s_mov_b32 s97, s5
	s_and_b32 vcc_lo, exec_lo, s4
	s_mov_b32 s15, -1
	s_cbranch_vccnz .LBB143_161
.LBB143_159:                            ;   in Loop: Header=BB143_46 Depth=1
	s_mov_b32 s5, -1
                                        ; implicit-def: $sgpr12
                                        ; implicit-def: $sgpr19
                                        ; implicit-def: $sgpr13
	s_delay_alu instid0(SALU_CYCLE_1) | instskip(NEXT) | instid1(SALU_CYCLE_1)
	s_and_saveexec_b32 s4, s5
	s_xor_b32 s4, exec_lo, s4
	s_cbranch_execz .LBB143_44
	s_branch .LBB143_307
.LBB143_160:                            ;   in Loop: Header=BB143_46 Depth=1
	s_mov_b64 s[50:51], 1
	s_mov_b32 s15, -1
	s_branch .LBB143_159
.LBB143_161:                            ;   in Loop: Header=BB143_46 Depth=1
	s_cmp_eq_u64 s[10:11], 1
	s_cselect_b32 s4, -1, 0
	s_cmp_eq_u64 s[50:51], 1
	s_cselect_b32 s5, -1, 0
	s_delay_alu instid0(SALU_CYCLE_1)
	s_and_b32 s21, s4, s5
	s_mov_b32 s4, -1
	s_and_b32 vcc_lo, exec_lo, s21
	s_cbranch_vccz .LBB143_176
; %bb.162:                              ;   in Loop: Header=BB143_46 Depth=1
	ds_load_b64 v[2:3], v15 offset:5120
	s_waitcnt lgkmcnt(0)
	s_barrier
	buffer_gl0_inv
	v_readfirstlane_b32 s12, v2
	v_readfirstlane_b32 s13, v3
	s_and_saveexec_b32 s4, s0
	s_cbranch_execz .LBB143_164
; %bb.163:                              ;   in Loop: Header=BB143_46 Depth=1
	ds_store_b16 v40, v15
.LBB143_164:                            ;   in Loop: Header=BB143_46 Depth=1
	s_or_b32 exec_lo, exec_lo, s4
	s_lshl_b32 s4, 1, s17
	s_and_b32 s5, s97, s18
	s_or_b32 s98, s98, s16
	s_or_b32 s97, s5, s4
	s_cmp_eq_u64 s[12:13], 0
	s_waitcnt lgkmcnt(0)
	s_barrier
	buffer_gl0_inv
	s_cbranch_scc1 .LBB143_179
; %bb.165:                              ;   in Loop: Header=BB143_46 Depth=1
	s_add_u32 s19, s78, s12
	s_addc_u32 s5, s79, s13
	s_mov_b32 s4, s53
	s_delay_alu instid0(SALU_CYCLE_1)
	s_cmp_lg_u64 s[4:5], 0
	s_cbranch_scc0 .LBB143_224
; %bb.166:                              ;   in Loop: Header=BB143_46 Depth=1
	v_cvt_f32_u32_e32 v2, s33
	s_sub_u32 s22, 0, s33
	s_subb_u32 s23, 0, 0
	s_delay_alu instid0(VALU_DEP_1) | instskip(NEXT) | instid1(VALU_DEP_1)
	v_fmac_f32_e64 v2, 0, 0x4f800000
	v_rcp_f32_e32 v2, v2
	s_waitcnt_depctr 0xfff
	v_mul_f32_e32 v2, 0x5f7ffffc, v2
	s_delay_alu instid0(VALU_DEP_1) | instskip(NEXT) | instid1(VALU_DEP_1)
	v_mul_f32_e32 v3, 0x2f800000, v2
	v_trunc_f32_e32 v3, v3
	s_delay_alu instid0(VALU_DEP_1) | instskip(SKIP_1) | instid1(VALU_DEP_2)
	v_fmac_f32_e32 v2, 0xcf800000, v3
	v_cvt_u32_f32_e32 v3, v3
	v_cvt_u32_f32_e32 v2, v2
	s_delay_alu instid0(VALU_DEP_2) | instskip(NEXT) | instid1(VALU_DEP_2)
	v_readfirstlane_b32 s4, v3
	v_readfirstlane_b32 s20, v2
	s_delay_alu instid0(VALU_DEP_2) | instskip(NEXT) | instid1(VALU_DEP_1)
	s_mul_i32 s52, s22, s4
	s_mul_hi_u32 s64, s22, s20
	s_mul_i32 s54, s23, s20
	s_add_i32 s52, s64, s52
	s_mul_i32 s65, s22, s20
	s_add_i32 s52, s52, s54
	s_mul_hi_u32 s64, s20, s65
	s_mul_hi_u32 s66, s4, s65
	s_mul_i32 s54, s4, s65
	s_mul_hi_u32 s65, s20, s52
	s_mul_i32 s20, s20, s52
	s_mul_hi_u32 s67, s4, s52
	s_add_u32 s20, s64, s20
	s_addc_u32 s64, 0, s65
	s_add_u32 s20, s20, s54
	s_mul_i32 s52, s4, s52
	s_addc_u32 s20, s64, s66
	s_addc_u32 s54, s67, 0
	s_add_u32 s20, s20, s52
	s_addc_u32 s52, 0, s54
	v_add_co_u32 v2, s20, v2, s20
	s_delay_alu instid0(VALU_DEP_1) | instskip(SKIP_1) | instid1(VALU_DEP_1)
	s_cmp_lg_u32 s20, 0
	s_addc_u32 s4, s4, s52
	v_readfirstlane_b32 s20, v2
	s_mul_i32 s52, s22, s4
	s_delay_alu instid0(VALU_DEP_1)
	s_mul_hi_u32 s54, s22, s20
	s_mul_i32 s23, s23, s20
	s_add_i32 s52, s54, s52
	s_mul_i32 s22, s22, s20
	s_add_i32 s52, s52, s23
	s_mul_hi_u32 s54, s4, s22
	s_mul_i32 s64, s4, s22
	s_mul_hi_u32 s22, s20, s22
	s_mul_hi_u32 s65, s20, s52
	s_mul_i32 s20, s20, s52
	s_mul_hi_u32 s23, s4, s52
	s_add_u32 s20, s22, s20
	s_addc_u32 s22, 0, s65
	s_add_u32 s20, s20, s64
	s_mul_i32 s52, s4, s52
	s_addc_u32 s20, s22, s54
	s_addc_u32 s22, s23, 0
	s_add_u32 s20, s20, s52
	s_addc_u32 s22, 0, s22
	v_add_co_u32 v2, s20, v2, s20
	s_delay_alu instid0(VALU_DEP_1) | instskip(SKIP_1) | instid1(VALU_DEP_1)
	s_cmp_lg_u32 s20, 0
	s_addc_u32 s4, s4, s22
	v_readfirstlane_b32 s20, v2
	s_mul_i32 s23, s19, s4
	s_mul_hi_u32 s22, s19, s4
	s_mul_hi_u32 s52, s5, s4
	s_mul_i32 s4, s5, s4
	s_mul_hi_u32 s54, s19, s20
	s_mul_hi_u32 s64, s5, s20
	s_mul_i32 s20, s5, s20
	s_add_u32 s23, s54, s23
	s_addc_u32 s22, 0, s22
	s_add_u32 s20, s23, s20
	s_addc_u32 s20, s22, s64
	s_addc_u32 s22, s52, 0
	s_add_u32 s4, s20, s4
	s_addc_u32 s20, 0, s22
	s_mul_hi_u32 s22, s33, s4
	s_mul_i32 s4, s33, s4
	s_mul_i32 s20, s33, s20
	v_sub_co_u32 v2, s4, s19, s4
	s_add_i32 s22, s22, s20
	s_cmp_lg_u32 s4, 0
	s_delay_alu instid0(VALU_DEP_1) | instskip(SKIP_2) | instid1(VALU_DEP_1)
	v_sub_co_u32 v3, s4, v2, s33
	s_subb_u32 s20, s5, s22
	s_cmp_lg_u32 s4, 0
	v_cmp_le_u32_e32 vcc_lo, s33, v3
	v_sub_co_u32 v4, s4, v3, s33
	s_subb_u32 s22, s20, 0
	s_cmp_lg_u32 s4, 0
	v_cndmask_b32_e64 v5, 0, -1, vcc_lo
	s_subb_u32 s4, s22, 0
	s_cmp_eq_u32 s22, 0
	v_mov_b32_e32 v7, s4
	s_cselect_b32 vcc_lo, -1, 0
	s_cmp_eq_u32 s20, 0
	v_cndmask_b32_e32 v5, -1, v5, vcc_lo
	v_cmp_le_u32_e32 vcc_lo, s33, v2
	s_cselect_b32 s4, -1, 0
	v_cndmask_b32_e64 v6, 0, -1, vcc_lo
	s_delay_alu instid0(VALU_DEP_3) | instskip(NEXT) | instid1(VALU_DEP_2)
	v_cmp_ne_u32_e32 vcc_lo, 0, v5
	v_cndmask_b32_e64 v5, -1, v6, s4
	v_cndmask_b32_e32 v6, s22, v7, vcc_lo
	v_cndmask_b32_e32 v4, v3, v4, vcc_lo
	s_delay_alu instid0(VALU_DEP_3) | instskip(NEXT) | instid1(VALU_DEP_3)
	v_cmp_ne_u32_e32 vcc_lo, 0, v5
	v_cndmask_b32_e32 v3, s20, v6, vcc_lo
	s_delay_alu instid0(VALU_DEP_3)
	v_cndmask_b32_e32 v2, v2, v4, vcc_lo
	s_cbranch_execnz .LBB143_168
.LBB143_167:                            ;   in Loop: Header=BB143_46 Depth=1
	v_cvt_f32_u32_e32 v2, s33
	s_sub_i32 s4, 0, s33
	s_delay_alu instid0(VALU_DEP_1) | instskip(SKIP_2) | instid1(VALU_DEP_1)
	v_rcp_iflag_f32_e32 v2, v2
	s_waitcnt_depctr 0xfff
	v_mul_f32_e32 v2, 0x4f7ffffe, v2
	v_cvt_u32_f32_e32 v2, v2
	s_delay_alu instid0(VALU_DEP_1) | instskip(NEXT) | instid1(VALU_DEP_1)
	v_mul_lo_u32 v3, s4, v2
	v_mul_hi_u32 v3, v2, v3
	s_delay_alu instid0(VALU_DEP_1) | instskip(NEXT) | instid1(VALU_DEP_1)
	v_add_nc_u32_e32 v2, v2, v3
	v_mul_hi_u32 v2, s19, v2
	s_delay_alu instid0(VALU_DEP_1) | instskip(NEXT) | instid1(VALU_DEP_1)
	v_mul_lo_u32 v2, v2, s33
	v_sub_nc_u32_e32 v2, s19, v2
	s_delay_alu instid0(VALU_DEP_1) | instskip(SKIP_1) | instid1(VALU_DEP_2)
	v_subrev_nc_u32_e32 v3, s33, v2
	v_cmp_le_u32_e32 vcc_lo, s33, v2
	v_cndmask_b32_e32 v2, v2, v3, vcc_lo
	s_delay_alu instid0(VALU_DEP_1) | instskip(SKIP_1) | instid1(VALU_DEP_2)
	v_subrev_nc_u32_e32 v3, s33, v2
	v_cmp_le_u32_e32 vcc_lo, s33, v2
	v_cndmask_b32_e32 v14, v2, v3, vcc_lo
	s_delay_alu instid0(VALU_DEP_1)
	v_dual_mov_b32 v2, v14 :: v_dual_mov_b32 v3, v15
.LBB143_168:                            ;   in Loop: Header=BB143_46 Depth=1
	s_delay_alu instid0(VALU_DEP_1) | instskip(NEXT) | instid1(VALU_DEP_2)
	v_sub_co_u32 v2, vcc_lo, s19, v2
	v_sub_co_ci_u32_e32 v3, vcc_lo, s5, v3, vcc_lo
	s_mov_b32 s4, 0
	s_mov_b32 s5, exec_lo
                                        ; implicit-def: $vgpr46
	s_delay_alu instid0(VALU_DEP_1)
	v_cmpx_gt_u64_e64 v[2:3], v[0:1]
	s_cbranch_execz .LBB143_181
; %bb.169:                              ;   in Loop: Header=BB143_46 Depth=1
	v_dual_mov_b32 v6, v39 :: v_dual_mov_b32 v5, v1
	v_mov_b32_e32 v4, v0
	s_mov_b32 s19, 0
                                        ; implicit-def: $sgpr20
	s_branch .LBB143_171
.LBB143_170:                            ;   in Loop: Header=BB143_171 Depth=2
	s_or_b32 exec_lo, exec_lo, s4
	s_waitcnt lgkmcnt(0)
	s_barrier
	buffer_gl0_inv
	ds_load_b32 v7, v15 offset:3072
	v_add_co_u32 v4, vcc_lo, v4, s33
	v_add_co_ci_u32_e32 v5, vcc_lo, 0, v5, vcc_lo
	v_add_nc_u32_e32 v6, s86, v6
	s_waitcnt lgkmcnt(0)
	s_barrier
	s_delay_alu instid0(VALU_DEP_2) | instskip(SKIP_2) | instid1(VALU_DEP_1)
	v_cmp_ge_u64_e32 vcc_lo, v[4:5], v[2:3]
	buffer_gl0_inv
	v_and_b32_e32 v8, 0x7fff, v7
	v_cmp_ne_u16_e64 s4, 0, v8
	s_delay_alu instid0(VALU_DEP_1) | instskip(NEXT) | instid1(SALU_CYCLE_1)
	s_or_b32 s22, vcc_lo, s4
	s_and_b32 s22, exec_lo, s22
	s_delay_alu instid0(SALU_CYCLE_1) | instskip(SKIP_2) | instid1(SALU_CYCLE_1)
	s_or_b32 s19, s22, s19
	s_and_not1_b32 s20, s20, exec_lo
	s_and_b32 s4, s4, exec_lo
	s_or_b32 s20, s20, s4
	s_and_not1_b32 exec_lo, exec_lo, s19
	s_cbranch_execz .LBB143_180
.LBB143_171:                            ;   Parent Loop BB143_46 Depth=1
                                        ; =>  This Inner Loop Header: Depth=2
	s_delay_alu instid0(VALU_DEP_1)
	v_cmp_gt_u64_e32 vcc_lo, s[12:13], v[4:5]
	v_mov_b32_e32 v7, 0
	s_and_saveexec_b32 s4, vcc_lo
	s_cbranch_execz .LBB143_173
; %bb.172:                              ;   in Loop: Header=BB143_171 Depth=2
	ds_load_u16 v7, v6
.LBB143_173:                            ;   in Loop: Header=BB143_171 Depth=2
	s_or_b32 exec_lo, exec_lo, s4
	s_and_saveexec_b32 s4, vcc_lo
	s_cbranch_execz .LBB143_170
; %bb.174:                              ;   in Loop: Header=BB143_171 Depth=2
	s_waitcnt lgkmcnt(0)
	v_cmp_lt_i16_e32 vcc_lo, -1, v7
	v_and_b32_e32 v8, 0xffff, v7
	v_dual_cndmask_b32 v9, 0xffff, v45 :: v_dual_lshlrev_b32 v14, 16, v7
	s_delay_alu instid0(VALU_DEP_1) | instskip(NEXT) | instid1(VALU_DEP_2)
	v_cmp_o_f32_e32 vcc_lo, v14, v14
	v_xor_b32_e32 v8, v9, v8
	s_delay_alu instid0(VALU_DEP_1) | instskip(NEXT) | instid1(VALU_DEP_1)
	v_cndmask_b32_e32 v8, 0xffff, v8, vcc_lo
	v_and_b32_e32 v8, s98, v8
	s_delay_alu instid0(VALU_DEP_1)
	v_cmp_eq_u32_e32 vcc_lo, s97, v8
	s_and_b32 exec_lo, exec_lo, vcc_lo
	s_cbranch_execz .LBB143_170
; %bb.175:                              ;   in Loop: Header=BB143_171 Depth=2
	v_perm_b32 v7, v7, s87, 0x5040100
	ds_store_b32 v15, v7 offset:3072
	s_branch .LBB143_170
.LBB143_176:                            ;   in Loop: Header=BB143_46 Depth=1
                                        ; implicit-def: $sgpr13
                                        ; implicit-def: $sgpr19
                                        ; implicit-def: $sgpr12
	s_branch .LBB143_195
.LBB143_177:                            ;   in Loop: Header=BB143_46 Depth=1
                                        ; implicit-def: $vgpr2_vgpr3
	s_branch .LBB143_122
.LBB143_178:                            ;   in Loop: Header=BB143_46 Depth=1
                                        ; implicit-def: $vgpr2_vgpr3
	s_branch .LBB143_137
.LBB143_179:                            ;   in Loop: Header=BB143_46 Depth=1
	s_mov_b32 s13, -1
	s_mov_b32 s4, 0
                                        ; implicit-def: $sgpr12
                                        ; implicit-def: $vgpr46
	s_mov_b32 s19, s13
	s_cbranch_execnz .LBB143_182
	s_branch .LBB143_195
.LBB143_180:                            ;   in Loop: Header=BB143_46 Depth=1
	s_or_b32 exec_lo, exec_lo, s19
	v_lshrrev_b32_e32 v46, 16, v7
	s_and_b32 s4, s20, exec_lo
.LBB143_181:                            ;   in Loop: Header=BB143_46 Depth=1
	s_or_b32 exec_lo, exec_lo, s5
	s_mov_b32 s12, -1
	s_mov_b32 s13, 0
	s_delay_alu instid0(SALU_CYCLE_1)
	s_mov_b32 s19, s13
	s_branch .LBB143_195
.LBB143_182:                            ;   in Loop: Header=BB143_46 Depth=1
	s_mov_b32 s54, s53
	s_delay_alu instid0(SALU_CYCLE_1)
	s_cmp_lg_u64 s[54:55], 0
	s_cbranch_scc0 .LBB143_225
; %bb.183:                              ;   in Loop: Header=BB143_46 Depth=1
	v_cvt_f32_u32_e32 v2, s33
	s_sub_u32 s12, 0, s33
	s_subb_u32 s13, 0, 0
	s_delay_alu instid0(VALU_DEP_1) | instskip(NEXT) | instid1(VALU_DEP_1)
	v_fmac_f32_e64 v2, 0, 0x4f800000
	v_rcp_f32_e32 v2, v2
	s_waitcnt_depctr 0xfff
	v_mul_f32_e32 v2, 0x5f7ffffc, v2
	s_delay_alu instid0(VALU_DEP_1) | instskip(NEXT) | instid1(VALU_DEP_1)
	v_mul_f32_e32 v3, 0x2f800000, v2
	v_trunc_f32_e32 v3, v3
	s_delay_alu instid0(VALU_DEP_1) | instskip(SKIP_1) | instid1(VALU_DEP_2)
	v_fmac_f32_e32 v2, 0xcf800000, v3
	v_cvt_u32_f32_e32 v3, v3
	v_cvt_u32_f32_e32 v2, v2
	s_delay_alu instid0(VALU_DEP_2) | instskip(NEXT) | instid1(VALU_DEP_2)
	v_readfirstlane_b32 s4, v3
	v_readfirstlane_b32 s5, v2
	s_delay_alu instid0(VALU_DEP_2) | instskip(NEXT) | instid1(VALU_DEP_1)
	s_mul_i32 s19, s12, s4
	s_mul_hi_u32 s22, s12, s5
	s_mul_i32 s20, s13, s5
	s_add_i32 s19, s22, s19
	s_mul_i32 s23, s12, s5
	s_add_i32 s19, s19, s20
	s_mul_hi_u32 s22, s5, s23
	s_mul_hi_u32 s52, s4, s23
	s_mul_i32 s20, s4, s23
	s_mul_hi_u32 s23, s5, s19
	s_mul_i32 s5, s5, s19
	s_mul_hi_u32 s54, s4, s19
	s_add_u32 s5, s22, s5
	s_addc_u32 s22, 0, s23
	s_add_u32 s5, s5, s20
	s_mul_i32 s19, s4, s19
	s_addc_u32 s5, s22, s52
	s_addc_u32 s20, s54, 0
	s_add_u32 s5, s5, s19
	s_addc_u32 s19, 0, s20
	v_add_co_u32 v2, s5, v2, s5
	s_delay_alu instid0(VALU_DEP_1) | instskip(SKIP_1) | instid1(VALU_DEP_1)
	s_cmp_lg_u32 s5, 0
	s_addc_u32 s4, s4, s19
	v_readfirstlane_b32 s5, v2
	s_mul_i32 s19, s12, s4
	s_delay_alu instid0(VALU_DEP_1)
	s_mul_hi_u32 s20, s12, s5
	s_mul_i32 s13, s13, s5
	s_add_i32 s19, s20, s19
	s_mul_i32 s12, s12, s5
	s_add_i32 s19, s19, s13
	s_mul_hi_u32 s20, s4, s12
	s_mul_i32 s22, s4, s12
	s_mul_hi_u32 s12, s5, s12
	s_mul_hi_u32 s23, s5, s19
	s_mul_i32 s5, s5, s19
	s_mul_hi_u32 s13, s4, s19
	s_add_u32 s5, s12, s5
	s_addc_u32 s12, 0, s23
	s_add_u32 s5, s5, s22
	s_mul_i32 s19, s4, s19
	s_addc_u32 s5, s12, s20
	s_addc_u32 s12, s13, 0
	s_add_u32 s5, s5, s19
	s_addc_u32 s12, 0, s12
	v_add_co_u32 v2, s5, v2, s5
	s_delay_alu instid0(VALU_DEP_1) | instskip(SKIP_1) | instid1(VALU_DEP_1)
	s_cmp_lg_u32 s5, 0
	s_addc_u32 s4, s4, s12
	v_readfirstlane_b32 s5, v2
	s_mul_i32 s13, s80, s4
	s_mul_hi_u32 s12, s80, s4
	s_mul_hi_u32 s19, s55, s4
	s_mul_i32 s4, s55, s4
	s_mul_hi_u32 s20, s80, s5
	s_mul_hi_u32 s22, s55, s5
	s_mul_i32 s5, s55, s5
	s_add_u32 s13, s20, s13
	s_addc_u32 s12, 0, s12
	s_add_u32 s5, s13, s5
	s_addc_u32 s5, s12, s22
	s_addc_u32 s12, s19, 0
	s_add_u32 s4, s5, s4
	s_addc_u32 s5, 0, s12
	s_mul_hi_u32 s12, s33, s4
	s_mul_i32 s4, s33, s4
	s_mul_i32 s5, s33, s5
	v_sub_co_u32 v2, s4, s80, s4
	s_add_i32 s12, s12, s5
	s_cmp_lg_u32 s4, 0
	s_delay_alu instid0(VALU_DEP_1) | instskip(SKIP_2) | instid1(VALU_DEP_1)
	v_sub_co_u32 v3, s4, v2, s33
	s_subb_u32 s5, s55, s12
	s_cmp_lg_u32 s4, 0
	v_cmp_le_u32_e32 vcc_lo, s33, v3
	v_sub_co_u32 v4, s4, v3, s33
	s_subb_u32 s12, s5, 0
	s_cmp_lg_u32 s4, 0
	v_cndmask_b32_e64 v5, 0, -1, vcc_lo
	s_subb_u32 s4, s12, 0
	s_cmp_eq_u32 s12, 0
	v_mov_b32_e32 v7, s4
	s_cselect_b32 vcc_lo, -1, 0
	s_cmp_eq_u32 s5, 0
	v_cndmask_b32_e32 v5, -1, v5, vcc_lo
	v_cmp_le_u32_e32 vcc_lo, s33, v2
	s_cselect_b32 s4, -1, 0
	v_cndmask_b32_e64 v6, 0, -1, vcc_lo
	s_delay_alu instid0(VALU_DEP_3) | instskip(NEXT) | instid1(VALU_DEP_2)
	v_cmp_ne_u32_e32 vcc_lo, 0, v5
	v_cndmask_b32_e64 v5, -1, v6, s4
	v_cndmask_b32_e32 v6, s12, v7, vcc_lo
	v_cndmask_b32_e32 v4, v3, v4, vcc_lo
	s_delay_alu instid0(VALU_DEP_3) | instskip(NEXT) | instid1(VALU_DEP_3)
	v_cmp_ne_u32_e32 vcc_lo, 0, v5
	v_cndmask_b32_e32 v3, s5, v6, vcc_lo
	s_delay_alu instid0(VALU_DEP_3)
	v_cndmask_b32_e32 v2, v2, v4, vcc_lo
	s_cbranch_execnz .LBB143_185
.LBB143_184:                            ;   in Loop: Header=BB143_46 Depth=1
	v_cvt_f32_u32_e32 v2, s33
	s_sub_i32 s4, 0, s33
	s_delay_alu instid0(VALU_DEP_1) | instskip(SKIP_2) | instid1(VALU_DEP_1)
	v_rcp_iflag_f32_e32 v2, v2
	s_waitcnt_depctr 0xfff
	v_mul_f32_e32 v2, 0x4f7ffffe, v2
	v_cvt_u32_f32_e32 v2, v2
	s_delay_alu instid0(VALU_DEP_1) | instskip(NEXT) | instid1(VALU_DEP_1)
	v_mul_lo_u32 v3, s4, v2
	v_mul_hi_u32 v3, v2, v3
	s_delay_alu instid0(VALU_DEP_1) | instskip(NEXT) | instid1(VALU_DEP_1)
	v_add_nc_u32_e32 v2, v2, v3
	v_mul_hi_u32 v2, s80, v2
	s_delay_alu instid0(VALU_DEP_1) | instskip(NEXT) | instid1(VALU_DEP_1)
	v_mul_lo_u32 v2, v2, s33
	v_sub_nc_u32_e32 v2, s80, v2
	s_delay_alu instid0(VALU_DEP_1) | instskip(SKIP_1) | instid1(VALU_DEP_2)
	v_subrev_nc_u32_e32 v3, s33, v2
	v_cmp_le_u32_e32 vcc_lo, s33, v2
	v_cndmask_b32_e32 v2, v2, v3, vcc_lo
	s_delay_alu instid0(VALU_DEP_1) | instskip(SKIP_1) | instid1(VALU_DEP_2)
	v_subrev_nc_u32_e32 v3, s33, v2
	v_cmp_le_u32_e32 vcc_lo, s33, v2
	v_cndmask_b32_e32 v14, v2, v3, vcc_lo
	s_delay_alu instid0(VALU_DEP_1)
	v_dual_mov_b32 v2, v14 :: v_dual_mov_b32 v3, v15
.LBB143_185:                            ;   in Loop: Header=BB143_46 Depth=1
	s_delay_alu instid0(VALU_DEP_1) | instskip(NEXT) | instid1(VALU_DEP_2)
	v_sub_co_u32 v2, vcc_lo, s80, v2
	v_sub_co_ci_u32_e32 v3, vcc_lo, s55, v3, vcc_lo
	s_mov_b32 s4, 0
	s_mov_b32 s5, exec_lo
                                        ; implicit-def: $vgpr46
	s_delay_alu instid0(VALU_DEP_1)
	v_cmpx_gt_u64_e64 v[2:3], v[0:1]
	s_cbranch_execz .LBB143_194
; %bb.186:                              ;   in Loop: Header=BB143_46 Depth=1
	v_dual_mov_b32 v4, v10 :: v_dual_mov_b32 v5, v11
	v_dual_mov_b32 v7, v1 :: v_dual_mov_b32 v6, v0
	s_mov_b32 s12, 0
                                        ; implicit-def: $sgpr13
	s_branch .LBB143_188
.LBB143_187:                            ;   in Loop: Header=BB143_188 Depth=2
	s_or_b32 exec_lo, exec_lo, s4
	s_waitcnt vmcnt(0) lgkmcnt(0)
	s_barrier
	buffer_gl0_inv
	ds_load_b32 v8, v15 offset:3072
	v_add_co_u32 v6, vcc_lo, v6, s33
	v_add_co_ci_u32_e32 v7, vcc_lo, 0, v7, vcc_lo
	s_waitcnt lgkmcnt(0)
	s_barrier
	buffer_gl0_inv
	v_cmp_ge_u64_e32 vcc_lo, v[6:7], v[2:3]
	v_and_b32_e32 v9, 0x7fff, v8
	s_delay_alu instid0(VALU_DEP_1) | instskip(NEXT) | instid1(VALU_DEP_1)
	v_cmp_ne_u16_e64 s4, 0, v9
	s_or_b32 s19, vcc_lo, s4
	v_add_co_u32 v4, vcc_lo, v4, s46
	s_and_b32 s19, exec_lo, s19
	v_add_co_ci_u32_e32 v5, vcc_lo, s47, v5, vcc_lo
	s_or_b32 s12, s19, s12
	s_and_not1_b32 s13, s13, exec_lo
	s_and_b32 s4, s4, exec_lo
	s_delay_alu instid0(SALU_CYCLE_1)
	s_or_b32 s13, s13, s4
	s_and_not1_b32 exec_lo, exec_lo, s12
	s_cbranch_execz .LBB143_193
.LBB143_188:                            ;   Parent Loop BB143_46 Depth=1
                                        ; =>  This Inner Loop Header: Depth=2
	s_delay_alu instid0(VALU_DEP_1)
	v_cmp_gt_u64_e32 vcc_lo, s[24:25], v[6:7]
	v_mov_b32_e32 v8, 0
	s_and_saveexec_b32 s4, vcc_lo
	s_cbranch_execz .LBB143_190
; %bb.189:                              ;   in Loop: Header=BB143_188 Depth=2
	global_load_u16 v8, v[4:5], off
.LBB143_190:                            ;   in Loop: Header=BB143_188 Depth=2
	s_or_b32 exec_lo, exec_lo, s4
	s_and_saveexec_b32 s4, vcc_lo
	s_cbranch_execz .LBB143_187
; %bb.191:                              ;   in Loop: Header=BB143_188 Depth=2
	s_waitcnt vmcnt(0)
	v_cmp_lt_i16_e32 vcc_lo, -1, v8
	v_dual_cndmask_b32 v14, 0xffff, v45 :: v_dual_and_b32 v9, 0xffff, v8
	s_delay_alu instid0(VALU_DEP_1) | instskip(SKIP_1) | instid1(VALU_DEP_1)
	v_xor_b32_e32 v9, v14, v9
	v_lshlrev_b32_e32 v26, 16, v8
	v_cmp_o_f32_e32 vcc_lo, v26, v26
	s_delay_alu instid0(VALU_DEP_3) | instskip(NEXT) | instid1(VALU_DEP_1)
	v_cndmask_b32_e32 v9, 0xffff, v9, vcc_lo
	v_and_b32_e32 v9, s98, v9
	s_delay_alu instid0(VALU_DEP_1)
	v_cmp_eq_u32_e32 vcc_lo, s97, v9
	s_and_b32 exec_lo, exec_lo, vcc_lo
	s_cbranch_execz .LBB143_187
; %bb.192:                              ;   in Loop: Header=BB143_188 Depth=2
	v_perm_b32 v8, v8, s87, 0x5040100
	ds_store_b32 v15, v8 offset:3072
	s_branch .LBB143_187
.LBB143_193:                            ;   in Loop: Header=BB143_46 Depth=1
	s_or_b32 exec_lo, exec_lo, s12
	v_lshrrev_b32_e32 v46, 16, v8
	s_and_b32 s4, s13, exec_lo
.LBB143_194:                            ;   in Loop: Header=BB143_46 Depth=1
	s_or_b32 exec_lo, exec_lo, s5
	s_mov_b32 s19, -1
	s_mov_b32 s13, 0
	s_mov_b32 s12, 0
.LBB143_195:                            ;   in Loop: Header=BB143_46 Depth=1
	s_mov_b32 s5, 0
                                        ; implicit-def: $sgpr52
	s_and_saveexec_b32 s20, s4
	s_cbranch_execz .LBB143_306
; %bb.196:                              ;   in Loop: Header=BB143_46 Depth=1
	s_xor_b32 s4, s21, -1
	s_mov_b32 s52, 1
	s_and_not1_b32 vcc_lo, exec_lo, s4
	s_cbranch_vccnz .LBB143_207
; %bb.197:                              ;   in Loop: Header=BB143_46 Depth=1
	v_cmp_gt_u64_e64 s4, s[50:51], s[10:11]
                                        ; implicit-def: $sgpr52
                                        ; implicit-def: $sgpr5
                                        ; implicit-def: $sgpr21
	s_delay_alu instid0(VALU_DEP_1)
	s_and_b32 vcc_lo, exec_lo, s4
	s_mov_b32 s4, -1
	s_cbranch_vccnz .LBB143_203
; %bb.198:                              ;   in Loop: Header=BB143_46 Depth=1
	ds_load_b64 v[2:3], v15 offset:5120
	s_waitcnt lgkmcnt(0)
	v_cmp_ne_u64_e32 vcc_lo, 0, v[2:3]
	s_cbranch_vccnz .LBB143_202
; %bb.199:                              ;   in Loop: Header=BB143_46 Depth=1
	s_and_saveexec_b32 s4, s3
	s_cbranch_execz .LBB143_201
; %bb.200:                              ;   in Loop: Header=BB143_46 Depth=1
	v_dual_mov_b32 v2, s10 :: v_dual_mov_b32 v3, s11
	ds_store_b64 v15, v[2:3] offset:5128
.LBB143_201:                            ;   in Loop: Header=BB143_46 Depth=1
	s_or_b32 exec_lo, exec_lo, s4
	s_waitcnt lgkmcnt(0)
	s_barrier
	buffer_gl0_inv
.LBB143_202:                            ;   in Loop: Header=BB143_46 Depth=1
	s_lshl_b32 s4, 1, s17
	s_and_b32 s5, s97, s18
	s_or_b32 s21, s98, s16
	s_or_b32 s5, s5, s4
	s_mov_b32 s4, 0
	s_mov_b32 s52, 8
.LBB143_203:                            ;   in Loop: Header=BB143_46 Depth=1
	s_and_not1_b32 vcc_lo, exec_lo, s4
	s_cbranch_vccnz .LBB143_205
; %bb.204:                              ;   in Loop: Header=BB143_46 Depth=1
	s_sub_u32 s50, s50, s10
	s_subb_u32 s51, s51, s11
	s_mov_b32 s4, -1
	s_mov_b32 s52, 0
	s_mov_b32 s5, s97
	;; [unrolled: 1-line block ×3, first 2 shown]
.LBB143_205:                            ;   in Loop: Header=BB143_46 Depth=1
	s_delay_alu instid0(SALU_CYCLE_1)
	s_mov_b32 s98, s21
	s_mov_b32 s97, s5
	s_and_not1_b32 vcc_lo, exec_lo, s4
	s_mov_b32 s5, -1
	s_cbranch_vccz .LBB143_208
.LBB143_206:                            ;   in Loop: Header=BB143_46 Depth=1
                                        ; implicit-def: $sgpr11
                                        ; implicit-def: $sgpr21
                                        ; implicit-def: $sgpr10
	s_branch .LBB143_305
.LBB143_207:                            ;   in Loop: Header=BB143_46 Depth=1
	s_mov_b64 s[50:51], 1
	s_mov_b32 s5, -1
	s_cbranch_execnz .LBB143_206
.LBB143_208:                            ;   in Loop: Header=BB143_46 Depth=1
	s_cmp_eq_u64 s[8:9], 1
	s_cselect_b32 s4, -1, 0
	s_cmp_eq_u64 s[50:51], 1
	s_cselect_b32 s5, -1, 0
	s_delay_alu instid0(SALU_CYCLE_1)
	s_and_b32 s23, s4, s5
	s_mov_b32 s4, -1
	s_and_b32 vcc_lo, exec_lo, s23
	s_cbranch_vccz .LBB143_223
; %bb.209:                              ;   in Loop: Header=BB143_46 Depth=1
	ds_load_b64 v[2:3], v15 offset:5120
	s_waitcnt lgkmcnt(0)
	s_barrier
	buffer_gl0_inv
	v_readfirstlane_b32 s10, v2
	v_readfirstlane_b32 s11, v3
	s_and_saveexec_b32 s4, s0
	s_cbranch_execz .LBB143_211
; %bb.210:                              ;   in Loop: Header=BB143_46 Depth=1
	ds_store_b16 v40, v15
.LBB143_211:                            ;   in Loop: Header=BB143_46 Depth=1
	s_or_b32 exec_lo, exec_lo, s4
	s_lshl_b32 s4, 2, s17
	s_and_b32 s5, s97, s18
	s_or_b32 s98, s98, s16
	s_or_b32 s97, s5, s4
	s_cmp_eq_u64 s[10:11], 0
	s_waitcnt lgkmcnt(0)
	s_barrier
	buffer_gl0_inv
	s_cbranch_scc1 .LBB143_226
; %bb.212:                              ;   in Loop: Header=BB143_46 Depth=1
	s_add_u32 s21, s78, s10
	s_addc_u32 s5, s79, s11
	s_mov_b32 s4, s53
	s_delay_alu instid0(SALU_CYCLE_1)
	s_cmp_lg_u64 s[4:5], 0
	s_cbranch_scc0 .LBB143_271
; %bb.213:                              ;   in Loop: Header=BB143_46 Depth=1
	v_cvt_f32_u32_e32 v2, s33
	s_sub_u32 s52, 0, s33
	s_subb_u32 s54, 0, 0
	s_delay_alu instid0(VALU_DEP_1) | instskip(NEXT) | instid1(VALU_DEP_1)
	v_fmac_f32_e64 v2, 0, 0x4f800000
	v_rcp_f32_e32 v2, v2
	s_waitcnt_depctr 0xfff
	v_mul_f32_e32 v2, 0x5f7ffffc, v2
	s_delay_alu instid0(VALU_DEP_1) | instskip(NEXT) | instid1(VALU_DEP_1)
	v_mul_f32_e32 v3, 0x2f800000, v2
	v_trunc_f32_e32 v3, v3
	s_delay_alu instid0(VALU_DEP_1) | instskip(SKIP_1) | instid1(VALU_DEP_2)
	v_fmac_f32_e32 v2, 0xcf800000, v3
	v_cvt_u32_f32_e32 v3, v3
	v_cvt_u32_f32_e32 v2, v2
	s_delay_alu instid0(VALU_DEP_2) | instskip(NEXT) | instid1(VALU_DEP_2)
	v_readfirstlane_b32 s4, v3
	v_readfirstlane_b32 s22, v2
	s_delay_alu instid0(VALU_DEP_2) | instskip(NEXT) | instid1(VALU_DEP_1)
	s_mul_i32 s64, s52, s4
	s_mul_hi_u32 s66, s52, s22
	s_mul_i32 s65, s54, s22
	s_add_i32 s64, s66, s64
	s_mul_i32 s67, s52, s22
	s_add_i32 s64, s64, s65
	s_mul_hi_u32 s66, s22, s67
	s_mul_hi_u32 s68, s4, s67
	s_mul_i32 s65, s4, s67
	s_mul_hi_u32 s67, s22, s64
	s_mul_i32 s22, s22, s64
	s_mul_hi_u32 s69, s4, s64
	s_add_u32 s22, s66, s22
	s_addc_u32 s66, 0, s67
	s_add_u32 s22, s22, s65
	s_mul_i32 s64, s4, s64
	s_addc_u32 s22, s66, s68
	s_addc_u32 s65, s69, 0
	s_add_u32 s22, s22, s64
	s_addc_u32 s64, 0, s65
	v_add_co_u32 v2, s22, v2, s22
	s_delay_alu instid0(VALU_DEP_1) | instskip(SKIP_1) | instid1(VALU_DEP_1)
	s_cmp_lg_u32 s22, 0
	s_addc_u32 s4, s4, s64
	v_readfirstlane_b32 s22, v2
	s_mul_i32 s64, s52, s4
	s_delay_alu instid0(VALU_DEP_1)
	s_mul_hi_u32 s65, s52, s22
	s_mul_i32 s54, s54, s22
	s_add_i32 s64, s65, s64
	s_mul_i32 s52, s52, s22
	s_add_i32 s64, s64, s54
	s_mul_hi_u32 s65, s4, s52
	s_mul_i32 s66, s4, s52
	s_mul_hi_u32 s52, s22, s52
	s_mul_hi_u32 s67, s22, s64
	s_mul_i32 s22, s22, s64
	s_mul_hi_u32 s54, s4, s64
	s_add_u32 s22, s52, s22
	s_addc_u32 s52, 0, s67
	s_add_u32 s22, s22, s66
	s_mul_i32 s64, s4, s64
	s_addc_u32 s22, s52, s65
	s_addc_u32 s52, s54, 0
	s_add_u32 s22, s22, s64
	s_addc_u32 s52, 0, s52
	v_add_co_u32 v2, s22, v2, s22
	s_delay_alu instid0(VALU_DEP_1) | instskip(SKIP_1) | instid1(VALU_DEP_1)
	s_cmp_lg_u32 s22, 0
	s_addc_u32 s4, s4, s52
	v_readfirstlane_b32 s22, v2
	s_mul_i32 s54, s21, s4
	s_mul_hi_u32 s52, s21, s4
	s_mul_hi_u32 s64, s5, s4
	s_mul_i32 s4, s5, s4
	s_mul_hi_u32 s65, s21, s22
	s_mul_hi_u32 s66, s5, s22
	s_mul_i32 s22, s5, s22
	s_add_u32 s54, s65, s54
	s_addc_u32 s52, 0, s52
	s_add_u32 s22, s54, s22
	s_addc_u32 s22, s52, s66
	s_addc_u32 s52, s64, 0
	s_add_u32 s4, s22, s4
	s_addc_u32 s22, 0, s52
	s_mul_hi_u32 s52, s33, s4
	s_mul_i32 s4, s33, s4
	s_mul_i32 s22, s33, s22
	v_sub_co_u32 v2, s4, s21, s4
	s_add_i32 s52, s52, s22
	s_cmp_lg_u32 s4, 0
	s_delay_alu instid0(VALU_DEP_1) | instskip(SKIP_2) | instid1(VALU_DEP_1)
	v_sub_co_u32 v3, s4, v2, s33
	s_subb_u32 s22, s5, s52
	s_cmp_lg_u32 s4, 0
	v_cmp_le_u32_e32 vcc_lo, s33, v3
	v_sub_co_u32 v4, s4, v3, s33
	s_subb_u32 s52, s22, 0
	s_cmp_lg_u32 s4, 0
	v_cndmask_b32_e64 v5, 0, -1, vcc_lo
	s_subb_u32 s4, s52, 0
	s_cmp_eq_u32 s52, 0
	v_mov_b32_e32 v7, s4
	s_cselect_b32 vcc_lo, -1, 0
	s_cmp_eq_u32 s22, 0
	v_cndmask_b32_e32 v5, -1, v5, vcc_lo
	v_cmp_le_u32_e32 vcc_lo, s33, v2
	s_cselect_b32 s4, -1, 0
	v_cndmask_b32_e64 v6, 0, -1, vcc_lo
	s_delay_alu instid0(VALU_DEP_3) | instskip(NEXT) | instid1(VALU_DEP_2)
	v_cmp_ne_u32_e32 vcc_lo, 0, v5
	v_cndmask_b32_e64 v5, -1, v6, s4
	v_cndmask_b32_e32 v6, s52, v7, vcc_lo
	v_cndmask_b32_e32 v4, v3, v4, vcc_lo
	s_delay_alu instid0(VALU_DEP_3) | instskip(NEXT) | instid1(VALU_DEP_3)
	v_cmp_ne_u32_e32 vcc_lo, 0, v5
	v_cndmask_b32_e32 v3, s22, v6, vcc_lo
	s_delay_alu instid0(VALU_DEP_3)
	v_cndmask_b32_e32 v2, v2, v4, vcc_lo
	s_cbranch_execnz .LBB143_215
.LBB143_214:                            ;   in Loop: Header=BB143_46 Depth=1
	v_cvt_f32_u32_e32 v2, s33
	s_sub_i32 s4, 0, s33
	s_delay_alu instid0(VALU_DEP_1) | instskip(SKIP_2) | instid1(VALU_DEP_1)
	v_rcp_iflag_f32_e32 v2, v2
	s_waitcnt_depctr 0xfff
	v_mul_f32_e32 v2, 0x4f7ffffe, v2
	v_cvt_u32_f32_e32 v2, v2
	s_delay_alu instid0(VALU_DEP_1) | instskip(NEXT) | instid1(VALU_DEP_1)
	v_mul_lo_u32 v3, s4, v2
	v_mul_hi_u32 v3, v2, v3
	s_delay_alu instid0(VALU_DEP_1) | instskip(NEXT) | instid1(VALU_DEP_1)
	v_add_nc_u32_e32 v2, v2, v3
	v_mul_hi_u32 v2, s21, v2
	s_delay_alu instid0(VALU_DEP_1) | instskip(NEXT) | instid1(VALU_DEP_1)
	v_mul_lo_u32 v2, v2, s33
	v_sub_nc_u32_e32 v2, s21, v2
	s_delay_alu instid0(VALU_DEP_1) | instskip(SKIP_1) | instid1(VALU_DEP_2)
	v_subrev_nc_u32_e32 v3, s33, v2
	v_cmp_le_u32_e32 vcc_lo, s33, v2
	v_cndmask_b32_e32 v2, v2, v3, vcc_lo
	s_delay_alu instid0(VALU_DEP_1) | instskip(SKIP_1) | instid1(VALU_DEP_2)
	v_subrev_nc_u32_e32 v3, s33, v2
	v_cmp_le_u32_e32 vcc_lo, s33, v2
	v_cndmask_b32_e32 v14, v2, v3, vcc_lo
	s_delay_alu instid0(VALU_DEP_1)
	v_dual_mov_b32 v2, v14 :: v_dual_mov_b32 v3, v15
.LBB143_215:                            ;   in Loop: Header=BB143_46 Depth=1
	s_delay_alu instid0(VALU_DEP_1) | instskip(NEXT) | instid1(VALU_DEP_2)
	v_sub_co_u32 v2, vcc_lo, s21, v2
	v_sub_co_ci_u32_e32 v3, vcc_lo, s5, v3, vcc_lo
	s_mov_b32 s4, 0
	s_mov_b32 s5, exec_lo
                                        ; implicit-def: $vgpr46
	s_delay_alu instid0(VALU_DEP_1)
	v_cmpx_gt_u64_e64 v[2:3], v[0:1]
	s_cbranch_execz .LBB143_228
; %bb.216:                              ;   in Loop: Header=BB143_46 Depth=1
	v_dual_mov_b32 v6, v39 :: v_dual_mov_b32 v5, v1
	v_mov_b32_e32 v4, v0
	s_mov_b32 s21, 0
                                        ; implicit-def: $sgpr22
	s_branch .LBB143_218
.LBB143_217:                            ;   in Loop: Header=BB143_218 Depth=2
	s_or_b32 exec_lo, exec_lo, s4
	s_waitcnt lgkmcnt(0)
	s_barrier
	buffer_gl0_inv
	ds_load_b32 v7, v15 offset:3072
	v_add_co_u32 v4, vcc_lo, v4, s33
	v_add_co_ci_u32_e32 v5, vcc_lo, 0, v5, vcc_lo
	v_add_nc_u32_e32 v6, s86, v6
	s_waitcnt lgkmcnt(0)
	s_barrier
	s_delay_alu instid0(VALU_DEP_2) | instskip(SKIP_2) | instid1(VALU_DEP_1)
	v_cmp_ge_u64_e32 vcc_lo, v[4:5], v[2:3]
	buffer_gl0_inv
	v_and_b32_e32 v8, 0x7fff, v7
	v_cmp_ne_u16_e64 s4, 0, v8
	s_delay_alu instid0(VALU_DEP_1) | instskip(NEXT) | instid1(SALU_CYCLE_1)
	s_or_b32 s52, vcc_lo, s4
	s_and_b32 s52, exec_lo, s52
	s_delay_alu instid0(SALU_CYCLE_1) | instskip(SKIP_2) | instid1(SALU_CYCLE_1)
	s_or_b32 s21, s52, s21
	s_and_not1_b32 s22, s22, exec_lo
	s_and_b32 s4, s4, exec_lo
	s_or_b32 s22, s22, s4
	s_and_not1_b32 exec_lo, exec_lo, s21
	s_cbranch_execz .LBB143_227
.LBB143_218:                            ;   Parent Loop BB143_46 Depth=1
                                        ; =>  This Inner Loop Header: Depth=2
	s_delay_alu instid0(VALU_DEP_1)
	v_cmp_gt_u64_e32 vcc_lo, s[10:11], v[4:5]
	v_mov_b32_e32 v7, 0
	s_and_saveexec_b32 s4, vcc_lo
	s_cbranch_execz .LBB143_220
; %bb.219:                              ;   in Loop: Header=BB143_218 Depth=2
	ds_load_u16 v7, v6
.LBB143_220:                            ;   in Loop: Header=BB143_218 Depth=2
	s_or_b32 exec_lo, exec_lo, s4
	s_and_saveexec_b32 s4, vcc_lo
	s_cbranch_execz .LBB143_217
; %bb.221:                              ;   in Loop: Header=BB143_218 Depth=2
	s_waitcnt lgkmcnt(0)
	v_cmp_lt_i16_e32 vcc_lo, -1, v7
	v_and_b32_e32 v8, 0xffff, v7
	v_dual_cndmask_b32 v9, 0xffff, v45 :: v_dual_lshlrev_b32 v14, 16, v7
	s_delay_alu instid0(VALU_DEP_1) | instskip(NEXT) | instid1(VALU_DEP_2)
	v_cmp_o_f32_e32 vcc_lo, v14, v14
	v_xor_b32_e32 v8, v9, v8
	s_delay_alu instid0(VALU_DEP_1) | instskip(NEXT) | instid1(VALU_DEP_1)
	v_cndmask_b32_e32 v8, 0xffff, v8, vcc_lo
	v_and_b32_e32 v8, s98, v8
	s_delay_alu instid0(VALU_DEP_1)
	v_cmp_eq_u32_e32 vcc_lo, s97, v8
	s_and_b32 exec_lo, exec_lo, vcc_lo
	s_cbranch_execz .LBB143_217
; %bb.222:                              ;   in Loop: Header=BB143_218 Depth=2
	v_perm_b32 v7, v7, s87, 0x5040100
	ds_store_b32 v15, v7 offset:3072
	s_branch .LBB143_217
.LBB143_223:                            ;   in Loop: Header=BB143_46 Depth=1
                                        ; implicit-def: $sgpr10
                                        ; implicit-def: $sgpr21
                                        ; implicit-def: $sgpr11
	s_branch .LBB143_242
.LBB143_224:                            ;   in Loop: Header=BB143_46 Depth=1
                                        ; implicit-def: $vgpr2_vgpr3
	s_branch .LBB143_167
.LBB143_225:                            ;   in Loop: Header=BB143_46 Depth=1
                                        ; implicit-def: $vgpr2_vgpr3
	s_branch .LBB143_184
.LBB143_226:                            ;   in Loop: Header=BB143_46 Depth=1
	s_mov_b32 s10, -1
	s_mov_b32 s4, 0
                                        ; implicit-def: $sgpr11
                                        ; implicit-def: $vgpr46
	s_mov_b32 s21, s10
	s_cbranch_execnz .LBB143_229
	s_branch .LBB143_242
.LBB143_227:                            ;   in Loop: Header=BB143_46 Depth=1
	s_or_b32 exec_lo, exec_lo, s21
	v_lshrrev_b32_e32 v46, 16, v7
	s_and_b32 s4, s22, exec_lo
.LBB143_228:                            ;   in Loop: Header=BB143_46 Depth=1
	s_or_b32 exec_lo, exec_lo, s5
	s_mov_b32 s11, -1
	s_mov_b32 s10, 0
	s_delay_alu instid0(SALU_CYCLE_1)
	s_mov_b32 s21, s10
	s_branch .LBB143_242
.LBB143_229:                            ;   in Loop: Header=BB143_46 Depth=1
	s_mov_b32 s54, s53
	s_delay_alu instid0(SALU_CYCLE_1)
	s_cmp_lg_u64 s[54:55], 0
	s_cbranch_scc0 .LBB143_272
; %bb.230:                              ;   in Loop: Header=BB143_46 Depth=1
	v_cvt_f32_u32_e32 v2, s33
	s_sub_u32 s10, 0, s33
	s_subb_u32 s11, 0, 0
	s_delay_alu instid0(VALU_DEP_1) | instskip(NEXT) | instid1(VALU_DEP_1)
	v_fmac_f32_e64 v2, 0, 0x4f800000
	v_rcp_f32_e32 v2, v2
	s_waitcnt_depctr 0xfff
	v_mul_f32_e32 v2, 0x5f7ffffc, v2
	s_delay_alu instid0(VALU_DEP_1) | instskip(NEXT) | instid1(VALU_DEP_1)
	v_mul_f32_e32 v3, 0x2f800000, v2
	v_trunc_f32_e32 v3, v3
	s_delay_alu instid0(VALU_DEP_1) | instskip(SKIP_1) | instid1(VALU_DEP_2)
	v_fmac_f32_e32 v2, 0xcf800000, v3
	v_cvt_u32_f32_e32 v3, v3
	v_cvt_u32_f32_e32 v2, v2
	s_delay_alu instid0(VALU_DEP_2) | instskip(NEXT) | instid1(VALU_DEP_2)
	v_readfirstlane_b32 s4, v3
	v_readfirstlane_b32 s5, v2
	s_delay_alu instid0(VALU_DEP_2) | instskip(NEXT) | instid1(VALU_DEP_1)
	s_mul_i32 s21, s10, s4
	s_mul_hi_u32 s52, s10, s5
	s_mul_i32 s22, s11, s5
	s_add_i32 s21, s52, s21
	s_mul_i32 s54, s10, s5
	s_add_i32 s21, s21, s22
	s_mul_hi_u32 s52, s5, s54
	s_mul_hi_u32 s64, s4, s54
	s_mul_i32 s22, s4, s54
	s_mul_hi_u32 s54, s5, s21
	s_mul_i32 s5, s5, s21
	s_mul_hi_u32 s65, s4, s21
	s_add_u32 s5, s52, s5
	s_addc_u32 s52, 0, s54
	s_add_u32 s5, s5, s22
	s_mul_i32 s21, s4, s21
	s_addc_u32 s5, s52, s64
	s_addc_u32 s22, s65, 0
	s_add_u32 s5, s5, s21
	s_addc_u32 s21, 0, s22
	v_add_co_u32 v2, s5, v2, s5
	s_delay_alu instid0(VALU_DEP_1) | instskip(SKIP_1) | instid1(VALU_DEP_1)
	s_cmp_lg_u32 s5, 0
	s_addc_u32 s4, s4, s21
	v_readfirstlane_b32 s5, v2
	s_mul_i32 s21, s10, s4
	s_delay_alu instid0(VALU_DEP_1)
	s_mul_hi_u32 s22, s10, s5
	s_mul_i32 s11, s11, s5
	s_add_i32 s21, s22, s21
	s_mul_i32 s10, s10, s5
	s_add_i32 s21, s21, s11
	s_mul_hi_u32 s22, s4, s10
	s_mul_i32 s52, s4, s10
	s_mul_hi_u32 s10, s5, s10
	s_mul_hi_u32 s54, s5, s21
	s_mul_i32 s5, s5, s21
	s_mul_hi_u32 s11, s4, s21
	s_add_u32 s5, s10, s5
	s_addc_u32 s10, 0, s54
	s_add_u32 s5, s5, s52
	s_mul_i32 s21, s4, s21
	s_addc_u32 s5, s10, s22
	s_addc_u32 s10, s11, 0
	s_add_u32 s5, s5, s21
	s_addc_u32 s10, 0, s10
	v_add_co_u32 v2, s5, v2, s5
	s_delay_alu instid0(VALU_DEP_1) | instskip(SKIP_1) | instid1(VALU_DEP_1)
	s_cmp_lg_u32 s5, 0
	s_addc_u32 s4, s4, s10
	v_readfirstlane_b32 s5, v2
	s_mul_i32 s11, s80, s4
	s_mul_hi_u32 s10, s80, s4
	s_mul_hi_u32 s21, s55, s4
	s_mul_i32 s4, s55, s4
	s_mul_hi_u32 s22, s80, s5
	s_mul_hi_u32 s52, s55, s5
	s_mul_i32 s5, s55, s5
	s_add_u32 s11, s22, s11
	s_addc_u32 s10, 0, s10
	s_add_u32 s5, s11, s5
	s_addc_u32 s5, s10, s52
	s_addc_u32 s10, s21, 0
	s_add_u32 s4, s5, s4
	s_addc_u32 s5, 0, s10
	s_mul_hi_u32 s10, s33, s4
	s_mul_i32 s4, s33, s4
	s_mul_i32 s5, s33, s5
	v_sub_co_u32 v2, s4, s80, s4
	s_add_i32 s10, s10, s5
	s_cmp_lg_u32 s4, 0
	s_delay_alu instid0(VALU_DEP_1) | instskip(SKIP_2) | instid1(VALU_DEP_1)
	v_sub_co_u32 v3, s4, v2, s33
	s_subb_u32 s5, s55, s10
	s_cmp_lg_u32 s4, 0
	v_cmp_le_u32_e32 vcc_lo, s33, v3
	v_sub_co_u32 v4, s4, v3, s33
	s_subb_u32 s10, s5, 0
	s_cmp_lg_u32 s4, 0
	v_cndmask_b32_e64 v5, 0, -1, vcc_lo
	s_subb_u32 s4, s10, 0
	s_cmp_eq_u32 s10, 0
	v_mov_b32_e32 v7, s4
	s_cselect_b32 vcc_lo, -1, 0
	s_cmp_eq_u32 s5, 0
	v_cndmask_b32_e32 v5, -1, v5, vcc_lo
	v_cmp_le_u32_e32 vcc_lo, s33, v2
	s_cselect_b32 s4, -1, 0
	v_cndmask_b32_e64 v6, 0, -1, vcc_lo
	s_delay_alu instid0(VALU_DEP_3) | instskip(NEXT) | instid1(VALU_DEP_2)
	v_cmp_ne_u32_e32 vcc_lo, 0, v5
	v_cndmask_b32_e64 v5, -1, v6, s4
	v_cndmask_b32_e32 v6, s10, v7, vcc_lo
	v_cndmask_b32_e32 v4, v3, v4, vcc_lo
	s_delay_alu instid0(VALU_DEP_3) | instskip(NEXT) | instid1(VALU_DEP_3)
	v_cmp_ne_u32_e32 vcc_lo, 0, v5
	v_cndmask_b32_e32 v3, s5, v6, vcc_lo
	s_delay_alu instid0(VALU_DEP_3)
	v_cndmask_b32_e32 v2, v2, v4, vcc_lo
	s_cbranch_execnz .LBB143_232
.LBB143_231:                            ;   in Loop: Header=BB143_46 Depth=1
	v_cvt_f32_u32_e32 v2, s33
	s_sub_i32 s4, 0, s33
	s_delay_alu instid0(VALU_DEP_1) | instskip(SKIP_2) | instid1(VALU_DEP_1)
	v_rcp_iflag_f32_e32 v2, v2
	s_waitcnt_depctr 0xfff
	v_mul_f32_e32 v2, 0x4f7ffffe, v2
	v_cvt_u32_f32_e32 v2, v2
	s_delay_alu instid0(VALU_DEP_1) | instskip(NEXT) | instid1(VALU_DEP_1)
	v_mul_lo_u32 v3, s4, v2
	v_mul_hi_u32 v3, v2, v3
	s_delay_alu instid0(VALU_DEP_1) | instskip(NEXT) | instid1(VALU_DEP_1)
	v_add_nc_u32_e32 v2, v2, v3
	v_mul_hi_u32 v2, s80, v2
	s_delay_alu instid0(VALU_DEP_1) | instskip(NEXT) | instid1(VALU_DEP_1)
	v_mul_lo_u32 v2, v2, s33
	v_sub_nc_u32_e32 v2, s80, v2
	s_delay_alu instid0(VALU_DEP_1) | instskip(SKIP_1) | instid1(VALU_DEP_2)
	v_subrev_nc_u32_e32 v3, s33, v2
	v_cmp_le_u32_e32 vcc_lo, s33, v2
	v_cndmask_b32_e32 v2, v2, v3, vcc_lo
	s_delay_alu instid0(VALU_DEP_1) | instskip(SKIP_1) | instid1(VALU_DEP_2)
	v_subrev_nc_u32_e32 v3, s33, v2
	v_cmp_le_u32_e32 vcc_lo, s33, v2
	v_cndmask_b32_e32 v14, v2, v3, vcc_lo
	s_delay_alu instid0(VALU_DEP_1)
	v_dual_mov_b32 v2, v14 :: v_dual_mov_b32 v3, v15
.LBB143_232:                            ;   in Loop: Header=BB143_46 Depth=1
	s_delay_alu instid0(VALU_DEP_1) | instskip(NEXT) | instid1(VALU_DEP_2)
	v_sub_co_u32 v2, vcc_lo, s80, v2
	v_sub_co_ci_u32_e32 v3, vcc_lo, s55, v3, vcc_lo
	s_mov_b32 s4, 0
	s_mov_b32 s5, exec_lo
                                        ; implicit-def: $vgpr46
	s_delay_alu instid0(VALU_DEP_1)
	v_cmpx_gt_u64_e64 v[2:3], v[0:1]
	s_cbranch_execz .LBB143_241
; %bb.233:                              ;   in Loop: Header=BB143_46 Depth=1
	v_dual_mov_b32 v4, v10 :: v_dual_mov_b32 v5, v11
	v_dual_mov_b32 v7, v1 :: v_dual_mov_b32 v6, v0
	s_mov_b32 s10, 0
                                        ; implicit-def: $sgpr11
	s_branch .LBB143_235
.LBB143_234:                            ;   in Loop: Header=BB143_235 Depth=2
	s_or_b32 exec_lo, exec_lo, s4
	s_waitcnt vmcnt(0) lgkmcnt(0)
	s_barrier
	buffer_gl0_inv
	ds_load_b32 v8, v15 offset:3072
	v_add_co_u32 v6, vcc_lo, v6, s33
	v_add_co_ci_u32_e32 v7, vcc_lo, 0, v7, vcc_lo
	s_waitcnt lgkmcnt(0)
	s_barrier
	buffer_gl0_inv
	v_cmp_ge_u64_e32 vcc_lo, v[6:7], v[2:3]
	v_and_b32_e32 v9, 0x7fff, v8
	s_delay_alu instid0(VALU_DEP_1) | instskip(NEXT) | instid1(VALU_DEP_1)
	v_cmp_ne_u16_e64 s4, 0, v9
	s_or_b32 s21, vcc_lo, s4
	v_add_co_u32 v4, vcc_lo, v4, s46
	s_and_b32 s21, exec_lo, s21
	v_add_co_ci_u32_e32 v5, vcc_lo, s47, v5, vcc_lo
	s_or_b32 s10, s21, s10
	s_and_not1_b32 s11, s11, exec_lo
	s_and_b32 s4, s4, exec_lo
	s_delay_alu instid0(SALU_CYCLE_1)
	s_or_b32 s11, s11, s4
	s_and_not1_b32 exec_lo, exec_lo, s10
	s_cbranch_execz .LBB143_240
.LBB143_235:                            ;   Parent Loop BB143_46 Depth=1
                                        ; =>  This Inner Loop Header: Depth=2
	s_delay_alu instid0(VALU_DEP_1)
	v_cmp_gt_u64_e32 vcc_lo, s[24:25], v[6:7]
	v_mov_b32_e32 v8, 0
	s_and_saveexec_b32 s4, vcc_lo
	s_cbranch_execz .LBB143_237
; %bb.236:                              ;   in Loop: Header=BB143_235 Depth=2
	global_load_u16 v8, v[4:5], off
.LBB143_237:                            ;   in Loop: Header=BB143_235 Depth=2
	s_or_b32 exec_lo, exec_lo, s4
	s_and_saveexec_b32 s4, vcc_lo
	s_cbranch_execz .LBB143_234
; %bb.238:                              ;   in Loop: Header=BB143_235 Depth=2
	s_waitcnt vmcnt(0)
	v_cmp_lt_i16_e32 vcc_lo, -1, v8
	v_dual_cndmask_b32 v14, 0xffff, v45 :: v_dual_and_b32 v9, 0xffff, v8
	s_delay_alu instid0(VALU_DEP_1) | instskip(SKIP_1) | instid1(VALU_DEP_1)
	v_xor_b32_e32 v9, v14, v9
	v_lshlrev_b32_e32 v26, 16, v8
	v_cmp_o_f32_e32 vcc_lo, v26, v26
	s_delay_alu instid0(VALU_DEP_3) | instskip(NEXT) | instid1(VALU_DEP_1)
	v_cndmask_b32_e32 v9, 0xffff, v9, vcc_lo
	v_and_b32_e32 v9, s98, v9
	s_delay_alu instid0(VALU_DEP_1)
	v_cmp_eq_u32_e32 vcc_lo, s97, v9
	s_and_b32 exec_lo, exec_lo, vcc_lo
	s_cbranch_execz .LBB143_234
; %bb.239:                              ;   in Loop: Header=BB143_235 Depth=2
	v_perm_b32 v8, v8, s87, 0x5040100
	ds_store_b32 v15, v8 offset:3072
	s_branch .LBB143_234
.LBB143_240:                            ;   in Loop: Header=BB143_46 Depth=1
	s_or_b32 exec_lo, exec_lo, s10
	v_lshrrev_b32_e32 v46, 16, v8
	s_and_b32 s4, s11, exec_lo
.LBB143_241:                            ;   in Loop: Header=BB143_46 Depth=1
	s_or_b32 exec_lo, exec_lo, s5
	s_mov_b32 s21, -1
	s_mov_b32 s10, 0
	s_mov_b32 s11, 0
.LBB143_242:                            ;   in Loop: Header=BB143_46 Depth=1
	s_mov_b32 s5, 0
                                        ; implicit-def: $sgpr52
	s_and_saveexec_b32 s22, s4
	s_cbranch_execz .LBB143_304
; %bb.243:                              ;   in Loop: Header=BB143_46 Depth=1
	s_xor_b32 s4, s23, -1
	s_mov_b32 s52, 1
	s_and_not1_b32 vcc_lo, exec_lo, s4
	s_cbranch_vccnz .LBB143_254
; %bb.244:                              ;   in Loop: Header=BB143_46 Depth=1
	v_cmp_gt_u64_e64 s4, s[50:51], s[8:9]
                                        ; implicit-def: $sgpr52
                                        ; implicit-def: $sgpr5
                                        ; implicit-def: $sgpr23
	s_delay_alu instid0(VALU_DEP_1)
	s_and_b32 vcc_lo, exec_lo, s4
	s_mov_b32 s4, -1
	s_cbranch_vccnz .LBB143_250
; %bb.245:                              ;   in Loop: Header=BB143_46 Depth=1
	ds_load_b64 v[2:3], v15 offset:5120
	s_waitcnt lgkmcnt(0)
	v_cmp_ne_u64_e32 vcc_lo, 0, v[2:3]
	s_cbranch_vccnz .LBB143_249
; %bb.246:                              ;   in Loop: Header=BB143_46 Depth=1
	s_and_saveexec_b32 s4, s3
	s_cbranch_execz .LBB143_248
; %bb.247:                              ;   in Loop: Header=BB143_46 Depth=1
	v_dual_mov_b32 v2, s8 :: v_dual_mov_b32 v3, s9
	ds_store_b64 v15, v[2:3] offset:5128
.LBB143_248:                            ;   in Loop: Header=BB143_46 Depth=1
	s_or_b32 exec_lo, exec_lo, s4
	s_waitcnt lgkmcnt(0)
	s_barrier
	buffer_gl0_inv
.LBB143_249:                            ;   in Loop: Header=BB143_46 Depth=1
	s_lshl_b32 s4, 2, s17
	s_and_b32 s5, s97, s18
	s_or_b32 s23, s98, s16
	s_or_b32 s5, s5, s4
	s_mov_b32 s4, 0
	s_mov_b32 s52, 8
.LBB143_250:                            ;   in Loop: Header=BB143_46 Depth=1
	s_and_not1_b32 vcc_lo, exec_lo, s4
	s_cbranch_vccnz .LBB143_252
; %bb.251:                              ;   in Loop: Header=BB143_46 Depth=1
	s_sub_u32 s50, s50, s8
	s_subb_u32 s51, s51, s9
	s_mov_b32 s4, -1
	s_mov_b32 s52, 0
	s_mov_b32 s5, s97
	;; [unrolled: 1-line block ×3, first 2 shown]
.LBB143_252:                            ;   in Loop: Header=BB143_46 Depth=1
	s_delay_alu instid0(SALU_CYCLE_1)
	s_mov_b32 s98, s23
	s_mov_b32 s97, s5
	s_and_not1_b32 vcc_lo, exec_lo, s4
	s_mov_b32 s64, -1
	s_cbranch_vccz .LBB143_255
.LBB143_253:                            ;   in Loop: Header=BB143_46 Depth=1
                                        ; implicit-def: $sgpr8
                                        ; implicit-def: $sgpr18
                                        ; implicit-def: $sgpr9
	s_branch .LBB143_303
.LBB143_254:                            ;   in Loop: Header=BB143_46 Depth=1
	s_mov_b64 s[50:51], 1
	s_mov_b32 s64, -1
	s_cbranch_execnz .LBB143_253
.LBB143_255:                            ;   in Loop: Header=BB143_46 Depth=1
	s_cmp_eq_u64 s[6:7], 1
	s_mov_b32 s23, -1
	s_cselect_b32 s4, -1, 0
	s_cmp_eq_u64 s[50:51], 1
	s_cselect_b32 s5, -1, 0
	s_delay_alu instid0(SALU_CYCLE_1) | instskip(NEXT) | instid1(SALU_CYCLE_1)
	s_and_b32 s17, s4, s5
	s_and_b32 vcc_lo, exec_lo, s17
	s_cbranch_vccz .LBB143_270
; %bb.256:                              ;   in Loop: Header=BB143_46 Depth=1
	ds_load_b64 v[2:3], v15 offset:5120
	s_waitcnt lgkmcnt(0)
	s_barrier
	buffer_gl0_inv
	v_readfirstlane_b32 s8, v2
	v_readfirstlane_b32 s9, v3
	s_and_saveexec_b32 s4, s0
	s_cbranch_execz .LBB143_258
; %bb.257:                              ;   in Loop: Header=BB143_46 Depth=1
	ds_store_b16 v40, v15
.LBB143_258:                            ;   in Loop: Header=BB143_46 Depth=1
	s_or_b32 exec_lo, exec_lo, s4
	s_or_b32 s97, s97, s16
	s_or_b32 s98, s98, s16
	s_cmp_eq_u64 s[8:9], 0
	s_waitcnt lgkmcnt(0)
	s_barrier
	buffer_gl0_inv
	s_cbranch_scc1 .LBB143_273
; %bb.259:                              ;   in Loop: Header=BB143_46 Depth=1
	s_add_u32 s18, s78, s8
	s_addc_u32 s5, s79, s9
	s_mov_b32 s4, s53
	s_delay_alu instid0(SALU_CYCLE_1)
	s_cmp_lg_u64 s[4:5], 0
	s_cbranch_scc0 .LBB143_309
; %bb.260:                              ;   in Loop: Header=BB143_46 Depth=1
	v_cvt_f32_u32_e32 v2, s33
	s_sub_u32 s52, 0, s33
	s_subb_u32 s54, 0, 0
	s_delay_alu instid0(VALU_DEP_1) | instskip(NEXT) | instid1(VALU_DEP_1)
	v_fmac_f32_e64 v2, 0, 0x4f800000
	v_rcp_f32_e32 v2, v2
	s_waitcnt_depctr 0xfff
	v_mul_f32_e32 v2, 0x5f7ffffc, v2
	s_delay_alu instid0(VALU_DEP_1) | instskip(NEXT) | instid1(VALU_DEP_1)
	v_mul_f32_e32 v3, 0x2f800000, v2
	v_trunc_f32_e32 v3, v3
	s_delay_alu instid0(VALU_DEP_1) | instskip(SKIP_1) | instid1(VALU_DEP_2)
	v_fmac_f32_e32 v2, 0xcf800000, v3
	v_cvt_u32_f32_e32 v3, v3
	v_cvt_u32_f32_e32 v2, v2
	s_delay_alu instid0(VALU_DEP_2) | instskip(NEXT) | instid1(VALU_DEP_2)
	v_readfirstlane_b32 s4, v3
	v_readfirstlane_b32 s23, v2
	s_delay_alu instid0(VALU_DEP_2) | instskip(NEXT) | instid1(VALU_DEP_1)
	s_mul_i32 s64, s52, s4
	s_mul_hi_u32 s66, s52, s23
	s_mul_i32 s65, s54, s23
	s_add_i32 s64, s66, s64
	s_mul_i32 s67, s52, s23
	s_add_i32 s64, s64, s65
	s_mul_hi_u32 s66, s23, s67
	s_mul_hi_u32 s68, s4, s67
	s_mul_i32 s65, s4, s67
	s_mul_hi_u32 s67, s23, s64
	s_mul_i32 s23, s23, s64
	s_mul_hi_u32 s69, s4, s64
	s_add_u32 s23, s66, s23
	s_addc_u32 s66, 0, s67
	s_add_u32 s23, s23, s65
	s_mul_i32 s64, s4, s64
	s_addc_u32 s23, s66, s68
	s_addc_u32 s65, s69, 0
	s_add_u32 s23, s23, s64
	s_addc_u32 s64, 0, s65
	v_add_co_u32 v2, s23, v2, s23
	s_delay_alu instid0(VALU_DEP_1) | instskip(SKIP_1) | instid1(VALU_DEP_1)
	s_cmp_lg_u32 s23, 0
	s_addc_u32 s4, s4, s64
	v_readfirstlane_b32 s23, v2
	s_mul_i32 s64, s52, s4
	s_delay_alu instid0(VALU_DEP_1)
	s_mul_hi_u32 s65, s52, s23
	s_mul_i32 s54, s54, s23
	s_add_i32 s64, s65, s64
	s_mul_i32 s52, s52, s23
	s_add_i32 s64, s64, s54
	s_mul_hi_u32 s65, s4, s52
	s_mul_i32 s66, s4, s52
	s_mul_hi_u32 s52, s23, s52
	s_mul_hi_u32 s67, s23, s64
	s_mul_i32 s23, s23, s64
	s_mul_hi_u32 s54, s4, s64
	s_add_u32 s23, s52, s23
	s_addc_u32 s52, 0, s67
	s_add_u32 s23, s23, s66
	s_mul_i32 s64, s4, s64
	s_addc_u32 s23, s52, s65
	s_addc_u32 s52, s54, 0
	s_add_u32 s23, s23, s64
	s_addc_u32 s52, 0, s52
	v_add_co_u32 v2, s23, v2, s23
	s_delay_alu instid0(VALU_DEP_1) | instskip(SKIP_1) | instid1(VALU_DEP_1)
	s_cmp_lg_u32 s23, 0
	s_addc_u32 s4, s4, s52
	v_readfirstlane_b32 s23, v2
	s_mul_i32 s54, s18, s4
	s_mul_hi_u32 s52, s18, s4
	s_mul_hi_u32 s64, s5, s4
	s_mul_i32 s4, s5, s4
	s_mul_hi_u32 s65, s18, s23
	s_mul_hi_u32 s66, s5, s23
	s_mul_i32 s23, s5, s23
	s_add_u32 s54, s65, s54
	s_addc_u32 s52, 0, s52
	s_add_u32 s23, s54, s23
	s_addc_u32 s23, s52, s66
	s_addc_u32 s52, s64, 0
	s_add_u32 s4, s23, s4
	s_addc_u32 s23, 0, s52
	s_mul_hi_u32 s52, s33, s4
	s_mul_i32 s4, s33, s4
	s_mul_i32 s23, s33, s23
	v_sub_co_u32 v2, s4, s18, s4
	s_add_i32 s52, s52, s23
	s_cmp_lg_u32 s4, 0
	s_delay_alu instid0(VALU_DEP_1) | instskip(SKIP_2) | instid1(VALU_DEP_1)
	v_sub_co_u32 v3, s4, v2, s33
	s_subb_u32 s23, s5, s52
	s_cmp_lg_u32 s4, 0
	v_cmp_le_u32_e32 vcc_lo, s33, v3
	v_sub_co_u32 v4, s4, v3, s33
	s_subb_u32 s52, s23, 0
	s_cmp_lg_u32 s4, 0
	v_cndmask_b32_e64 v5, 0, -1, vcc_lo
	s_subb_u32 s4, s52, 0
	s_cmp_eq_u32 s52, 0
	v_mov_b32_e32 v7, s4
	s_cselect_b32 vcc_lo, -1, 0
	s_cmp_eq_u32 s23, 0
	v_cndmask_b32_e32 v5, -1, v5, vcc_lo
	v_cmp_le_u32_e32 vcc_lo, s33, v2
	s_cselect_b32 s4, -1, 0
	v_cndmask_b32_e64 v6, 0, -1, vcc_lo
	s_delay_alu instid0(VALU_DEP_3) | instskip(NEXT) | instid1(VALU_DEP_2)
	v_cmp_ne_u32_e32 vcc_lo, 0, v5
	v_cndmask_b32_e64 v5, -1, v6, s4
	v_cndmask_b32_e32 v6, s52, v7, vcc_lo
	v_cndmask_b32_e32 v4, v3, v4, vcc_lo
	s_delay_alu instid0(VALU_DEP_3) | instskip(NEXT) | instid1(VALU_DEP_3)
	v_cmp_ne_u32_e32 vcc_lo, 0, v5
	v_cndmask_b32_e32 v3, s23, v6, vcc_lo
	s_delay_alu instid0(VALU_DEP_3)
	v_cndmask_b32_e32 v2, v2, v4, vcc_lo
	s_cbranch_execnz .LBB143_262
.LBB143_261:                            ;   in Loop: Header=BB143_46 Depth=1
	v_cvt_f32_u32_e32 v2, s33
	s_sub_i32 s4, 0, s33
	s_delay_alu instid0(VALU_DEP_1) | instskip(SKIP_2) | instid1(VALU_DEP_1)
	v_rcp_iflag_f32_e32 v2, v2
	s_waitcnt_depctr 0xfff
	v_mul_f32_e32 v2, 0x4f7ffffe, v2
	v_cvt_u32_f32_e32 v2, v2
	s_delay_alu instid0(VALU_DEP_1) | instskip(NEXT) | instid1(VALU_DEP_1)
	v_mul_lo_u32 v3, s4, v2
	v_mul_hi_u32 v3, v2, v3
	s_delay_alu instid0(VALU_DEP_1) | instskip(NEXT) | instid1(VALU_DEP_1)
	v_add_nc_u32_e32 v2, v2, v3
	v_mul_hi_u32 v2, s18, v2
	s_delay_alu instid0(VALU_DEP_1) | instskip(NEXT) | instid1(VALU_DEP_1)
	v_mul_lo_u32 v2, v2, s33
	v_sub_nc_u32_e32 v2, s18, v2
	s_delay_alu instid0(VALU_DEP_1) | instskip(SKIP_1) | instid1(VALU_DEP_2)
	v_subrev_nc_u32_e32 v3, s33, v2
	v_cmp_le_u32_e32 vcc_lo, s33, v2
	v_cndmask_b32_e32 v2, v2, v3, vcc_lo
	s_delay_alu instid0(VALU_DEP_1) | instskip(SKIP_1) | instid1(VALU_DEP_2)
	v_subrev_nc_u32_e32 v3, s33, v2
	v_cmp_le_u32_e32 vcc_lo, s33, v2
	v_cndmask_b32_e32 v14, v2, v3, vcc_lo
	s_delay_alu instid0(VALU_DEP_1)
	v_dual_mov_b32 v2, v14 :: v_dual_mov_b32 v3, v15
.LBB143_262:                            ;   in Loop: Header=BB143_46 Depth=1
	s_delay_alu instid0(VALU_DEP_1) | instskip(NEXT) | instid1(VALU_DEP_2)
	v_sub_co_u32 v2, vcc_lo, s18, v2
	v_sub_co_ci_u32_e32 v3, vcc_lo, s5, v3, vcc_lo
	s_mov_b32 s23, 0
	s_mov_b32 s5, exec_lo
                                        ; implicit-def: $vgpr46
	s_delay_alu instid0(VALU_DEP_1)
	v_cmpx_gt_u64_e64 v[2:3], v[0:1]
	s_cbranch_execz .LBB143_275
; %bb.263:                              ;   in Loop: Header=BB143_46 Depth=1
	v_dual_mov_b32 v6, v39 :: v_dual_mov_b32 v5, v1
	v_mov_b32_e32 v4, v0
	s_mov_b32 s18, 0
                                        ; implicit-def: $sgpr23
	s_branch .LBB143_265
.LBB143_264:                            ;   in Loop: Header=BB143_265 Depth=2
	s_or_b32 exec_lo, exec_lo, s4
	s_waitcnt lgkmcnt(0)
	s_barrier
	buffer_gl0_inv
	ds_load_b32 v7, v15 offset:3072
	v_add_co_u32 v4, vcc_lo, v4, s33
	v_add_co_ci_u32_e32 v5, vcc_lo, 0, v5, vcc_lo
	v_add_nc_u32_e32 v6, s86, v6
	s_waitcnt lgkmcnt(0)
	s_barrier
	s_delay_alu instid0(VALU_DEP_2) | instskip(SKIP_2) | instid1(VALU_DEP_1)
	v_cmp_ge_u64_e32 vcc_lo, v[4:5], v[2:3]
	buffer_gl0_inv
	v_and_b32_e32 v8, 0x7fff, v7
	v_cmp_ne_u16_e64 s4, 0, v8
	s_delay_alu instid0(VALU_DEP_1) | instskip(NEXT) | instid1(SALU_CYCLE_1)
	s_or_b32 s52, vcc_lo, s4
	s_and_b32 s52, exec_lo, s52
	s_delay_alu instid0(SALU_CYCLE_1) | instskip(SKIP_2) | instid1(SALU_CYCLE_1)
	s_or_b32 s18, s52, s18
	s_and_not1_b32 s23, s23, exec_lo
	s_and_b32 s4, s4, exec_lo
	s_or_b32 s23, s23, s4
	s_and_not1_b32 exec_lo, exec_lo, s18
	s_cbranch_execz .LBB143_274
.LBB143_265:                            ;   Parent Loop BB143_46 Depth=1
                                        ; =>  This Inner Loop Header: Depth=2
	s_delay_alu instid0(VALU_DEP_1)
	v_cmp_gt_u64_e32 vcc_lo, s[8:9], v[4:5]
	v_mov_b32_e32 v7, 0
	s_and_saveexec_b32 s4, vcc_lo
	s_cbranch_execz .LBB143_267
; %bb.266:                              ;   in Loop: Header=BB143_265 Depth=2
	ds_load_u16 v7, v6
.LBB143_267:                            ;   in Loop: Header=BB143_265 Depth=2
	s_or_b32 exec_lo, exec_lo, s4
	s_and_saveexec_b32 s4, vcc_lo
	s_cbranch_execz .LBB143_264
; %bb.268:                              ;   in Loop: Header=BB143_265 Depth=2
	s_waitcnt lgkmcnt(0)
	v_cmp_lt_i16_e32 vcc_lo, -1, v7
	v_and_b32_e32 v8, 0xffff, v7
	v_dual_cndmask_b32 v9, 0xffff, v45 :: v_dual_lshlrev_b32 v14, 16, v7
	s_delay_alu instid0(VALU_DEP_1) | instskip(NEXT) | instid1(VALU_DEP_2)
	v_cmp_o_f32_e32 vcc_lo, v14, v14
	v_xor_b32_e32 v8, v9, v8
	s_delay_alu instid0(VALU_DEP_1) | instskip(NEXT) | instid1(VALU_DEP_1)
	v_cndmask_b32_e32 v8, 0xffff, v8, vcc_lo
	v_and_b32_e32 v8, s98, v8
	s_delay_alu instid0(VALU_DEP_1)
	v_cmp_eq_u32_e32 vcc_lo, s97, v8
	s_and_b32 exec_lo, exec_lo, vcc_lo
	s_cbranch_execz .LBB143_264
; %bb.269:                              ;   in Loop: Header=BB143_265 Depth=2
	v_perm_b32 v7, v7, s87, 0x5040100
	ds_store_b32 v15, v7 offset:3072
	s_branch .LBB143_264
.LBB143_270:                            ;   in Loop: Header=BB143_46 Depth=1
                                        ; implicit-def: $sgpr8
                                        ; implicit-def: $sgpr18
                                        ; implicit-def: $sgpr9
	s_branch .LBB143_289
.LBB143_271:                            ;   in Loop: Header=BB143_46 Depth=1
                                        ; implicit-def: $vgpr2_vgpr3
	s_branch .LBB143_214
.LBB143_272:                            ;   in Loop: Header=BB143_46 Depth=1
                                        ; implicit-def: $vgpr2_vgpr3
	s_branch .LBB143_231
.LBB143_273:                            ;   in Loop: Header=BB143_46 Depth=1
	s_mov_b32 s8, -1
	s_mov_b32 s23, 0
                                        ; implicit-def: $sgpr9
                                        ; implicit-def: $vgpr46
	s_mov_b32 s18, s8
	s_cbranch_execnz .LBB143_276
	s_branch .LBB143_289
.LBB143_274:                            ;   in Loop: Header=BB143_46 Depth=1
	s_or_b32 exec_lo, exec_lo, s18
	v_lshrrev_b32_e32 v46, 16, v7
	s_and_b32 s23, s23, exec_lo
.LBB143_275:                            ;   in Loop: Header=BB143_46 Depth=1
	s_or_b32 exec_lo, exec_lo, s5
	s_mov_b32 s9, -1
	s_mov_b32 s8, 0
	s_delay_alu instid0(SALU_CYCLE_1)
	s_mov_b32 s18, s8
	s_branch .LBB143_289
.LBB143_276:                            ;   in Loop: Header=BB143_46 Depth=1
	s_mov_b32 s54, s53
	s_delay_alu instid0(SALU_CYCLE_1)
	s_cmp_lg_u64 s[54:55], 0
	s_cbranch_scc0 .LBB143_310
; %bb.277:                              ;   in Loop: Header=BB143_46 Depth=1
	v_cvt_f32_u32_e32 v2, s33
	s_sub_u32 s8, 0, s33
	s_subb_u32 s9, 0, 0
	s_delay_alu instid0(VALU_DEP_1) | instskip(NEXT) | instid1(VALU_DEP_1)
	v_fmac_f32_e64 v2, 0, 0x4f800000
	v_rcp_f32_e32 v2, v2
	s_waitcnt_depctr 0xfff
	v_mul_f32_e32 v2, 0x5f7ffffc, v2
	s_delay_alu instid0(VALU_DEP_1) | instskip(NEXT) | instid1(VALU_DEP_1)
	v_mul_f32_e32 v3, 0x2f800000, v2
	v_trunc_f32_e32 v3, v3
	s_delay_alu instid0(VALU_DEP_1) | instskip(SKIP_1) | instid1(VALU_DEP_2)
	v_fmac_f32_e32 v2, 0xcf800000, v3
	v_cvt_u32_f32_e32 v3, v3
	v_cvt_u32_f32_e32 v2, v2
	s_delay_alu instid0(VALU_DEP_2) | instskip(NEXT) | instid1(VALU_DEP_2)
	v_readfirstlane_b32 s4, v3
	v_readfirstlane_b32 s5, v2
	s_delay_alu instid0(VALU_DEP_2) | instskip(NEXT) | instid1(VALU_DEP_1)
	s_mul_i32 s18, s8, s4
	s_mul_hi_u32 s52, s8, s5
	s_mul_i32 s23, s9, s5
	s_add_i32 s18, s52, s18
	s_mul_i32 s54, s8, s5
	s_add_i32 s18, s18, s23
	s_mul_hi_u32 s52, s5, s54
	s_mul_hi_u32 s64, s4, s54
	s_mul_i32 s23, s4, s54
	s_mul_hi_u32 s54, s5, s18
	s_mul_i32 s5, s5, s18
	s_mul_hi_u32 s65, s4, s18
	s_add_u32 s5, s52, s5
	s_addc_u32 s52, 0, s54
	s_add_u32 s5, s5, s23
	s_mul_i32 s18, s4, s18
	s_addc_u32 s5, s52, s64
	s_addc_u32 s23, s65, 0
	s_add_u32 s5, s5, s18
	s_addc_u32 s18, 0, s23
	v_add_co_u32 v2, s5, v2, s5
	s_delay_alu instid0(VALU_DEP_1) | instskip(SKIP_1) | instid1(VALU_DEP_1)
	s_cmp_lg_u32 s5, 0
	s_addc_u32 s4, s4, s18
	v_readfirstlane_b32 s5, v2
	s_mul_i32 s18, s8, s4
	s_delay_alu instid0(VALU_DEP_1)
	s_mul_hi_u32 s23, s8, s5
	s_mul_i32 s9, s9, s5
	s_add_i32 s18, s23, s18
	s_mul_i32 s8, s8, s5
	s_add_i32 s18, s18, s9
	s_mul_hi_u32 s23, s4, s8
	s_mul_i32 s52, s4, s8
	s_mul_hi_u32 s8, s5, s8
	s_mul_hi_u32 s54, s5, s18
	s_mul_i32 s5, s5, s18
	s_mul_hi_u32 s9, s4, s18
	s_add_u32 s5, s8, s5
	s_addc_u32 s8, 0, s54
	s_add_u32 s5, s5, s52
	s_mul_i32 s18, s4, s18
	s_addc_u32 s5, s8, s23
	s_addc_u32 s8, s9, 0
	s_add_u32 s5, s5, s18
	s_addc_u32 s8, 0, s8
	v_add_co_u32 v2, s5, v2, s5
	s_delay_alu instid0(VALU_DEP_1) | instskip(SKIP_1) | instid1(VALU_DEP_1)
	s_cmp_lg_u32 s5, 0
	s_addc_u32 s4, s4, s8
	v_readfirstlane_b32 s5, v2
	s_mul_i32 s9, s80, s4
	s_mul_hi_u32 s8, s80, s4
	s_mul_hi_u32 s18, s55, s4
	s_mul_i32 s4, s55, s4
	s_mul_hi_u32 s23, s80, s5
	s_mul_hi_u32 s52, s55, s5
	s_mul_i32 s5, s55, s5
	s_add_u32 s9, s23, s9
	s_addc_u32 s8, 0, s8
	s_add_u32 s5, s9, s5
	s_addc_u32 s5, s8, s52
	s_addc_u32 s8, s18, 0
	s_add_u32 s4, s5, s4
	s_addc_u32 s5, 0, s8
	s_mul_hi_u32 s8, s33, s4
	s_mul_i32 s4, s33, s4
	s_mul_i32 s5, s33, s5
	v_sub_co_u32 v2, s4, s80, s4
	s_add_i32 s8, s8, s5
	s_cmp_lg_u32 s4, 0
	s_delay_alu instid0(VALU_DEP_1) | instskip(SKIP_2) | instid1(VALU_DEP_1)
	v_sub_co_u32 v3, s4, v2, s33
	s_subb_u32 s5, s55, s8
	s_cmp_lg_u32 s4, 0
	v_cmp_le_u32_e32 vcc_lo, s33, v3
	v_sub_co_u32 v4, s4, v3, s33
	s_subb_u32 s8, s5, 0
	s_cmp_lg_u32 s4, 0
	v_cndmask_b32_e64 v5, 0, -1, vcc_lo
	s_subb_u32 s4, s8, 0
	s_cmp_eq_u32 s8, 0
	v_mov_b32_e32 v7, s4
	s_cselect_b32 vcc_lo, -1, 0
	s_cmp_eq_u32 s5, 0
	v_cndmask_b32_e32 v5, -1, v5, vcc_lo
	v_cmp_le_u32_e32 vcc_lo, s33, v2
	s_cselect_b32 s4, -1, 0
	v_cndmask_b32_e64 v6, 0, -1, vcc_lo
	s_delay_alu instid0(VALU_DEP_3) | instskip(NEXT) | instid1(VALU_DEP_2)
	v_cmp_ne_u32_e32 vcc_lo, 0, v5
	v_cndmask_b32_e64 v5, -1, v6, s4
	v_cndmask_b32_e32 v6, s8, v7, vcc_lo
	v_cndmask_b32_e32 v4, v3, v4, vcc_lo
	s_delay_alu instid0(VALU_DEP_3) | instskip(NEXT) | instid1(VALU_DEP_3)
	v_cmp_ne_u32_e32 vcc_lo, 0, v5
	v_cndmask_b32_e32 v3, s5, v6, vcc_lo
	s_delay_alu instid0(VALU_DEP_3)
	v_cndmask_b32_e32 v2, v2, v4, vcc_lo
	s_cbranch_execnz .LBB143_279
.LBB143_278:                            ;   in Loop: Header=BB143_46 Depth=1
	v_cvt_f32_u32_e32 v2, s33
	s_sub_i32 s4, 0, s33
	s_delay_alu instid0(VALU_DEP_1) | instskip(SKIP_2) | instid1(VALU_DEP_1)
	v_rcp_iflag_f32_e32 v2, v2
	s_waitcnt_depctr 0xfff
	v_mul_f32_e32 v2, 0x4f7ffffe, v2
	v_cvt_u32_f32_e32 v2, v2
	s_delay_alu instid0(VALU_DEP_1) | instskip(NEXT) | instid1(VALU_DEP_1)
	v_mul_lo_u32 v3, s4, v2
	v_mul_hi_u32 v3, v2, v3
	s_delay_alu instid0(VALU_DEP_1) | instskip(NEXT) | instid1(VALU_DEP_1)
	v_add_nc_u32_e32 v2, v2, v3
	v_mul_hi_u32 v2, s80, v2
	s_delay_alu instid0(VALU_DEP_1) | instskip(NEXT) | instid1(VALU_DEP_1)
	v_mul_lo_u32 v2, v2, s33
	v_sub_nc_u32_e32 v2, s80, v2
	s_delay_alu instid0(VALU_DEP_1) | instskip(SKIP_1) | instid1(VALU_DEP_2)
	v_subrev_nc_u32_e32 v3, s33, v2
	v_cmp_le_u32_e32 vcc_lo, s33, v2
	v_cndmask_b32_e32 v2, v2, v3, vcc_lo
	s_delay_alu instid0(VALU_DEP_1) | instskip(SKIP_1) | instid1(VALU_DEP_2)
	v_subrev_nc_u32_e32 v3, s33, v2
	v_cmp_le_u32_e32 vcc_lo, s33, v2
	v_cndmask_b32_e32 v14, v2, v3, vcc_lo
	s_delay_alu instid0(VALU_DEP_1)
	v_dual_mov_b32 v2, v14 :: v_dual_mov_b32 v3, v15
.LBB143_279:                            ;   in Loop: Header=BB143_46 Depth=1
	s_delay_alu instid0(VALU_DEP_1) | instskip(NEXT) | instid1(VALU_DEP_2)
	v_sub_co_u32 v2, vcc_lo, s80, v2
	v_sub_co_ci_u32_e32 v3, vcc_lo, s55, v3, vcc_lo
	s_mov_b32 s23, 0
	s_mov_b32 s5, exec_lo
                                        ; implicit-def: $vgpr46
	s_delay_alu instid0(VALU_DEP_1)
	v_cmpx_gt_u64_e64 v[2:3], v[0:1]
	s_cbranch_execz .LBB143_288
; %bb.280:                              ;   in Loop: Header=BB143_46 Depth=1
	v_dual_mov_b32 v4, v10 :: v_dual_mov_b32 v5, v11
	v_dual_mov_b32 v7, v1 :: v_dual_mov_b32 v6, v0
	s_mov_b32 s8, 0
                                        ; implicit-def: $sgpr9
	s_branch .LBB143_282
.LBB143_281:                            ;   in Loop: Header=BB143_282 Depth=2
	s_or_b32 exec_lo, exec_lo, s4
	s_waitcnt vmcnt(0) lgkmcnt(0)
	s_barrier
	buffer_gl0_inv
	ds_load_b32 v8, v15 offset:3072
	v_add_co_u32 v6, vcc_lo, v6, s33
	v_add_co_ci_u32_e32 v7, vcc_lo, 0, v7, vcc_lo
	s_waitcnt lgkmcnt(0)
	s_barrier
	buffer_gl0_inv
	v_cmp_ge_u64_e32 vcc_lo, v[6:7], v[2:3]
	v_and_b32_e32 v9, 0x7fff, v8
	s_delay_alu instid0(VALU_DEP_1) | instskip(NEXT) | instid1(VALU_DEP_1)
	v_cmp_ne_u16_e64 s4, 0, v9
	s_or_b32 s18, vcc_lo, s4
	v_add_co_u32 v4, vcc_lo, v4, s46
	s_and_b32 s18, exec_lo, s18
	v_add_co_ci_u32_e32 v5, vcc_lo, s47, v5, vcc_lo
	s_or_b32 s8, s18, s8
	s_and_not1_b32 s9, s9, exec_lo
	s_and_b32 s4, s4, exec_lo
	s_delay_alu instid0(SALU_CYCLE_1)
	s_or_b32 s9, s9, s4
	s_and_not1_b32 exec_lo, exec_lo, s8
	s_cbranch_execz .LBB143_287
.LBB143_282:                            ;   Parent Loop BB143_46 Depth=1
                                        ; =>  This Inner Loop Header: Depth=2
	s_delay_alu instid0(VALU_DEP_1)
	v_cmp_gt_u64_e32 vcc_lo, s[24:25], v[6:7]
	v_mov_b32_e32 v8, 0
	s_and_saveexec_b32 s4, vcc_lo
	s_cbranch_execz .LBB143_284
; %bb.283:                              ;   in Loop: Header=BB143_282 Depth=2
	global_load_u16 v8, v[4:5], off
.LBB143_284:                            ;   in Loop: Header=BB143_282 Depth=2
	s_or_b32 exec_lo, exec_lo, s4
	s_and_saveexec_b32 s4, vcc_lo
	s_cbranch_execz .LBB143_281
; %bb.285:                              ;   in Loop: Header=BB143_282 Depth=2
	s_waitcnt vmcnt(0)
	v_cmp_lt_i16_e32 vcc_lo, -1, v8
	v_dual_cndmask_b32 v14, 0xffff, v45 :: v_dual_and_b32 v9, 0xffff, v8
	s_delay_alu instid0(VALU_DEP_1) | instskip(SKIP_1) | instid1(VALU_DEP_1)
	v_xor_b32_e32 v9, v14, v9
	v_lshlrev_b32_e32 v26, 16, v8
	v_cmp_o_f32_e32 vcc_lo, v26, v26
	s_delay_alu instid0(VALU_DEP_3) | instskip(NEXT) | instid1(VALU_DEP_1)
	v_cndmask_b32_e32 v9, 0xffff, v9, vcc_lo
	v_and_b32_e32 v9, s98, v9
	s_delay_alu instid0(VALU_DEP_1)
	v_cmp_eq_u32_e32 vcc_lo, s97, v9
	s_and_b32 exec_lo, exec_lo, vcc_lo
	s_cbranch_execz .LBB143_281
; %bb.286:                              ;   in Loop: Header=BB143_282 Depth=2
	v_perm_b32 v8, v8, s87, 0x5040100
	ds_store_b32 v15, v8 offset:3072
	s_branch .LBB143_281
.LBB143_287:                            ;   in Loop: Header=BB143_46 Depth=1
	s_or_b32 exec_lo, exec_lo, s8
	v_lshrrev_b32_e32 v46, 16, v8
	s_and_b32 s23, s9, exec_lo
.LBB143_288:                            ;   in Loop: Header=BB143_46 Depth=1
	s_or_b32 exec_lo, exec_lo, s5
	s_mov_b32 s18, -1
	s_mov_b32 s8, 0
	s_mov_b32 s9, 0
.LBB143_289:                            ;   in Loop: Header=BB143_46 Depth=1
	s_mov_b32 s64, 0
                                        ; implicit-def: $sgpr52
                                        ; implicit-def: $sgpr4_sgpr5
	s_and_saveexec_b32 s54, s23
	s_cbranch_execz .LBB143_302
; %bb.290:                              ;   in Loop: Header=BB143_46 Depth=1
	s_xor_b32 s17, s17, -1
	s_mov_b64 s[4:5], 1
	s_and_not1_b32 vcc_lo, exec_lo, s17
	s_mov_b32 s52, 1
	s_cbranch_vccnz .LBB143_301
; %bb.291:                              ;   in Loop: Header=BB143_46 Depth=1
	v_cmp_gt_u64_e64 s4, s[50:51], s[6:7]
	s_delay_alu instid0(VALU_DEP_1)
	s_and_b32 vcc_lo, exec_lo, s4
	s_cbranch_vccnz .LBB143_297
; %bb.292:                              ;   in Loop: Header=BB143_46 Depth=1
	ds_load_b64 v[2:3], v15 offset:5120
	s_waitcnt lgkmcnt(0)
	v_cmp_ne_u64_e32 vcc_lo, 0, v[2:3]
	s_cbranch_vccnz .LBB143_296
; %bb.293:                              ;   in Loop: Header=BB143_46 Depth=1
	s_and_saveexec_b32 s4, s3
	s_cbranch_execz .LBB143_295
; %bb.294:                              ;   in Loop: Header=BB143_46 Depth=1
	v_dual_mov_b32 v2, s6 :: v_dual_mov_b32 v3, s7
	ds_store_b64 v15, v[2:3] offset:5128
.LBB143_295:                            ;   in Loop: Header=BB143_46 Depth=1
	s_or_b32 exec_lo, exec_lo, s4
	s_waitcnt lgkmcnt(0)
	s_barrier
	buffer_gl0_inv
.LBB143_296:                            ;   in Loop: Header=BB143_46 Depth=1
	s_or_b32 s17, s97, s16
	s_or_b32 s16, s98, s16
	s_mov_b32 s4, 0
	s_mov_b32 s52, 8
	s_branch .LBB143_298
.LBB143_297:                            ;   in Loop: Header=BB143_46 Depth=1
	s_mov_b32 s4, -1
                                        ; implicit-def: $sgpr52
                                        ; implicit-def: $sgpr17
                                        ; implicit-def: $sgpr16
.LBB143_298:                            ;   in Loop: Header=BB143_46 Depth=1
	s_delay_alu instid0(SALU_CYCLE_1)
	s_and_not1_b32 vcc_lo, exec_lo, s4
	s_cbranch_vccnz .LBB143_300
; %bb.299:                              ;   in Loop: Header=BB143_46 Depth=1
	s_sub_u32 s50, s50, s6
	s_subb_u32 s51, s51, s7
	s_mov_b32 s52, 8
	s_mov_b32 s17, s97
	;; [unrolled: 1-line block ×3, first 2 shown]
.LBB143_300:                            ;   in Loop: Header=BB143_46 Depth=1
	s_mov_b64 s[4:5], s[50:51]
	s_mov_b32 s97, s17
	s_mov_b32 s98, s16
.LBB143_301:                            ;   in Loop: Header=BB143_46 Depth=1
	s_mov_b32 s64, exec_lo
.LBB143_302:                            ;   in Loop: Header=BB143_46 Depth=1
	s_or_b32 exec_lo, exec_lo, s54
	s_mov_b64 s[50:51], s[4:5]
.LBB143_303:                            ;   in Loop: Header=BB143_46 Depth=1
	s_and_not1_b32 s4, s10, exec_lo
	s_and_b32 s5, s8, exec_lo
	s_and_not1_b32 s6, s11, exec_lo
	s_or_b32 s10, s4, s5
	s_and_not1_b32 s4, s21, exec_lo
	s_and_b32 s5, s18, exec_lo
	s_and_b32 s7, s9, exec_lo
	s_or_b32 s21, s4, s5
	s_or_b32 s11, s6, s7
	s_and_b32 s5, s64, exec_lo
.LBB143_304:                            ;   in Loop: Header=BB143_46 Depth=1
	s_or_b32 exec_lo, exec_lo, s22
.LBB143_305:                            ;   in Loop: Header=BB143_46 Depth=1
	s_delay_alu instid0(SALU_CYCLE_1)
	s_and_not1_b32 s4, s13, exec_lo
	s_and_b32 s6, s10, exec_lo
	s_and_not1_b32 s7, s12, exec_lo
	s_or_b32 s13, s4, s6
	s_and_not1_b32 s4, s19, exec_lo
	s_and_b32 s6, s21, exec_lo
	s_and_b32 s8, s11, exec_lo
	s_or_b32 s19, s4, s6
	s_or_b32 s12, s7, s8
	s_and_b32 s5, s5, exec_lo
.LBB143_306:                            ;   in Loop: Header=BB143_46 Depth=1
	s_or_b32 exec_lo, exec_lo, s20
	s_and_saveexec_b32 s4, s5
	s_delay_alu instid0(SALU_CYCLE_1)
	s_xor_b32 s4, exec_lo, s4
	s_cbranch_execz .LBB143_44
.LBB143_307:                            ;   in Loop: Header=BB143_46 Depth=1
	s_and_b32 s5, s52, -9
	s_delay_alu instid0(SALU_CYCLE_1)
	s_cmp_eq_u32 s5, 0
	s_cbranch_scc1 .LBB143_42
; %bb.308:                              ;   in Loop: Header=BB143_46 Depth=1
	s_mov_b32 s5, -1
	s_mov_b32 s6, -1
                                        ; implicit-def: $sgpr98
                                        ; implicit-def: $sgpr50_sgpr51
                                        ; implicit-def: $sgpr92
                                        ; implicit-def: $sgpr95
	s_branch .LBB143_43
.LBB143_309:                            ;   in Loop: Header=BB143_46 Depth=1
                                        ; implicit-def: $vgpr2_vgpr3
	s_branch .LBB143_261
.LBB143_310:                            ;   in Loop: Header=BB143_46 Depth=1
                                        ; implicit-def: $vgpr2_vgpr3
	s_branch .LBB143_278
.LBB143_311:
	s_or_b32 exec_lo, exec_lo, s88
	s_xor_b32 s3, s91, -1
	s_xor_b32 s1, s89, -1
	;; [unrolled: 1-line block ×3, first 2 shown]
	s_mov_b32 s0, 0
	s_and_saveexec_b32 s5, s1
	s_delay_alu instid0(SALU_CYCLE_1)
	s_xor_b32 s1, exec_lo, s5
	s_cbranch_execz .LBB143_325
; %bb.312:
	s_and_saveexec_b32 s0, s3
	s_delay_alu instid0(SALU_CYCLE_1)
	s_xor_b32 s3, exec_lo, s0
	s_cbranch_execz .LBB143_323
; %bb.313:
	s_and_saveexec_b32 s0, s4
	s_delay_alu instid0(SALU_CYCLE_1)
	s_xor_b32 s0, exec_lo, s0
; %bb.314:
	v_and_b32_e32 v3, 0x8000, v2
	v_mov_b32_e32 v4, 0xffff
	s_delay_alu instid0(VALU_DEP_2) | instskip(NEXT) | instid1(VALU_DEP_2)
	v_cmp_eq_u32_e32 vcc_lo, 0, v3
	v_cndmask_b32_e32 v3, 0x8000, v4, vcc_lo
	s_delay_alu instid0(VALU_DEP_1)
	v_xor_b32_e32 v46, v3, v2
; %bb.315:
	s_or_b32 exec_lo, exec_lo, s0
	s_mul_i32 s0, s36, s35
	s_mul_hi_u32 s4, s36, s34
	s_mul_i32 s5, s37, s34
	s_add_i32 s0, s4, s0
	s_mul_i32 s4, s36, s34
	s_add_i32 s5, s0, s5
	v_mov_b32_e32 v2, 0
	s_lshl_b64 s[4:5], s[4:5], 1
	s_delay_alu instid0(SALU_CYCLE_1) | instskip(SKIP_2) | instid1(SALU_CYCLE_1)
	s_add_u32 s0, s44, s4
	s_addc_u32 s6, s45, s5
	s_lshl_b64 s[4:5], s[26:27], 1
	s_add_u32 s4, s0, s4
	s_addc_u32 s5, s6, s5
	global_store_b16 v2, v46, s[4:5]
	s_and_saveexec_b32 s4, s2
	s_cbranch_execz .LBB143_322
; %bb.316:
	v_lshlrev_b32_e32 v4, 16, v46
	s_mov_b32 s2, 0
                                        ; implicit-def: $sgpr5
                                        ; implicit-def: $sgpr8
                                        ; implicit-def: $sgpr7
	s_delay_alu instid0(VALU_DEP_1)
	v_cmp_u_f32_e32 vcc_lo, v4, v4
	s_xor_b32 s6, vcc_lo, -1
	s_set_inst_prefetch_distance 0x1
	s_branch .LBB143_318
	.p2align	6
.LBB143_317:                            ;   in Loop: Header=BB143_318 Depth=1
	s_or_b32 exec_lo, exec_lo, s9
	s_delay_alu instid0(SALU_CYCLE_1) | instskip(NEXT) | instid1(SALU_CYCLE_1)
	s_and_b32 s0, exec_lo, s8
	s_or_b32 s2, s0, s2
	s_and_not1_b32 s0, s5, exec_lo
	s_and_b32 s5, s7, exec_lo
	s_delay_alu instid0(SALU_CYCLE_1)
	s_or_b32 s5, s0, s5
	s_and_not1_b32 exec_lo, exec_lo, s2
	s_cbranch_execz .LBB143_320
.LBB143_318:                            ; =>This Inner Loop Header: Depth=1
	global_load_u16 v2, v[10:11], off
	s_or_b32 s7, s7, exec_lo
	s_or_b32 s8, s8, exec_lo
	s_waitcnt vmcnt(0)
	v_lshlrev_b32_e32 v2, 16, v2
	s_delay_alu instid0(VALU_DEP_1)
	v_cmp_o_f32_e32 vcc_lo, v2, v2
	v_cmp_neq_f32_e64 s0, v2, v4
	v_dual_mov_b32 v3, v1 :: v_dual_mov_b32 v2, v0
                                        ; implicit-def: $vgpr0_vgpr1
	s_or_b32 s9, s6, vcc_lo
	s_delay_alu instid0(VALU_DEP_2) | instid1(SALU_CYCLE_1)
	s_and_b32 s0, s0, s9
	s_delay_alu instid0(SALU_CYCLE_1)
	s_and_saveexec_b32 s9, s0
	s_cbranch_execz .LBB143_317
; %bb.319:                              ;   in Loop: Header=BB143_318 Depth=1
	v_add_co_u32 v0, vcc_lo, v2, s33
	v_add_co_ci_u32_e32 v1, vcc_lo, 0, v3, vcc_lo
	v_add_co_u32 v10, s0, v10, s46
	s_delay_alu instid0(VALU_DEP_1) | instskip(NEXT) | instid1(VALU_DEP_3)
	v_add_co_ci_u32_e64 v11, s0, s47, v11, s0
	v_cmp_le_u64_e32 vcc_lo, s[24:25], v[0:1]
	s_and_not1_b32 s0, s8, exec_lo
	s_and_not1_b32 s7, s7, exec_lo
	s_and_b32 s8, vcc_lo, exec_lo
	s_delay_alu instid0(SALU_CYCLE_1)
	s_or_b32 s8, s0, s8
	s_branch .LBB143_317
.LBB143_320:
	s_set_inst_prefetch_distance 0x2
	s_or_b32 exec_lo, exec_lo, s2
	s_and_saveexec_b32 s0, s5
	s_delay_alu instid0(SALU_CYCLE_1)
	s_xor_b32 s0, exec_lo, s0
	s_cbranch_execz .LBB143_322
; %bb.321:
	s_mul_i32 s0, s40, s39
	s_mul_hi_u32 s2, s40, s38
	s_mul_i32 s6, s40, s38
	s_add_i32 s0, s2, s0
	s_mul_i32 s2, s41, s38
	v_mov_b32_e32 v0, 0
	s_add_i32 s7, s0, s2
	s_delay_alu instid0(SALU_CYCLE_1) | instskip(NEXT) | instid1(SALU_CYCLE_1)
	s_lshl_b64 s[6:7], s[6:7], 3
	s_add_u32 s0, s42, s6
	s_addc_u32 s2, s43, s7
	s_lshl_b64 s[6:7], s[30:31], 3
	s_delay_alu instid0(SALU_CYCLE_1)
	s_add_u32 s6, s0, s6
	s_addc_u32 s7, s2, s7
	global_store_b64 v0, v[2:3], s[6:7]
.LBB143_322:
	s_or_b32 exec_lo, exec_lo, s4
.LBB143_323:
	s_or_saveexec_b32 s0, s3
	s_mov_b32 s2, 0
	s_xor_b32 exec_lo, exec_lo, s0
	s_cbranch_execnz .LBB143_331
.LBB143_324:
	s_or_b32 exec_lo, exec_lo, s0
	s_delay_alu instid0(SALU_CYCLE_1)
	s_and_b32 s0, s2, exec_lo
.LBB143_325:
	s_and_not1_saveexec_b32 s1, s1
	s_cbranch_execnz .LBB143_329
; %bb.326:
	s_or_b32 exec_lo, exec_lo, s1
	s_and_saveexec_b32 s1, s0
.LBB143_327:
	; divergent unreachable
.LBB143_328:
	s_nop 0
	s_sendmsg sendmsg(MSG_DEALLOC_VGPRS)
	s_endpgm
.LBB143_329:
	s_cbranch_execnz .LBB143_333
; %bb.330:
	s_or_b32 s0, s0, exec_lo
	s_or_b32 exec_lo, exec_lo, s1
	s_and_saveexec_b32 s1, s0
	s_cbranch_execnz .LBB143_327
	s_branch .LBB143_328
.LBB143_331:
	s_cbranch_execnz .LBB143_335
; %bb.332:
	s_mov_b32 s2, exec_lo
	s_branch .LBB143_324
.LBB143_333:
	s_trap 2
	s_sendmsg_rtn_b32 s0, sendmsg(MSG_RTN_GET_DOORBELL)
	s_mov_b32 ttmp2, m0
	s_waitcnt lgkmcnt(0)
	s_and_b32 s0, s0, 0x3ff
	s_delay_alu instid0(SALU_CYCLE_1) | instskip(NEXT) | instid1(SALU_CYCLE_1)
	s_bitset1_b32 s0, 10
	s_mov_b32 m0, s0
	s_sendmsg sendmsg(MSG_INTERRUPT)
	s_mov_b32 m0, ttmp2
.LBB143_334:                            ; =>This Inner Loop Header: Depth=1
	s_sethalt 5
	s_branch .LBB143_334
.LBB143_335:
	s_trap 2
	s_sendmsg_rtn_b32 s0, sendmsg(MSG_RTN_GET_DOORBELL)
	s_mov_b32 ttmp2, m0
	s_waitcnt lgkmcnt(0)
	s_and_b32 s0, s0, 0x3ff
	s_delay_alu instid0(SALU_CYCLE_1) | instskip(NEXT) | instid1(SALU_CYCLE_1)
	s_bitset1_b32 s0, 10
	s_mov_b32 m0, s0
	s_sendmsg sendmsg(MSG_INTERRUPT)
	s_mov_b32 m0, ttmp2
.LBB143_336:                            ; =>This Inner Loop Header: Depth=1
	s_sethalt 5
	s_branch .LBB143_336
	.section	.rodata,"a",@progbits
	.p2align	6, 0x0
	.amdhsa_kernel _ZN2at6native12_GLOBAL__N_112gatherMedianIN3c108BFloat16EmLin1EEEvNS_4cuda6detail10TensorInfoIT_T0_EENS7_IlS9_EENS7_IKS8_S9_EES9_S9_S9_b
		.amdhsa_group_segment_fixed_size 5152
		.amdhsa_private_segment_fixed_size 0
		.amdhsa_kernarg_size 1536
		.amdhsa_user_sgpr_count 13
		.amdhsa_user_sgpr_dispatch_ptr 0
		.amdhsa_user_sgpr_queue_ptr 0
		.amdhsa_user_sgpr_kernarg_segment_ptr 1
		.amdhsa_user_sgpr_dispatch_id 0
		.amdhsa_user_sgpr_private_segment_size 0
		.amdhsa_wavefront_size32 1
		.amdhsa_uses_dynamic_stack 0
		.amdhsa_enable_private_segment 0
		.amdhsa_system_sgpr_workgroup_id_x 1
		.amdhsa_system_sgpr_workgroup_id_y 1
		.amdhsa_system_sgpr_workgroup_id_z 1
		.amdhsa_system_sgpr_workgroup_info 0
		.amdhsa_system_vgpr_workitem_id 0
		.amdhsa_next_free_vgpr 50
		.amdhsa_next_free_sgpr 103
		.amdhsa_reserve_vcc 1
		.amdhsa_float_round_mode_32 0
		.amdhsa_float_round_mode_16_64 0
		.amdhsa_float_denorm_mode_32 3
		.amdhsa_float_denorm_mode_16_64 3
		.amdhsa_dx10_clamp 1
		.amdhsa_ieee_mode 1
		.amdhsa_fp16_overflow 0
		.amdhsa_workgroup_processor_mode 1
		.amdhsa_memory_ordered 1
		.amdhsa_forward_progress 0
		.amdhsa_shared_vgpr_count 0
		.amdhsa_exception_fp_ieee_invalid_op 0
		.amdhsa_exception_fp_denorm_src 0
		.amdhsa_exception_fp_ieee_div_zero 0
		.amdhsa_exception_fp_ieee_overflow 0
		.amdhsa_exception_fp_ieee_underflow 0
		.amdhsa_exception_fp_ieee_inexact 0
		.amdhsa_exception_int_div_zero 0
	.end_amdhsa_kernel
	.section	.text._ZN2at6native12_GLOBAL__N_112gatherMedianIN3c108BFloat16EmLin1EEEvNS_4cuda6detail10TensorInfoIT_T0_EENS7_IlS9_EENS7_IKS8_S9_EES9_S9_S9_b,"axG",@progbits,_ZN2at6native12_GLOBAL__N_112gatherMedianIN3c108BFloat16EmLin1EEEvNS_4cuda6detail10TensorInfoIT_T0_EENS7_IlS9_EENS7_IKS8_S9_EES9_S9_S9_b,comdat
.Lfunc_end143:
	.size	_ZN2at6native12_GLOBAL__N_112gatherMedianIN3c108BFloat16EmLin1EEEvNS_4cuda6detail10TensorInfoIT_T0_EENS7_IlS9_EENS7_IKS8_S9_EES9_S9_S9_b, .Lfunc_end143-_ZN2at6native12_GLOBAL__N_112gatherMedianIN3c108BFloat16EmLin1EEEvNS_4cuda6detail10TensorInfoIT_T0_EENS7_IlS9_EENS7_IKS8_S9_EES9_S9_S9_b
                                        ; -- End function
	.section	.AMDGPU.csdata,"",@progbits
; Kernel info:
; codeLenInByte = 20556
; NumSgprs: 105
; NumVgprs: 50
; ScratchSize: 0
; MemoryBound: 0
; FloatMode: 240
; IeeeMode: 1
; LDSByteSize: 5152 bytes/workgroup (compile time only)
; SGPRBlocks: 13
; VGPRBlocks: 6
; NumSGPRsForWavesPerEU: 105
; NumVGPRsForWavesPerEU: 50
; Occupancy: 16
; WaveLimiterHint : 1
; COMPUTE_PGM_RSRC2:SCRATCH_EN: 0
; COMPUTE_PGM_RSRC2:USER_SGPR: 13
; COMPUTE_PGM_RSRC2:TRAP_HANDLER: 0
; COMPUTE_PGM_RSRC2:TGID_X_EN: 1
; COMPUTE_PGM_RSRC2:TGID_Y_EN: 1
; COMPUTE_PGM_RSRC2:TGID_Z_EN: 1
; COMPUTE_PGM_RSRC2:TIDIG_COMP_CNT: 0
	.text
	.p2alignl 7, 3214868480
	.fill 96, 4, 3214868480
	.type	__hip_cuid_679b415844e565dc,@object ; @__hip_cuid_679b415844e565dc
	.section	.bss,"aw",@nobits
	.globl	__hip_cuid_679b415844e565dc
__hip_cuid_679b415844e565dc:
	.byte	0                               ; 0x0
	.size	__hip_cuid_679b415844e565dc, 1

	.ident	"AMD clang version 19.0.0git (https://github.com/RadeonOpenCompute/llvm-project roc-6.4.0 25133 c7fe45cf4b819c5991fe208aaa96edf142730f1d)"
	.section	".note.GNU-stack","",@progbits
	.addrsig
	.addrsig_sym __hip_cuid_679b415844e565dc
	.amdgpu_metadata
---
amdhsa.kernels:
  - .args:
      - .offset:         0
        .size:           216
        .value_kind:     by_value
      - .offset:         216
        .size:           4
        .value_kind:     by_value
      - .offset:         220
        .size:           4
        .value_kind:     by_value
      - .offset:         224
        .size:           4
        .value_kind:     by_value
      - .offset:         228
        .size:           4
        .value_kind:     by_value
      - .offset:         232
        .size:           216
        .value_kind:     by_value
      - .offset:         448
        .size:           216
        .value_kind:     by_value
      - .offset:         664
        .size:           4
        .value_kind:     hidden_block_count_x
      - .offset:         668
        .size:           4
        .value_kind:     hidden_block_count_y
      - .offset:         672
        .size:           4
        .value_kind:     hidden_block_count_z
      - .offset:         676
        .size:           2
        .value_kind:     hidden_group_size_x
      - .offset:         678
        .size:           2
        .value_kind:     hidden_group_size_y
      - .offset:         680
        .size:           2
        .value_kind:     hidden_group_size_z
      - .offset:         682
        .size:           2
        .value_kind:     hidden_remainder_x
      - .offset:         684
        .size:           2
        .value_kind:     hidden_remainder_y
      - .offset:         686
        .size:           2
        .value_kind:     hidden_remainder_z
      - .offset:         704
        .size:           8
        .value_kind:     hidden_global_offset_x
      - .offset:         712
        .size:           8
        .value_kind:     hidden_global_offset_y
      - .offset:         720
        .size:           8
        .value_kind:     hidden_global_offset_z
      - .offset:         728
        .size:           2
        .value_kind:     hidden_grid_dims
    .group_segment_fixed_size: 4112
    .kernarg_segment_align: 8
    .kernarg_segment_size: 920
    .language:       OpenCL C
    .language_version:
      - 2
      - 0
    .max_flat_workgroup_size: 1024
    .name:           _ZN2at6native12_GLOBAL__N_114gatherKthValueIhiLi1EEEvNS_4cuda6detail10TensorInfoIKT_T0_EES8_S8_S8_S8_NS5_IS6_S8_EENS5_IlS8_EE
    .private_segment_fixed_size: 0
    .sgpr_count:     82
    .sgpr_spill_count: 0
    .symbol:         _ZN2at6native12_GLOBAL__N_114gatherKthValueIhiLi1EEEvNS_4cuda6detail10TensorInfoIKT_T0_EES8_S8_S8_S8_NS5_IS6_S8_EENS5_IlS8_EE.kd
    .uniform_work_group_size: 1
    .uses_dynamic_stack: false
    .vgpr_count:     36
    .vgpr_spill_count: 0
    .wavefront_size: 32
    .workgroup_processor_mode: 1
  - .args:
      - .offset:         0
        .size:           216
        .value_kind:     by_value
      - .offset:         216
        .size:           4
        .value_kind:     by_value
      - .offset:         220
        .size:           4
        .value_kind:     by_value
      - .offset:         224
        .size:           4
        .value_kind:     by_value
      - .offset:         228
        .size:           4
        .value_kind:     by_value
      - .offset:         232
        .size:           216
        .value_kind:     by_value
      - .offset:         448
        .size:           216
        .value_kind:     by_value
      - .offset:         664
        .size:           4
        .value_kind:     hidden_block_count_x
      - .offset:         668
        .size:           4
        .value_kind:     hidden_block_count_y
      - .offset:         672
        .size:           4
        .value_kind:     hidden_block_count_z
      - .offset:         676
        .size:           2
        .value_kind:     hidden_group_size_x
      - .offset:         678
        .size:           2
        .value_kind:     hidden_group_size_y
      - .offset:         680
        .size:           2
        .value_kind:     hidden_group_size_z
      - .offset:         682
        .size:           2
        .value_kind:     hidden_remainder_x
      - .offset:         684
        .size:           2
        .value_kind:     hidden_remainder_y
      - .offset:         686
        .size:           2
        .value_kind:     hidden_remainder_z
      - .offset:         704
        .size:           8
        .value_kind:     hidden_global_offset_x
      - .offset:         712
        .size:           8
        .value_kind:     hidden_global_offset_y
      - .offset:         720
        .size:           8
        .value_kind:     hidden_global_offset_z
      - .offset:         728
        .size:           2
        .value_kind:     hidden_grid_dims
    .group_segment_fixed_size: 4112
    .kernarg_segment_align: 8
    .kernarg_segment_size: 920
    .language:       OpenCL C
    .language_version:
      - 2
      - 0
    .max_flat_workgroup_size: 1024
    .name:           _ZN2at6native12_GLOBAL__N_114gatherKthValueIhiLi2EEEvNS_4cuda6detail10TensorInfoIKT_T0_EES8_S8_S8_S8_NS5_IS6_S8_EENS5_IlS8_EE
    .private_segment_fixed_size: 0
    .sgpr_count:     94
    .sgpr_spill_count: 0
    .symbol:         _ZN2at6native12_GLOBAL__N_114gatherKthValueIhiLi2EEEvNS_4cuda6detail10TensorInfoIKT_T0_EES8_S8_S8_S8_NS5_IS6_S8_EENS5_IlS8_EE.kd
    .uniform_work_group_size: 1
    .uses_dynamic_stack: false
    .vgpr_count:     36
    .vgpr_spill_count: 0
    .wavefront_size: 32
    .workgroup_processor_mode: 1
  - .args:
      - .offset:         0
        .size:           216
        .value_kind:     by_value
      - .offset:         216
        .size:           4
        .value_kind:     by_value
      - .offset:         220
        .size:           4
        .value_kind:     by_value
      - .offset:         224
        .size:           4
        .value_kind:     by_value
      - .offset:         228
        .size:           4
        .value_kind:     by_value
      - .offset:         232
        .size:           216
        .value_kind:     by_value
      - .offset:         448
        .size:           216
        .value_kind:     by_value
      - .offset:         664
        .size:           4
        .value_kind:     hidden_block_count_x
      - .offset:         668
        .size:           4
        .value_kind:     hidden_block_count_y
      - .offset:         672
        .size:           4
        .value_kind:     hidden_block_count_z
      - .offset:         676
        .size:           2
        .value_kind:     hidden_group_size_x
      - .offset:         678
        .size:           2
        .value_kind:     hidden_group_size_y
      - .offset:         680
        .size:           2
        .value_kind:     hidden_group_size_z
      - .offset:         682
        .size:           2
        .value_kind:     hidden_remainder_x
      - .offset:         684
        .size:           2
        .value_kind:     hidden_remainder_y
      - .offset:         686
        .size:           2
        .value_kind:     hidden_remainder_z
      - .offset:         704
        .size:           8
        .value_kind:     hidden_global_offset_x
      - .offset:         712
        .size:           8
        .value_kind:     hidden_global_offset_y
      - .offset:         720
        .size:           8
        .value_kind:     hidden_global_offset_z
      - .offset:         728
        .size:           2
        .value_kind:     hidden_grid_dims
    .group_segment_fixed_size: 4112
    .kernarg_segment_align: 8
    .kernarg_segment_size: 920
    .language:       OpenCL C
    .language_version:
      - 2
      - 0
    .max_flat_workgroup_size: 1024
    .name:           _ZN2at6native12_GLOBAL__N_114gatherKthValueIhiLi3EEEvNS_4cuda6detail10TensorInfoIKT_T0_EES8_S8_S8_S8_NS5_IS6_S8_EENS5_IlS8_EE
    .private_segment_fixed_size: 0
    .sgpr_count:     102
    .sgpr_spill_count: 0
    .symbol:         _ZN2at6native12_GLOBAL__N_114gatherKthValueIhiLi3EEEvNS_4cuda6detail10TensorInfoIKT_T0_EES8_S8_S8_S8_NS5_IS6_S8_EENS5_IlS8_EE.kd
    .uniform_work_group_size: 1
    .uses_dynamic_stack: false
    .vgpr_count:     36
    .vgpr_spill_count: 0
    .wavefront_size: 32
    .workgroup_processor_mode: 1
  - .args:
      - .offset:         0
        .size:           216
        .value_kind:     by_value
      - .offset:         216
        .size:           4
        .value_kind:     by_value
      - .offset:         220
        .size:           4
        .value_kind:     by_value
      - .offset:         224
        .size:           4
        .value_kind:     by_value
      - .offset:         228
        .size:           4
        .value_kind:     by_value
      - .offset:         232
        .size:           216
        .value_kind:     by_value
      - .offset:         448
        .size:           216
        .value_kind:     by_value
      - .offset:         664
        .size:           4
        .value_kind:     hidden_block_count_x
      - .offset:         668
        .size:           4
        .value_kind:     hidden_block_count_y
      - .offset:         672
        .size:           4
        .value_kind:     hidden_block_count_z
      - .offset:         676
        .size:           2
        .value_kind:     hidden_group_size_x
      - .offset:         678
        .size:           2
        .value_kind:     hidden_group_size_y
      - .offset:         680
        .size:           2
        .value_kind:     hidden_group_size_z
      - .offset:         682
        .size:           2
        .value_kind:     hidden_remainder_x
      - .offset:         684
        .size:           2
        .value_kind:     hidden_remainder_y
      - .offset:         686
        .size:           2
        .value_kind:     hidden_remainder_z
      - .offset:         704
        .size:           8
        .value_kind:     hidden_global_offset_x
      - .offset:         712
        .size:           8
        .value_kind:     hidden_global_offset_y
      - .offset:         720
        .size:           8
        .value_kind:     hidden_global_offset_z
      - .offset:         728
        .size:           2
        .value_kind:     hidden_grid_dims
    .group_segment_fixed_size: 4112
    .kernarg_segment_align: 8
    .kernarg_segment_size: 920
    .language:       OpenCL C
    .language_version:
      - 2
      - 0
    .max_flat_workgroup_size: 1024
    .name:           _ZN2at6native12_GLOBAL__N_114gatherKthValueIhiLin1EEEvNS_4cuda6detail10TensorInfoIKT_T0_EES8_S8_S8_S8_NS5_IS6_S8_EENS5_IlS8_EE
    .private_segment_fixed_size: 0
    .sgpr_count:     85
    .sgpr_spill_count: 0
    .symbol:         _ZN2at6native12_GLOBAL__N_114gatherKthValueIhiLin1EEEvNS_4cuda6detail10TensorInfoIKT_T0_EES8_S8_S8_S8_NS5_IS6_S8_EENS5_IlS8_EE.kd
    .uniform_work_group_size: 1
    .uses_dynamic_stack: false
    .vgpr_count:     36
    .vgpr_spill_count: 0
    .wavefront_size: 32
    .workgroup_processor_mode: 1
  - .args:
      - .offset:         0
        .size:           416
        .value_kind:     by_value
      - .offset:         416
        .size:           8
        .value_kind:     by_value
      - .offset:         424
        .size:           8
        .value_kind:     by_value
      - .offset:         432
        .size:           8
        .value_kind:     by_value
      - .offset:         440
        .size:           8
        .value_kind:     by_value
      - .offset:         448
        .size:           416
        .value_kind:     by_value
      - .offset:         864
        .size:           416
        .value_kind:     by_value
      - .offset:         1280
        .size:           4
        .value_kind:     hidden_block_count_x
      - .offset:         1284
        .size:           4
        .value_kind:     hidden_block_count_y
      - .offset:         1288
        .size:           4
        .value_kind:     hidden_block_count_z
      - .offset:         1292
        .size:           2
        .value_kind:     hidden_group_size_x
      - .offset:         1294
        .size:           2
        .value_kind:     hidden_group_size_y
      - .offset:         1296
        .size:           2
        .value_kind:     hidden_group_size_z
      - .offset:         1298
        .size:           2
        .value_kind:     hidden_remainder_x
      - .offset:         1300
        .size:           2
        .value_kind:     hidden_remainder_y
      - .offset:         1302
        .size:           2
        .value_kind:     hidden_remainder_z
      - .offset:         1320
        .size:           8
        .value_kind:     hidden_global_offset_x
      - .offset:         1328
        .size:           8
        .value_kind:     hidden_global_offset_y
      - .offset:         1336
        .size:           8
        .value_kind:     hidden_global_offset_z
      - .offset:         1344
        .size:           2
        .value_kind:     hidden_grid_dims
    .group_segment_fixed_size: 5144
    .kernarg_segment_align: 8
    .kernarg_segment_size: 1536
    .language:       OpenCL C
    .language_version:
      - 2
      - 0
    .max_flat_workgroup_size: 1024
    .name:           _ZN2at6native12_GLOBAL__N_114gatherKthValueIhlLi1EEEvNS_4cuda6detail10TensorInfoIKT_T0_EES8_S8_S8_S8_NS5_IS6_S8_EENS5_IlS8_EE
    .private_segment_fixed_size: 0
    .sgpr_count:     92
    .sgpr_spill_count: 0
    .symbol:         _ZN2at6native12_GLOBAL__N_114gatherKthValueIhlLi1EEEvNS_4cuda6detail10TensorInfoIKT_T0_EES8_S8_S8_S8_NS5_IS6_S8_EENS5_IlS8_EE.kd
    .uniform_work_group_size: 1
    .uses_dynamic_stack: false
    .vgpr_count:     42
    .vgpr_spill_count: 0
    .wavefront_size: 32
    .workgroup_processor_mode: 1
  - .args:
      - .offset:         0
        .size:           416
        .value_kind:     by_value
      - .offset:         416
        .size:           8
        .value_kind:     by_value
      - .offset:         424
        .size:           8
        .value_kind:     by_value
      - .offset:         432
        .size:           8
        .value_kind:     by_value
      - .offset:         440
        .size:           8
        .value_kind:     by_value
      - .offset:         448
        .size:           416
        .value_kind:     by_value
      - .offset:         864
        .size:           416
        .value_kind:     by_value
      - .offset:         1280
        .size:           4
        .value_kind:     hidden_block_count_x
      - .offset:         1284
        .size:           4
        .value_kind:     hidden_block_count_y
      - .offset:         1288
        .size:           4
        .value_kind:     hidden_block_count_z
      - .offset:         1292
        .size:           2
        .value_kind:     hidden_group_size_x
      - .offset:         1294
        .size:           2
        .value_kind:     hidden_group_size_y
      - .offset:         1296
        .size:           2
        .value_kind:     hidden_group_size_z
      - .offset:         1298
        .size:           2
        .value_kind:     hidden_remainder_x
      - .offset:         1300
        .size:           2
        .value_kind:     hidden_remainder_y
      - .offset:         1302
        .size:           2
        .value_kind:     hidden_remainder_z
      - .offset:         1320
        .size:           8
        .value_kind:     hidden_global_offset_x
      - .offset:         1328
        .size:           8
        .value_kind:     hidden_global_offset_y
      - .offset:         1336
        .size:           8
        .value_kind:     hidden_global_offset_z
      - .offset:         1344
        .size:           2
        .value_kind:     hidden_grid_dims
    .group_segment_fixed_size: 5144
    .kernarg_segment_align: 8
    .kernarg_segment_size: 1536
    .language:       OpenCL C
    .language_version:
      - 2
      - 0
    .max_flat_workgroup_size: 1024
    .name:           _ZN2at6native12_GLOBAL__N_114gatherKthValueIhlLi2EEEvNS_4cuda6detail10TensorInfoIKT_T0_EES8_S8_S8_S8_NS5_IS6_S8_EENS5_IlS8_EE
    .private_segment_fixed_size: 0
    .sgpr_count:     100
    .sgpr_spill_count: 0
    .symbol:         _ZN2at6native12_GLOBAL__N_114gatherKthValueIhlLi2EEEvNS_4cuda6detail10TensorInfoIKT_T0_EES8_S8_S8_S8_NS5_IS6_S8_EENS5_IlS8_EE.kd
    .uniform_work_group_size: 1
    .uses_dynamic_stack: false
    .vgpr_count:     42
    .vgpr_spill_count: 0
    .wavefront_size: 32
    .workgroup_processor_mode: 1
  - .args:
      - .offset:         0
        .size:           416
        .value_kind:     by_value
      - .offset:         416
        .size:           8
        .value_kind:     by_value
      - .offset:         424
        .size:           8
        .value_kind:     by_value
      - .offset:         432
        .size:           8
        .value_kind:     by_value
      - .offset:         440
        .size:           8
        .value_kind:     by_value
      - .offset:         448
        .size:           416
        .value_kind:     by_value
      - .offset:         864
        .size:           416
        .value_kind:     by_value
      - .offset:         1280
        .size:           4
        .value_kind:     hidden_block_count_x
      - .offset:         1284
        .size:           4
        .value_kind:     hidden_block_count_y
      - .offset:         1288
        .size:           4
        .value_kind:     hidden_block_count_z
      - .offset:         1292
        .size:           2
        .value_kind:     hidden_group_size_x
      - .offset:         1294
        .size:           2
        .value_kind:     hidden_group_size_y
      - .offset:         1296
        .size:           2
        .value_kind:     hidden_group_size_z
      - .offset:         1298
        .size:           2
        .value_kind:     hidden_remainder_x
      - .offset:         1300
        .size:           2
        .value_kind:     hidden_remainder_y
      - .offset:         1302
        .size:           2
        .value_kind:     hidden_remainder_z
      - .offset:         1320
        .size:           8
        .value_kind:     hidden_global_offset_x
      - .offset:         1328
        .size:           8
        .value_kind:     hidden_global_offset_y
      - .offset:         1336
        .size:           8
        .value_kind:     hidden_global_offset_z
      - .offset:         1344
        .size:           2
        .value_kind:     hidden_grid_dims
    .group_segment_fixed_size: 5144
    .kernarg_segment_align: 8
    .kernarg_segment_size: 1536
    .language:       OpenCL C
    .language_version:
      - 2
      - 0
    .max_flat_workgroup_size: 1024
    .name:           _ZN2at6native12_GLOBAL__N_114gatherKthValueIhlLi3EEEvNS_4cuda6detail10TensorInfoIKT_T0_EES8_S8_S8_S8_NS5_IS6_S8_EENS5_IlS8_EE
    .private_segment_fixed_size: 0
    .sgpr_count:     107
    .sgpr_spill_count: 6
    .symbol:         _ZN2at6native12_GLOBAL__N_114gatherKthValueIhlLi3EEEvNS_4cuda6detail10TensorInfoIKT_T0_EES8_S8_S8_S8_NS5_IS6_S8_EENS5_IlS8_EE.kd
    .uniform_work_group_size: 1
    .uses_dynamic_stack: false
    .vgpr_count:     45
    .vgpr_spill_count: 0
    .wavefront_size: 32
    .workgroup_processor_mode: 1
  - .args:
      - .offset:         0
        .size:           416
        .value_kind:     by_value
      - .offset:         416
        .size:           8
        .value_kind:     by_value
      - .offset:         424
        .size:           8
        .value_kind:     by_value
      - .offset:         432
        .size:           8
        .value_kind:     by_value
      - .offset:         440
        .size:           8
        .value_kind:     by_value
      - .offset:         448
        .size:           416
        .value_kind:     by_value
      - .offset:         864
        .size:           416
        .value_kind:     by_value
      - .offset:         1280
        .size:           4
        .value_kind:     hidden_block_count_x
      - .offset:         1284
        .size:           4
        .value_kind:     hidden_block_count_y
      - .offset:         1288
        .size:           4
        .value_kind:     hidden_block_count_z
      - .offset:         1292
        .size:           2
        .value_kind:     hidden_group_size_x
      - .offset:         1294
        .size:           2
        .value_kind:     hidden_group_size_y
      - .offset:         1296
        .size:           2
        .value_kind:     hidden_group_size_z
      - .offset:         1298
        .size:           2
        .value_kind:     hidden_remainder_x
      - .offset:         1300
        .size:           2
        .value_kind:     hidden_remainder_y
      - .offset:         1302
        .size:           2
        .value_kind:     hidden_remainder_z
      - .offset:         1320
        .size:           8
        .value_kind:     hidden_global_offset_x
      - .offset:         1328
        .size:           8
        .value_kind:     hidden_global_offset_y
      - .offset:         1336
        .size:           8
        .value_kind:     hidden_global_offset_z
      - .offset:         1344
        .size:           2
        .value_kind:     hidden_grid_dims
    .group_segment_fixed_size: 5144
    .kernarg_segment_align: 8
    .kernarg_segment_size: 1536
    .language:       OpenCL C
    .language_version:
      - 2
      - 0
    .max_flat_workgroup_size: 1024
    .name:           _ZN2at6native12_GLOBAL__N_114gatherKthValueIhlLin1EEEvNS_4cuda6detail10TensorInfoIKT_T0_EES8_S8_S8_S8_NS5_IS6_S8_EENS5_IlS8_EE
    .private_segment_fixed_size: 0
    .sgpr_count:     97
    .sgpr_spill_count: 0
    .symbol:         _ZN2at6native12_GLOBAL__N_114gatherKthValueIhlLin1EEEvNS_4cuda6detail10TensorInfoIKT_T0_EES8_S8_S8_S8_NS5_IS6_S8_EENS5_IlS8_EE.kd
    .uniform_work_group_size: 1
    .uses_dynamic_stack: false
    .vgpr_count:     44
    .vgpr_spill_count: 0
    .wavefront_size: 32
    .workgroup_processor_mode: 1
  - .args:
      - .offset:         0
        .size:           216
        .value_kind:     by_value
      - .offset:         216
        .size:           4
        .value_kind:     by_value
      - .offset:         220
        .size:           4
        .value_kind:     by_value
      - .offset:         224
        .size:           4
        .value_kind:     by_value
      - .offset:         228
        .size:           4
        .value_kind:     by_value
      - .offset:         232
        .size:           216
        .value_kind:     by_value
      - .offset:         448
        .size:           216
        .value_kind:     by_value
      - .offset:         664
        .size:           4
        .value_kind:     hidden_block_count_x
      - .offset:         668
        .size:           4
        .value_kind:     hidden_block_count_y
      - .offset:         672
        .size:           4
        .value_kind:     hidden_block_count_z
      - .offset:         676
        .size:           2
        .value_kind:     hidden_group_size_x
      - .offset:         678
        .size:           2
        .value_kind:     hidden_group_size_y
      - .offset:         680
        .size:           2
        .value_kind:     hidden_group_size_z
      - .offset:         682
        .size:           2
        .value_kind:     hidden_remainder_x
      - .offset:         684
        .size:           2
        .value_kind:     hidden_remainder_y
      - .offset:         686
        .size:           2
        .value_kind:     hidden_remainder_z
      - .offset:         704
        .size:           8
        .value_kind:     hidden_global_offset_x
      - .offset:         712
        .size:           8
        .value_kind:     hidden_global_offset_y
      - .offset:         720
        .size:           8
        .value_kind:     hidden_global_offset_z
      - .offset:         728
        .size:           2
        .value_kind:     hidden_grid_dims
    .group_segment_fixed_size: 4112
    .kernarg_segment_align: 8
    .kernarg_segment_size: 920
    .language:       OpenCL C
    .language_version:
      - 2
      - 0
    .max_flat_workgroup_size: 1024
    .name:           _ZN2at6native12_GLOBAL__N_114gatherKthValueIaiLi1EEEvNS_4cuda6detail10TensorInfoIKT_T0_EES8_S8_S8_S8_NS5_IS6_S8_EENS5_IlS8_EE
    .private_segment_fixed_size: 0
    .sgpr_count:     82
    .sgpr_spill_count: 0
    .symbol:         _ZN2at6native12_GLOBAL__N_114gatherKthValueIaiLi1EEEvNS_4cuda6detail10TensorInfoIKT_T0_EES8_S8_S8_S8_NS5_IS6_S8_EENS5_IlS8_EE.kd
    .uniform_work_group_size: 1
    .uses_dynamic_stack: false
    .vgpr_count:     36
    .vgpr_spill_count: 0
    .wavefront_size: 32
    .workgroup_processor_mode: 1
  - .args:
      - .offset:         0
        .size:           216
        .value_kind:     by_value
      - .offset:         216
        .size:           4
        .value_kind:     by_value
      - .offset:         220
        .size:           4
        .value_kind:     by_value
      - .offset:         224
        .size:           4
        .value_kind:     by_value
      - .offset:         228
        .size:           4
        .value_kind:     by_value
      - .offset:         232
        .size:           216
        .value_kind:     by_value
      - .offset:         448
        .size:           216
        .value_kind:     by_value
      - .offset:         664
        .size:           4
        .value_kind:     hidden_block_count_x
      - .offset:         668
        .size:           4
        .value_kind:     hidden_block_count_y
      - .offset:         672
        .size:           4
        .value_kind:     hidden_block_count_z
      - .offset:         676
        .size:           2
        .value_kind:     hidden_group_size_x
      - .offset:         678
        .size:           2
        .value_kind:     hidden_group_size_y
      - .offset:         680
        .size:           2
        .value_kind:     hidden_group_size_z
      - .offset:         682
        .size:           2
        .value_kind:     hidden_remainder_x
      - .offset:         684
        .size:           2
        .value_kind:     hidden_remainder_y
      - .offset:         686
        .size:           2
        .value_kind:     hidden_remainder_z
      - .offset:         704
        .size:           8
        .value_kind:     hidden_global_offset_x
      - .offset:         712
        .size:           8
        .value_kind:     hidden_global_offset_y
      - .offset:         720
        .size:           8
        .value_kind:     hidden_global_offset_z
      - .offset:         728
        .size:           2
        .value_kind:     hidden_grid_dims
    .group_segment_fixed_size: 4112
    .kernarg_segment_align: 8
    .kernarg_segment_size: 920
    .language:       OpenCL C
    .language_version:
      - 2
      - 0
    .max_flat_workgroup_size: 1024
    .name:           _ZN2at6native12_GLOBAL__N_114gatherKthValueIaiLi2EEEvNS_4cuda6detail10TensorInfoIKT_T0_EES8_S8_S8_S8_NS5_IS6_S8_EENS5_IlS8_EE
    .private_segment_fixed_size: 0
    .sgpr_count:     94
    .sgpr_spill_count: 0
    .symbol:         _ZN2at6native12_GLOBAL__N_114gatherKthValueIaiLi2EEEvNS_4cuda6detail10TensorInfoIKT_T0_EES8_S8_S8_S8_NS5_IS6_S8_EENS5_IlS8_EE.kd
    .uniform_work_group_size: 1
    .uses_dynamic_stack: false
    .vgpr_count:     36
    .vgpr_spill_count: 0
    .wavefront_size: 32
    .workgroup_processor_mode: 1
  - .args:
      - .offset:         0
        .size:           216
        .value_kind:     by_value
      - .offset:         216
        .size:           4
        .value_kind:     by_value
      - .offset:         220
        .size:           4
        .value_kind:     by_value
      - .offset:         224
        .size:           4
        .value_kind:     by_value
      - .offset:         228
        .size:           4
        .value_kind:     by_value
      - .offset:         232
        .size:           216
        .value_kind:     by_value
      - .offset:         448
        .size:           216
        .value_kind:     by_value
      - .offset:         664
        .size:           4
        .value_kind:     hidden_block_count_x
      - .offset:         668
        .size:           4
        .value_kind:     hidden_block_count_y
      - .offset:         672
        .size:           4
        .value_kind:     hidden_block_count_z
      - .offset:         676
        .size:           2
        .value_kind:     hidden_group_size_x
      - .offset:         678
        .size:           2
        .value_kind:     hidden_group_size_y
      - .offset:         680
        .size:           2
        .value_kind:     hidden_group_size_z
      - .offset:         682
        .size:           2
        .value_kind:     hidden_remainder_x
      - .offset:         684
        .size:           2
        .value_kind:     hidden_remainder_y
      - .offset:         686
        .size:           2
        .value_kind:     hidden_remainder_z
      - .offset:         704
        .size:           8
        .value_kind:     hidden_global_offset_x
      - .offset:         712
        .size:           8
        .value_kind:     hidden_global_offset_y
      - .offset:         720
        .size:           8
        .value_kind:     hidden_global_offset_z
      - .offset:         728
        .size:           2
        .value_kind:     hidden_grid_dims
    .group_segment_fixed_size: 4112
    .kernarg_segment_align: 8
    .kernarg_segment_size: 920
    .language:       OpenCL C
    .language_version:
      - 2
      - 0
    .max_flat_workgroup_size: 1024
    .name:           _ZN2at6native12_GLOBAL__N_114gatherKthValueIaiLi3EEEvNS_4cuda6detail10TensorInfoIKT_T0_EES8_S8_S8_S8_NS5_IS6_S8_EENS5_IlS8_EE
    .private_segment_fixed_size: 0
    .sgpr_count:     102
    .sgpr_spill_count: 0
    .symbol:         _ZN2at6native12_GLOBAL__N_114gatherKthValueIaiLi3EEEvNS_4cuda6detail10TensorInfoIKT_T0_EES8_S8_S8_S8_NS5_IS6_S8_EENS5_IlS8_EE.kd
    .uniform_work_group_size: 1
    .uses_dynamic_stack: false
    .vgpr_count:     36
    .vgpr_spill_count: 0
    .wavefront_size: 32
    .workgroup_processor_mode: 1
  - .args:
      - .offset:         0
        .size:           216
        .value_kind:     by_value
      - .offset:         216
        .size:           4
        .value_kind:     by_value
      - .offset:         220
        .size:           4
        .value_kind:     by_value
      - .offset:         224
        .size:           4
        .value_kind:     by_value
      - .offset:         228
        .size:           4
        .value_kind:     by_value
      - .offset:         232
        .size:           216
        .value_kind:     by_value
      - .offset:         448
        .size:           216
        .value_kind:     by_value
      - .offset:         664
        .size:           4
        .value_kind:     hidden_block_count_x
      - .offset:         668
        .size:           4
        .value_kind:     hidden_block_count_y
      - .offset:         672
        .size:           4
        .value_kind:     hidden_block_count_z
      - .offset:         676
        .size:           2
        .value_kind:     hidden_group_size_x
      - .offset:         678
        .size:           2
        .value_kind:     hidden_group_size_y
      - .offset:         680
        .size:           2
        .value_kind:     hidden_group_size_z
      - .offset:         682
        .size:           2
        .value_kind:     hidden_remainder_x
      - .offset:         684
        .size:           2
        .value_kind:     hidden_remainder_y
      - .offset:         686
        .size:           2
        .value_kind:     hidden_remainder_z
      - .offset:         704
        .size:           8
        .value_kind:     hidden_global_offset_x
      - .offset:         712
        .size:           8
        .value_kind:     hidden_global_offset_y
      - .offset:         720
        .size:           8
        .value_kind:     hidden_global_offset_z
      - .offset:         728
        .size:           2
        .value_kind:     hidden_grid_dims
    .group_segment_fixed_size: 4112
    .kernarg_segment_align: 8
    .kernarg_segment_size: 920
    .language:       OpenCL C
    .language_version:
      - 2
      - 0
    .max_flat_workgroup_size: 1024
    .name:           _ZN2at6native12_GLOBAL__N_114gatherKthValueIaiLin1EEEvNS_4cuda6detail10TensorInfoIKT_T0_EES8_S8_S8_S8_NS5_IS6_S8_EENS5_IlS8_EE
    .private_segment_fixed_size: 0
    .sgpr_count:     85
    .sgpr_spill_count: 0
    .symbol:         _ZN2at6native12_GLOBAL__N_114gatherKthValueIaiLin1EEEvNS_4cuda6detail10TensorInfoIKT_T0_EES8_S8_S8_S8_NS5_IS6_S8_EENS5_IlS8_EE.kd
    .uniform_work_group_size: 1
    .uses_dynamic_stack: false
    .vgpr_count:     36
    .vgpr_spill_count: 0
    .wavefront_size: 32
    .workgroup_processor_mode: 1
  - .args:
      - .offset:         0
        .size:           416
        .value_kind:     by_value
      - .offset:         416
        .size:           8
        .value_kind:     by_value
      - .offset:         424
        .size:           8
        .value_kind:     by_value
      - .offset:         432
        .size:           8
        .value_kind:     by_value
      - .offset:         440
        .size:           8
        .value_kind:     by_value
      - .offset:         448
        .size:           416
        .value_kind:     by_value
      - .offset:         864
        .size:           416
        .value_kind:     by_value
      - .offset:         1280
        .size:           4
        .value_kind:     hidden_block_count_x
      - .offset:         1284
        .size:           4
        .value_kind:     hidden_block_count_y
      - .offset:         1288
        .size:           4
        .value_kind:     hidden_block_count_z
      - .offset:         1292
        .size:           2
        .value_kind:     hidden_group_size_x
      - .offset:         1294
        .size:           2
        .value_kind:     hidden_group_size_y
      - .offset:         1296
        .size:           2
        .value_kind:     hidden_group_size_z
      - .offset:         1298
        .size:           2
        .value_kind:     hidden_remainder_x
      - .offset:         1300
        .size:           2
        .value_kind:     hidden_remainder_y
      - .offset:         1302
        .size:           2
        .value_kind:     hidden_remainder_z
      - .offset:         1320
        .size:           8
        .value_kind:     hidden_global_offset_x
      - .offset:         1328
        .size:           8
        .value_kind:     hidden_global_offset_y
      - .offset:         1336
        .size:           8
        .value_kind:     hidden_global_offset_z
      - .offset:         1344
        .size:           2
        .value_kind:     hidden_grid_dims
    .group_segment_fixed_size: 5144
    .kernarg_segment_align: 8
    .kernarg_segment_size: 1536
    .language:       OpenCL C
    .language_version:
      - 2
      - 0
    .max_flat_workgroup_size: 1024
    .name:           _ZN2at6native12_GLOBAL__N_114gatherKthValueIalLi1EEEvNS_4cuda6detail10TensorInfoIKT_T0_EES8_S8_S8_S8_NS5_IS6_S8_EENS5_IlS8_EE
    .private_segment_fixed_size: 0
    .sgpr_count:     92
    .sgpr_spill_count: 0
    .symbol:         _ZN2at6native12_GLOBAL__N_114gatherKthValueIalLi1EEEvNS_4cuda6detail10TensorInfoIKT_T0_EES8_S8_S8_S8_NS5_IS6_S8_EENS5_IlS8_EE.kd
    .uniform_work_group_size: 1
    .uses_dynamic_stack: false
    .vgpr_count:     42
    .vgpr_spill_count: 0
    .wavefront_size: 32
    .workgroup_processor_mode: 1
  - .args:
      - .offset:         0
        .size:           416
        .value_kind:     by_value
      - .offset:         416
        .size:           8
        .value_kind:     by_value
      - .offset:         424
        .size:           8
        .value_kind:     by_value
      - .offset:         432
        .size:           8
        .value_kind:     by_value
      - .offset:         440
        .size:           8
        .value_kind:     by_value
      - .offset:         448
        .size:           416
        .value_kind:     by_value
      - .offset:         864
        .size:           416
        .value_kind:     by_value
      - .offset:         1280
        .size:           4
        .value_kind:     hidden_block_count_x
      - .offset:         1284
        .size:           4
        .value_kind:     hidden_block_count_y
      - .offset:         1288
        .size:           4
        .value_kind:     hidden_block_count_z
      - .offset:         1292
        .size:           2
        .value_kind:     hidden_group_size_x
      - .offset:         1294
        .size:           2
        .value_kind:     hidden_group_size_y
      - .offset:         1296
        .size:           2
        .value_kind:     hidden_group_size_z
      - .offset:         1298
        .size:           2
        .value_kind:     hidden_remainder_x
      - .offset:         1300
        .size:           2
        .value_kind:     hidden_remainder_y
      - .offset:         1302
        .size:           2
        .value_kind:     hidden_remainder_z
      - .offset:         1320
        .size:           8
        .value_kind:     hidden_global_offset_x
      - .offset:         1328
        .size:           8
        .value_kind:     hidden_global_offset_y
      - .offset:         1336
        .size:           8
        .value_kind:     hidden_global_offset_z
      - .offset:         1344
        .size:           2
        .value_kind:     hidden_grid_dims
    .group_segment_fixed_size: 5144
    .kernarg_segment_align: 8
    .kernarg_segment_size: 1536
    .language:       OpenCL C
    .language_version:
      - 2
      - 0
    .max_flat_workgroup_size: 1024
    .name:           _ZN2at6native12_GLOBAL__N_114gatherKthValueIalLi2EEEvNS_4cuda6detail10TensorInfoIKT_T0_EES8_S8_S8_S8_NS5_IS6_S8_EENS5_IlS8_EE
    .private_segment_fixed_size: 0
    .sgpr_count:     100
    .sgpr_spill_count: 0
    .symbol:         _ZN2at6native12_GLOBAL__N_114gatherKthValueIalLi2EEEvNS_4cuda6detail10TensorInfoIKT_T0_EES8_S8_S8_S8_NS5_IS6_S8_EENS5_IlS8_EE.kd
    .uniform_work_group_size: 1
    .uses_dynamic_stack: false
    .vgpr_count:     43
    .vgpr_spill_count: 0
    .wavefront_size: 32
    .workgroup_processor_mode: 1
  - .args:
      - .offset:         0
        .size:           416
        .value_kind:     by_value
      - .offset:         416
        .size:           8
        .value_kind:     by_value
      - .offset:         424
        .size:           8
        .value_kind:     by_value
      - .offset:         432
        .size:           8
        .value_kind:     by_value
      - .offset:         440
        .size:           8
        .value_kind:     by_value
      - .offset:         448
        .size:           416
        .value_kind:     by_value
      - .offset:         864
        .size:           416
        .value_kind:     by_value
      - .offset:         1280
        .size:           4
        .value_kind:     hidden_block_count_x
      - .offset:         1284
        .size:           4
        .value_kind:     hidden_block_count_y
      - .offset:         1288
        .size:           4
        .value_kind:     hidden_block_count_z
      - .offset:         1292
        .size:           2
        .value_kind:     hidden_group_size_x
      - .offset:         1294
        .size:           2
        .value_kind:     hidden_group_size_y
      - .offset:         1296
        .size:           2
        .value_kind:     hidden_group_size_z
      - .offset:         1298
        .size:           2
        .value_kind:     hidden_remainder_x
      - .offset:         1300
        .size:           2
        .value_kind:     hidden_remainder_y
      - .offset:         1302
        .size:           2
        .value_kind:     hidden_remainder_z
      - .offset:         1320
        .size:           8
        .value_kind:     hidden_global_offset_x
      - .offset:         1328
        .size:           8
        .value_kind:     hidden_global_offset_y
      - .offset:         1336
        .size:           8
        .value_kind:     hidden_global_offset_z
      - .offset:         1344
        .size:           2
        .value_kind:     hidden_grid_dims
    .group_segment_fixed_size: 5144
    .kernarg_segment_align: 8
    .kernarg_segment_size: 1536
    .language:       OpenCL C
    .language_version:
      - 2
      - 0
    .max_flat_workgroup_size: 1024
    .name:           _ZN2at6native12_GLOBAL__N_114gatherKthValueIalLi3EEEvNS_4cuda6detail10TensorInfoIKT_T0_EES8_S8_S8_S8_NS5_IS6_S8_EENS5_IlS8_EE
    .private_segment_fixed_size: 0
    .sgpr_count:     107
    .sgpr_spill_count: 6
    .symbol:         _ZN2at6native12_GLOBAL__N_114gatherKthValueIalLi3EEEvNS_4cuda6detail10TensorInfoIKT_T0_EES8_S8_S8_S8_NS5_IS6_S8_EENS5_IlS8_EE.kd
    .uniform_work_group_size: 1
    .uses_dynamic_stack: false
    .vgpr_count:     46
    .vgpr_spill_count: 0
    .wavefront_size: 32
    .workgroup_processor_mode: 1
  - .args:
      - .offset:         0
        .size:           416
        .value_kind:     by_value
      - .offset:         416
        .size:           8
        .value_kind:     by_value
      - .offset:         424
        .size:           8
        .value_kind:     by_value
      - .offset:         432
        .size:           8
        .value_kind:     by_value
      - .offset:         440
        .size:           8
        .value_kind:     by_value
      - .offset:         448
        .size:           416
        .value_kind:     by_value
      - .offset:         864
        .size:           416
        .value_kind:     by_value
      - .offset:         1280
        .size:           4
        .value_kind:     hidden_block_count_x
      - .offset:         1284
        .size:           4
        .value_kind:     hidden_block_count_y
      - .offset:         1288
        .size:           4
        .value_kind:     hidden_block_count_z
      - .offset:         1292
        .size:           2
        .value_kind:     hidden_group_size_x
      - .offset:         1294
        .size:           2
        .value_kind:     hidden_group_size_y
      - .offset:         1296
        .size:           2
        .value_kind:     hidden_group_size_z
      - .offset:         1298
        .size:           2
        .value_kind:     hidden_remainder_x
      - .offset:         1300
        .size:           2
        .value_kind:     hidden_remainder_y
      - .offset:         1302
        .size:           2
        .value_kind:     hidden_remainder_z
      - .offset:         1320
        .size:           8
        .value_kind:     hidden_global_offset_x
      - .offset:         1328
        .size:           8
        .value_kind:     hidden_global_offset_y
      - .offset:         1336
        .size:           8
        .value_kind:     hidden_global_offset_z
      - .offset:         1344
        .size:           2
        .value_kind:     hidden_grid_dims
    .group_segment_fixed_size: 5144
    .kernarg_segment_align: 8
    .kernarg_segment_size: 1536
    .language:       OpenCL C
    .language_version:
      - 2
      - 0
    .max_flat_workgroup_size: 1024
    .name:           _ZN2at6native12_GLOBAL__N_114gatherKthValueIalLin1EEEvNS_4cuda6detail10TensorInfoIKT_T0_EES8_S8_S8_S8_NS5_IS6_S8_EENS5_IlS8_EE
    .private_segment_fixed_size: 0
    .sgpr_count:     97
    .sgpr_spill_count: 0
    .symbol:         _ZN2at6native12_GLOBAL__N_114gatherKthValueIalLin1EEEvNS_4cuda6detail10TensorInfoIKT_T0_EES8_S8_S8_S8_NS5_IS6_S8_EENS5_IlS8_EE.kd
    .uniform_work_group_size: 1
    .uses_dynamic_stack: false
    .vgpr_count:     45
    .vgpr_spill_count: 0
    .wavefront_size: 32
    .workgroup_processor_mode: 1
  - .args:
      - .offset:         0
        .size:           216
        .value_kind:     by_value
      - .offset:         216
        .size:           4
        .value_kind:     by_value
      - .offset:         220
        .size:           4
        .value_kind:     by_value
      - .offset:         224
        .size:           4
        .value_kind:     by_value
      - .offset:         228
        .size:           4
        .value_kind:     by_value
      - .offset:         232
        .size:           216
        .value_kind:     by_value
      - .offset:         448
        .size:           216
        .value_kind:     by_value
      - .offset:         664
        .size:           4
        .value_kind:     hidden_block_count_x
      - .offset:         668
        .size:           4
        .value_kind:     hidden_block_count_y
      - .offset:         672
        .size:           4
        .value_kind:     hidden_block_count_z
      - .offset:         676
        .size:           2
        .value_kind:     hidden_group_size_x
      - .offset:         678
        .size:           2
        .value_kind:     hidden_group_size_y
      - .offset:         680
        .size:           2
        .value_kind:     hidden_group_size_z
      - .offset:         682
        .size:           2
        .value_kind:     hidden_remainder_x
      - .offset:         684
        .size:           2
        .value_kind:     hidden_remainder_y
      - .offset:         686
        .size:           2
        .value_kind:     hidden_remainder_z
      - .offset:         704
        .size:           8
        .value_kind:     hidden_global_offset_x
      - .offset:         712
        .size:           8
        .value_kind:     hidden_global_offset_y
      - .offset:         720
        .size:           8
        .value_kind:     hidden_global_offset_z
      - .offset:         728
        .size:           2
        .value_kind:     hidden_grid_dims
    .group_segment_fixed_size: 4112
    .kernarg_segment_align: 8
    .kernarg_segment_size: 920
    .language:       OpenCL C
    .language_version:
      - 2
      - 0
    .max_flat_workgroup_size: 1024
    .name:           _ZN2at6native12_GLOBAL__N_114gatherKthValueIiiLi1EEEvNS_4cuda6detail10TensorInfoIKT_T0_EES8_S8_S8_S8_NS5_IS6_S8_EENS5_IlS8_EE
    .private_segment_fixed_size: 0
    .sgpr_count:     83
    .sgpr_spill_count: 0
    .symbol:         _ZN2at6native12_GLOBAL__N_114gatherKthValueIiiLi1EEEvNS_4cuda6detail10TensorInfoIKT_T0_EES8_S8_S8_S8_NS5_IS6_S8_EENS5_IlS8_EE.kd
    .uniform_work_group_size: 1
    .uses_dynamic_stack: false
    .vgpr_count:     40
    .vgpr_spill_count: 0
    .wavefront_size: 32
    .workgroup_processor_mode: 1
  - .args:
      - .offset:         0
        .size:           216
        .value_kind:     by_value
      - .offset:         216
        .size:           4
        .value_kind:     by_value
      - .offset:         220
        .size:           4
        .value_kind:     by_value
      - .offset:         224
        .size:           4
        .value_kind:     by_value
      - .offset:         228
        .size:           4
        .value_kind:     by_value
      - .offset:         232
        .size:           216
        .value_kind:     by_value
      - .offset:         448
        .size:           216
        .value_kind:     by_value
      - .offset:         664
        .size:           4
        .value_kind:     hidden_block_count_x
      - .offset:         668
        .size:           4
        .value_kind:     hidden_block_count_y
      - .offset:         672
        .size:           4
        .value_kind:     hidden_block_count_z
      - .offset:         676
        .size:           2
        .value_kind:     hidden_group_size_x
      - .offset:         678
        .size:           2
        .value_kind:     hidden_group_size_y
      - .offset:         680
        .size:           2
        .value_kind:     hidden_group_size_z
      - .offset:         682
        .size:           2
        .value_kind:     hidden_remainder_x
      - .offset:         684
        .size:           2
        .value_kind:     hidden_remainder_y
      - .offset:         686
        .size:           2
        .value_kind:     hidden_remainder_z
      - .offset:         704
        .size:           8
        .value_kind:     hidden_global_offset_x
      - .offset:         712
        .size:           8
        .value_kind:     hidden_global_offset_y
      - .offset:         720
        .size:           8
        .value_kind:     hidden_global_offset_z
      - .offset:         728
        .size:           2
        .value_kind:     hidden_grid_dims
    .group_segment_fixed_size: 4112
    .kernarg_segment_align: 8
    .kernarg_segment_size: 920
    .language:       OpenCL C
    .language_version:
      - 2
      - 0
    .max_flat_workgroup_size: 1024
    .name:           _ZN2at6native12_GLOBAL__N_114gatherKthValueIiiLi2EEEvNS_4cuda6detail10TensorInfoIKT_T0_EES8_S8_S8_S8_NS5_IS6_S8_EENS5_IlS8_EE
    .private_segment_fixed_size: 0
    .sgpr_count:     95
    .sgpr_spill_count: 0
    .symbol:         _ZN2at6native12_GLOBAL__N_114gatherKthValueIiiLi2EEEvNS_4cuda6detail10TensorInfoIKT_T0_EES8_S8_S8_S8_NS5_IS6_S8_EENS5_IlS8_EE.kd
    .uniform_work_group_size: 1
    .uses_dynamic_stack: false
    .vgpr_count:     40
    .vgpr_spill_count: 0
    .wavefront_size: 32
    .workgroup_processor_mode: 1
  - .args:
      - .offset:         0
        .size:           216
        .value_kind:     by_value
      - .offset:         216
        .size:           4
        .value_kind:     by_value
      - .offset:         220
        .size:           4
        .value_kind:     by_value
      - .offset:         224
        .size:           4
        .value_kind:     by_value
      - .offset:         228
        .size:           4
        .value_kind:     by_value
      - .offset:         232
        .size:           216
        .value_kind:     by_value
      - .offset:         448
        .size:           216
        .value_kind:     by_value
      - .offset:         664
        .size:           4
        .value_kind:     hidden_block_count_x
      - .offset:         668
        .size:           4
        .value_kind:     hidden_block_count_y
      - .offset:         672
        .size:           4
        .value_kind:     hidden_block_count_z
      - .offset:         676
        .size:           2
        .value_kind:     hidden_group_size_x
      - .offset:         678
        .size:           2
        .value_kind:     hidden_group_size_y
      - .offset:         680
        .size:           2
        .value_kind:     hidden_group_size_z
      - .offset:         682
        .size:           2
        .value_kind:     hidden_remainder_x
      - .offset:         684
        .size:           2
        .value_kind:     hidden_remainder_y
      - .offset:         686
        .size:           2
        .value_kind:     hidden_remainder_z
      - .offset:         704
        .size:           8
        .value_kind:     hidden_global_offset_x
      - .offset:         712
        .size:           8
        .value_kind:     hidden_global_offset_y
      - .offset:         720
        .size:           8
        .value_kind:     hidden_global_offset_z
      - .offset:         728
        .size:           2
        .value_kind:     hidden_grid_dims
    .group_segment_fixed_size: 4112
    .kernarg_segment_align: 8
    .kernarg_segment_size: 920
    .language:       OpenCL C
    .language_version:
      - 2
      - 0
    .max_flat_workgroup_size: 1024
    .name:           _ZN2at6native12_GLOBAL__N_114gatherKthValueIiiLi3EEEvNS_4cuda6detail10TensorInfoIKT_T0_EES8_S8_S8_S8_NS5_IS6_S8_EENS5_IlS8_EE
    .private_segment_fixed_size: 0
    .sgpr_count:     103
    .sgpr_spill_count: 0
    .symbol:         _ZN2at6native12_GLOBAL__N_114gatherKthValueIiiLi3EEEvNS_4cuda6detail10TensorInfoIKT_T0_EES8_S8_S8_S8_NS5_IS6_S8_EENS5_IlS8_EE.kd
    .uniform_work_group_size: 1
    .uses_dynamic_stack: false
    .vgpr_count:     40
    .vgpr_spill_count: 0
    .wavefront_size: 32
    .workgroup_processor_mode: 1
  - .args:
      - .offset:         0
        .size:           216
        .value_kind:     by_value
      - .offset:         216
        .size:           4
        .value_kind:     by_value
      - .offset:         220
        .size:           4
        .value_kind:     by_value
      - .offset:         224
        .size:           4
        .value_kind:     by_value
      - .offset:         228
        .size:           4
        .value_kind:     by_value
      - .offset:         232
        .size:           216
        .value_kind:     by_value
      - .offset:         448
        .size:           216
        .value_kind:     by_value
      - .offset:         664
        .size:           4
        .value_kind:     hidden_block_count_x
      - .offset:         668
        .size:           4
        .value_kind:     hidden_block_count_y
      - .offset:         672
        .size:           4
        .value_kind:     hidden_block_count_z
      - .offset:         676
        .size:           2
        .value_kind:     hidden_group_size_x
      - .offset:         678
        .size:           2
        .value_kind:     hidden_group_size_y
      - .offset:         680
        .size:           2
        .value_kind:     hidden_group_size_z
      - .offset:         682
        .size:           2
        .value_kind:     hidden_remainder_x
      - .offset:         684
        .size:           2
        .value_kind:     hidden_remainder_y
      - .offset:         686
        .size:           2
        .value_kind:     hidden_remainder_z
      - .offset:         704
        .size:           8
        .value_kind:     hidden_global_offset_x
      - .offset:         712
        .size:           8
        .value_kind:     hidden_global_offset_y
      - .offset:         720
        .size:           8
        .value_kind:     hidden_global_offset_z
      - .offset:         728
        .size:           2
        .value_kind:     hidden_grid_dims
    .group_segment_fixed_size: 4112
    .kernarg_segment_align: 8
    .kernarg_segment_size: 920
    .language:       OpenCL C
    .language_version:
      - 2
      - 0
    .max_flat_workgroup_size: 1024
    .name:           _ZN2at6native12_GLOBAL__N_114gatherKthValueIiiLin1EEEvNS_4cuda6detail10TensorInfoIKT_T0_EES8_S8_S8_S8_NS5_IS6_S8_EENS5_IlS8_EE
    .private_segment_fixed_size: 0
    .sgpr_count:     86
    .sgpr_spill_count: 0
    .symbol:         _ZN2at6native12_GLOBAL__N_114gatherKthValueIiiLin1EEEvNS_4cuda6detail10TensorInfoIKT_T0_EES8_S8_S8_S8_NS5_IS6_S8_EENS5_IlS8_EE.kd
    .uniform_work_group_size: 1
    .uses_dynamic_stack: false
    .vgpr_count:     40
    .vgpr_spill_count: 0
    .wavefront_size: 32
    .workgroup_processor_mode: 1
  - .args:
      - .offset:         0
        .size:           416
        .value_kind:     by_value
      - .offset:         416
        .size:           8
        .value_kind:     by_value
      - .offset:         424
        .size:           8
        .value_kind:     by_value
      - .offset:         432
        .size:           8
        .value_kind:     by_value
      - .offset:         440
        .size:           8
        .value_kind:     by_value
      - .offset:         448
        .size:           416
        .value_kind:     by_value
      - .offset:         864
        .size:           416
        .value_kind:     by_value
      - .offset:         1280
        .size:           4
        .value_kind:     hidden_block_count_x
      - .offset:         1284
        .size:           4
        .value_kind:     hidden_block_count_y
      - .offset:         1288
        .size:           4
        .value_kind:     hidden_block_count_z
      - .offset:         1292
        .size:           2
        .value_kind:     hidden_group_size_x
      - .offset:         1294
        .size:           2
        .value_kind:     hidden_group_size_y
      - .offset:         1296
        .size:           2
        .value_kind:     hidden_group_size_z
      - .offset:         1298
        .size:           2
        .value_kind:     hidden_remainder_x
      - .offset:         1300
        .size:           2
        .value_kind:     hidden_remainder_y
      - .offset:         1302
        .size:           2
        .value_kind:     hidden_remainder_z
      - .offset:         1320
        .size:           8
        .value_kind:     hidden_global_offset_x
      - .offset:         1328
        .size:           8
        .value_kind:     hidden_global_offset_y
      - .offset:         1336
        .size:           8
        .value_kind:     hidden_global_offset_z
      - .offset:         1344
        .size:           2
        .value_kind:     hidden_grid_dims
    .group_segment_fixed_size: 5144
    .kernarg_segment_align: 8
    .kernarg_segment_size: 1536
    .language:       OpenCL C
    .language_version:
      - 2
      - 0
    .max_flat_workgroup_size: 1024
    .name:           _ZN2at6native12_GLOBAL__N_114gatherKthValueIilLi1EEEvNS_4cuda6detail10TensorInfoIKT_T0_EES8_S8_S8_S8_NS5_IS6_S8_EENS5_IlS8_EE
    .private_segment_fixed_size: 0
    .sgpr_count:     96
    .sgpr_spill_count: 0
    .symbol:         _ZN2at6native12_GLOBAL__N_114gatherKthValueIilLi1EEEvNS_4cuda6detail10TensorInfoIKT_T0_EES8_S8_S8_S8_NS5_IS6_S8_EENS5_IlS8_EE.kd
    .uniform_work_group_size: 1
    .uses_dynamic_stack: false
    .vgpr_count:     46
    .vgpr_spill_count: 0
    .wavefront_size: 32
    .workgroup_processor_mode: 1
  - .args:
      - .offset:         0
        .size:           416
        .value_kind:     by_value
      - .offset:         416
        .size:           8
        .value_kind:     by_value
      - .offset:         424
        .size:           8
        .value_kind:     by_value
      - .offset:         432
        .size:           8
        .value_kind:     by_value
      - .offset:         440
        .size:           8
        .value_kind:     by_value
      - .offset:         448
        .size:           416
        .value_kind:     by_value
      - .offset:         864
        .size:           416
        .value_kind:     by_value
      - .offset:         1280
        .size:           4
        .value_kind:     hidden_block_count_x
      - .offset:         1284
        .size:           4
        .value_kind:     hidden_block_count_y
      - .offset:         1288
        .size:           4
        .value_kind:     hidden_block_count_z
      - .offset:         1292
        .size:           2
        .value_kind:     hidden_group_size_x
      - .offset:         1294
        .size:           2
        .value_kind:     hidden_group_size_y
      - .offset:         1296
        .size:           2
        .value_kind:     hidden_group_size_z
      - .offset:         1298
        .size:           2
        .value_kind:     hidden_remainder_x
      - .offset:         1300
        .size:           2
        .value_kind:     hidden_remainder_y
      - .offset:         1302
        .size:           2
        .value_kind:     hidden_remainder_z
      - .offset:         1320
        .size:           8
        .value_kind:     hidden_global_offset_x
      - .offset:         1328
        .size:           8
        .value_kind:     hidden_global_offset_y
      - .offset:         1336
        .size:           8
        .value_kind:     hidden_global_offset_z
      - .offset:         1344
        .size:           2
        .value_kind:     hidden_grid_dims
    .group_segment_fixed_size: 5144
    .kernarg_segment_align: 8
    .kernarg_segment_size: 1536
    .language:       OpenCL C
    .language_version:
      - 2
      - 0
    .max_flat_workgroup_size: 1024
    .name:           _ZN2at6native12_GLOBAL__N_114gatherKthValueIilLi2EEEvNS_4cuda6detail10TensorInfoIKT_T0_EES8_S8_S8_S8_NS5_IS6_S8_EENS5_IlS8_EE
    .private_segment_fixed_size: 0
    .sgpr_count:     104
    .sgpr_spill_count: 0
    .symbol:         _ZN2at6native12_GLOBAL__N_114gatherKthValueIilLi2EEEvNS_4cuda6detail10TensorInfoIKT_T0_EES8_S8_S8_S8_NS5_IS6_S8_EENS5_IlS8_EE.kd
    .uniform_work_group_size: 1
    .uses_dynamic_stack: false
    .vgpr_count:     45
    .vgpr_spill_count: 0
    .wavefront_size: 32
    .workgroup_processor_mode: 1
  - .args:
      - .offset:         0
        .size:           416
        .value_kind:     by_value
      - .offset:         416
        .size:           8
        .value_kind:     by_value
      - .offset:         424
        .size:           8
        .value_kind:     by_value
      - .offset:         432
        .size:           8
        .value_kind:     by_value
      - .offset:         440
        .size:           8
        .value_kind:     by_value
      - .offset:         448
        .size:           416
        .value_kind:     by_value
      - .offset:         864
        .size:           416
        .value_kind:     by_value
      - .offset:         1280
        .size:           4
        .value_kind:     hidden_block_count_x
      - .offset:         1284
        .size:           4
        .value_kind:     hidden_block_count_y
      - .offset:         1288
        .size:           4
        .value_kind:     hidden_block_count_z
      - .offset:         1292
        .size:           2
        .value_kind:     hidden_group_size_x
      - .offset:         1294
        .size:           2
        .value_kind:     hidden_group_size_y
      - .offset:         1296
        .size:           2
        .value_kind:     hidden_group_size_z
      - .offset:         1298
        .size:           2
        .value_kind:     hidden_remainder_x
      - .offset:         1300
        .size:           2
        .value_kind:     hidden_remainder_y
      - .offset:         1302
        .size:           2
        .value_kind:     hidden_remainder_z
      - .offset:         1320
        .size:           8
        .value_kind:     hidden_global_offset_x
      - .offset:         1328
        .size:           8
        .value_kind:     hidden_global_offset_y
      - .offset:         1336
        .size:           8
        .value_kind:     hidden_global_offset_z
      - .offset:         1344
        .size:           2
        .value_kind:     hidden_grid_dims
    .group_segment_fixed_size: 5144
    .kernarg_segment_align: 8
    .kernarg_segment_size: 1536
    .language:       OpenCL C
    .language_version:
      - 2
      - 0
    .max_flat_workgroup_size: 1024
    .name:           _ZN2at6native12_GLOBAL__N_114gatherKthValueIilLi3EEEvNS_4cuda6detail10TensorInfoIKT_T0_EES8_S8_S8_S8_NS5_IS6_S8_EENS5_IlS8_EE
    .private_segment_fixed_size: 0
    .sgpr_count:     107
    .sgpr_spill_count: 12
    .symbol:         _ZN2at6native12_GLOBAL__N_114gatherKthValueIilLi3EEEvNS_4cuda6detail10TensorInfoIKT_T0_EES8_S8_S8_S8_NS5_IS6_S8_EENS5_IlS8_EE.kd
    .uniform_work_group_size: 1
    .uses_dynamic_stack: false
    .vgpr_count:     48
    .vgpr_spill_count: 0
    .wavefront_size: 32
    .workgroup_processor_mode: 1
  - .args:
      - .offset:         0
        .size:           416
        .value_kind:     by_value
      - .offset:         416
        .size:           8
        .value_kind:     by_value
      - .offset:         424
        .size:           8
        .value_kind:     by_value
      - .offset:         432
        .size:           8
        .value_kind:     by_value
      - .offset:         440
        .size:           8
        .value_kind:     by_value
      - .offset:         448
        .size:           416
        .value_kind:     by_value
      - .offset:         864
        .size:           416
        .value_kind:     by_value
      - .offset:         1280
        .size:           4
        .value_kind:     hidden_block_count_x
      - .offset:         1284
        .size:           4
        .value_kind:     hidden_block_count_y
      - .offset:         1288
        .size:           4
        .value_kind:     hidden_block_count_z
      - .offset:         1292
        .size:           2
        .value_kind:     hidden_group_size_x
      - .offset:         1294
        .size:           2
        .value_kind:     hidden_group_size_y
      - .offset:         1296
        .size:           2
        .value_kind:     hidden_group_size_z
      - .offset:         1298
        .size:           2
        .value_kind:     hidden_remainder_x
      - .offset:         1300
        .size:           2
        .value_kind:     hidden_remainder_y
      - .offset:         1302
        .size:           2
        .value_kind:     hidden_remainder_z
      - .offset:         1320
        .size:           8
        .value_kind:     hidden_global_offset_x
      - .offset:         1328
        .size:           8
        .value_kind:     hidden_global_offset_y
      - .offset:         1336
        .size:           8
        .value_kind:     hidden_global_offset_z
      - .offset:         1344
        .size:           2
        .value_kind:     hidden_grid_dims
    .group_segment_fixed_size: 5144
    .kernarg_segment_align: 8
    .kernarg_segment_size: 1536
    .language:       OpenCL C
    .language_version:
      - 2
      - 0
    .max_flat_workgroup_size: 1024
    .name:           _ZN2at6native12_GLOBAL__N_114gatherKthValueIilLin1EEEvNS_4cuda6detail10TensorInfoIKT_T0_EES8_S8_S8_S8_NS5_IS6_S8_EENS5_IlS8_EE
    .private_segment_fixed_size: 0
    .sgpr_count:     105
    .sgpr_spill_count: 0
    .symbol:         _ZN2at6native12_GLOBAL__N_114gatherKthValueIilLin1EEEvNS_4cuda6detail10TensorInfoIKT_T0_EES8_S8_S8_S8_NS5_IS6_S8_EENS5_IlS8_EE.kd
    .uniform_work_group_size: 1
    .uses_dynamic_stack: false
    .vgpr_count:     52
    .vgpr_spill_count: 0
    .wavefront_size: 32
    .workgroup_processor_mode: 1
  - .args:
      - .offset:         0
        .size:           216
        .value_kind:     by_value
      - .offset:         216
        .size:           4
        .value_kind:     by_value
      - .offset:         220
        .size:           4
        .value_kind:     by_value
      - .offset:         224
        .size:           4
        .value_kind:     by_value
      - .offset:         228
        .size:           4
        .value_kind:     by_value
      - .offset:         232
        .size:           216
        .value_kind:     by_value
      - .offset:         448
        .size:           216
        .value_kind:     by_value
      - .offset:         664
        .size:           4
        .value_kind:     hidden_block_count_x
      - .offset:         668
        .size:           4
        .value_kind:     hidden_block_count_y
      - .offset:         672
        .size:           4
        .value_kind:     hidden_block_count_z
      - .offset:         676
        .size:           2
        .value_kind:     hidden_group_size_x
      - .offset:         678
        .size:           2
        .value_kind:     hidden_group_size_y
      - .offset:         680
        .size:           2
        .value_kind:     hidden_group_size_z
      - .offset:         682
        .size:           2
        .value_kind:     hidden_remainder_x
      - .offset:         684
        .size:           2
        .value_kind:     hidden_remainder_y
      - .offset:         686
        .size:           2
        .value_kind:     hidden_remainder_z
      - .offset:         704
        .size:           8
        .value_kind:     hidden_global_offset_x
      - .offset:         712
        .size:           8
        .value_kind:     hidden_global_offset_y
      - .offset:         720
        .size:           8
        .value_kind:     hidden_global_offset_z
      - .offset:         728
        .size:           2
        .value_kind:     hidden_grid_dims
    .group_segment_fixed_size: 4112
    .kernarg_segment_align: 8
    .kernarg_segment_size: 920
    .language:       OpenCL C
    .language_version:
      - 2
      - 0
    .max_flat_workgroup_size: 1024
    .name:           _ZN2at6native12_GLOBAL__N_114gatherKthValueIliLi1EEEvNS_4cuda6detail10TensorInfoIKT_T0_EES8_S8_S8_S8_NS5_IS6_S8_EENS5_IlS8_EE
    .private_segment_fixed_size: 0
    .sgpr_count:     86
    .sgpr_spill_count: 0
    .symbol:         _ZN2at6native12_GLOBAL__N_114gatherKthValueIliLi1EEEvNS_4cuda6detail10TensorInfoIKT_T0_EES8_S8_S8_S8_NS5_IS6_S8_EENS5_IlS8_EE.kd
    .uniform_work_group_size: 1
    .uses_dynamic_stack: false
    .vgpr_count:     49
    .vgpr_spill_count: 0
    .wavefront_size: 32
    .workgroup_processor_mode: 1
  - .args:
      - .offset:         0
        .size:           216
        .value_kind:     by_value
      - .offset:         216
        .size:           4
        .value_kind:     by_value
      - .offset:         220
        .size:           4
        .value_kind:     by_value
      - .offset:         224
        .size:           4
        .value_kind:     by_value
      - .offset:         228
        .size:           4
        .value_kind:     by_value
      - .offset:         232
        .size:           216
        .value_kind:     by_value
      - .offset:         448
        .size:           216
        .value_kind:     by_value
      - .offset:         664
        .size:           4
        .value_kind:     hidden_block_count_x
      - .offset:         668
        .size:           4
        .value_kind:     hidden_block_count_y
      - .offset:         672
        .size:           4
        .value_kind:     hidden_block_count_z
      - .offset:         676
        .size:           2
        .value_kind:     hidden_group_size_x
      - .offset:         678
        .size:           2
        .value_kind:     hidden_group_size_y
      - .offset:         680
        .size:           2
        .value_kind:     hidden_group_size_z
      - .offset:         682
        .size:           2
        .value_kind:     hidden_remainder_x
      - .offset:         684
        .size:           2
        .value_kind:     hidden_remainder_y
      - .offset:         686
        .size:           2
        .value_kind:     hidden_remainder_z
      - .offset:         704
        .size:           8
        .value_kind:     hidden_global_offset_x
      - .offset:         712
        .size:           8
        .value_kind:     hidden_global_offset_y
      - .offset:         720
        .size:           8
        .value_kind:     hidden_global_offset_z
      - .offset:         728
        .size:           2
        .value_kind:     hidden_grid_dims
    .group_segment_fixed_size: 4112
    .kernarg_segment_align: 8
    .kernarg_segment_size: 920
    .language:       OpenCL C
    .language_version:
      - 2
      - 0
    .max_flat_workgroup_size: 1024
    .name:           _ZN2at6native12_GLOBAL__N_114gatherKthValueIliLi2EEEvNS_4cuda6detail10TensorInfoIKT_T0_EES8_S8_S8_S8_NS5_IS6_S8_EENS5_IlS8_EE
    .private_segment_fixed_size: 0
    .sgpr_count:     98
    .sgpr_spill_count: 0
    .symbol:         _ZN2at6native12_GLOBAL__N_114gatherKthValueIliLi2EEEvNS_4cuda6detail10TensorInfoIKT_T0_EES8_S8_S8_S8_NS5_IS6_S8_EENS5_IlS8_EE.kd
    .uniform_work_group_size: 1
    .uses_dynamic_stack: false
    .vgpr_count:     49
    .vgpr_spill_count: 0
    .wavefront_size: 32
    .workgroup_processor_mode: 1
  - .args:
      - .offset:         0
        .size:           216
        .value_kind:     by_value
      - .offset:         216
        .size:           4
        .value_kind:     by_value
      - .offset:         220
        .size:           4
        .value_kind:     by_value
      - .offset:         224
        .size:           4
        .value_kind:     by_value
      - .offset:         228
        .size:           4
        .value_kind:     by_value
      - .offset:         232
        .size:           216
        .value_kind:     by_value
      - .offset:         448
        .size:           216
        .value_kind:     by_value
      - .offset:         664
        .size:           4
        .value_kind:     hidden_block_count_x
      - .offset:         668
        .size:           4
        .value_kind:     hidden_block_count_y
      - .offset:         672
        .size:           4
        .value_kind:     hidden_block_count_z
      - .offset:         676
        .size:           2
        .value_kind:     hidden_group_size_x
      - .offset:         678
        .size:           2
        .value_kind:     hidden_group_size_y
      - .offset:         680
        .size:           2
        .value_kind:     hidden_group_size_z
      - .offset:         682
        .size:           2
        .value_kind:     hidden_remainder_x
      - .offset:         684
        .size:           2
        .value_kind:     hidden_remainder_y
      - .offset:         686
        .size:           2
        .value_kind:     hidden_remainder_z
      - .offset:         704
        .size:           8
        .value_kind:     hidden_global_offset_x
      - .offset:         712
        .size:           8
        .value_kind:     hidden_global_offset_y
      - .offset:         720
        .size:           8
        .value_kind:     hidden_global_offset_z
      - .offset:         728
        .size:           2
        .value_kind:     hidden_grid_dims
    .group_segment_fixed_size: 4112
    .kernarg_segment_align: 8
    .kernarg_segment_size: 920
    .language:       OpenCL C
    .language_version:
      - 2
      - 0
    .max_flat_workgroup_size: 1024
    .name:           _ZN2at6native12_GLOBAL__N_114gatherKthValueIliLi3EEEvNS_4cuda6detail10TensorInfoIKT_T0_EES8_S8_S8_S8_NS5_IS6_S8_EENS5_IlS8_EE
    .private_segment_fixed_size: 0
    .sgpr_count:     106
    .sgpr_spill_count: 0
    .symbol:         _ZN2at6native12_GLOBAL__N_114gatherKthValueIliLi3EEEvNS_4cuda6detail10TensorInfoIKT_T0_EES8_S8_S8_S8_NS5_IS6_S8_EENS5_IlS8_EE.kd
    .uniform_work_group_size: 1
    .uses_dynamic_stack: false
    .vgpr_count:     49
    .vgpr_spill_count: 0
    .wavefront_size: 32
    .workgroup_processor_mode: 1
  - .args:
      - .offset:         0
        .size:           216
        .value_kind:     by_value
      - .offset:         216
        .size:           4
        .value_kind:     by_value
      - .offset:         220
        .size:           4
        .value_kind:     by_value
      - .offset:         224
        .size:           4
        .value_kind:     by_value
      - .offset:         228
        .size:           4
        .value_kind:     by_value
      - .offset:         232
        .size:           216
        .value_kind:     by_value
      - .offset:         448
        .size:           216
        .value_kind:     by_value
      - .offset:         664
        .size:           4
        .value_kind:     hidden_block_count_x
      - .offset:         668
        .size:           4
        .value_kind:     hidden_block_count_y
      - .offset:         672
        .size:           4
        .value_kind:     hidden_block_count_z
      - .offset:         676
        .size:           2
        .value_kind:     hidden_group_size_x
      - .offset:         678
        .size:           2
        .value_kind:     hidden_group_size_y
      - .offset:         680
        .size:           2
        .value_kind:     hidden_group_size_z
      - .offset:         682
        .size:           2
        .value_kind:     hidden_remainder_x
      - .offset:         684
        .size:           2
        .value_kind:     hidden_remainder_y
      - .offset:         686
        .size:           2
        .value_kind:     hidden_remainder_z
      - .offset:         704
        .size:           8
        .value_kind:     hidden_global_offset_x
      - .offset:         712
        .size:           8
        .value_kind:     hidden_global_offset_y
      - .offset:         720
        .size:           8
        .value_kind:     hidden_global_offset_z
      - .offset:         728
        .size:           2
        .value_kind:     hidden_grid_dims
    .group_segment_fixed_size: 4112
    .kernarg_segment_align: 8
    .kernarg_segment_size: 920
    .language:       OpenCL C
    .language_version:
      - 2
      - 0
    .max_flat_workgroup_size: 1024
    .name:           _ZN2at6native12_GLOBAL__N_114gatherKthValueIliLin1EEEvNS_4cuda6detail10TensorInfoIKT_T0_EES8_S8_S8_S8_NS5_IS6_S8_EENS5_IlS8_EE
    .private_segment_fixed_size: 0
    .sgpr_count:     89
    .sgpr_spill_count: 0
    .symbol:         _ZN2at6native12_GLOBAL__N_114gatherKthValueIliLin1EEEvNS_4cuda6detail10TensorInfoIKT_T0_EES8_S8_S8_S8_NS5_IS6_S8_EENS5_IlS8_EE.kd
    .uniform_work_group_size: 1
    .uses_dynamic_stack: false
    .vgpr_count:     49
    .vgpr_spill_count: 0
    .wavefront_size: 32
    .workgroup_processor_mode: 1
  - .args:
      - .offset:         0
        .size:           416
        .value_kind:     by_value
      - .offset:         416
        .size:           8
        .value_kind:     by_value
      - .offset:         424
        .size:           8
        .value_kind:     by_value
      - .offset:         432
        .size:           8
        .value_kind:     by_value
      - .offset:         440
        .size:           8
        .value_kind:     by_value
      - .offset:         448
        .size:           416
        .value_kind:     by_value
      - .offset:         864
        .size:           416
        .value_kind:     by_value
      - .offset:         1280
        .size:           4
        .value_kind:     hidden_block_count_x
      - .offset:         1284
        .size:           4
        .value_kind:     hidden_block_count_y
      - .offset:         1288
        .size:           4
        .value_kind:     hidden_block_count_z
      - .offset:         1292
        .size:           2
        .value_kind:     hidden_group_size_x
      - .offset:         1294
        .size:           2
        .value_kind:     hidden_group_size_y
      - .offset:         1296
        .size:           2
        .value_kind:     hidden_group_size_z
      - .offset:         1298
        .size:           2
        .value_kind:     hidden_remainder_x
      - .offset:         1300
        .size:           2
        .value_kind:     hidden_remainder_y
      - .offset:         1302
        .size:           2
        .value_kind:     hidden_remainder_z
      - .offset:         1320
        .size:           8
        .value_kind:     hidden_global_offset_x
      - .offset:         1328
        .size:           8
        .value_kind:     hidden_global_offset_y
      - .offset:         1336
        .size:           8
        .value_kind:     hidden_global_offset_z
      - .offset:         1344
        .size:           2
        .value_kind:     hidden_grid_dims
    .group_segment_fixed_size: 5144
    .kernarg_segment_align: 8
    .kernarg_segment_size: 1536
    .language:       OpenCL C
    .language_version:
      - 2
      - 0
    .max_flat_workgroup_size: 1024
    .name:           _ZN2at6native12_GLOBAL__N_114gatherKthValueIllLi1EEEvNS_4cuda6detail10TensorInfoIKT_T0_EES8_S8_S8_S8_NS5_IS6_S8_EENS5_IlS8_EE
    .private_segment_fixed_size: 0
    .sgpr_count:     98
    .sgpr_spill_count: 0
    .symbol:         _ZN2at6native12_GLOBAL__N_114gatherKthValueIllLi1EEEvNS_4cuda6detail10TensorInfoIKT_T0_EES8_S8_S8_S8_NS5_IS6_S8_EENS5_IlS8_EE.kd
    .uniform_work_group_size: 1
    .uses_dynamic_stack: false
    .vgpr_count:     57
    .vgpr_spill_count: 0
    .wavefront_size: 32
    .workgroup_processor_mode: 1
  - .args:
      - .offset:         0
        .size:           416
        .value_kind:     by_value
      - .offset:         416
        .size:           8
        .value_kind:     by_value
      - .offset:         424
        .size:           8
        .value_kind:     by_value
      - .offset:         432
        .size:           8
        .value_kind:     by_value
      - .offset:         440
        .size:           8
        .value_kind:     by_value
      - .offset:         448
        .size:           416
        .value_kind:     by_value
      - .offset:         864
        .size:           416
        .value_kind:     by_value
      - .offset:         1280
        .size:           4
        .value_kind:     hidden_block_count_x
      - .offset:         1284
        .size:           4
        .value_kind:     hidden_block_count_y
      - .offset:         1288
        .size:           4
        .value_kind:     hidden_block_count_z
      - .offset:         1292
        .size:           2
        .value_kind:     hidden_group_size_x
      - .offset:         1294
        .size:           2
        .value_kind:     hidden_group_size_y
      - .offset:         1296
        .size:           2
        .value_kind:     hidden_group_size_z
      - .offset:         1298
        .size:           2
        .value_kind:     hidden_remainder_x
      - .offset:         1300
        .size:           2
        .value_kind:     hidden_remainder_y
      - .offset:         1302
        .size:           2
        .value_kind:     hidden_remainder_z
      - .offset:         1320
        .size:           8
        .value_kind:     hidden_global_offset_x
      - .offset:         1328
        .size:           8
        .value_kind:     hidden_global_offset_y
      - .offset:         1336
        .size:           8
        .value_kind:     hidden_global_offset_z
      - .offset:         1344
        .size:           2
        .value_kind:     hidden_grid_dims
    .group_segment_fixed_size: 5144
    .kernarg_segment_align: 8
    .kernarg_segment_size: 1536
    .language:       OpenCL C
    .language_version:
      - 2
      - 0
    .max_flat_workgroup_size: 1024
    .name:           _ZN2at6native12_GLOBAL__N_114gatherKthValueIllLi2EEEvNS_4cuda6detail10TensorInfoIKT_T0_EES8_S8_S8_S8_NS5_IS6_S8_EENS5_IlS8_EE
    .private_segment_fixed_size: 0
    .sgpr_count:     106
    .sgpr_spill_count: 0
    .symbol:         _ZN2at6native12_GLOBAL__N_114gatherKthValueIllLi2EEEvNS_4cuda6detail10TensorInfoIKT_T0_EES8_S8_S8_S8_NS5_IS6_S8_EENS5_IlS8_EE.kd
    .uniform_work_group_size: 1
    .uses_dynamic_stack: false
    .vgpr_count:     62
    .vgpr_spill_count: 0
    .wavefront_size: 32
    .workgroup_processor_mode: 1
  - .args:
      - .offset:         0
        .size:           416
        .value_kind:     by_value
      - .offset:         416
        .size:           8
        .value_kind:     by_value
      - .offset:         424
        .size:           8
        .value_kind:     by_value
      - .offset:         432
        .size:           8
        .value_kind:     by_value
      - .offset:         440
        .size:           8
        .value_kind:     by_value
      - .offset:         448
        .size:           416
        .value_kind:     by_value
      - .offset:         864
        .size:           416
        .value_kind:     by_value
      - .offset:         1280
        .size:           4
        .value_kind:     hidden_block_count_x
      - .offset:         1284
        .size:           4
        .value_kind:     hidden_block_count_y
      - .offset:         1288
        .size:           4
        .value_kind:     hidden_block_count_z
      - .offset:         1292
        .size:           2
        .value_kind:     hidden_group_size_x
      - .offset:         1294
        .size:           2
        .value_kind:     hidden_group_size_y
      - .offset:         1296
        .size:           2
        .value_kind:     hidden_group_size_z
      - .offset:         1298
        .size:           2
        .value_kind:     hidden_remainder_x
      - .offset:         1300
        .size:           2
        .value_kind:     hidden_remainder_y
      - .offset:         1302
        .size:           2
        .value_kind:     hidden_remainder_z
      - .offset:         1320
        .size:           8
        .value_kind:     hidden_global_offset_x
      - .offset:         1328
        .size:           8
        .value_kind:     hidden_global_offset_y
      - .offset:         1336
        .size:           8
        .value_kind:     hidden_global_offset_z
      - .offset:         1344
        .size:           2
        .value_kind:     hidden_grid_dims
    .group_segment_fixed_size: 5144
    .kernarg_segment_align: 8
    .kernarg_segment_size: 1536
    .language:       OpenCL C
    .language_version:
      - 2
      - 0
    .max_flat_workgroup_size: 1024
    .name:           _ZN2at6native12_GLOBAL__N_114gatherKthValueIllLi3EEEvNS_4cuda6detail10TensorInfoIKT_T0_EES8_S8_S8_S8_NS5_IS6_S8_EENS5_IlS8_EE
    .private_segment_fixed_size: 0
    .sgpr_count:     107
    .sgpr_spill_count: 12
    .symbol:         _ZN2at6native12_GLOBAL__N_114gatherKthValueIllLi3EEEvNS_4cuda6detail10TensorInfoIKT_T0_EES8_S8_S8_S8_NS5_IS6_S8_EENS5_IlS8_EE.kd
    .uniform_work_group_size: 1
    .uses_dynamic_stack: false
    .vgpr_count:     53
    .vgpr_spill_count: 0
    .wavefront_size: 32
    .workgroup_processor_mode: 1
  - .args:
      - .offset:         0
        .size:           416
        .value_kind:     by_value
      - .offset:         416
        .size:           8
        .value_kind:     by_value
      - .offset:         424
        .size:           8
        .value_kind:     by_value
      - .offset:         432
        .size:           8
        .value_kind:     by_value
      - .offset:         440
        .size:           8
        .value_kind:     by_value
      - .offset:         448
        .size:           416
        .value_kind:     by_value
      - .offset:         864
        .size:           416
        .value_kind:     by_value
      - .offset:         1280
        .size:           4
        .value_kind:     hidden_block_count_x
      - .offset:         1284
        .size:           4
        .value_kind:     hidden_block_count_y
      - .offset:         1288
        .size:           4
        .value_kind:     hidden_block_count_z
      - .offset:         1292
        .size:           2
        .value_kind:     hidden_group_size_x
      - .offset:         1294
        .size:           2
        .value_kind:     hidden_group_size_y
      - .offset:         1296
        .size:           2
        .value_kind:     hidden_group_size_z
      - .offset:         1298
        .size:           2
        .value_kind:     hidden_remainder_x
      - .offset:         1300
        .size:           2
        .value_kind:     hidden_remainder_y
      - .offset:         1302
        .size:           2
        .value_kind:     hidden_remainder_z
      - .offset:         1320
        .size:           8
        .value_kind:     hidden_global_offset_x
      - .offset:         1328
        .size:           8
        .value_kind:     hidden_global_offset_y
      - .offset:         1336
        .size:           8
        .value_kind:     hidden_global_offset_z
      - .offset:         1344
        .size:           2
        .value_kind:     hidden_grid_dims
    .group_segment_fixed_size: 5144
    .kernarg_segment_align: 8
    .kernarg_segment_size: 1536
    .language:       OpenCL C
    .language_version:
      - 2
      - 0
    .max_flat_workgroup_size: 1024
    .name:           _ZN2at6native12_GLOBAL__N_114gatherKthValueIllLin1EEEvNS_4cuda6detail10TensorInfoIKT_T0_EES8_S8_S8_S8_NS5_IS6_S8_EENS5_IlS8_EE
    .private_segment_fixed_size: 0
    .sgpr_count:     107
    .sgpr_spill_count: 0
    .symbol:         _ZN2at6native12_GLOBAL__N_114gatherKthValueIllLin1EEEvNS_4cuda6detail10TensorInfoIKT_T0_EES8_S8_S8_S8_NS5_IS6_S8_EENS5_IlS8_EE.kd
    .uniform_work_group_size: 1
    .uses_dynamic_stack: false
    .vgpr_count:     67
    .vgpr_spill_count: 0
    .wavefront_size: 32
    .workgroup_processor_mode: 1
  - .args:
      - .offset:         0
        .size:           216
        .value_kind:     by_value
      - .offset:         216
        .size:           4
        .value_kind:     by_value
      - .offset:         220
        .size:           4
        .value_kind:     by_value
      - .offset:         224
        .size:           4
        .value_kind:     by_value
      - .offset:         228
        .size:           4
        .value_kind:     by_value
      - .offset:         232
        .size:           216
        .value_kind:     by_value
      - .offset:         448
        .size:           216
        .value_kind:     by_value
      - .offset:         664
        .size:           4
        .value_kind:     hidden_block_count_x
      - .offset:         668
        .size:           4
        .value_kind:     hidden_block_count_y
      - .offset:         672
        .size:           4
        .value_kind:     hidden_block_count_z
      - .offset:         676
        .size:           2
        .value_kind:     hidden_group_size_x
      - .offset:         678
        .size:           2
        .value_kind:     hidden_group_size_y
      - .offset:         680
        .size:           2
        .value_kind:     hidden_group_size_z
      - .offset:         682
        .size:           2
        .value_kind:     hidden_remainder_x
      - .offset:         684
        .size:           2
        .value_kind:     hidden_remainder_y
      - .offset:         686
        .size:           2
        .value_kind:     hidden_remainder_z
      - .offset:         704
        .size:           8
        .value_kind:     hidden_global_offset_x
      - .offset:         712
        .size:           8
        .value_kind:     hidden_global_offset_y
      - .offset:         720
        .size:           8
        .value_kind:     hidden_global_offset_z
      - .offset:         728
        .size:           2
        .value_kind:     hidden_grid_dims
    .group_segment_fixed_size: 4112
    .kernarg_segment_align: 8
    .kernarg_segment_size: 920
    .language:       OpenCL C
    .language_version:
      - 2
      - 0
    .max_flat_workgroup_size: 1024
    .name:           _ZN2at6native12_GLOBAL__N_114gatherKthValueIsiLi1EEEvNS_4cuda6detail10TensorInfoIKT_T0_EES8_S8_S8_S8_NS5_IS6_S8_EENS5_IlS8_EE
    .private_segment_fixed_size: 0
    .sgpr_count:     84
    .sgpr_spill_count: 0
    .symbol:         _ZN2at6native12_GLOBAL__N_114gatherKthValueIsiLi1EEEvNS_4cuda6detail10TensorInfoIKT_T0_EES8_S8_S8_S8_NS5_IS6_S8_EENS5_IlS8_EE.kd
    .uniform_work_group_size: 1
    .uses_dynamic_stack: false
    .vgpr_count:     40
    .vgpr_spill_count: 0
    .wavefront_size: 32
    .workgroup_processor_mode: 1
  - .args:
      - .offset:         0
        .size:           216
        .value_kind:     by_value
      - .offset:         216
        .size:           4
        .value_kind:     by_value
      - .offset:         220
        .size:           4
        .value_kind:     by_value
      - .offset:         224
        .size:           4
        .value_kind:     by_value
      - .offset:         228
        .size:           4
        .value_kind:     by_value
      - .offset:         232
        .size:           216
        .value_kind:     by_value
      - .offset:         448
        .size:           216
        .value_kind:     by_value
      - .offset:         664
        .size:           4
        .value_kind:     hidden_block_count_x
      - .offset:         668
        .size:           4
        .value_kind:     hidden_block_count_y
      - .offset:         672
        .size:           4
        .value_kind:     hidden_block_count_z
      - .offset:         676
        .size:           2
        .value_kind:     hidden_group_size_x
      - .offset:         678
        .size:           2
        .value_kind:     hidden_group_size_y
      - .offset:         680
        .size:           2
        .value_kind:     hidden_group_size_z
      - .offset:         682
        .size:           2
        .value_kind:     hidden_remainder_x
      - .offset:         684
        .size:           2
        .value_kind:     hidden_remainder_y
      - .offset:         686
        .size:           2
        .value_kind:     hidden_remainder_z
      - .offset:         704
        .size:           8
        .value_kind:     hidden_global_offset_x
      - .offset:         712
        .size:           8
        .value_kind:     hidden_global_offset_y
      - .offset:         720
        .size:           8
        .value_kind:     hidden_global_offset_z
      - .offset:         728
        .size:           2
        .value_kind:     hidden_grid_dims
    .group_segment_fixed_size: 4112
    .kernarg_segment_align: 8
    .kernarg_segment_size: 920
    .language:       OpenCL C
    .language_version:
      - 2
      - 0
    .max_flat_workgroup_size: 1024
    .name:           _ZN2at6native12_GLOBAL__N_114gatherKthValueIsiLi2EEEvNS_4cuda6detail10TensorInfoIKT_T0_EES8_S8_S8_S8_NS5_IS6_S8_EENS5_IlS8_EE
    .private_segment_fixed_size: 0
    .sgpr_count:     96
    .sgpr_spill_count: 0
    .symbol:         _ZN2at6native12_GLOBAL__N_114gatherKthValueIsiLi2EEEvNS_4cuda6detail10TensorInfoIKT_T0_EES8_S8_S8_S8_NS5_IS6_S8_EENS5_IlS8_EE.kd
    .uniform_work_group_size: 1
    .uses_dynamic_stack: false
    .vgpr_count:     40
    .vgpr_spill_count: 0
    .wavefront_size: 32
    .workgroup_processor_mode: 1
  - .args:
      - .offset:         0
        .size:           216
        .value_kind:     by_value
      - .offset:         216
        .size:           4
        .value_kind:     by_value
      - .offset:         220
        .size:           4
        .value_kind:     by_value
      - .offset:         224
        .size:           4
        .value_kind:     by_value
      - .offset:         228
        .size:           4
        .value_kind:     by_value
      - .offset:         232
        .size:           216
        .value_kind:     by_value
      - .offset:         448
        .size:           216
        .value_kind:     by_value
      - .offset:         664
        .size:           4
        .value_kind:     hidden_block_count_x
      - .offset:         668
        .size:           4
        .value_kind:     hidden_block_count_y
      - .offset:         672
        .size:           4
        .value_kind:     hidden_block_count_z
      - .offset:         676
        .size:           2
        .value_kind:     hidden_group_size_x
      - .offset:         678
        .size:           2
        .value_kind:     hidden_group_size_y
      - .offset:         680
        .size:           2
        .value_kind:     hidden_group_size_z
      - .offset:         682
        .size:           2
        .value_kind:     hidden_remainder_x
      - .offset:         684
        .size:           2
        .value_kind:     hidden_remainder_y
      - .offset:         686
        .size:           2
        .value_kind:     hidden_remainder_z
      - .offset:         704
        .size:           8
        .value_kind:     hidden_global_offset_x
      - .offset:         712
        .size:           8
        .value_kind:     hidden_global_offset_y
      - .offset:         720
        .size:           8
        .value_kind:     hidden_global_offset_z
      - .offset:         728
        .size:           2
        .value_kind:     hidden_grid_dims
    .group_segment_fixed_size: 4112
    .kernarg_segment_align: 8
    .kernarg_segment_size: 920
    .language:       OpenCL C
    .language_version:
      - 2
      - 0
    .max_flat_workgroup_size: 1024
    .name:           _ZN2at6native12_GLOBAL__N_114gatherKthValueIsiLi3EEEvNS_4cuda6detail10TensorInfoIKT_T0_EES8_S8_S8_S8_NS5_IS6_S8_EENS5_IlS8_EE
    .private_segment_fixed_size: 0
    .sgpr_count:     104
    .sgpr_spill_count: 0
    .symbol:         _ZN2at6native12_GLOBAL__N_114gatherKthValueIsiLi3EEEvNS_4cuda6detail10TensorInfoIKT_T0_EES8_S8_S8_S8_NS5_IS6_S8_EENS5_IlS8_EE.kd
    .uniform_work_group_size: 1
    .uses_dynamic_stack: false
    .vgpr_count:     40
    .vgpr_spill_count: 0
    .wavefront_size: 32
    .workgroup_processor_mode: 1
  - .args:
      - .offset:         0
        .size:           216
        .value_kind:     by_value
      - .offset:         216
        .size:           4
        .value_kind:     by_value
      - .offset:         220
        .size:           4
        .value_kind:     by_value
      - .offset:         224
        .size:           4
        .value_kind:     by_value
      - .offset:         228
        .size:           4
        .value_kind:     by_value
      - .offset:         232
        .size:           216
        .value_kind:     by_value
      - .offset:         448
        .size:           216
        .value_kind:     by_value
      - .offset:         664
        .size:           4
        .value_kind:     hidden_block_count_x
      - .offset:         668
        .size:           4
        .value_kind:     hidden_block_count_y
      - .offset:         672
        .size:           4
        .value_kind:     hidden_block_count_z
      - .offset:         676
        .size:           2
        .value_kind:     hidden_group_size_x
      - .offset:         678
        .size:           2
        .value_kind:     hidden_group_size_y
      - .offset:         680
        .size:           2
        .value_kind:     hidden_group_size_z
      - .offset:         682
        .size:           2
        .value_kind:     hidden_remainder_x
      - .offset:         684
        .size:           2
        .value_kind:     hidden_remainder_y
      - .offset:         686
        .size:           2
        .value_kind:     hidden_remainder_z
      - .offset:         704
        .size:           8
        .value_kind:     hidden_global_offset_x
      - .offset:         712
        .size:           8
        .value_kind:     hidden_global_offset_y
      - .offset:         720
        .size:           8
        .value_kind:     hidden_global_offset_z
      - .offset:         728
        .size:           2
        .value_kind:     hidden_grid_dims
    .group_segment_fixed_size: 4112
    .kernarg_segment_align: 8
    .kernarg_segment_size: 920
    .language:       OpenCL C
    .language_version:
      - 2
      - 0
    .max_flat_workgroup_size: 1024
    .name:           _ZN2at6native12_GLOBAL__N_114gatherKthValueIsiLin1EEEvNS_4cuda6detail10TensorInfoIKT_T0_EES8_S8_S8_S8_NS5_IS6_S8_EENS5_IlS8_EE
    .private_segment_fixed_size: 0
    .sgpr_count:     87
    .sgpr_spill_count: 0
    .symbol:         _ZN2at6native12_GLOBAL__N_114gatherKthValueIsiLin1EEEvNS_4cuda6detail10TensorInfoIKT_T0_EES8_S8_S8_S8_NS5_IS6_S8_EENS5_IlS8_EE.kd
    .uniform_work_group_size: 1
    .uses_dynamic_stack: false
    .vgpr_count:     40
    .vgpr_spill_count: 0
    .wavefront_size: 32
    .workgroup_processor_mode: 1
  - .args:
      - .offset:         0
        .size:           416
        .value_kind:     by_value
      - .offset:         416
        .size:           8
        .value_kind:     by_value
      - .offset:         424
        .size:           8
        .value_kind:     by_value
      - .offset:         432
        .size:           8
        .value_kind:     by_value
      - .offset:         440
        .size:           8
        .value_kind:     by_value
      - .offset:         448
        .size:           416
        .value_kind:     by_value
      - .offset:         864
        .size:           416
        .value_kind:     by_value
      - .offset:         1280
        .size:           4
        .value_kind:     hidden_block_count_x
      - .offset:         1284
        .size:           4
        .value_kind:     hidden_block_count_y
      - .offset:         1288
        .size:           4
        .value_kind:     hidden_block_count_z
      - .offset:         1292
        .size:           2
        .value_kind:     hidden_group_size_x
      - .offset:         1294
        .size:           2
        .value_kind:     hidden_group_size_y
      - .offset:         1296
        .size:           2
        .value_kind:     hidden_group_size_z
      - .offset:         1298
        .size:           2
        .value_kind:     hidden_remainder_x
      - .offset:         1300
        .size:           2
        .value_kind:     hidden_remainder_y
      - .offset:         1302
        .size:           2
        .value_kind:     hidden_remainder_z
      - .offset:         1320
        .size:           8
        .value_kind:     hidden_global_offset_x
      - .offset:         1328
        .size:           8
        .value_kind:     hidden_global_offset_y
      - .offset:         1336
        .size:           8
        .value_kind:     hidden_global_offset_z
      - .offset:         1344
        .size:           2
        .value_kind:     hidden_grid_dims
    .group_segment_fixed_size: 5144
    .kernarg_segment_align: 8
    .kernarg_segment_size: 1536
    .language:       OpenCL C
    .language_version:
      - 2
      - 0
    .max_flat_workgroup_size: 1024
    .name:           _ZN2at6native12_GLOBAL__N_114gatherKthValueIslLi1EEEvNS_4cuda6detail10TensorInfoIKT_T0_EES8_S8_S8_S8_NS5_IS6_S8_EENS5_IlS8_EE
    .private_segment_fixed_size: 0
    .sgpr_count:     95
    .sgpr_spill_count: 0
    .symbol:         _ZN2at6native12_GLOBAL__N_114gatherKthValueIslLi1EEEvNS_4cuda6detail10TensorInfoIKT_T0_EES8_S8_S8_S8_NS5_IS6_S8_EENS5_IlS8_EE.kd
    .uniform_work_group_size: 1
    .uses_dynamic_stack: false
    .vgpr_count:     45
    .vgpr_spill_count: 0
    .wavefront_size: 32
    .workgroup_processor_mode: 1
  - .args:
      - .offset:         0
        .size:           416
        .value_kind:     by_value
      - .offset:         416
        .size:           8
        .value_kind:     by_value
      - .offset:         424
        .size:           8
        .value_kind:     by_value
      - .offset:         432
        .size:           8
        .value_kind:     by_value
      - .offset:         440
        .size:           8
        .value_kind:     by_value
      - .offset:         448
        .size:           416
        .value_kind:     by_value
      - .offset:         864
        .size:           416
        .value_kind:     by_value
      - .offset:         1280
        .size:           4
        .value_kind:     hidden_block_count_x
      - .offset:         1284
        .size:           4
        .value_kind:     hidden_block_count_y
      - .offset:         1288
        .size:           4
        .value_kind:     hidden_block_count_z
      - .offset:         1292
        .size:           2
        .value_kind:     hidden_group_size_x
      - .offset:         1294
        .size:           2
        .value_kind:     hidden_group_size_y
      - .offset:         1296
        .size:           2
        .value_kind:     hidden_group_size_z
      - .offset:         1298
        .size:           2
        .value_kind:     hidden_remainder_x
      - .offset:         1300
        .size:           2
        .value_kind:     hidden_remainder_y
      - .offset:         1302
        .size:           2
        .value_kind:     hidden_remainder_z
      - .offset:         1320
        .size:           8
        .value_kind:     hidden_global_offset_x
      - .offset:         1328
        .size:           8
        .value_kind:     hidden_global_offset_y
      - .offset:         1336
        .size:           8
        .value_kind:     hidden_global_offset_z
      - .offset:         1344
        .size:           2
        .value_kind:     hidden_grid_dims
    .group_segment_fixed_size: 5144
    .kernarg_segment_align: 8
    .kernarg_segment_size: 1536
    .language:       OpenCL C
    .language_version:
      - 2
      - 0
    .max_flat_workgroup_size: 1024
    .name:           _ZN2at6native12_GLOBAL__N_114gatherKthValueIslLi2EEEvNS_4cuda6detail10TensorInfoIKT_T0_EES8_S8_S8_S8_NS5_IS6_S8_EENS5_IlS8_EE
    .private_segment_fixed_size: 0
    .sgpr_count:     103
    .sgpr_spill_count: 0
    .symbol:         _ZN2at6native12_GLOBAL__N_114gatherKthValueIslLi2EEEvNS_4cuda6detail10TensorInfoIKT_T0_EES8_S8_S8_S8_NS5_IS6_S8_EENS5_IlS8_EE.kd
    .uniform_work_group_size: 1
    .uses_dynamic_stack: false
    .vgpr_count:     46
    .vgpr_spill_count: 0
    .wavefront_size: 32
    .workgroup_processor_mode: 1
  - .args:
      - .offset:         0
        .size:           416
        .value_kind:     by_value
      - .offset:         416
        .size:           8
        .value_kind:     by_value
      - .offset:         424
        .size:           8
        .value_kind:     by_value
      - .offset:         432
        .size:           8
        .value_kind:     by_value
      - .offset:         440
        .size:           8
        .value_kind:     by_value
      - .offset:         448
        .size:           416
        .value_kind:     by_value
      - .offset:         864
        .size:           416
        .value_kind:     by_value
      - .offset:         1280
        .size:           4
        .value_kind:     hidden_block_count_x
      - .offset:         1284
        .size:           4
        .value_kind:     hidden_block_count_y
      - .offset:         1288
        .size:           4
        .value_kind:     hidden_block_count_z
      - .offset:         1292
        .size:           2
        .value_kind:     hidden_group_size_x
      - .offset:         1294
        .size:           2
        .value_kind:     hidden_group_size_y
      - .offset:         1296
        .size:           2
        .value_kind:     hidden_group_size_z
      - .offset:         1298
        .size:           2
        .value_kind:     hidden_remainder_x
      - .offset:         1300
        .size:           2
        .value_kind:     hidden_remainder_y
      - .offset:         1302
        .size:           2
        .value_kind:     hidden_remainder_z
      - .offset:         1320
        .size:           8
        .value_kind:     hidden_global_offset_x
      - .offset:         1328
        .size:           8
        .value_kind:     hidden_global_offset_y
      - .offset:         1336
        .size:           8
        .value_kind:     hidden_global_offset_z
      - .offset:         1344
        .size:           2
        .value_kind:     hidden_grid_dims
    .group_segment_fixed_size: 5144
    .kernarg_segment_align: 8
    .kernarg_segment_size: 1536
    .language:       OpenCL C
    .language_version:
      - 2
      - 0
    .max_flat_workgroup_size: 1024
    .name:           _ZN2at6native12_GLOBAL__N_114gatherKthValueIslLi3EEEvNS_4cuda6detail10TensorInfoIKT_T0_EES8_S8_S8_S8_NS5_IS6_S8_EENS5_IlS8_EE
    .private_segment_fixed_size: 0
    .sgpr_count:     107
    .sgpr_spill_count: 12
    .symbol:         _ZN2at6native12_GLOBAL__N_114gatherKthValueIslLi3EEEvNS_4cuda6detail10TensorInfoIKT_T0_EES8_S8_S8_S8_NS5_IS6_S8_EENS5_IlS8_EE.kd
    .uniform_work_group_size: 1
    .uses_dynamic_stack: false
    .vgpr_count:     49
    .vgpr_spill_count: 0
    .wavefront_size: 32
    .workgroup_processor_mode: 1
  - .args:
      - .offset:         0
        .size:           416
        .value_kind:     by_value
      - .offset:         416
        .size:           8
        .value_kind:     by_value
      - .offset:         424
        .size:           8
        .value_kind:     by_value
      - .offset:         432
        .size:           8
        .value_kind:     by_value
      - .offset:         440
        .size:           8
        .value_kind:     by_value
      - .offset:         448
        .size:           416
        .value_kind:     by_value
      - .offset:         864
        .size:           416
        .value_kind:     by_value
      - .offset:         1280
        .size:           4
        .value_kind:     hidden_block_count_x
      - .offset:         1284
        .size:           4
        .value_kind:     hidden_block_count_y
      - .offset:         1288
        .size:           4
        .value_kind:     hidden_block_count_z
      - .offset:         1292
        .size:           2
        .value_kind:     hidden_group_size_x
      - .offset:         1294
        .size:           2
        .value_kind:     hidden_group_size_y
      - .offset:         1296
        .size:           2
        .value_kind:     hidden_group_size_z
      - .offset:         1298
        .size:           2
        .value_kind:     hidden_remainder_x
      - .offset:         1300
        .size:           2
        .value_kind:     hidden_remainder_y
      - .offset:         1302
        .size:           2
        .value_kind:     hidden_remainder_z
      - .offset:         1320
        .size:           8
        .value_kind:     hidden_global_offset_x
      - .offset:         1328
        .size:           8
        .value_kind:     hidden_global_offset_y
      - .offset:         1336
        .size:           8
        .value_kind:     hidden_global_offset_z
      - .offset:         1344
        .size:           2
        .value_kind:     hidden_grid_dims
    .group_segment_fixed_size: 5144
    .kernarg_segment_align: 8
    .kernarg_segment_size: 1536
    .language:       OpenCL C
    .language_version:
      - 2
      - 0
    .max_flat_workgroup_size: 1024
    .name:           _ZN2at6native12_GLOBAL__N_114gatherKthValueIslLin1EEEvNS_4cuda6detail10TensorInfoIKT_T0_EES8_S8_S8_S8_NS5_IS6_S8_EENS5_IlS8_EE
    .private_segment_fixed_size: 0
    .sgpr_count:     104
    .sgpr_spill_count: 0
    .symbol:         _ZN2at6native12_GLOBAL__N_114gatherKthValueIslLin1EEEvNS_4cuda6detail10TensorInfoIKT_T0_EES8_S8_S8_S8_NS5_IS6_S8_EENS5_IlS8_EE.kd
    .uniform_work_group_size: 1
    .uses_dynamic_stack: false
    .vgpr_count:     51
    .vgpr_spill_count: 0
    .wavefront_size: 32
    .workgroup_processor_mode: 1
  - .args:
      - .offset:         0
        .size:           216
        .value_kind:     by_value
      - .offset:         216
        .size:           4
        .value_kind:     by_value
      - .offset:         220
        .size:           4
        .value_kind:     by_value
      - .offset:         224
        .size:           4
        .value_kind:     by_value
      - .offset:         228
        .size:           4
        .value_kind:     by_value
      - .offset:         232
        .size:           216
        .value_kind:     by_value
      - .offset:         448
        .size:           216
        .value_kind:     by_value
      - .offset:         664
        .size:           4
        .value_kind:     hidden_block_count_x
      - .offset:         668
        .size:           4
        .value_kind:     hidden_block_count_y
      - .offset:         672
        .size:           4
        .value_kind:     hidden_block_count_z
      - .offset:         676
        .size:           2
        .value_kind:     hidden_group_size_x
      - .offset:         678
        .size:           2
        .value_kind:     hidden_group_size_y
      - .offset:         680
        .size:           2
        .value_kind:     hidden_group_size_z
      - .offset:         682
        .size:           2
        .value_kind:     hidden_remainder_x
      - .offset:         684
        .size:           2
        .value_kind:     hidden_remainder_y
      - .offset:         686
        .size:           2
        .value_kind:     hidden_remainder_z
      - .offset:         704
        .size:           8
        .value_kind:     hidden_global_offset_x
      - .offset:         712
        .size:           8
        .value_kind:     hidden_global_offset_y
      - .offset:         720
        .size:           8
        .value_kind:     hidden_global_offset_z
      - .offset:         728
        .size:           2
        .value_kind:     hidden_grid_dims
    .group_segment_fixed_size: 4112
    .kernarg_segment_align: 8
    .kernarg_segment_size: 920
    .language:       OpenCL C
    .language_version:
      - 2
      - 0
    .max_flat_workgroup_size: 1024
    .name:           _ZN2at6native12_GLOBAL__N_114gatherKthValueIdiLi1EEEvNS_4cuda6detail10TensorInfoIKT_T0_EES8_S8_S8_S8_NS5_IS6_S8_EENS5_IlS8_EE
    .private_segment_fixed_size: 0
    .sgpr_count:     86
    .sgpr_spill_count: 0
    .symbol:         _ZN2at6native12_GLOBAL__N_114gatherKthValueIdiLi1EEEvNS_4cuda6detail10TensorInfoIKT_T0_EES8_S8_S8_S8_NS5_IS6_S8_EENS5_IlS8_EE.kd
    .uniform_work_group_size: 1
    .uses_dynamic_stack: false
    .vgpr_count:     50
    .vgpr_spill_count: 0
    .wavefront_size: 32
    .workgroup_processor_mode: 1
  - .args:
      - .offset:         0
        .size:           216
        .value_kind:     by_value
      - .offset:         216
        .size:           4
        .value_kind:     by_value
      - .offset:         220
        .size:           4
        .value_kind:     by_value
      - .offset:         224
        .size:           4
        .value_kind:     by_value
      - .offset:         228
        .size:           4
        .value_kind:     by_value
      - .offset:         232
        .size:           216
        .value_kind:     by_value
      - .offset:         448
        .size:           216
        .value_kind:     by_value
      - .offset:         664
        .size:           4
        .value_kind:     hidden_block_count_x
      - .offset:         668
        .size:           4
        .value_kind:     hidden_block_count_y
      - .offset:         672
        .size:           4
        .value_kind:     hidden_block_count_z
      - .offset:         676
        .size:           2
        .value_kind:     hidden_group_size_x
      - .offset:         678
        .size:           2
        .value_kind:     hidden_group_size_y
      - .offset:         680
        .size:           2
        .value_kind:     hidden_group_size_z
      - .offset:         682
        .size:           2
        .value_kind:     hidden_remainder_x
      - .offset:         684
        .size:           2
        .value_kind:     hidden_remainder_y
      - .offset:         686
        .size:           2
        .value_kind:     hidden_remainder_z
      - .offset:         704
        .size:           8
        .value_kind:     hidden_global_offset_x
      - .offset:         712
        .size:           8
        .value_kind:     hidden_global_offset_y
      - .offset:         720
        .size:           8
        .value_kind:     hidden_global_offset_z
      - .offset:         728
        .size:           2
        .value_kind:     hidden_grid_dims
    .group_segment_fixed_size: 4112
    .kernarg_segment_align: 8
    .kernarg_segment_size: 920
    .language:       OpenCL C
    .language_version:
      - 2
      - 0
    .max_flat_workgroup_size: 1024
    .name:           _ZN2at6native12_GLOBAL__N_114gatherKthValueIdiLi2EEEvNS_4cuda6detail10TensorInfoIKT_T0_EES8_S8_S8_S8_NS5_IS6_S8_EENS5_IlS8_EE
    .private_segment_fixed_size: 0
    .sgpr_count:     98
    .sgpr_spill_count: 0
    .symbol:         _ZN2at6native12_GLOBAL__N_114gatherKthValueIdiLi2EEEvNS_4cuda6detail10TensorInfoIKT_T0_EES8_S8_S8_S8_NS5_IS6_S8_EENS5_IlS8_EE.kd
    .uniform_work_group_size: 1
    .uses_dynamic_stack: false
    .vgpr_count:     50
    .vgpr_spill_count: 0
    .wavefront_size: 32
    .workgroup_processor_mode: 1
  - .args:
      - .offset:         0
        .size:           216
        .value_kind:     by_value
      - .offset:         216
        .size:           4
        .value_kind:     by_value
      - .offset:         220
        .size:           4
        .value_kind:     by_value
      - .offset:         224
        .size:           4
        .value_kind:     by_value
      - .offset:         228
        .size:           4
        .value_kind:     by_value
      - .offset:         232
        .size:           216
        .value_kind:     by_value
      - .offset:         448
        .size:           216
        .value_kind:     by_value
      - .offset:         664
        .size:           4
        .value_kind:     hidden_block_count_x
      - .offset:         668
        .size:           4
        .value_kind:     hidden_block_count_y
      - .offset:         672
        .size:           4
        .value_kind:     hidden_block_count_z
      - .offset:         676
        .size:           2
        .value_kind:     hidden_group_size_x
      - .offset:         678
        .size:           2
        .value_kind:     hidden_group_size_y
      - .offset:         680
        .size:           2
        .value_kind:     hidden_group_size_z
      - .offset:         682
        .size:           2
        .value_kind:     hidden_remainder_x
      - .offset:         684
        .size:           2
        .value_kind:     hidden_remainder_y
      - .offset:         686
        .size:           2
        .value_kind:     hidden_remainder_z
      - .offset:         704
        .size:           8
        .value_kind:     hidden_global_offset_x
      - .offset:         712
        .size:           8
        .value_kind:     hidden_global_offset_y
      - .offset:         720
        .size:           8
        .value_kind:     hidden_global_offset_z
      - .offset:         728
        .size:           2
        .value_kind:     hidden_grid_dims
    .group_segment_fixed_size: 4112
    .kernarg_segment_align: 8
    .kernarg_segment_size: 920
    .language:       OpenCL C
    .language_version:
      - 2
      - 0
    .max_flat_workgroup_size: 1024
    .name:           _ZN2at6native12_GLOBAL__N_114gatherKthValueIdiLi3EEEvNS_4cuda6detail10TensorInfoIKT_T0_EES8_S8_S8_S8_NS5_IS6_S8_EENS5_IlS8_EE
    .private_segment_fixed_size: 0
    .sgpr_count:     106
    .sgpr_spill_count: 0
    .symbol:         _ZN2at6native12_GLOBAL__N_114gatherKthValueIdiLi3EEEvNS_4cuda6detail10TensorInfoIKT_T0_EES8_S8_S8_S8_NS5_IS6_S8_EENS5_IlS8_EE.kd
    .uniform_work_group_size: 1
    .uses_dynamic_stack: false
    .vgpr_count:     50
    .vgpr_spill_count: 0
    .wavefront_size: 32
    .workgroup_processor_mode: 1
  - .args:
      - .offset:         0
        .size:           216
        .value_kind:     by_value
      - .offset:         216
        .size:           4
        .value_kind:     by_value
      - .offset:         220
        .size:           4
        .value_kind:     by_value
      - .offset:         224
        .size:           4
        .value_kind:     by_value
      - .offset:         228
        .size:           4
        .value_kind:     by_value
      - .offset:         232
        .size:           216
        .value_kind:     by_value
      - .offset:         448
        .size:           216
        .value_kind:     by_value
      - .offset:         664
        .size:           4
        .value_kind:     hidden_block_count_x
      - .offset:         668
        .size:           4
        .value_kind:     hidden_block_count_y
      - .offset:         672
        .size:           4
        .value_kind:     hidden_block_count_z
      - .offset:         676
        .size:           2
        .value_kind:     hidden_group_size_x
      - .offset:         678
        .size:           2
        .value_kind:     hidden_group_size_y
      - .offset:         680
        .size:           2
        .value_kind:     hidden_group_size_z
      - .offset:         682
        .size:           2
        .value_kind:     hidden_remainder_x
      - .offset:         684
        .size:           2
        .value_kind:     hidden_remainder_y
      - .offset:         686
        .size:           2
        .value_kind:     hidden_remainder_z
      - .offset:         704
        .size:           8
        .value_kind:     hidden_global_offset_x
      - .offset:         712
        .size:           8
        .value_kind:     hidden_global_offset_y
      - .offset:         720
        .size:           8
        .value_kind:     hidden_global_offset_z
      - .offset:         728
        .size:           2
        .value_kind:     hidden_grid_dims
    .group_segment_fixed_size: 4112
    .kernarg_segment_align: 8
    .kernarg_segment_size: 920
    .language:       OpenCL C
    .language_version:
      - 2
      - 0
    .max_flat_workgroup_size: 1024
    .name:           _ZN2at6native12_GLOBAL__N_114gatherKthValueIdiLin1EEEvNS_4cuda6detail10TensorInfoIKT_T0_EES8_S8_S8_S8_NS5_IS6_S8_EENS5_IlS8_EE
    .private_segment_fixed_size: 0
    .sgpr_count:     89
    .sgpr_spill_count: 0
    .symbol:         _ZN2at6native12_GLOBAL__N_114gatherKthValueIdiLin1EEEvNS_4cuda6detail10TensorInfoIKT_T0_EES8_S8_S8_S8_NS5_IS6_S8_EENS5_IlS8_EE.kd
    .uniform_work_group_size: 1
    .uses_dynamic_stack: false
    .vgpr_count:     50
    .vgpr_spill_count: 0
    .wavefront_size: 32
    .workgroup_processor_mode: 1
  - .args:
      - .offset:         0
        .size:           416
        .value_kind:     by_value
      - .offset:         416
        .size:           8
        .value_kind:     by_value
      - .offset:         424
        .size:           8
        .value_kind:     by_value
      - .offset:         432
        .size:           8
        .value_kind:     by_value
      - .offset:         440
        .size:           8
        .value_kind:     by_value
      - .offset:         448
        .size:           416
        .value_kind:     by_value
      - .offset:         864
        .size:           416
        .value_kind:     by_value
      - .offset:         1280
        .size:           4
        .value_kind:     hidden_block_count_x
      - .offset:         1284
        .size:           4
        .value_kind:     hidden_block_count_y
      - .offset:         1288
        .size:           4
        .value_kind:     hidden_block_count_z
      - .offset:         1292
        .size:           2
        .value_kind:     hidden_group_size_x
      - .offset:         1294
        .size:           2
        .value_kind:     hidden_group_size_y
      - .offset:         1296
        .size:           2
        .value_kind:     hidden_group_size_z
      - .offset:         1298
        .size:           2
        .value_kind:     hidden_remainder_x
      - .offset:         1300
        .size:           2
        .value_kind:     hidden_remainder_y
      - .offset:         1302
        .size:           2
        .value_kind:     hidden_remainder_z
      - .offset:         1320
        .size:           8
        .value_kind:     hidden_global_offset_x
      - .offset:         1328
        .size:           8
        .value_kind:     hidden_global_offset_y
      - .offset:         1336
        .size:           8
        .value_kind:     hidden_global_offset_z
      - .offset:         1344
        .size:           2
        .value_kind:     hidden_grid_dims
    .group_segment_fixed_size: 5144
    .kernarg_segment_align: 8
    .kernarg_segment_size: 1536
    .language:       OpenCL C
    .language_version:
      - 2
      - 0
    .max_flat_workgroup_size: 1024
    .name:           _ZN2at6native12_GLOBAL__N_114gatherKthValueIdlLi1EEEvNS_4cuda6detail10TensorInfoIKT_T0_EES8_S8_S8_S8_NS5_IS6_S8_EENS5_IlS8_EE
    .private_segment_fixed_size: 0
    .sgpr_count:     98
    .sgpr_spill_count: 0
    .symbol:         _ZN2at6native12_GLOBAL__N_114gatherKthValueIdlLi1EEEvNS_4cuda6detail10TensorInfoIKT_T0_EES8_S8_S8_S8_NS5_IS6_S8_EENS5_IlS8_EE.kd
    .uniform_work_group_size: 1
    .uses_dynamic_stack: false
    .vgpr_count:     58
    .vgpr_spill_count: 0
    .wavefront_size: 32
    .workgroup_processor_mode: 1
  - .args:
      - .offset:         0
        .size:           416
        .value_kind:     by_value
      - .offset:         416
        .size:           8
        .value_kind:     by_value
      - .offset:         424
        .size:           8
        .value_kind:     by_value
      - .offset:         432
        .size:           8
        .value_kind:     by_value
      - .offset:         440
        .size:           8
        .value_kind:     by_value
      - .offset:         448
        .size:           416
        .value_kind:     by_value
      - .offset:         864
        .size:           416
        .value_kind:     by_value
      - .offset:         1280
        .size:           4
        .value_kind:     hidden_block_count_x
      - .offset:         1284
        .size:           4
        .value_kind:     hidden_block_count_y
      - .offset:         1288
        .size:           4
        .value_kind:     hidden_block_count_z
      - .offset:         1292
        .size:           2
        .value_kind:     hidden_group_size_x
      - .offset:         1294
        .size:           2
        .value_kind:     hidden_group_size_y
      - .offset:         1296
        .size:           2
        .value_kind:     hidden_group_size_z
      - .offset:         1298
        .size:           2
        .value_kind:     hidden_remainder_x
      - .offset:         1300
        .size:           2
        .value_kind:     hidden_remainder_y
      - .offset:         1302
        .size:           2
        .value_kind:     hidden_remainder_z
      - .offset:         1320
        .size:           8
        .value_kind:     hidden_global_offset_x
      - .offset:         1328
        .size:           8
        .value_kind:     hidden_global_offset_y
      - .offset:         1336
        .size:           8
        .value_kind:     hidden_global_offset_z
      - .offset:         1344
        .size:           2
        .value_kind:     hidden_grid_dims
    .group_segment_fixed_size: 5144
    .kernarg_segment_align: 8
    .kernarg_segment_size: 1536
    .language:       OpenCL C
    .language_version:
      - 2
      - 0
    .max_flat_workgroup_size: 1024
    .name:           _ZN2at6native12_GLOBAL__N_114gatherKthValueIdlLi2EEEvNS_4cuda6detail10TensorInfoIKT_T0_EES8_S8_S8_S8_NS5_IS6_S8_EENS5_IlS8_EE
    .private_segment_fixed_size: 0
    .sgpr_count:     106
    .sgpr_spill_count: 0
    .symbol:         _ZN2at6native12_GLOBAL__N_114gatherKthValueIdlLi2EEEvNS_4cuda6detail10TensorInfoIKT_T0_EES8_S8_S8_S8_NS5_IS6_S8_EENS5_IlS8_EE.kd
    .uniform_work_group_size: 1
    .uses_dynamic_stack: false
    .vgpr_count:     62
    .vgpr_spill_count: 0
    .wavefront_size: 32
    .workgroup_processor_mode: 1
  - .args:
      - .offset:         0
        .size:           416
        .value_kind:     by_value
      - .offset:         416
        .size:           8
        .value_kind:     by_value
      - .offset:         424
        .size:           8
        .value_kind:     by_value
      - .offset:         432
        .size:           8
        .value_kind:     by_value
      - .offset:         440
        .size:           8
        .value_kind:     by_value
      - .offset:         448
        .size:           416
        .value_kind:     by_value
      - .offset:         864
        .size:           416
        .value_kind:     by_value
      - .offset:         1280
        .size:           4
        .value_kind:     hidden_block_count_x
      - .offset:         1284
        .size:           4
        .value_kind:     hidden_block_count_y
      - .offset:         1288
        .size:           4
        .value_kind:     hidden_block_count_z
      - .offset:         1292
        .size:           2
        .value_kind:     hidden_group_size_x
      - .offset:         1294
        .size:           2
        .value_kind:     hidden_group_size_y
      - .offset:         1296
        .size:           2
        .value_kind:     hidden_group_size_z
      - .offset:         1298
        .size:           2
        .value_kind:     hidden_remainder_x
      - .offset:         1300
        .size:           2
        .value_kind:     hidden_remainder_y
      - .offset:         1302
        .size:           2
        .value_kind:     hidden_remainder_z
      - .offset:         1320
        .size:           8
        .value_kind:     hidden_global_offset_x
      - .offset:         1328
        .size:           8
        .value_kind:     hidden_global_offset_y
      - .offset:         1336
        .size:           8
        .value_kind:     hidden_global_offset_z
      - .offset:         1344
        .size:           2
        .value_kind:     hidden_grid_dims
    .group_segment_fixed_size: 5144
    .kernarg_segment_align: 8
    .kernarg_segment_size: 1536
    .language:       OpenCL C
    .language_version:
      - 2
      - 0
    .max_flat_workgroup_size: 1024
    .name:           _ZN2at6native12_GLOBAL__N_114gatherKthValueIdlLi3EEEvNS_4cuda6detail10TensorInfoIKT_T0_EES8_S8_S8_S8_NS5_IS6_S8_EENS5_IlS8_EE
    .private_segment_fixed_size: 0
    .sgpr_count:     107
    .sgpr_spill_count: 12
    .symbol:         _ZN2at6native12_GLOBAL__N_114gatherKthValueIdlLi3EEEvNS_4cuda6detail10TensorInfoIKT_T0_EES8_S8_S8_S8_NS5_IS6_S8_EENS5_IlS8_EE.kd
    .uniform_work_group_size: 1
    .uses_dynamic_stack: false
    .vgpr_count:     53
    .vgpr_spill_count: 0
    .wavefront_size: 32
    .workgroup_processor_mode: 1
  - .args:
      - .offset:         0
        .size:           416
        .value_kind:     by_value
      - .offset:         416
        .size:           8
        .value_kind:     by_value
      - .offset:         424
        .size:           8
        .value_kind:     by_value
      - .offset:         432
        .size:           8
        .value_kind:     by_value
      - .offset:         440
        .size:           8
        .value_kind:     by_value
      - .offset:         448
        .size:           416
        .value_kind:     by_value
      - .offset:         864
        .size:           416
        .value_kind:     by_value
      - .offset:         1280
        .size:           4
        .value_kind:     hidden_block_count_x
      - .offset:         1284
        .size:           4
        .value_kind:     hidden_block_count_y
      - .offset:         1288
        .size:           4
        .value_kind:     hidden_block_count_z
      - .offset:         1292
        .size:           2
        .value_kind:     hidden_group_size_x
      - .offset:         1294
        .size:           2
        .value_kind:     hidden_group_size_y
      - .offset:         1296
        .size:           2
        .value_kind:     hidden_group_size_z
      - .offset:         1298
        .size:           2
        .value_kind:     hidden_remainder_x
      - .offset:         1300
        .size:           2
        .value_kind:     hidden_remainder_y
      - .offset:         1302
        .size:           2
        .value_kind:     hidden_remainder_z
      - .offset:         1320
        .size:           8
        .value_kind:     hidden_global_offset_x
      - .offset:         1328
        .size:           8
        .value_kind:     hidden_global_offset_y
      - .offset:         1336
        .size:           8
        .value_kind:     hidden_global_offset_z
      - .offset:         1344
        .size:           2
        .value_kind:     hidden_grid_dims
    .group_segment_fixed_size: 5144
    .kernarg_segment_align: 8
    .kernarg_segment_size: 1536
    .language:       OpenCL C
    .language_version:
      - 2
      - 0
    .max_flat_workgroup_size: 1024
    .name:           _ZN2at6native12_GLOBAL__N_114gatherKthValueIdlLin1EEEvNS_4cuda6detail10TensorInfoIKT_T0_EES8_S8_S8_S8_NS5_IS6_S8_EENS5_IlS8_EE
    .private_segment_fixed_size: 0
    .sgpr_count:     107
    .sgpr_spill_count: 0
    .symbol:         _ZN2at6native12_GLOBAL__N_114gatherKthValueIdlLin1EEEvNS_4cuda6detail10TensorInfoIKT_T0_EES8_S8_S8_S8_NS5_IS6_S8_EENS5_IlS8_EE.kd
    .uniform_work_group_size: 1
    .uses_dynamic_stack: false
    .vgpr_count:     68
    .vgpr_spill_count: 0
    .wavefront_size: 32
    .workgroup_processor_mode: 1
  - .args:
      - .offset:         0
        .size:           216
        .value_kind:     by_value
      - .offset:         216
        .size:           4
        .value_kind:     by_value
      - .offset:         220
        .size:           4
        .value_kind:     by_value
      - .offset:         224
        .size:           4
        .value_kind:     by_value
      - .offset:         228
        .size:           4
        .value_kind:     by_value
      - .offset:         232
        .size:           216
        .value_kind:     by_value
      - .offset:         448
        .size:           216
        .value_kind:     by_value
      - .offset:         664
        .size:           4
        .value_kind:     hidden_block_count_x
      - .offset:         668
        .size:           4
        .value_kind:     hidden_block_count_y
      - .offset:         672
        .size:           4
        .value_kind:     hidden_block_count_z
      - .offset:         676
        .size:           2
        .value_kind:     hidden_group_size_x
      - .offset:         678
        .size:           2
        .value_kind:     hidden_group_size_y
      - .offset:         680
        .size:           2
        .value_kind:     hidden_group_size_z
      - .offset:         682
        .size:           2
        .value_kind:     hidden_remainder_x
      - .offset:         684
        .size:           2
        .value_kind:     hidden_remainder_y
      - .offset:         686
        .size:           2
        .value_kind:     hidden_remainder_z
      - .offset:         704
        .size:           8
        .value_kind:     hidden_global_offset_x
      - .offset:         712
        .size:           8
        .value_kind:     hidden_global_offset_y
      - .offset:         720
        .size:           8
        .value_kind:     hidden_global_offset_z
      - .offset:         728
        .size:           2
        .value_kind:     hidden_grid_dims
    .group_segment_fixed_size: 4112
    .kernarg_segment_align: 8
    .kernarg_segment_size: 920
    .language:       OpenCL C
    .language_version:
      - 2
      - 0
    .max_flat_workgroup_size: 1024
    .name:           _ZN2at6native12_GLOBAL__N_114gatherKthValueIfiLi1EEEvNS_4cuda6detail10TensorInfoIKT_T0_EES8_S8_S8_S8_NS5_IS6_S8_EENS5_IlS8_EE
    .private_segment_fixed_size: 0
    .sgpr_count:     83
    .sgpr_spill_count: 0
    .symbol:         _ZN2at6native12_GLOBAL__N_114gatherKthValueIfiLi1EEEvNS_4cuda6detail10TensorInfoIKT_T0_EES8_S8_S8_S8_NS5_IS6_S8_EENS5_IlS8_EE.kd
    .uniform_work_group_size: 1
    .uses_dynamic_stack: false
    .vgpr_count:     40
    .vgpr_spill_count: 0
    .wavefront_size: 32
    .workgroup_processor_mode: 1
  - .args:
      - .offset:         0
        .size:           216
        .value_kind:     by_value
      - .offset:         216
        .size:           4
        .value_kind:     by_value
      - .offset:         220
        .size:           4
        .value_kind:     by_value
      - .offset:         224
        .size:           4
        .value_kind:     by_value
      - .offset:         228
        .size:           4
        .value_kind:     by_value
      - .offset:         232
        .size:           216
        .value_kind:     by_value
      - .offset:         448
        .size:           216
        .value_kind:     by_value
      - .offset:         664
        .size:           4
        .value_kind:     hidden_block_count_x
      - .offset:         668
        .size:           4
        .value_kind:     hidden_block_count_y
      - .offset:         672
        .size:           4
        .value_kind:     hidden_block_count_z
      - .offset:         676
        .size:           2
        .value_kind:     hidden_group_size_x
      - .offset:         678
        .size:           2
        .value_kind:     hidden_group_size_y
      - .offset:         680
        .size:           2
        .value_kind:     hidden_group_size_z
      - .offset:         682
        .size:           2
        .value_kind:     hidden_remainder_x
      - .offset:         684
        .size:           2
        .value_kind:     hidden_remainder_y
      - .offset:         686
        .size:           2
        .value_kind:     hidden_remainder_z
      - .offset:         704
        .size:           8
        .value_kind:     hidden_global_offset_x
      - .offset:         712
        .size:           8
        .value_kind:     hidden_global_offset_y
      - .offset:         720
        .size:           8
        .value_kind:     hidden_global_offset_z
      - .offset:         728
        .size:           2
        .value_kind:     hidden_grid_dims
    .group_segment_fixed_size: 4112
    .kernarg_segment_align: 8
    .kernarg_segment_size: 920
    .language:       OpenCL C
    .language_version:
      - 2
      - 0
    .max_flat_workgroup_size: 1024
    .name:           _ZN2at6native12_GLOBAL__N_114gatherKthValueIfiLi2EEEvNS_4cuda6detail10TensorInfoIKT_T0_EES8_S8_S8_S8_NS5_IS6_S8_EENS5_IlS8_EE
    .private_segment_fixed_size: 0
    .sgpr_count:     95
    .sgpr_spill_count: 0
    .symbol:         _ZN2at6native12_GLOBAL__N_114gatherKthValueIfiLi2EEEvNS_4cuda6detail10TensorInfoIKT_T0_EES8_S8_S8_S8_NS5_IS6_S8_EENS5_IlS8_EE.kd
    .uniform_work_group_size: 1
    .uses_dynamic_stack: false
    .vgpr_count:     40
    .vgpr_spill_count: 0
    .wavefront_size: 32
    .workgroup_processor_mode: 1
  - .args:
      - .offset:         0
        .size:           216
        .value_kind:     by_value
      - .offset:         216
        .size:           4
        .value_kind:     by_value
      - .offset:         220
        .size:           4
        .value_kind:     by_value
      - .offset:         224
        .size:           4
        .value_kind:     by_value
      - .offset:         228
        .size:           4
        .value_kind:     by_value
      - .offset:         232
        .size:           216
        .value_kind:     by_value
      - .offset:         448
        .size:           216
        .value_kind:     by_value
      - .offset:         664
        .size:           4
        .value_kind:     hidden_block_count_x
      - .offset:         668
        .size:           4
        .value_kind:     hidden_block_count_y
      - .offset:         672
        .size:           4
        .value_kind:     hidden_block_count_z
      - .offset:         676
        .size:           2
        .value_kind:     hidden_group_size_x
      - .offset:         678
        .size:           2
        .value_kind:     hidden_group_size_y
      - .offset:         680
        .size:           2
        .value_kind:     hidden_group_size_z
      - .offset:         682
        .size:           2
        .value_kind:     hidden_remainder_x
      - .offset:         684
        .size:           2
        .value_kind:     hidden_remainder_y
      - .offset:         686
        .size:           2
        .value_kind:     hidden_remainder_z
      - .offset:         704
        .size:           8
        .value_kind:     hidden_global_offset_x
      - .offset:         712
        .size:           8
        .value_kind:     hidden_global_offset_y
      - .offset:         720
        .size:           8
        .value_kind:     hidden_global_offset_z
      - .offset:         728
        .size:           2
        .value_kind:     hidden_grid_dims
    .group_segment_fixed_size: 4112
    .kernarg_segment_align: 8
    .kernarg_segment_size: 920
    .language:       OpenCL C
    .language_version:
      - 2
      - 0
    .max_flat_workgroup_size: 1024
    .name:           _ZN2at6native12_GLOBAL__N_114gatherKthValueIfiLi3EEEvNS_4cuda6detail10TensorInfoIKT_T0_EES8_S8_S8_S8_NS5_IS6_S8_EENS5_IlS8_EE
    .private_segment_fixed_size: 0
    .sgpr_count:     103
    .sgpr_spill_count: 0
    .symbol:         _ZN2at6native12_GLOBAL__N_114gatherKthValueIfiLi3EEEvNS_4cuda6detail10TensorInfoIKT_T0_EES8_S8_S8_S8_NS5_IS6_S8_EENS5_IlS8_EE.kd
    .uniform_work_group_size: 1
    .uses_dynamic_stack: false
    .vgpr_count:     40
    .vgpr_spill_count: 0
    .wavefront_size: 32
    .workgroup_processor_mode: 1
  - .args:
      - .offset:         0
        .size:           216
        .value_kind:     by_value
      - .offset:         216
        .size:           4
        .value_kind:     by_value
      - .offset:         220
        .size:           4
        .value_kind:     by_value
      - .offset:         224
        .size:           4
        .value_kind:     by_value
      - .offset:         228
        .size:           4
        .value_kind:     by_value
      - .offset:         232
        .size:           216
        .value_kind:     by_value
      - .offset:         448
        .size:           216
        .value_kind:     by_value
      - .offset:         664
        .size:           4
        .value_kind:     hidden_block_count_x
      - .offset:         668
        .size:           4
        .value_kind:     hidden_block_count_y
      - .offset:         672
        .size:           4
        .value_kind:     hidden_block_count_z
      - .offset:         676
        .size:           2
        .value_kind:     hidden_group_size_x
      - .offset:         678
        .size:           2
        .value_kind:     hidden_group_size_y
      - .offset:         680
        .size:           2
        .value_kind:     hidden_group_size_z
      - .offset:         682
        .size:           2
        .value_kind:     hidden_remainder_x
      - .offset:         684
        .size:           2
        .value_kind:     hidden_remainder_y
      - .offset:         686
        .size:           2
        .value_kind:     hidden_remainder_z
      - .offset:         704
        .size:           8
        .value_kind:     hidden_global_offset_x
      - .offset:         712
        .size:           8
        .value_kind:     hidden_global_offset_y
      - .offset:         720
        .size:           8
        .value_kind:     hidden_global_offset_z
      - .offset:         728
        .size:           2
        .value_kind:     hidden_grid_dims
    .group_segment_fixed_size: 4112
    .kernarg_segment_align: 8
    .kernarg_segment_size: 920
    .language:       OpenCL C
    .language_version:
      - 2
      - 0
    .max_flat_workgroup_size: 1024
    .name:           _ZN2at6native12_GLOBAL__N_114gatherKthValueIfiLin1EEEvNS_4cuda6detail10TensorInfoIKT_T0_EES8_S8_S8_S8_NS5_IS6_S8_EENS5_IlS8_EE
    .private_segment_fixed_size: 0
    .sgpr_count:     86
    .sgpr_spill_count: 0
    .symbol:         _ZN2at6native12_GLOBAL__N_114gatherKthValueIfiLin1EEEvNS_4cuda6detail10TensorInfoIKT_T0_EES8_S8_S8_S8_NS5_IS6_S8_EENS5_IlS8_EE.kd
    .uniform_work_group_size: 1
    .uses_dynamic_stack: false
    .vgpr_count:     40
    .vgpr_spill_count: 0
    .wavefront_size: 32
    .workgroup_processor_mode: 1
  - .args:
      - .offset:         0
        .size:           416
        .value_kind:     by_value
      - .offset:         416
        .size:           8
        .value_kind:     by_value
      - .offset:         424
        .size:           8
        .value_kind:     by_value
      - .offset:         432
        .size:           8
        .value_kind:     by_value
      - .offset:         440
        .size:           8
        .value_kind:     by_value
      - .offset:         448
        .size:           416
        .value_kind:     by_value
      - .offset:         864
        .size:           416
        .value_kind:     by_value
      - .offset:         1280
        .size:           4
        .value_kind:     hidden_block_count_x
      - .offset:         1284
        .size:           4
        .value_kind:     hidden_block_count_y
      - .offset:         1288
        .size:           4
        .value_kind:     hidden_block_count_z
      - .offset:         1292
        .size:           2
        .value_kind:     hidden_group_size_x
      - .offset:         1294
        .size:           2
        .value_kind:     hidden_group_size_y
      - .offset:         1296
        .size:           2
        .value_kind:     hidden_group_size_z
      - .offset:         1298
        .size:           2
        .value_kind:     hidden_remainder_x
      - .offset:         1300
        .size:           2
        .value_kind:     hidden_remainder_y
      - .offset:         1302
        .size:           2
        .value_kind:     hidden_remainder_z
      - .offset:         1320
        .size:           8
        .value_kind:     hidden_global_offset_x
      - .offset:         1328
        .size:           8
        .value_kind:     hidden_global_offset_y
      - .offset:         1336
        .size:           8
        .value_kind:     hidden_global_offset_z
      - .offset:         1344
        .size:           2
        .value_kind:     hidden_grid_dims
    .group_segment_fixed_size: 5144
    .kernarg_segment_align: 8
    .kernarg_segment_size: 1536
    .language:       OpenCL C
    .language_version:
      - 2
      - 0
    .max_flat_workgroup_size: 1024
    .name:           _ZN2at6native12_GLOBAL__N_114gatherKthValueIflLi1EEEvNS_4cuda6detail10TensorInfoIKT_T0_EES8_S8_S8_S8_NS5_IS6_S8_EENS5_IlS8_EE
    .private_segment_fixed_size: 0
    .sgpr_count:     96
    .sgpr_spill_count: 0
    .symbol:         _ZN2at6native12_GLOBAL__N_114gatherKthValueIflLi1EEEvNS_4cuda6detail10TensorInfoIKT_T0_EES8_S8_S8_S8_NS5_IS6_S8_EENS5_IlS8_EE.kd
    .uniform_work_group_size: 1
    .uses_dynamic_stack: false
    .vgpr_count:     46
    .vgpr_spill_count: 0
    .wavefront_size: 32
    .workgroup_processor_mode: 1
  - .args:
      - .offset:         0
        .size:           416
        .value_kind:     by_value
      - .offset:         416
        .size:           8
        .value_kind:     by_value
      - .offset:         424
        .size:           8
        .value_kind:     by_value
      - .offset:         432
        .size:           8
        .value_kind:     by_value
      - .offset:         440
        .size:           8
        .value_kind:     by_value
      - .offset:         448
        .size:           416
        .value_kind:     by_value
      - .offset:         864
        .size:           416
        .value_kind:     by_value
      - .offset:         1280
        .size:           4
        .value_kind:     hidden_block_count_x
      - .offset:         1284
        .size:           4
        .value_kind:     hidden_block_count_y
      - .offset:         1288
        .size:           4
        .value_kind:     hidden_block_count_z
      - .offset:         1292
        .size:           2
        .value_kind:     hidden_group_size_x
      - .offset:         1294
        .size:           2
        .value_kind:     hidden_group_size_y
      - .offset:         1296
        .size:           2
        .value_kind:     hidden_group_size_z
      - .offset:         1298
        .size:           2
        .value_kind:     hidden_remainder_x
      - .offset:         1300
        .size:           2
        .value_kind:     hidden_remainder_y
      - .offset:         1302
        .size:           2
        .value_kind:     hidden_remainder_z
      - .offset:         1320
        .size:           8
        .value_kind:     hidden_global_offset_x
      - .offset:         1328
        .size:           8
        .value_kind:     hidden_global_offset_y
      - .offset:         1336
        .size:           8
        .value_kind:     hidden_global_offset_z
      - .offset:         1344
        .size:           2
        .value_kind:     hidden_grid_dims
    .group_segment_fixed_size: 5144
    .kernarg_segment_align: 8
    .kernarg_segment_size: 1536
    .language:       OpenCL C
    .language_version:
      - 2
      - 0
    .max_flat_workgroup_size: 1024
    .name:           _ZN2at6native12_GLOBAL__N_114gatherKthValueIflLi2EEEvNS_4cuda6detail10TensorInfoIKT_T0_EES8_S8_S8_S8_NS5_IS6_S8_EENS5_IlS8_EE
    .private_segment_fixed_size: 0
    .sgpr_count:     104
    .sgpr_spill_count: 0
    .symbol:         _ZN2at6native12_GLOBAL__N_114gatherKthValueIflLi2EEEvNS_4cuda6detail10TensorInfoIKT_T0_EES8_S8_S8_S8_NS5_IS6_S8_EENS5_IlS8_EE.kd
    .uniform_work_group_size: 1
    .uses_dynamic_stack: false
    .vgpr_count:     46
    .vgpr_spill_count: 0
    .wavefront_size: 32
    .workgroup_processor_mode: 1
  - .args:
      - .offset:         0
        .size:           416
        .value_kind:     by_value
      - .offset:         416
        .size:           8
        .value_kind:     by_value
      - .offset:         424
        .size:           8
        .value_kind:     by_value
      - .offset:         432
        .size:           8
        .value_kind:     by_value
      - .offset:         440
        .size:           8
        .value_kind:     by_value
      - .offset:         448
        .size:           416
        .value_kind:     by_value
      - .offset:         864
        .size:           416
        .value_kind:     by_value
      - .offset:         1280
        .size:           4
        .value_kind:     hidden_block_count_x
      - .offset:         1284
        .size:           4
        .value_kind:     hidden_block_count_y
      - .offset:         1288
        .size:           4
        .value_kind:     hidden_block_count_z
      - .offset:         1292
        .size:           2
        .value_kind:     hidden_group_size_x
      - .offset:         1294
        .size:           2
        .value_kind:     hidden_group_size_y
      - .offset:         1296
        .size:           2
        .value_kind:     hidden_group_size_z
      - .offset:         1298
        .size:           2
        .value_kind:     hidden_remainder_x
      - .offset:         1300
        .size:           2
        .value_kind:     hidden_remainder_y
      - .offset:         1302
        .size:           2
        .value_kind:     hidden_remainder_z
      - .offset:         1320
        .size:           8
        .value_kind:     hidden_global_offset_x
      - .offset:         1328
        .size:           8
        .value_kind:     hidden_global_offset_y
      - .offset:         1336
        .size:           8
        .value_kind:     hidden_global_offset_z
      - .offset:         1344
        .size:           2
        .value_kind:     hidden_grid_dims
    .group_segment_fixed_size: 5144
    .kernarg_segment_align: 8
    .kernarg_segment_size: 1536
    .language:       OpenCL C
    .language_version:
      - 2
      - 0
    .max_flat_workgroup_size: 1024
    .name:           _ZN2at6native12_GLOBAL__N_114gatherKthValueIflLi3EEEvNS_4cuda6detail10TensorInfoIKT_T0_EES8_S8_S8_S8_NS5_IS6_S8_EENS5_IlS8_EE
    .private_segment_fixed_size: 0
    .sgpr_count:     107
    .sgpr_spill_count: 12
    .symbol:         _ZN2at6native12_GLOBAL__N_114gatherKthValueIflLi3EEEvNS_4cuda6detail10TensorInfoIKT_T0_EES8_S8_S8_S8_NS5_IS6_S8_EENS5_IlS8_EE.kd
    .uniform_work_group_size: 1
    .uses_dynamic_stack: false
    .vgpr_count:     49
    .vgpr_spill_count: 0
    .wavefront_size: 32
    .workgroup_processor_mode: 1
  - .args:
      - .offset:         0
        .size:           416
        .value_kind:     by_value
      - .offset:         416
        .size:           8
        .value_kind:     by_value
      - .offset:         424
        .size:           8
        .value_kind:     by_value
      - .offset:         432
        .size:           8
        .value_kind:     by_value
      - .offset:         440
        .size:           8
        .value_kind:     by_value
      - .offset:         448
        .size:           416
        .value_kind:     by_value
      - .offset:         864
        .size:           416
        .value_kind:     by_value
      - .offset:         1280
        .size:           4
        .value_kind:     hidden_block_count_x
      - .offset:         1284
        .size:           4
        .value_kind:     hidden_block_count_y
      - .offset:         1288
        .size:           4
        .value_kind:     hidden_block_count_z
      - .offset:         1292
        .size:           2
        .value_kind:     hidden_group_size_x
      - .offset:         1294
        .size:           2
        .value_kind:     hidden_group_size_y
      - .offset:         1296
        .size:           2
        .value_kind:     hidden_group_size_z
      - .offset:         1298
        .size:           2
        .value_kind:     hidden_remainder_x
      - .offset:         1300
        .size:           2
        .value_kind:     hidden_remainder_y
      - .offset:         1302
        .size:           2
        .value_kind:     hidden_remainder_z
      - .offset:         1320
        .size:           8
        .value_kind:     hidden_global_offset_x
      - .offset:         1328
        .size:           8
        .value_kind:     hidden_global_offset_y
      - .offset:         1336
        .size:           8
        .value_kind:     hidden_global_offset_z
      - .offset:         1344
        .size:           2
        .value_kind:     hidden_grid_dims
    .group_segment_fixed_size: 5144
    .kernarg_segment_align: 8
    .kernarg_segment_size: 1536
    .language:       OpenCL C
    .language_version:
      - 2
      - 0
    .max_flat_workgroup_size: 1024
    .name:           _ZN2at6native12_GLOBAL__N_114gatherKthValueIflLin1EEEvNS_4cuda6detail10TensorInfoIKT_T0_EES8_S8_S8_S8_NS5_IS6_S8_EENS5_IlS8_EE
    .private_segment_fixed_size: 0
    .sgpr_count:     105
    .sgpr_spill_count: 0
    .symbol:         _ZN2at6native12_GLOBAL__N_114gatherKthValueIflLin1EEEvNS_4cuda6detail10TensorInfoIKT_T0_EES8_S8_S8_S8_NS5_IS6_S8_EENS5_IlS8_EE.kd
    .uniform_work_group_size: 1
    .uses_dynamic_stack: false
    .vgpr_count:     52
    .vgpr_spill_count: 0
    .wavefront_size: 32
    .workgroup_processor_mode: 1
  - .args:
      - .offset:         0
        .size:           216
        .value_kind:     by_value
      - .offset:         216
        .size:           4
        .value_kind:     by_value
      - .offset:         220
        .size:           4
        .value_kind:     by_value
      - .offset:         224
        .size:           4
        .value_kind:     by_value
      - .offset:         228
        .size:           4
        .value_kind:     by_value
      - .offset:         232
        .size:           216
        .value_kind:     by_value
      - .offset:         448
        .size:           216
        .value_kind:     by_value
      - .offset:         664
        .size:           4
        .value_kind:     hidden_block_count_x
      - .offset:         668
        .size:           4
        .value_kind:     hidden_block_count_y
      - .offset:         672
        .size:           4
        .value_kind:     hidden_block_count_z
      - .offset:         676
        .size:           2
        .value_kind:     hidden_group_size_x
      - .offset:         678
        .size:           2
        .value_kind:     hidden_group_size_y
      - .offset:         680
        .size:           2
        .value_kind:     hidden_group_size_z
      - .offset:         682
        .size:           2
        .value_kind:     hidden_remainder_x
      - .offset:         684
        .size:           2
        .value_kind:     hidden_remainder_y
      - .offset:         686
        .size:           2
        .value_kind:     hidden_remainder_z
      - .offset:         704
        .size:           8
        .value_kind:     hidden_global_offset_x
      - .offset:         712
        .size:           8
        .value_kind:     hidden_global_offset_y
      - .offset:         720
        .size:           8
        .value_kind:     hidden_global_offset_z
      - .offset:         728
        .size:           2
        .value_kind:     hidden_grid_dims
    .group_segment_fixed_size: 4112
    .kernarg_segment_align: 8
    .kernarg_segment_size: 920
    .language:       OpenCL C
    .language_version:
      - 2
      - 0
    .max_flat_workgroup_size: 1024
    .name:           _ZN2at6native12_GLOBAL__N_114gatherKthValueIN3c104HalfEiLi1EEEvNS_4cuda6detail10TensorInfoIKT_T0_EESA_SA_SA_SA_NS7_IS8_SA_EENS7_IlSA_EE
    .private_segment_fixed_size: 0
    .sgpr_count:     85
    .sgpr_spill_count: 0
    .symbol:         _ZN2at6native12_GLOBAL__N_114gatherKthValueIN3c104HalfEiLi1EEEvNS_4cuda6detail10TensorInfoIKT_T0_EESA_SA_SA_SA_NS7_IS8_SA_EENS7_IlSA_EE.kd
    .uniform_work_group_size: 1
    .uses_dynamic_stack: false
    .vgpr_count:     40
    .vgpr_spill_count: 0
    .wavefront_size: 32
    .workgroup_processor_mode: 1
  - .args:
      - .offset:         0
        .size:           216
        .value_kind:     by_value
      - .offset:         216
        .size:           4
        .value_kind:     by_value
      - .offset:         220
        .size:           4
        .value_kind:     by_value
      - .offset:         224
        .size:           4
        .value_kind:     by_value
      - .offset:         228
        .size:           4
        .value_kind:     by_value
      - .offset:         232
        .size:           216
        .value_kind:     by_value
      - .offset:         448
        .size:           216
        .value_kind:     by_value
      - .offset:         664
        .size:           4
        .value_kind:     hidden_block_count_x
      - .offset:         668
        .size:           4
        .value_kind:     hidden_block_count_y
      - .offset:         672
        .size:           4
        .value_kind:     hidden_block_count_z
      - .offset:         676
        .size:           2
        .value_kind:     hidden_group_size_x
      - .offset:         678
        .size:           2
        .value_kind:     hidden_group_size_y
      - .offset:         680
        .size:           2
        .value_kind:     hidden_group_size_z
      - .offset:         682
        .size:           2
        .value_kind:     hidden_remainder_x
      - .offset:         684
        .size:           2
        .value_kind:     hidden_remainder_y
      - .offset:         686
        .size:           2
        .value_kind:     hidden_remainder_z
      - .offset:         704
        .size:           8
        .value_kind:     hidden_global_offset_x
      - .offset:         712
        .size:           8
        .value_kind:     hidden_global_offset_y
      - .offset:         720
        .size:           8
        .value_kind:     hidden_global_offset_z
      - .offset:         728
        .size:           2
        .value_kind:     hidden_grid_dims
    .group_segment_fixed_size: 4112
    .kernarg_segment_align: 8
    .kernarg_segment_size: 920
    .language:       OpenCL C
    .language_version:
      - 2
      - 0
    .max_flat_workgroup_size: 1024
    .name:           _ZN2at6native12_GLOBAL__N_114gatherKthValueIN3c104HalfEiLi2EEEvNS_4cuda6detail10TensorInfoIKT_T0_EESA_SA_SA_SA_NS7_IS8_SA_EENS7_IlSA_EE
    .private_segment_fixed_size: 0
    .sgpr_count:     97
    .sgpr_spill_count: 0
    .symbol:         _ZN2at6native12_GLOBAL__N_114gatherKthValueIN3c104HalfEiLi2EEEvNS_4cuda6detail10TensorInfoIKT_T0_EESA_SA_SA_SA_NS7_IS8_SA_EENS7_IlSA_EE.kd
    .uniform_work_group_size: 1
    .uses_dynamic_stack: false
    .vgpr_count:     40
    .vgpr_spill_count: 0
    .wavefront_size: 32
    .workgroup_processor_mode: 1
  - .args:
      - .offset:         0
        .size:           216
        .value_kind:     by_value
      - .offset:         216
        .size:           4
        .value_kind:     by_value
      - .offset:         220
        .size:           4
        .value_kind:     by_value
      - .offset:         224
        .size:           4
        .value_kind:     by_value
      - .offset:         228
        .size:           4
        .value_kind:     by_value
      - .offset:         232
        .size:           216
        .value_kind:     by_value
      - .offset:         448
        .size:           216
        .value_kind:     by_value
      - .offset:         664
        .size:           4
        .value_kind:     hidden_block_count_x
      - .offset:         668
        .size:           4
        .value_kind:     hidden_block_count_y
      - .offset:         672
        .size:           4
        .value_kind:     hidden_block_count_z
      - .offset:         676
        .size:           2
        .value_kind:     hidden_group_size_x
      - .offset:         678
        .size:           2
        .value_kind:     hidden_group_size_y
      - .offset:         680
        .size:           2
        .value_kind:     hidden_group_size_z
      - .offset:         682
        .size:           2
        .value_kind:     hidden_remainder_x
      - .offset:         684
        .size:           2
        .value_kind:     hidden_remainder_y
      - .offset:         686
        .size:           2
        .value_kind:     hidden_remainder_z
      - .offset:         704
        .size:           8
        .value_kind:     hidden_global_offset_x
      - .offset:         712
        .size:           8
        .value_kind:     hidden_global_offset_y
      - .offset:         720
        .size:           8
        .value_kind:     hidden_global_offset_z
      - .offset:         728
        .size:           2
        .value_kind:     hidden_grid_dims
    .group_segment_fixed_size: 4112
    .kernarg_segment_align: 8
    .kernarg_segment_size: 920
    .language:       OpenCL C
    .language_version:
      - 2
      - 0
    .max_flat_workgroup_size: 1024
    .name:           _ZN2at6native12_GLOBAL__N_114gatherKthValueIN3c104HalfEiLi3EEEvNS_4cuda6detail10TensorInfoIKT_T0_EESA_SA_SA_SA_NS7_IS8_SA_EENS7_IlSA_EE
    .private_segment_fixed_size: 0
    .sgpr_count:     105
    .sgpr_spill_count: 0
    .symbol:         _ZN2at6native12_GLOBAL__N_114gatherKthValueIN3c104HalfEiLi3EEEvNS_4cuda6detail10TensorInfoIKT_T0_EESA_SA_SA_SA_NS7_IS8_SA_EENS7_IlSA_EE.kd
    .uniform_work_group_size: 1
    .uses_dynamic_stack: false
    .vgpr_count:     40
    .vgpr_spill_count: 0
    .wavefront_size: 32
    .workgroup_processor_mode: 1
  - .args:
      - .offset:         0
        .size:           216
        .value_kind:     by_value
      - .offset:         216
        .size:           4
        .value_kind:     by_value
      - .offset:         220
        .size:           4
        .value_kind:     by_value
      - .offset:         224
        .size:           4
        .value_kind:     by_value
      - .offset:         228
        .size:           4
        .value_kind:     by_value
      - .offset:         232
        .size:           216
        .value_kind:     by_value
      - .offset:         448
        .size:           216
        .value_kind:     by_value
      - .offset:         664
        .size:           4
        .value_kind:     hidden_block_count_x
      - .offset:         668
        .size:           4
        .value_kind:     hidden_block_count_y
      - .offset:         672
        .size:           4
        .value_kind:     hidden_block_count_z
      - .offset:         676
        .size:           2
        .value_kind:     hidden_group_size_x
      - .offset:         678
        .size:           2
        .value_kind:     hidden_group_size_y
      - .offset:         680
        .size:           2
        .value_kind:     hidden_group_size_z
      - .offset:         682
        .size:           2
        .value_kind:     hidden_remainder_x
      - .offset:         684
        .size:           2
        .value_kind:     hidden_remainder_y
      - .offset:         686
        .size:           2
        .value_kind:     hidden_remainder_z
      - .offset:         704
        .size:           8
        .value_kind:     hidden_global_offset_x
      - .offset:         712
        .size:           8
        .value_kind:     hidden_global_offset_y
      - .offset:         720
        .size:           8
        .value_kind:     hidden_global_offset_z
      - .offset:         728
        .size:           2
        .value_kind:     hidden_grid_dims
    .group_segment_fixed_size: 4112
    .kernarg_segment_align: 8
    .kernarg_segment_size: 920
    .language:       OpenCL C
    .language_version:
      - 2
      - 0
    .max_flat_workgroup_size: 1024
    .name:           _ZN2at6native12_GLOBAL__N_114gatherKthValueIN3c104HalfEiLin1EEEvNS_4cuda6detail10TensorInfoIKT_T0_EESA_SA_SA_SA_NS7_IS8_SA_EENS7_IlSA_EE
    .private_segment_fixed_size: 0
    .sgpr_count:     88
    .sgpr_spill_count: 0
    .symbol:         _ZN2at6native12_GLOBAL__N_114gatherKthValueIN3c104HalfEiLin1EEEvNS_4cuda6detail10TensorInfoIKT_T0_EESA_SA_SA_SA_NS7_IS8_SA_EENS7_IlSA_EE.kd
    .uniform_work_group_size: 1
    .uses_dynamic_stack: false
    .vgpr_count:     40
    .vgpr_spill_count: 0
    .wavefront_size: 32
    .workgroup_processor_mode: 1
  - .args:
      - .offset:         0
        .size:           416
        .value_kind:     by_value
      - .offset:         416
        .size:           8
        .value_kind:     by_value
      - .offset:         424
        .size:           8
        .value_kind:     by_value
      - .offset:         432
        .size:           8
        .value_kind:     by_value
      - .offset:         440
        .size:           8
        .value_kind:     by_value
      - .offset:         448
        .size:           416
        .value_kind:     by_value
      - .offset:         864
        .size:           416
        .value_kind:     by_value
      - .offset:         1280
        .size:           4
        .value_kind:     hidden_block_count_x
      - .offset:         1284
        .size:           4
        .value_kind:     hidden_block_count_y
      - .offset:         1288
        .size:           4
        .value_kind:     hidden_block_count_z
      - .offset:         1292
        .size:           2
        .value_kind:     hidden_group_size_x
      - .offset:         1294
        .size:           2
        .value_kind:     hidden_group_size_y
      - .offset:         1296
        .size:           2
        .value_kind:     hidden_group_size_z
      - .offset:         1298
        .size:           2
        .value_kind:     hidden_remainder_x
      - .offset:         1300
        .size:           2
        .value_kind:     hidden_remainder_y
      - .offset:         1302
        .size:           2
        .value_kind:     hidden_remainder_z
      - .offset:         1320
        .size:           8
        .value_kind:     hidden_global_offset_x
      - .offset:         1328
        .size:           8
        .value_kind:     hidden_global_offset_y
      - .offset:         1336
        .size:           8
        .value_kind:     hidden_global_offset_z
      - .offset:         1344
        .size:           2
        .value_kind:     hidden_grid_dims
    .group_segment_fixed_size: 5144
    .kernarg_segment_align: 8
    .kernarg_segment_size: 1536
    .language:       OpenCL C
    .language_version:
      - 2
      - 0
    .max_flat_workgroup_size: 1024
    .name:           _ZN2at6native12_GLOBAL__N_114gatherKthValueIN3c104HalfElLi1EEEvNS_4cuda6detail10TensorInfoIKT_T0_EESA_SA_SA_SA_NS7_IS8_SA_EENS7_IlSA_EE
    .private_segment_fixed_size: 0
    .sgpr_count:     96
    .sgpr_spill_count: 0
    .symbol:         _ZN2at6native12_GLOBAL__N_114gatherKthValueIN3c104HalfElLi1EEEvNS_4cuda6detail10TensorInfoIKT_T0_EESA_SA_SA_SA_NS7_IS8_SA_EENS7_IlSA_EE.kd
    .uniform_work_group_size: 1
    .uses_dynamic_stack: false
    .vgpr_count:     46
    .vgpr_spill_count: 0
    .wavefront_size: 32
    .workgroup_processor_mode: 1
  - .args:
      - .offset:         0
        .size:           416
        .value_kind:     by_value
      - .offset:         416
        .size:           8
        .value_kind:     by_value
      - .offset:         424
        .size:           8
        .value_kind:     by_value
      - .offset:         432
        .size:           8
        .value_kind:     by_value
      - .offset:         440
        .size:           8
        .value_kind:     by_value
      - .offset:         448
        .size:           416
        .value_kind:     by_value
      - .offset:         864
        .size:           416
        .value_kind:     by_value
      - .offset:         1280
        .size:           4
        .value_kind:     hidden_block_count_x
      - .offset:         1284
        .size:           4
        .value_kind:     hidden_block_count_y
      - .offset:         1288
        .size:           4
        .value_kind:     hidden_block_count_z
      - .offset:         1292
        .size:           2
        .value_kind:     hidden_group_size_x
      - .offset:         1294
        .size:           2
        .value_kind:     hidden_group_size_y
      - .offset:         1296
        .size:           2
        .value_kind:     hidden_group_size_z
      - .offset:         1298
        .size:           2
        .value_kind:     hidden_remainder_x
      - .offset:         1300
        .size:           2
        .value_kind:     hidden_remainder_y
      - .offset:         1302
        .size:           2
        .value_kind:     hidden_remainder_z
      - .offset:         1320
        .size:           8
        .value_kind:     hidden_global_offset_x
      - .offset:         1328
        .size:           8
        .value_kind:     hidden_global_offset_y
      - .offset:         1336
        .size:           8
        .value_kind:     hidden_global_offset_z
      - .offset:         1344
        .size:           2
        .value_kind:     hidden_grid_dims
    .group_segment_fixed_size: 5144
    .kernarg_segment_align: 8
    .kernarg_segment_size: 1536
    .language:       OpenCL C
    .language_version:
      - 2
      - 0
    .max_flat_workgroup_size: 1024
    .name:           _ZN2at6native12_GLOBAL__N_114gatherKthValueIN3c104HalfElLi2EEEvNS_4cuda6detail10TensorInfoIKT_T0_EESA_SA_SA_SA_NS7_IS8_SA_EENS7_IlSA_EE
    .private_segment_fixed_size: 0
    .sgpr_count:     104
    .sgpr_spill_count: 0
    .symbol:         _ZN2at6native12_GLOBAL__N_114gatherKthValueIN3c104HalfElLi2EEEvNS_4cuda6detail10TensorInfoIKT_T0_EESA_SA_SA_SA_NS7_IS8_SA_EENS7_IlSA_EE.kd
    .uniform_work_group_size: 1
    .uses_dynamic_stack: false
    .vgpr_count:     50
    .vgpr_spill_count: 0
    .wavefront_size: 32
    .workgroup_processor_mode: 1
  - .args:
      - .offset:         0
        .size:           416
        .value_kind:     by_value
      - .offset:         416
        .size:           8
        .value_kind:     by_value
      - .offset:         424
        .size:           8
        .value_kind:     by_value
      - .offset:         432
        .size:           8
        .value_kind:     by_value
      - .offset:         440
        .size:           8
        .value_kind:     by_value
      - .offset:         448
        .size:           416
        .value_kind:     by_value
      - .offset:         864
        .size:           416
        .value_kind:     by_value
      - .offset:         1280
        .size:           4
        .value_kind:     hidden_block_count_x
      - .offset:         1284
        .size:           4
        .value_kind:     hidden_block_count_y
      - .offset:         1288
        .size:           4
        .value_kind:     hidden_block_count_z
      - .offset:         1292
        .size:           2
        .value_kind:     hidden_group_size_x
      - .offset:         1294
        .size:           2
        .value_kind:     hidden_group_size_y
      - .offset:         1296
        .size:           2
        .value_kind:     hidden_group_size_z
      - .offset:         1298
        .size:           2
        .value_kind:     hidden_remainder_x
      - .offset:         1300
        .size:           2
        .value_kind:     hidden_remainder_y
      - .offset:         1302
        .size:           2
        .value_kind:     hidden_remainder_z
      - .offset:         1320
        .size:           8
        .value_kind:     hidden_global_offset_x
      - .offset:         1328
        .size:           8
        .value_kind:     hidden_global_offset_y
      - .offset:         1336
        .size:           8
        .value_kind:     hidden_global_offset_z
      - .offset:         1344
        .size:           2
        .value_kind:     hidden_grid_dims
    .group_segment_fixed_size: 5144
    .kernarg_segment_align: 8
    .kernarg_segment_size: 1536
    .language:       OpenCL C
    .language_version:
      - 2
      - 0
    .max_flat_workgroup_size: 1024
    .name:           _ZN2at6native12_GLOBAL__N_114gatherKthValueIN3c104HalfElLi3EEEvNS_4cuda6detail10TensorInfoIKT_T0_EESA_SA_SA_SA_NS7_IS8_SA_EENS7_IlSA_EE
    .private_segment_fixed_size: 0
    .sgpr_count:     107
    .sgpr_spill_count: 12
    .symbol:         _ZN2at6native12_GLOBAL__N_114gatherKthValueIN3c104HalfElLi3EEEvNS_4cuda6detail10TensorInfoIKT_T0_EESA_SA_SA_SA_NS7_IS8_SA_EENS7_IlSA_EE.kd
    .uniform_work_group_size: 1
    .uses_dynamic_stack: false
    .vgpr_count:     50
    .vgpr_spill_count: 0
    .wavefront_size: 32
    .workgroup_processor_mode: 1
  - .args:
      - .offset:         0
        .size:           416
        .value_kind:     by_value
      - .offset:         416
        .size:           8
        .value_kind:     by_value
      - .offset:         424
        .size:           8
        .value_kind:     by_value
      - .offset:         432
        .size:           8
        .value_kind:     by_value
      - .offset:         440
        .size:           8
        .value_kind:     by_value
      - .offset:         448
        .size:           416
        .value_kind:     by_value
      - .offset:         864
        .size:           416
        .value_kind:     by_value
      - .offset:         1280
        .size:           4
        .value_kind:     hidden_block_count_x
      - .offset:         1284
        .size:           4
        .value_kind:     hidden_block_count_y
      - .offset:         1288
        .size:           4
        .value_kind:     hidden_block_count_z
      - .offset:         1292
        .size:           2
        .value_kind:     hidden_group_size_x
      - .offset:         1294
        .size:           2
        .value_kind:     hidden_group_size_y
      - .offset:         1296
        .size:           2
        .value_kind:     hidden_group_size_z
      - .offset:         1298
        .size:           2
        .value_kind:     hidden_remainder_x
      - .offset:         1300
        .size:           2
        .value_kind:     hidden_remainder_y
      - .offset:         1302
        .size:           2
        .value_kind:     hidden_remainder_z
      - .offset:         1320
        .size:           8
        .value_kind:     hidden_global_offset_x
      - .offset:         1328
        .size:           8
        .value_kind:     hidden_global_offset_y
      - .offset:         1336
        .size:           8
        .value_kind:     hidden_global_offset_z
      - .offset:         1344
        .size:           2
        .value_kind:     hidden_grid_dims
    .group_segment_fixed_size: 5144
    .kernarg_segment_align: 8
    .kernarg_segment_size: 1536
    .language:       OpenCL C
    .language_version:
      - 2
      - 0
    .max_flat_workgroup_size: 1024
    .name:           _ZN2at6native12_GLOBAL__N_114gatherKthValueIN3c104HalfElLin1EEEvNS_4cuda6detail10TensorInfoIKT_T0_EESA_SA_SA_SA_NS7_IS8_SA_EENS7_IlSA_EE
    .private_segment_fixed_size: 0
    .sgpr_count:     105
    .sgpr_spill_count: 0
    .symbol:         _ZN2at6native12_GLOBAL__N_114gatherKthValueIN3c104HalfElLin1EEEvNS_4cuda6detail10TensorInfoIKT_T0_EESA_SA_SA_SA_NS7_IS8_SA_EENS7_IlSA_EE.kd
    .uniform_work_group_size: 1
    .uses_dynamic_stack: false
    .vgpr_count:     55
    .vgpr_spill_count: 0
    .wavefront_size: 32
    .workgroup_processor_mode: 1
  - .args:
      - .offset:         0
        .size:           216
        .value_kind:     by_value
      - .offset:         216
        .size:           4
        .value_kind:     by_value
      - .offset:         220
        .size:           4
        .value_kind:     by_value
      - .offset:         224
        .size:           4
        .value_kind:     by_value
      - .offset:         228
        .size:           4
        .value_kind:     by_value
      - .offset:         232
        .size:           216
        .value_kind:     by_value
      - .offset:         448
        .size:           216
        .value_kind:     by_value
      - .offset:         664
        .size:           4
        .value_kind:     hidden_block_count_x
      - .offset:         668
        .size:           4
        .value_kind:     hidden_block_count_y
      - .offset:         672
        .size:           4
        .value_kind:     hidden_block_count_z
      - .offset:         676
        .size:           2
        .value_kind:     hidden_group_size_x
      - .offset:         678
        .size:           2
        .value_kind:     hidden_group_size_y
      - .offset:         680
        .size:           2
        .value_kind:     hidden_group_size_z
      - .offset:         682
        .size:           2
        .value_kind:     hidden_remainder_x
      - .offset:         684
        .size:           2
        .value_kind:     hidden_remainder_y
      - .offset:         686
        .size:           2
        .value_kind:     hidden_remainder_z
      - .offset:         704
        .size:           8
        .value_kind:     hidden_global_offset_x
      - .offset:         712
        .size:           8
        .value_kind:     hidden_global_offset_y
      - .offset:         720
        .size:           8
        .value_kind:     hidden_global_offset_z
      - .offset:         728
        .size:           2
        .value_kind:     hidden_grid_dims
    .group_segment_fixed_size: 4112
    .kernarg_segment_align: 8
    .kernarg_segment_size: 920
    .language:       OpenCL C
    .language_version:
      - 2
      - 0
    .max_flat_workgroup_size: 1024
    .name:           _ZN2at6native12_GLOBAL__N_114gatherKthValueIN3c108BFloat16EiLi1EEEvNS_4cuda6detail10TensorInfoIKT_T0_EESA_SA_SA_SA_NS7_IS8_SA_EENS7_IlSA_EE
    .private_segment_fixed_size: 0
    .sgpr_count:     85
    .sgpr_spill_count: 0
    .symbol:         _ZN2at6native12_GLOBAL__N_114gatherKthValueIN3c108BFloat16EiLi1EEEvNS_4cuda6detail10TensorInfoIKT_T0_EESA_SA_SA_SA_NS7_IS8_SA_EENS7_IlSA_EE.kd
    .uniform_work_group_size: 1
    .uses_dynamic_stack: false
    .vgpr_count:     40
    .vgpr_spill_count: 0
    .wavefront_size: 32
    .workgroup_processor_mode: 1
  - .args:
      - .offset:         0
        .size:           216
        .value_kind:     by_value
      - .offset:         216
        .size:           4
        .value_kind:     by_value
      - .offset:         220
        .size:           4
        .value_kind:     by_value
      - .offset:         224
        .size:           4
        .value_kind:     by_value
      - .offset:         228
        .size:           4
        .value_kind:     by_value
      - .offset:         232
        .size:           216
        .value_kind:     by_value
      - .offset:         448
        .size:           216
        .value_kind:     by_value
      - .offset:         664
        .size:           4
        .value_kind:     hidden_block_count_x
      - .offset:         668
        .size:           4
        .value_kind:     hidden_block_count_y
      - .offset:         672
        .size:           4
        .value_kind:     hidden_block_count_z
      - .offset:         676
        .size:           2
        .value_kind:     hidden_group_size_x
      - .offset:         678
        .size:           2
        .value_kind:     hidden_group_size_y
      - .offset:         680
        .size:           2
        .value_kind:     hidden_group_size_z
      - .offset:         682
        .size:           2
        .value_kind:     hidden_remainder_x
      - .offset:         684
        .size:           2
        .value_kind:     hidden_remainder_y
      - .offset:         686
        .size:           2
        .value_kind:     hidden_remainder_z
      - .offset:         704
        .size:           8
        .value_kind:     hidden_global_offset_x
      - .offset:         712
        .size:           8
        .value_kind:     hidden_global_offset_y
      - .offset:         720
        .size:           8
        .value_kind:     hidden_global_offset_z
      - .offset:         728
        .size:           2
        .value_kind:     hidden_grid_dims
    .group_segment_fixed_size: 4112
    .kernarg_segment_align: 8
    .kernarg_segment_size: 920
    .language:       OpenCL C
    .language_version:
      - 2
      - 0
    .max_flat_workgroup_size: 1024
    .name:           _ZN2at6native12_GLOBAL__N_114gatherKthValueIN3c108BFloat16EiLi2EEEvNS_4cuda6detail10TensorInfoIKT_T0_EESA_SA_SA_SA_NS7_IS8_SA_EENS7_IlSA_EE
    .private_segment_fixed_size: 0
    .sgpr_count:     97
    .sgpr_spill_count: 0
    .symbol:         _ZN2at6native12_GLOBAL__N_114gatherKthValueIN3c108BFloat16EiLi2EEEvNS_4cuda6detail10TensorInfoIKT_T0_EESA_SA_SA_SA_NS7_IS8_SA_EENS7_IlSA_EE.kd
    .uniform_work_group_size: 1
    .uses_dynamic_stack: false
    .vgpr_count:     40
    .vgpr_spill_count: 0
    .wavefront_size: 32
    .workgroup_processor_mode: 1
  - .args:
      - .offset:         0
        .size:           216
        .value_kind:     by_value
      - .offset:         216
        .size:           4
        .value_kind:     by_value
      - .offset:         220
        .size:           4
        .value_kind:     by_value
      - .offset:         224
        .size:           4
        .value_kind:     by_value
      - .offset:         228
        .size:           4
        .value_kind:     by_value
      - .offset:         232
        .size:           216
        .value_kind:     by_value
      - .offset:         448
        .size:           216
        .value_kind:     by_value
      - .offset:         664
        .size:           4
        .value_kind:     hidden_block_count_x
      - .offset:         668
        .size:           4
        .value_kind:     hidden_block_count_y
      - .offset:         672
        .size:           4
        .value_kind:     hidden_block_count_z
      - .offset:         676
        .size:           2
        .value_kind:     hidden_group_size_x
      - .offset:         678
        .size:           2
        .value_kind:     hidden_group_size_y
      - .offset:         680
        .size:           2
        .value_kind:     hidden_group_size_z
      - .offset:         682
        .size:           2
        .value_kind:     hidden_remainder_x
      - .offset:         684
        .size:           2
        .value_kind:     hidden_remainder_y
      - .offset:         686
        .size:           2
        .value_kind:     hidden_remainder_z
      - .offset:         704
        .size:           8
        .value_kind:     hidden_global_offset_x
      - .offset:         712
        .size:           8
        .value_kind:     hidden_global_offset_y
      - .offset:         720
        .size:           8
        .value_kind:     hidden_global_offset_z
      - .offset:         728
        .size:           2
        .value_kind:     hidden_grid_dims
    .group_segment_fixed_size: 4112
    .kernarg_segment_align: 8
    .kernarg_segment_size: 920
    .language:       OpenCL C
    .language_version:
      - 2
      - 0
    .max_flat_workgroup_size: 1024
    .name:           _ZN2at6native12_GLOBAL__N_114gatherKthValueIN3c108BFloat16EiLi3EEEvNS_4cuda6detail10TensorInfoIKT_T0_EESA_SA_SA_SA_NS7_IS8_SA_EENS7_IlSA_EE
    .private_segment_fixed_size: 0
    .sgpr_count:     105
    .sgpr_spill_count: 0
    .symbol:         _ZN2at6native12_GLOBAL__N_114gatherKthValueIN3c108BFloat16EiLi3EEEvNS_4cuda6detail10TensorInfoIKT_T0_EESA_SA_SA_SA_NS7_IS8_SA_EENS7_IlSA_EE.kd
    .uniform_work_group_size: 1
    .uses_dynamic_stack: false
    .vgpr_count:     40
    .vgpr_spill_count: 0
    .wavefront_size: 32
    .workgroup_processor_mode: 1
  - .args:
      - .offset:         0
        .size:           216
        .value_kind:     by_value
      - .offset:         216
        .size:           4
        .value_kind:     by_value
      - .offset:         220
        .size:           4
        .value_kind:     by_value
      - .offset:         224
        .size:           4
        .value_kind:     by_value
      - .offset:         228
        .size:           4
        .value_kind:     by_value
      - .offset:         232
        .size:           216
        .value_kind:     by_value
      - .offset:         448
        .size:           216
        .value_kind:     by_value
      - .offset:         664
        .size:           4
        .value_kind:     hidden_block_count_x
      - .offset:         668
        .size:           4
        .value_kind:     hidden_block_count_y
      - .offset:         672
        .size:           4
        .value_kind:     hidden_block_count_z
      - .offset:         676
        .size:           2
        .value_kind:     hidden_group_size_x
      - .offset:         678
        .size:           2
        .value_kind:     hidden_group_size_y
      - .offset:         680
        .size:           2
        .value_kind:     hidden_group_size_z
      - .offset:         682
        .size:           2
        .value_kind:     hidden_remainder_x
      - .offset:         684
        .size:           2
        .value_kind:     hidden_remainder_y
      - .offset:         686
        .size:           2
        .value_kind:     hidden_remainder_z
      - .offset:         704
        .size:           8
        .value_kind:     hidden_global_offset_x
      - .offset:         712
        .size:           8
        .value_kind:     hidden_global_offset_y
      - .offset:         720
        .size:           8
        .value_kind:     hidden_global_offset_z
      - .offset:         728
        .size:           2
        .value_kind:     hidden_grid_dims
    .group_segment_fixed_size: 4112
    .kernarg_segment_align: 8
    .kernarg_segment_size: 920
    .language:       OpenCL C
    .language_version:
      - 2
      - 0
    .max_flat_workgroup_size: 1024
    .name:           _ZN2at6native12_GLOBAL__N_114gatherKthValueIN3c108BFloat16EiLin1EEEvNS_4cuda6detail10TensorInfoIKT_T0_EESA_SA_SA_SA_NS7_IS8_SA_EENS7_IlSA_EE
    .private_segment_fixed_size: 0
    .sgpr_count:     88
    .sgpr_spill_count: 0
    .symbol:         _ZN2at6native12_GLOBAL__N_114gatherKthValueIN3c108BFloat16EiLin1EEEvNS_4cuda6detail10TensorInfoIKT_T0_EESA_SA_SA_SA_NS7_IS8_SA_EENS7_IlSA_EE.kd
    .uniform_work_group_size: 1
    .uses_dynamic_stack: false
    .vgpr_count:     40
    .vgpr_spill_count: 0
    .wavefront_size: 32
    .workgroup_processor_mode: 1
  - .args:
      - .offset:         0
        .size:           416
        .value_kind:     by_value
      - .offset:         416
        .size:           8
        .value_kind:     by_value
      - .offset:         424
        .size:           8
        .value_kind:     by_value
      - .offset:         432
        .size:           8
        .value_kind:     by_value
      - .offset:         440
        .size:           8
        .value_kind:     by_value
      - .offset:         448
        .size:           416
        .value_kind:     by_value
      - .offset:         864
        .size:           416
        .value_kind:     by_value
      - .offset:         1280
        .size:           4
        .value_kind:     hidden_block_count_x
      - .offset:         1284
        .size:           4
        .value_kind:     hidden_block_count_y
      - .offset:         1288
        .size:           4
        .value_kind:     hidden_block_count_z
      - .offset:         1292
        .size:           2
        .value_kind:     hidden_group_size_x
      - .offset:         1294
        .size:           2
        .value_kind:     hidden_group_size_y
      - .offset:         1296
        .size:           2
        .value_kind:     hidden_group_size_z
      - .offset:         1298
        .size:           2
        .value_kind:     hidden_remainder_x
      - .offset:         1300
        .size:           2
        .value_kind:     hidden_remainder_y
      - .offset:         1302
        .size:           2
        .value_kind:     hidden_remainder_z
      - .offset:         1320
        .size:           8
        .value_kind:     hidden_global_offset_x
      - .offset:         1328
        .size:           8
        .value_kind:     hidden_global_offset_y
      - .offset:         1336
        .size:           8
        .value_kind:     hidden_global_offset_z
      - .offset:         1344
        .size:           2
        .value_kind:     hidden_grid_dims
    .group_segment_fixed_size: 5144
    .kernarg_segment_align: 8
    .kernarg_segment_size: 1536
    .language:       OpenCL C
    .language_version:
      - 2
      - 0
    .max_flat_workgroup_size: 1024
    .name:           _ZN2at6native12_GLOBAL__N_114gatherKthValueIN3c108BFloat16ElLi1EEEvNS_4cuda6detail10TensorInfoIKT_T0_EESA_SA_SA_SA_NS7_IS8_SA_EENS7_IlSA_EE
    .private_segment_fixed_size: 0
    .sgpr_count:     96
    .sgpr_spill_count: 0
    .symbol:         _ZN2at6native12_GLOBAL__N_114gatherKthValueIN3c108BFloat16ElLi1EEEvNS_4cuda6detail10TensorInfoIKT_T0_EESA_SA_SA_SA_NS7_IS8_SA_EENS7_IlSA_EE.kd
    .uniform_work_group_size: 1
    .uses_dynamic_stack: false
    .vgpr_count:     46
    .vgpr_spill_count: 0
    .wavefront_size: 32
    .workgroup_processor_mode: 1
  - .args:
      - .offset:         0
        .size:           416
        .value_kind:     by_value
      - .offset:         416
        .size:           8
        .value_kind:     by_value
      - .offset:         424
        .size:           8
        .value_kind:     by_value
      - .offset:         432
        .size:           8
        .value_kind:     by_value
      - .offset:         440
        .size:           8
        .value_kind:     by_value
      - .offset:         448
        .size:           416
        .value_kind:     by_value
      - .offset:         864
        .size:           416
        .value_kind:     by_value
      - .offset:         1280
        .size:           4
        .value_kind:     hidden_block_count_x
      - .offset:         1284
        .size:           4
        .value_kind:     hidden_block_count_y
      - .offset:         1288
        .size:           4
        .value_kind:     hidden_block_count_z
      - .offset:         1292
        .size:           2
        .value_kind:     hidden_group_size_x
      - .offset:         1294
        .size:           2
        .value_kind:     hidden_group_size_y
      - .offset:         1296
        .size:           2
        .value_kind:     hidden_group_size_z
      - .offset:         1298
        .size:           2
        .value_kind:     hidden_remainder_x
      - .offset:         1300
        .size:           2
        .value_kind:     hidden_remainder_y
      - .offset:         1302
        .size:           2
        .value_kind:     hidden_remainder_z
      - .offset:         1320
        .size:           8
        .value_kind:     hidden_global_offset_x
      - .offset:         1328
        .size:           8
        .value_kind:     hidden_global_offset_y
      - .offset:         1336
        .size:           8
        .value_kind:     hidden_global_offset_z
      - .offset:         1344
        .size:           2
        .value_kind:     hidden_grid_dims
    .group_segment_fixed_size: 5144
    .kernarg_segment_align: 8
    .kernarg_segment_size: 1536
    .language:       OpenCL C
    .language_version:
      - 2
      - 0
    .max_flat_workgroup_size: 1024
    .name:           _ZN2at6native12_GLOBAL__N_114gatherKthValueIN3c108BFloat16ElLi2EEEvNS_4cuda6detail10TensorInfoIKT_T0_EESA_SA_SA_SA_NS7_IS8_SA_EENS7_IlSA_EE
    .private_segment_fixed_size: 0
    .sgpr_count:     104
    .sgpr_spill_count: 0
    .symbol:         _ZN2at6native12_GLOBAL__N_114gatherKthValueIN3c108BFloat16ElLi2EEEvNS_4cuda6detail10TensorInfoIKT_T0_EESA_SA_SA_SA_NS7_IS8_SA_EENS7_IlSA_EE.kd
    .uniform_work_group_size: 1
    .uses_dynamic_stack: false
    .vgpr_count:     50
    .vgpr_spill_count: 0
    .wavefront_size: 32
    .workgroup_processor_mode: 1
  - .args:
      - .offset:         0
        .size:           416
        .value_kind:     by_value
      - .offset:         416
        .size:           8
        .value_kind:     by_value
      - .offset:         424
        .size:           8
        .value_kind:     by_value
      - .offset:         432
        .size:           8
        .value_kind:     by_value
      - .offset:         440
        .size:           8
        .value_kind:     by_value
      - .offset:         448
        .size:           416
        .value_kind:     by_value
      - .offset:         864
        .size:           416
        .value_kind:     by_value
      - .offset:         1280
        .size:           4
        .value_kind:     hidden_block_count_x
      - .offset:         1284
        .size:           4
        .value_kind:     hidden_block_count_y
      - .offset:         1288
        .size:           4
        .value_kind:     hidden_block_count_z
      - .offset:         1292
        .size:           2
        .value_kind:     hidden_group_size_x
      - .offset:         1294
        .size:           2
        .value_kind:     hidden_group_size_y
      - .offset:         1296
        .size:           2
        .value_kind:     hidden_group_size_z
      - .offset:         1298
        .size:           2
        .value_kind:     hidden_remainder_x
      - .offset:         1300
        .size:           2
        .value_kind:     hidden_remainder_y
      - .offset:         1302
        .size:           2
        .value_kind:     hidden_remainder_z
      - .offset:         1320
        .size:           8
        .value_kind:     hidden_global_offset_x
      - .offset:         1328
        .size:           8
        .value_kind:     hidden_global_offset_y
      - .offset:         1336
        .size:           8
        .value_kind:     hidden_global_offset_z
      - .offset:         1344
        .size:           2
        .value_kind:     hidden_grid_dims
    .group_segment_fixed_size: 5144
    .kernarg_segment_align: 8
    .kernarg_segment_size: 1536
    .language:       OpenCL C
    .language_version:
      - 2
      - 0
    .max_flat_workgroup_size: 1024
    .name:           _ZN2at6native12_GLOBAL__N_114gatherKthValueIN3c108BFloat16ElLi3EEEvNS_4cuda6detail10TensorInfoIKT_T0_EESA_SA_SA_SA_NS7_IS8_SA_EENS7_IlSA_EE
    .private_segment_fixed_size: 0
    .sgpr_count:     107
    .sgpr_spill_count: 12
    .symbol:         _ZN2at6native12_GLOBAL__N_114gatherKthValueIN3c108BFloat16ElLi3EEEvNS_4cuda6detail10TensorInfoIKT_T0_EESA_SA_SA_SA_NS7_IS8_SA_EENS7_IlSA_EE.kd
    .uniform_work_group_size: 1
    .uses_dynamic_stack: false
    .vgpr_count:     50
    .vgpr_spill_count: 0
    .wavefront_size: 32
    .workgroup_processor_mode: 1
  - .args:
      - .offset:         0
        .size:           416
        .value_kind:     by_value
      - .offset:         416
        .size:           8
        .value_kind:     by_value
      - .offset:         424
        .size:           8
        .value_kind:     by_value
      - .offset:         432
        .size:           8
        .value_kind:     by_value
      - .offset:         440
        .size:           8
        .value_kind:     by_value
      - .offset:         448
        .size:           416
        .value_kind:     by_value
      - .offset:         864
        .size:           416
        .value_kind:     by_value
      - .offset:         1280
        .size:           4
        .value_kind:     hidden_block_count_x
      - .offset:         1284
        .size:           4
        .value_kind:     hidden_block_count_y
      - .offset:         1288
        .size:           4
        .value_kind:     hidden_block_count_z
      - .offset:         1292
        .size:           2
        .value_kind:     hidden_group_size_x
      - .offset:         1294
        .size:           2
        .value_kind:     hidden_group_size_y
      - .offset:         1296
        .size:           2
        .value_kind:     hidden_group_size_z
      - .offset:         1298
        .size:           2
        .value_kind:     hidden_remainder_x
      - .offset:         1300
        .size:           2
        .value_kind:     hidden_remainder_y
      - .offset:         1302
        .size:           2
        .value_kind:     hidden_remainder_z
      - .offset:         1320
        .size:           8
        .value_kind:     hidden_global_offset_x
      - .offset:         1328
        .size:           8
        .value_kind:     hidden_global_offset_y
      - .offset:         1336
        .size:           8
        .value_kind:     hidden_global_offset_z
      - .offset:         1344
        .size:           2
        .value_kind:     hidden_grid_dims
    .group_segment_fixed_size: 5144
    .kernarg_segment_align: 8
    .kernarg_segment_size: 1536
    .language:       OpenCL C
    .language_version:
      - 2
      - 0
    .max_flat_workgroup_size: 1024
    .name:           _ZN2at6native12_GLOBAL__N_114gatherKthValueIN3c108BFloat16ElLin1EEEvNS_4cuda6detail10TensorInfoIKT_T0_EESA_SA_SA_SA_NS7_IS8_SA_EENS7_IlSA_EE
    .private_segment_fixed_size: 0
    .sgpr_count:     105
    .sgpr_spill_count: 0
    .symbol:         _ZN2at6native12_GLOBAL__N_114gatherKthValueIN3c108BFloat16ElLin1EEEvNS_4cuda6detail10TensorInfoIKT_T0_EESA_SA_SA_SA_NS7_IS8_SA_EENS7_IlSA_EE.kd
    .uniform_work_group_size: 1
    .uses_dynamic_stack: false
    .vgpr_count:     55
    .vgpr_spill_count: 0
    .wavefront_size: 32
    .workgroup_processor_mode: 1
  - .args:
      - .offset:         0
        .size:           216
        .value_kind:     by_value
      - .offset:         216
        .size:           216
        .value_kind:     by_value
      - .offset:         432
        .size:           216
        .value_kind:     by_value
      - .offset:         648
        .size:           4
        .value_kind:     by_value
      - .offset:         652
        .size:           4
        .value_kind:     by_value
      - .offset:         656
        .size:           4
        .value_kind:     by_value
      - .offset:         660
        .size:           1
        .value_kind:     by_value
      - .offset:         664
        .size:           4
        .value_kind:     hidden_block_count_x
      - .offset:         668
        .size:           4
        .value_kind:     hidden_block_count_y
      - .offset:         672
        .size:           4
        .value_kind:     hidden_block_count_z
      - .offset:         676
        .size:           2
        .value_kind:     hidden_group_size_x
      - .offset:         678
        .size:           2
        .value_kind:     hidden_group_size_y
      - .offset:         680
        .size:           2
        .value_kind:     hidden_group_size_z
      - .offset:         682
        .size:           2
        .value_kind:     hidden_remainder_x
      - .offset:         684
        .size:           2
        .value_kind:     hidden_remainder_y
      - .offset:         686
        .size:           2
        .value_kind:     hidden_remainder_z
      - .offset:         704
        .size:           8
        .value_kind:     hidden_global_offset_x
      - .offset:         712
        .size:           8
        .value_kind:     hidden_global_offset_y
      - .offset:         720
        .size:           8
        .value_kind:     hidden_global_offset_z
      - .offset:         728
        .size:           2
        .value_kind:     hidden_grid_dims
    .group_segment_fixed_size: 4120
    .kernarg_segment_align: 8
    .kernarg_segment_size: 920
    .language:       OpenCL C
    .language_version:
      - 2
      - 0
    .max_flat_workgroup_size: 1024
    .name:           _ZN2at6native12_GLOBAL__N_112gatherMedianIhjLi1EEEvNS_4cuda6detail10TensorInfoIT_T0_EENS5_IlS7_EENS5_IKS6_S7_EES7_S7_S7_b
    .private_segment_fixed_size: 0
    .sgpr_count:     80
    .sgpr_spill_count: 0
    .symbol:         _ZN2at6native12_GLOBAL__N_112gatherMedianIhjLi1EEEvNS_4cuda6detail10TensorInfoIT_T0_EENS5_IlS7_EENS5_IKS6_S7_EES7_S7_S7_b.kd
    .uniform_work_group_size: 1
    .uses_dynamic_stack: false
    .vgpr_count:     36
    .vgpr_spill_count: 0
    .wavefront_size: 32
    .workgroup_processor_mode: 1
  - .args:
      - .offset:         0
        .size:           216
        .value_kind:     by_value
      - .offset:         216
        .size:           216
        .value_kind:     by_value
      - .offset:         432
        .size:           216
        .value_kind:     by_value
      - .offset:         648
        .size:           4
        .value_kind:     by_value
      - .offset:         652
        .size:           4
        .value_kind:     by_value
      - .offset:         656
        .size:           4
        .value_kind:     by_value
      - .offset:         660
        .size:           1
        .value_kind:     by_value
      - .offset:         664
        .size:           4
        .value_kind:     hidden_block_count_x
      - .offset:         668
        .size:           4
        .value_kind:     hidden_block_count_y
      - .offset:         672
        .size:           4
        .value_kind:     hidden_block_count_z
      - .offset:         676
        .size:           2
        .value_kind:     hidden_group_size_x
      - .offset:         678
        .size:           2
        .value_kind:     hidden_group_size_y
      - .offset:         680
        .size:           2
        .value_kind:     hidden_group_size_z
      - .offset:         682
        .size:           2
        .value_kind:     hidden_remainder_x
      - .offset:         684
        .size:           2
        .value_kind:     hidden_remainder_y
      - .offset:         686
        .size:           2
        .value_kind:     hidden_remainder_z
      - .offset:         704
        .size:           8
        .value_kind:     hidden_global_offset_x
      - .offset:         712
        .size:           8
        .value_kind:     hidden_global_offset_y
      - .offset:         720
        .size:           8
        .value_kind:     hidden_global_offset_z
      - .offset:         728
        .size:           2
        .value_kind:     hidden_grid_dims
    .group_segment_fixed_size: 4120
    .kernarg_segment_align: 8
    .kernarg_segment_size: 920
    .language:       OpenCL C
    .language_version:
      - 2
      - 0
    .max_flat_workgroup_size: 1024
    .name:           _ZN2at6native12_GLOBAL__N_112gatherMedianIhjLi2EEEvNS_4cuda6detail10TensorInfoIT_T0_EENS5_IlS7_EENS5_IKS6_S7_EES7_S7_S7_b
    .private_segment_fixed_size: 0
    .sgpr_count:     86
    .sgpr_spill_count: 0
    .symbol:         _ZN2at6native12_GLOBAL__N_112gatherMedianIhjLi2EEEvNS_4cuda6detail10TensorInfoIT_T0_EENS5_IlS7_EENS5_IKS6_S7_EES7_S7_S7_b.kd
    .uniform_work_group_size: 1
    .uses_dynamic_stack: false
    .vgpr_count:     36
    .vgpr_spill_count: 0
    .wavefront_size: 32
    .workgroup_processor_mode: 1
  - .args:
      - .offset:         0
        .size:           216
        .value_kind:     by_value
      - .offset:         216
        .size:           216
        .value_kind:     by_value
      - .offset:         432
        .size:           216
        .value_kind:     by_value
      - .offset:         648
        .size:           4
        .value_kind:     by_value
      - .offset:         652
        .size:           4
        .value_kind:     by_value
      - .offset:         656
        .size:           4
        .value_kind:     by_value
      - .offset:         660
        .size:           1
        .value_kind:     by_value
      - .offset:         664
        .size:           4
        .value_kind:     hidden_block_count_x
      - .offset:         668
        .size:           4
        .value_kind:     hidden_block_count_y
      - .offset:         672
        .size:           4
        .value_kind:     hidden_block_count_z
      - .offset:         676
        .size:           2
        .value_kind:     hidden_group_size_x
      - .offset:         678
        .size:           2
        .value_kind:     hidden_group_size_y
      - .offset:         680
        .size:           2
        .value_kind:     hidden_group_size_z
      - .offset:         682
        .size:           2
        .value_kind:     hidden_remainder_x
      - .offset:         684
        .size:           2
        .value_kind:     hidden_remainder_y
      - .offset:         686
        .size:           2
        .value_kind:     hidden_remainder_z
      - .offset:         704
        .size:           8
        .value_kind:     hidden_global_offset_x
      - .offset:         712
        .size:           8
        .value_kind:     hidden_global_offset_y
      - .offset:         720
        .size:           8
        .value_kind:     hidden_global_offset_z
      - .offset:         728
        .size:           2
        .value_kind:     hidden_grid_dims
    .group_segment_fixed_size: 4120
    .kernarg_segment_align: 8
    .kernarg_segment_size: 920
    .language:       OpenCL C
    .language_version:
      - 2
      - 0
    .max_flat_workgroup_size: 1024
    .name:           _ZN2at6native12_GLOBAL__N_112gatherMedianIhjLi3EEEvNS_4cuda6detail10TensorInfoIT_T0_EENS5_IlS7_EENS5_IKS6_S7_EES7_S7_S7_b
    .private_segment_fixed_size: 0
    .sgpr_count:     92
    .sgpr_spill_count: 0
    .symbol:         _ZN2at6native12_GLOBAL__N_112gatherMedianIhjLi3EEEvNS_4cuda6detail10TensorInfoIT_T0_EENS5_IlS7_EENS5_IKS6_S7_EES7_S7_S7_b.kd
    .uniform_work_group_size: 1
    .uses_dynamic_stack: false
    .vgpr_count:     36
    .vgpr_spill_count: 0
    .wavefront_size: 32
    .workgroup_processor_mode: 1
  - .args:
      - .offset:         0
        .size:           216
        .value_kind:     by_value
      - .offset:         216
        .size:           216
        .value_kind:     by_value
      - .offset:         432
        .size:           216
        .value_kind:     by_value
      - .offset:         648
        .size:           4
        .value_kind:     by_value
      - .offset:         652
        .size:           4
        .value_kind:     by_value
      - .offset:         656
        .size:           4
        .value_kind:     by_value
      - .offset:         660
        .size:           1
        .value_kind:     by_value
      - .offset:         664
        .size:           4
        .value_kind:     hidden_block_count_x
      - .offset:         668
        .size:           4
        .value_kind:     hidden_block_count_y
      - .offset:         672
        .size:           4
        .value_kind:     hidden_block_count_z
      - .offset:         676
        .size:           2
        .value_kind:     hidden_group_size_x
      - .offset:         678
        .size:           2
        .value_kind:     hidden_group_size_y
      - .offset:         680
        .size:           2
        .value_kind:     hidden_group_size_z
      - .offset:         682
        .size:           2
        .value_kind:     hidden_remainder_x
      - .offset:         684
        .size:           2
        .value_kind:     hidden_remainder_y
      - .offset:         686
        .size:           2
        .value_kind:     hidden_remainder_z
      - .offset:         704
        .size:           8
        .value_kind:     hidden_global_offset_x
      - .offset:         712
        .size:           8
        .value_kind:     hidden_global_offset_y
      - .offset:         720
        .size:           8
        .value_kind:     hidden_global_offset_z
      - .offset:         728
        .size:           2
        .value_kind:     hidden_grid_dims
    .group_segment_fixed_size: 4120
    .kernarg_segment_align: 8
    .kernarg_segment_size: 920
    .language:       OpenCL C
    .language_version:
      - 2
      - 0
    .max_flat_workgroup_size: 1024
    .name:           _ZN2at6native12_GLOBAL__N_112gatherMedianIhjLin1EEEvNS_4cuda6detail10TensorInfoIT_T0_EENS5_IlS7_EENS5_IKS6_S7_EES7_S7_S7_b
    .private_segment_fixed_size: 0
    .sgpr_count:     83
    .sgpr_spill_count: 0
    .symbol:         _ZN2at6native12_GLOBAL__N_112gatherMedianIhjLin1EEEvNS_4cuda6detail10TensorInfoIT_T0_EENS5_IlS7_EENS5_IKS6_S7_EES7_S7_S7_b.kd
    .uniform_work_group_size: 1
    .uses_dynamic_stack: false
    .vgpr_count:     36
    .vgpr_spill_count: 0
    .wavefront_size: 32
    .workgroup_processor_mode: 1
  - .args:
      - .offset:         0
        .size:           416
        .value_kind:     by_value
      - .offset:         416
        .size:           416
        .value_kind:     by_value
      - .offset:         832
        .size:           416
        .value_kind:     by_value
      - .offset:         1248
        .size:           8
        .value_kind:     by_value
      - .offset:         1256
        .size:           8
        .value_kind:     by_value
      - .offset:         1264
        .size:           8
        .value_kind:     by_value
      - .offset:         1272
        .size:           1
        .value_kind:     by_value
      - .offset:         1280
        .size:           4
        .value_kind:     hidden_block_count_x
      - .offset:         1284
        .size:           4
        .value_kind:     hidden_block_count_y
      - .offset:         1288
        .size:           4
        .value_kind:     hidden_block_count_z
      - .offset:         1292
        .size:           2
        .value_kind:     hidden_group_size_x
      - .offset:         1294
        .size:           2
        .value_kind:     hidden_group_size_y
      - .offset:         1296
        .size:           2
        .value_kind:     hidden_group_size_z
      - .offset:         1298
        .size:           2
        .value_kind:     hidden_remainder_x
      - .offset:         1300
        .size:           2
        .value_kind:     hidden_remainder_y
      - .offset:         1302
        .size:           2
        .value_kind:     hidden_remainder_z
      - .offset:         1320
        .size:           8
        .value_kind:     hidden_global_offset_x
      - .offset:         1328
        .size:           8
        .value_kind:     hidden_global_offset_y
      - .offset:         1336
        .size:           8
        .value_kind:     hidden_global_offset_z
      - .offset:         1344
        .size:           2
        .value_kind:     hidden_grid_dims
    .group_segment_fixed_size: 5152
    .kernarg_segment_align: 8
    .kernarg_segment_size: 1536
    .language:       OpenCL C
    .language_version:
      - 2
      - 0
    .max_flat_workgroup_size: 1024
    .name:           _ZN2at6native12_GLOBAL__N_112gatherMedianIhmLi1EEEvNS_4cuda6detail10TensorInfoIT_T0_EENS5_IlS7_EENS5_IKS6_S7_EES7_S7_S7_b
    .private_segment_fixed_size: 0
    .sgpr_count:     92
    .sgpr_spill_count: 0
    .symbol:         _ZN2at6native12_GLOBAL__N_112gatherMedianIhmLi1EEEvNS_4cuda6detail10TensorInfoIT_T0_EENS5_IlS7_EENS5_IKS6_S7_EES7_S7_S7_b.kd
    .uniform_work_group_size: 1
    .uses_dynamic_stack: false
    .vgpr_count:     37
    .vgpr_spill_count: 0
    .wavefront_size: 32
    .workgroup_processor_mode: 1
  - .args:
      - .offset:         0
        .size:           416
        .value_kind:     by_value
      - .offset:         416
        .size:           416
        .value_kind:     by_value
      - .offset:         832
        .size:           416
        .value_kind:     by_value
      - .offset:         1248
        .size:           8
        .value_kind:     by_value
      - .offset:         1256
        .size:           8
        .value_kind:     by_value
      - .offset:         1264
        .size:           8
        .value_kind:     by_value
      - .offset:         1272
        .size:           1
        .value_kind:     by_value
      - .offset:         1280
        .size:           4
        .value_kind:     hidden_block_count_x
      - .offset:         1284
        .size:           4
        .value_kind:     hidden_block_count_y
      - .offset:         1288
        .size:           4
        .value_kind:     hidden_block_count_z
      - .offset:         1292
        .size:           2
        .value_kind:     hidden_group_size_x
      - .offset:         1294
        .size:           2
        .value_kind:     hidden_group_size_y
      - .offset:         1296
        .size:           2
        .value_kind:     hidden_group_size_z
      - .offset:         1298
        .size:           2
        .value_kind:     hidden_remainder_x
      - .offset:         1300
        .size:           2
        .value_kind:     hidden_remainder_y
      - .offset:         1302
        .size:           2
        .value_kind:     hidden_remainder_z
      - .offset:         1320
        .size:           8
        .value_kind:     hidden_global_offset_x
      - .offset:         1328
        .size:           8
        .value_kind:     hidden_global_offset_y
      - .offset:         1336
        .size:           8
        .value_kind:     hidden_global_offset_z
      - .offset:         1344
        .size:           2
        .value_kind:     hidden_grid_dims
    .group_segment_fixed_size: 5152
    .kernarg_segment_align: 8
    .kernarg_segment_size: 1536
    .language:       OpenCL C
    .language_version:
      - 2
      - 0
    .max_flat_workgroup_size: 1024
    .name:           _ZN2at6native12_GLOBAL__N_112gatherMedianIhmLi2EEEvNS_4cuda6detail10TensorInfoIT_T0_EENS5_IlS7_EENS5_IKS6_S7_EES7_S7_S7_b
    .private_segment_fixed_size: 0
    .sgpr_count:     94
    .sgpr_spill_count: 0
    .symbol:         _ZN2at6native12_GLOBAL__N_112gatherMedianIhmLi2EEEvNS_4cuda6detail10TensorInfoIT_T0_EENS5_IlS7_EENS5_IKS6_S7_EES7_S7_S7_b.kd
    .uniform_work_group_size: 1
    .uses_dynamic_stack: false
    .vgpr_count:     29
    .vgpr_spill_count: 0
    .wavefront_size: 32
    .workgroup_processor_mode: 1
  - .args:
      - .offset:         0
        .size:           416
        .value_kind:     by_value
      - .offset:         416
        .size:           416
        .value_kind:     by_value
      - .offset:         832
        .size:           416
        .value_kind:     by_value
      - .offset:         1248
        .size:           8
        .value_kind:     by_value
      - .offset:         1256
        .size:           8
        .value_kind:     by_value
      - .offset:         1264
        .size:           8
        .value_kind:     by_value
      - .offset:         1272
        .size:           1
        .value_kind:     by_value
      - .offset:         1280
        .size:           4
        .value_kind:     hidden_block_count_x
      - .offset:         1284
        .size:           4
        .value_kind:     hidden_block_count_y
      - .offset:         1288
        .size:           4
        .value_kind:     hidden_block_count_z
      - .offset:         1292
        .size:           2
        .value_kind:     hidden_group_size_x
      - .offset:         1294
        .size:           2
        .value_kind:     hidden_group_size_y
      - .offset:         1296
        .size:           2
        .value_kind:     hidden_group_size_z
      - .offset:         1298
        .size:           2
        .value_kind:     hidden_remainder_x
      - .offset:         1300
        .size:           2
        .value_kind:     hidden_remainder_y
      - .offset:         1302
        .size:           2
        .value_kind:     hidden_remainder_z
      - .offset:         1320
        .size:           8
        .value_kind:     hidden_global_offset_x
      - .offset:         1328
        .size:           8
        .value_kind:     hidden_global_offset_y
      - .offset:         1336
        .size:           8
        .value_kind:     hidden_global_offset_z
      - .offset:         1344
        .size:           2
        .value_kind:     hidden_grid_dims
    .group_segment_fixed_size: 5152
    .kernarg_segment_align: 8
    .kernarg_segment_size: 1536
    .language:       OpenCL C
    .language_version:
      - 2
      - 0
    .max_flat_workgroup_size: 1024
    .name:           _ZN2at6native12_GLOBAL__N_112gatherMedianIhmLi3EEEvNS_4cuda6detail10TensorInfoIT_T0_EENS5_IlS7_EENS5_IKS6_S7_EES7_S7_S7_b
    .private_segment_fixed_size: 0
    .sgpr_count:     106
    .sgpr_spill_count: 0
    .symbol:         _ZN2at6native12_GLOBAL__N_112gatherMedianIhmLi3EEEvNS_4cuda6detail10TensorInfoIT_T0_EENS5_IlS7_EENS5_IKS6_S7_EES7_S7_S7_b.kd
    .uniform_work_group_size: 1
    .uses_dynamic_stack: false
    .vgpr_count:     29
    .vgpr_spill_count: 0
    .wavefront_size: 32
    .workgroup_processor_mode: 1
  - .args:
      - .offset:         0
        .size:           416
        .value_kind:     by_value
      - .offset:         416
        .size:           416
        .value_kind:     by_value
      - .offset:         832
        .size:           416
        .value_kind:     by_value
      - .offset:         1248
        .size:           8
        .value_kind:     by_value
      - .offset:         1256
        .size:           8
        .value_kind:     by_value
      - .offset:         1264
        .size:           8
        .value_kind:     by_value
      - .offset:         1272
        .size:           1
        .value_kind:     by_value
      - .offset:         1280
        .size:           4
        .value_kind:     hidden_block_count_x
      - .offset:         1284
        .size:           4
        .value_kind:     hidden_block_count_y
      - .offset:         1288
        .size:           4
        .value_kind:     hidden_block_count_z
      - .offset:         1292
        .size:           2
        .value_kind:     hidden_group_size_x
      - .offset:         1294
        .size:           2
        .value_kind:     hidden_group_size_y
      - .offset:         1296
        .size:           2
        .value_kind:     hidden_group_size_z
      - .offset:         1298
        .size:           2
        .value_kind:     hidden_remainder_x
      - .offset:         1300
        .size:           2
        .value_kind:     hidden_remainder_y
      - .offset:         1302
        .size:           2
        .value_kind:     hidden_remainder_z
      - .offset:         1320
        .size:           8
        .value_kind:     hidden_global_offset_x
      - .offset:         1328
        .size:           8
        .value_kind:     hidden_global_offset_y
      - .offset:         1336
        .size:           8
        .value_kind:     hidden_global_offset_z
      - .offset:         1344
        .size:           2
        .value_kind:     hidden_grid_dims
    .group_segment_fixed_size: 5152
    .kernarg_segment_align: 8
    .kernarg_segment_size: 1536
    .language:       OpenCL C
    .language_version:
      - 2
      - 0
    .max_flat_workgroup_size: 1024
    .name:           _ZN2at6native12_GLOBAL__N_112gatherMedianIhmLin1EEEvNS_4cuda6detail10TensorInfoIT_T0_EENS5_IlS7_EENS5_IKS6_S7_EES7_S7_S7_b
    .private_segment_fixed_size: 0
    .sgpr_count:     97
    .sgpr_spill_count: 0
    .symbol:         _ZN2at6native12_GLOBAL__N_112gatherMedianIhmLin1EEEvNS_4cuda6detail10TensorInfoIT_T0_EENS5_IlS7_EENS5_IKS6_S7_EES7_S7_S7_b.kd
    .uniform_work_group_size: 1
    .uses_dynamic_stack: false
    .vgpr_count:     41
    .vgpr_spill_count: 0
    .wavefront_size: 32
    .workgroup_processor_mode: 1
  - .args:
      - .offset:         0
        .size:           216
        .value_kind:     by_value
      - .offset:         216
        .size:           216
        .value_kind:     by_value
      - .offset:         432
        .size:           216
        .value_kind:     by_value
      - .offset:         648
        .size:           4
        .value_kind:     by_value
      - .offset:         652
        .size:           4
        .value_kind:     by_value
      - .offset:         656
        .size:           4
        .value_kind:     by_value
      - .offset:         660
        .size:           1
        .value_kind:     by_value
      - .offset:         664
        .size:           4
        .value_kind:     hidden_block_count_x
      - .offset:         668
        .size:           4
        .value_kind:     hidden_block_count_y
      - .offset:         672
        .size:           4
        .value_kind:     hidden_block_count_z
      - .offset:         676
        .size:           2
        .value_kind:     hidden_group_size_x
      - .offset:         678
        .size:           2
        .value_kind:     hidden_group_size_y
      - .offset:         680
        .size:           2
        .value_kind:     hidden_group_size_z
      - .offset:         682
        .size:           2
        .value_kind:     hidden_remainder_x
      - .offset:         684
        .size:           2
        .value_kind:     hidden_remainder_y
      - .offset:         686
        .size:           2
        .value_kind:     hidden_remainder_z
      - .offset:         704
        .size:           8
        .value_kind:     hidden_global_offset_x
      - .offset:         712
        .size:           8
        .value_kind:     hidden_global_offset_y
      - .offset:         720
        .size:           8
        .value_kind:     hidden_global_offset_z
      - .offset:         728
        .size:           2
        .value_kind:     hidden_grid_dims
    .group_segment_fixed_size: 4120
    .kernarg_segment_align: 8
    .kernarg_segment_size: 920
    .language:       OpenCL C
    .language_version:
      - 2
      - 0
    .max_flat_workgroup_size: 1024
    .name:           _ZN2at6native12_GLOBAL__N_112gatherMedianIajLi1EEEvNS_4cuda6detail10TensorInfoIT_T0_EENS5_IlS7_EENS5_IKS6_S7_EES7_S7_S7_b
    .private_segment_fixed_size: 0
    .sgpr_count:     80
    .sgpr_spill_count: 0
    .symbol:         _ZN2at6native12_GLOBAL__N_112gatherMedianIajLi1EEEvNS_4cuda6detail10TensorInfoIT_T0_EENS5_IlS7_EENS5_IKS6_S7_EES7_S7_S7_b.kd
    .uniform_work_group_size: 1
    .uses_dynamic_stack: false
    .vgpr_count:     36
    .vgpr_spill_count: 0
    .wavefront_size: 32
    .workgroup_processor_mode: 1
  - .args:
      - .offset:         0
        .size:           216
        .value_kind:     by_value
      - .offset:         216
        .size:           216
        .value_kind:     by_value
      - .offset:         432
        .size:           216
        .value_kind:     by_value
      - .offset:         648
        .size:           4
        .value_kind:     by_value
      - .offset:         652
        .size:           4
        .value_kind:     by_value
      - .offset:         656
        .size:           4
        .value_kind:     by_value
      - .offset:         660
        .size:           1
        .value_kind:     by_value
      - .offset:         664
        .size:           4
        .value_kind:     hidden_block_count_x
      - .offset:         668
        .size:           4
        .value_kind:     hidden_block_count_y
      - .offset:         672
        .size:           4
        .value_kind:     hidden_block_count_z
      - .offset:         676
        .size:           2
        .value_kind:     hidden_group_size_x
      - .offset:         678
        .size:           2
        .value_kind:     hidden_group_size_y
      - .offset:         680
        .size:           2
        .value_kind:     hidden_group_size_z
      - .offset:         682
        .size:           2
        .value_kind:     hidden_remainder_x
      - .offset:         684
        .size:           2
        .value_kind:     hidden_remainder_y
      - .offset:         686
        .size:           2
        .value_kind:     hidden_remainder_z
      - .offset:         704
        .size:           8
        .value_kind:     hidden_global_offset_x
      - .offset:         712
        .size:           8
        .value_kind:     hidden_global_offset_y
      - .offset:         720
        .size:           8
        .value_kind:     hidden_global_offset_z
      - .offset:         728
        .size:           2
        .value_kind:     hidden_grid_dims
    .group_segment_fixed_size: 4120
    .kernarg_segment_align: 8
    .kernarg_segment_size: 920
    .language:       OpenCL C
    .language_version:
      - 2
      - 0
    .max_flat_workgroup_size: 1024
    .name:           _ZN2at6native12_GLOBAL__N_112gatherMedianIajLi2EEEvNS_4cuda6detail10TensorInfoIT_T0_EENS5_IlS7_EENS5_IKS6_S7_EES7_S7_S7_b
    .private_segment_fixed_size: 0
    .sgpr_count:     86
    .sgpr_spill_count: 0
    .symbol:         _ZN2at6native12_GLOBAL__N_112gatherMedianIajLi2EEEvNS_4cuda6detail10TensorInfoIT_T0_EENS5_IlS7_EENS5_IKS6_S7_EES7_S7_S7_b.kd
    .uniform_work_group_size: 1
    .uses_dynamic_stack: false
    .vgpr_count:     36
    .vgpr_spill_count: 0
    .wavefront_size: 32
    .workgroup_processor_mode: 1
  - .args:
      - .offset:         0
        .size:           216
        .value_kind:     by_value
      - .offset:         216
        .size:           216
        .value_kind:     by_value
      - .offset:         432
        .size:           216
        .value_kind:     by_value
      - .offset:         648
        .size:           4
        .value_kind:     by_value
      - .offset:         652
        .size:           4
        .value_kind:     by_value
      - .offset:         656
        .size:           4
        .value_kind:     by_value
      - .offset:         660
        .size:           1
        .value_kind:     by_value
      - .offset:         664
        .size:           4
        .value_kind:     hidden_block_count_x
      - .offset:         668
        .size:           4
        .value_kind:     hidden_block_count_y
      - .offset:         672
        .size:           4
        .value_kind:     hidden_block_count_z
      - .offset:         676
        .size:           2
        .value_kind:     hidden_group_size_x
      - .offset:         678
        .size:           2
        .value_kind:     hidden_group_size_y
      - .offset:         680
        .size:           2
        .value_kind:     hidden_group_size_z
      - .offset:         682
        .size:           2
        .value_kind:     hidden_remainder_x
      - .offset:         684
        .size:           2
        .value_kind:     hidden_remainder_y
      - .offset:         686
        .size:           2
        .value_kind:     hidden_remainder_z
      - .offset:         704
        .size:           8
        .value_kind:     hidden_global_offset_x
      - .offset:         712
        .size:           8
        .value_kind:     hidden_global_offset_y
      - .offset:         720
        .size:           8
        .value_kind:     hidden_global_offset_z
      - .offset:         728
        .size:           2
        .value_kind:     hidden_grid_dims
    .group_segment_fixed_size: 4120
    .kernarg_segment_align: 8
    .kernarg_segment_size: 920
    .language:       OpenCL C
    .language_version:
      - 2
      - 0
    .max_flat_workgroup_size: 1024
    .name:           _ZN2at6native12_GLOBAL__N_112gatherMedianIajLi3EEEvNS_4cuda6detail10TensorInfoIT_T0_EENS5_IlS7_EENS5_IKS6_S7_EES7_S7_S7_b
    .private_segment_fixed_size: 0
    .sgpr_count:     92
    .sgpr_spill_count: 0
    .symbol:         _ZN2at6native12_GLOBAL__N_112gatherMedianIajLi3EEEvNS_4cuda6detail10TensorInfoIT_T0_EENS5_IlS7_EENS5_IKS6_S7_EES7_S7_S7_b.kd
    .uniform_work_group_size: 1
    .uses_dynamic_stack: false
    .vgpr_count:     36
    .vgpr_spill_count: 0
    .wavefront_size: 32
    .workgroup_processor_mode: 1
  - .args:
      - .offset:         0
        .size:           216
        .value_kind:     by_value
      - .offset:         216
        .size:           216
        .value_kind:     by_value
      - .offset:         432
        .size:           216
        .value_kind:     by_value
      - .offset:         648
        .size:           4
        .value_kind:     by_value
      - .offset:         652
        .size:           4
        .value_kind:     by_value
      - .offset:         656
        .size:           4
        .value_kind:     by_value
      - .offset:         660
        .size:           1
        .value_kind:     by_value
      - .offset:         664
        .size:           4
        .value_kind:     hidden_block_count_x
      - .offset:         668
        .size:           4
        .value_kind:     hidden_block_count_y
      - .offset:         672
        .size:           4
        .value_kind:     hidden_block_count_z
      - .offset:         676
        .size:           2
        .value_kind:     hidden_group_size_x
      - .offset:         678
        .size:           2
        .value_kind:     hidden_group_size_y
      - .offset:         680
        .size:           2
        .value_kind:     hidden_group_size_z
      - .offset:         682
        .size:           2
        .value_kind:     hidden_remainder_x
      - .offset:         684
        .size:           2
        .value_kind:     hidden_remainder_y
      - .offset:         686
        .size:           2
        .value_kind:     hidden_remainder_z
      - .offset:         704
        .size:           8
        .value_kind:     hidden_global_offset_x
      - .offset:         712
        .size:           8
        .value_kind:     hidden_global_offset_y
      - .offset:         720
        .size:           8
        .value_kind:     hidden_global_offset_z
      - .offset:         728
        .size:           2
        .value_kind:     hidden_grid_dims
    .group_segment_fixed_size: 4120
    .kernarg_segment_align: 8
    .kernarg_segment_size: 920
    .language:       OpenCL C
    .language_version:
      - 2
      - 0
    .max_flat_workgroup_size: 1024
    .name:           _ZN2at6native12_GLOBAL__N_112gatherMedianIajLin1EEEvNS_4cuda6detail10TensorInfoIT_T0_EENS5_IlS7_EENS5_IKS6_S7_EES7_S7_S7_b
    .private_segment_fixed_size: 0
    .sgpr_count:     83
    .sgpr_spill_count: 0
    .symbol:         _ZN2at6native12_GLOBAL__N_112gatherMedianIajLin1EEEvNS_4cuda6detail10TensorInfoIT_T0_EENS5_IlS7_EENS5_IKS6_S7_EES7_S7_S7_b.kd
    .uniform_work_group_size: 1
    .uses_dynamic_stack: false
    .vgpr_count:     36
    .vgpr_spill_count: 0
    .wavefront_size: 32
    .workgroup_processor_mode: 1
  - .args:
      - .offset:         0
        .size:           416
        .value_kind:     by_value
      - .offset:         416
        .size:           416
        .value_kind:     by_value
      - .offset:         832
        .size:           416
        .value_kind:     by_value
      - .offset:         1248
        .size:           8
        .value_kind:     by_value
      - .offset:         1256
        .size:           8
        .value_kind:     by_value
      - .offset:         1264
        .size:           8
        .value_kind:     by_value
      - .offset:         1272
        .size:           1
        .value_kind:     by_value
      - .offset:         1280
        .size:           4
        .value_kind:     hidden_block_count_x
      - .offset:         1284
        .size:           4
        .value_kind:     hidden_block_count_y
      - .offset:         1288
        .size:           4
        .value_kind:     hidden_block_count_z
      - .offset:         1292
        .size:           2
        .value_kind:     hidden_group_size_x
      - .offset:         1294
        .size:           2
        .value_kind:     hidden_group_size_y
      - .offset:         1296
        .size:           2
        .value_kind:     hidden_group_size_z
      - .offset:         1298
        .size:           2
        .value_kind:     hidden_remainder_x
      - .offset:         1300
        .size:           2
        .value_kind:     hidden_remainder_y
      - .offset:         1302
        .size:           2
        .value_kind:     hidden_remainder_z
      - .offset:         1320
        .size:           8
        .value_kind:     hidden_global_offset_x
      - .offset:         1328
        .size:           8
        .value_kind:     hidden_global_offset_y
      - .offset:         1336
        .size:           8
        .value_kind:     hidden_global_offset_z
      - .offset:         1344
        .size:           2
        .value_kind:     hidden_grid_dims
    .group_segment_fixed_size: 5152
    .kernarg_segment_align: 8
    .kernarg_segment_size: 1536
    .language:       OpenCL C
    .language_version:
      - 2
      - 0
    .max_flat_workgroup_size: 1024
    .name:           _ZN2at6native12_GLOBAL__N_112gatherMedianIamLi1EEEvNS_4cuda6detail10TensorInfoIT_T0_EENS5_IlS7_EENS5_IKS6_S7_EES7_S7_S7_b
    .private_segment_fixed_size: 0
    .sgpr_count:     92
    .sgpr_spill_count: 0
    .symbol:         _ZN2at6native12_GLOBAL__N_112gatherMedianIamLi1EEEvNS_4cuda6detail10TensorInfoIT_T0_EENS5_IlS7_EENS5_IKS6_S7_EES7_S7_S7_b.kd
    .uniform_work_group_size: 1
    .uses_dynamic_stack: false
    .vgpr_count:     37
    .vgpr_spill_count: 0
    .wavefront_size: 32
    .workgroup_processor_mode: 1
  - .args:
      - .offset:         0
        .size:           416
        .value_kind:     by_value
      - .offset:         416
        .size:           416
        .value_kind:     by_value
      - .offset:         832
        .size:           416
        .value_kind:     by_value
      - .offset:         1248
        .size:           8
        .value_kind:     by_value
      - .offset:         1256
        .size:           8
        .value_kind:     by_value
      - .offset:         1264
        .size:           8
        .value_kind:     by_value
      - .offset:         1272
        .size:           1
        .value_kind:     by_value
      - .offset:         1280
        .size:           4
        .value_kind:     hidden_block_count_x
      - .offset:         1284
        .size:           4
        .value_kind:     hidden_block_count_y
      - .offset:         1288
        .size:           4
        .value_kind:     hidden_block_count_z
      - .offset:         1292
        .size:           2
        .value_kind:     hidden_group_size_x
      - .offset:         1294
        .size:           2
        .value_kind:     hidden_group_size_y
      - .offset:         1296
        .size:           2
        .value_kind:     hidden_group_size_z
      - .offset:         1298
        .size:           2
        .value_kind:     hidden_remainder_x
      - .offset:         1300
        .size:           2
        .value_kind:     hidden_remainder_y
      - .offset:         1302
        .size:           2
        .value_kind:     hidden_remainder_z
      - .offset:         1320
        .size:           8
        .value_kind:     hidden_global_offset_x
      - .offset:         1328
        .size:           8
        .value_kind:     hidden_global_offset_y
      - .offset:         1336
        .size:           8
        .value_kind:     hidden_global_offset_z
      - .offset:         1344
        .size:           2
        .value_kind:     hidden_grid_dims
    .group_segment_fixed_size: 5152
    .kernarg_segment_align: 8
    .kernarg_segment_size: 1536
    .language:       OpenCL C
    .language_version:
      - 2
      - 0
    .max_flat_workgroup_size: 1024
    .name:           _ZN2at6native12_GLOBAL__N_112gatherMedianIamLi2EEEvNS_4cuda6detail10TensorInfoIT_T0_EENS5_IlS7_EENS5_IKS6_S7_EES7_S7_S7_b
    .private_segment_fixed_size: 0
    .sgpr_count:     94
    .sgpr_spill_count: 0
    .symbol:         _ZN2at6native12_GLOBAL__N_112gatherMedianIamLi2EEEvNS_4cuda6detail10TensorInfoIT_T0_EENS5_IlS7_EENS5_IKS6_S7_EES7_S7_S7_b.kd
    .uniform_work_group_size: 1
    .uses_dynamic_stack: false
    .vgpr_count:     29
    .vgpr_spill_count: 0
    .wavefront_size: 32
    .workgroup_processor_mode: 1
  - .args:
      - .offset:         0
        .size:           416
        .value_kind:     by_value
      - .offset:         416
        .size:           416
        .value_kind:     by_value
      - .offset:         832
        .size:           416
        .value_kind:     by_value
      - .offset:         1248
        .size:           8
        .value_kind:     by_value
      - .offset:         1256
        .size:           8
        .value_kind:     by_value
      - .offset:         1264
        .size:           8
        .value_kind:     by_value
      - .offset:         1272
        .size:           1
        .value_kind:     by_value
      - .offset:         1280
        .size:           4
        .value_kind:     hidden_block_count_x
      - .offset:         1284
        .size:           4
        .value_kind:     hidden_block_count_y
      - .offset:         1288
        .size:           4
        .value_kind:     hidden_block_count_z
      - .offset:         1292
        .size:           2
        .value_kind:     hidden_group_size_x
      - .offset:         1294
        .size:           2
        .value_kind:     hidden_group_size_y
      - .offset:         1296
        .size:           2
        .value_kind:     hidden_group_size_z
      - .offset:         1298
        .size:           2
        .value_kind:     hidden_remainder_x
      - .offset:         1300
        .size:           2
        .value_kind:     hidden_remainder_y
      - .offset:         1302
        .size:           2
        .value_kind:     hidden_remainder_z
      - .offset:         1320
        .size:           8
        .value_kind:     hidden_global_offset_x
      - .offset:         1328
        .size:           8
        .value_kind:     hidden_global_offset_y
      - .offset:         1336
        .size:           8
        .value_kind:     hidden_global_offset_z
      - .offset:         1344
        .size:           2
        .value_kind:     hidden_grid_dims
    .group_segment_fixed_size: 5152
    .kernarg_segment_align: 8
    .kernarg_segment_size: 1536
    .language:       OpenCL C
    .language_version:
      - 2
      - 0
    .max_flat_workgroup_size: 1024
    .name:           _ZN2at6native12_GLOBAL__N_112gatherMedianIamLi3EEEvNS_4cuda6detail10TensorInfoIT_T0_EENS5_IlS7_EENS5_IKS6_S7_EES7_S7_S7_b
    .private_segment_fixed_size: 0
    .sgpr_count:     106
    .sgpr_spill_count: 0
    .symbol:         _ZN2at6native12_GLOBAL__N_112gatherMedianIamLi3EEEvNS_4cuda6detail10TensorInfoIT_T0_EENS5_IlS7_EENS5_IKS6_S7_EES7_S7_S7_b.kd
    .uniform_work_group_size: 1
    .uses_dynamic_stack: false
    .vgpr_count:     29
    .vgpr_spill_count: 0
    .wavefront_size: 32
    .workgroup_processor_mode: 1
  - .args:
      - .offset:         0
        .size:           416
        .value_kind:     by_value
      - .offset:         416
        .size:           416
        .value_kind:     by_value
      - .offset:         832
        .size:           416
        .value_kind:     by_value
      - .offset:         1248
        .size:           8
        .value_kind:     by_value
      - .offset:         1256
        .size:           8
        .value_kind:     by_value
      - .offset:         1264
        .size:           8
        .value_kind:     by_value
      - .offset:         1272
        .size:           1
        .value_kind:     by_value
      - .offset:         1280
        .size:           4
        .value_kind:     hidden_block_count_x
      - .offset:         1284
        .size:           4
        .value_kind:     hidden_block_count_y
      - .offset:         1288
        .size:           4
        .value_kind:     hidden_block_count_z
      - .offset:         1292
        .size:           2
        .value_kind:     hidden_group_size_x
      - .offset:         1294
        .size:           2
        .value_kind:     hidden_group_size_y
      - .offset:         1296
        .size:           2
        .value_kind:     hidden_group_size_z
      - .offset:         1298
        .size:           2
        .value_kind:     hidden_remainder_x
      - .offset:         1300
        .size:           2
        .value_kind:     hidden_remainder_y
      - .offset:         1302
        .size:           2
        .value_kind:     hidden_remainder_z
      - .offset:         1320
        .size:           8
        .value_kind:     hidden_global_offset_x
      - .offset:         1328
        .size:           8
        .value_kind:     hidden_global_offset_y
      - .offset:         1336
        .size:           8
        .value_kind:     hidden_global_offset_z
      - .offset:         1344
        .size:           2
        .value_kind:     hidden_grid_dims
    .group_segment_fixed_size: 5152
    .kernarg_segment_align: 8
    .kernarg_segment_size: 1536
    .language:       OpenCL C
    .language_version:
      - 2
      - 0
    .max_flat_workgroup_size: 1024
    .name:           _ZN2at6native12_GLOBAL__N_112gatherMedianIamLin1EEEvNS_4cuda6detail10TensorInfoIT_T0_EENS5_IlS7_EENS5_IKS6_S7_EES7_S7_S7_b
    .private_segment_fixed_size: 0
    .sgpr_count:     97
    .sgpr_spill_count: 0
    .symbol:         _ZN2at6native12_GLOBAL__N_112gatherMedianIamLin1EEEvNS_4cuda6detail10TensorInfoIT_T0_EENS5_IlS7_EENS5_IKS6_S7_EES7_S7_S7_b.kd
    .uniform_work_group_size: 1
    .uses_dynamic_stack: false
    .vgpr_count:     41
    .vgpr_spill_count: 0
    .wavefront_size: 32
    .workgroup_processor_mode: 1
  - .args:
      - .offset:         0
        .size:           216
        .value_kind:     by_value
      - .offset:         216
        .size:           216
        .value_kind:     by_value
      - .offset:         432
        .size:           216
        .value_kind:     by_value
      - .offset:         648
        .size:           4
        .value_kind:     by_value
      - .offset:         652
        .size:           4
        .value_kind:     by_value
      - .offset:         656
        .size:           4
        .value_kind:     by_value
      - .offset:         660
        .size:           1
        .value_kind:     by_value
      - .offset:         664
        .size:           4
        .value_kind:     hidden_block_count_x
      - .offset:         668
        .size:           4
        .value_kind:     hidden_block_count_y
      - .offset:         672
        .size:           4
        .value_kind:     hidden_block_count_z
      - .offset:         676
        .size:           2
        .value_kind:     hidden_group_size_x
      - .offset:         678
        .size:           2
        .value_kind:     hidden_group_size_y
      - .offset:         680
        .size:           2
        .value_kind:     hidden_group_size_z
      - .offset:         682
        .size:           2
        .value_kind:     hidden_remainder_x
      - .offset:         684
        .size:           2
        .value_kind:     hidden_remainder_y
      - .offset:         686
        .size:           2
        .value_kind:     hidden_remainder_z
      - .offset:         704
        .size:           8
        .value_kind:     hidden_global_offset_x
      - .offset:         712
        .size:           8
        .value_kind:     hidden_global_offset_y
      - .offset:         720
        .size:           8
        .value_kind:     hidden_global_offset_z
      - .offset:         728
        .size:           2
        .value_kind:     hidden_grid_dims
    .group_segment_fixed_size: 4120
    .kernarg_segment_align: 8
    .kernarg_segment_size: 920
    .language:       OpenCL C
    .language_version:
      - 2
      - 0
    .max_flat_workgroup_size: 1024
    .name:           _ZN2at6native12_GLOBAL__N_112gatherMedianIijLi1EEEvNS_4cuda6detail10TensorInfoIT_T0_EENS5_IlS7_EENS5_IKS6_S7_EES7_S7_S7_b
    .private_segment_fixed_size: 0
    .sgpr_count:     81
    .sgpr_spill_count: 0
    .symbol:         _ZN2at6native12_GLOBAL__N_112gatherMedianIijLi1EEEvNS_4cuda6detail10TensorInfoIT_T0_EENS5_IlS7_EENS5_IKS6_S7_EES7_S7_S7_b.kd
    .uniform_work_group_size: 1
    .uses_dynamic_stack: false
    .vgpr_count:     40
    .vgpr_spill_count: 0
    .wavefront_size: 32
    .workgroup_processor_mode: 1
  - .args:
      - .offset:         0
        .size:           216
        .value_kind:     by_value
      - .offset:         216
        .size:           216
        .value_kind:     by_value
      - .offset:         432
        .size:           216
        .value_kind:     by_value
      - .offset:         648
        .size:           4
        .value_kind:     by_value
      - .offset:         652
        .size:           4
        .value_kind:     by_value
      - .offset:         656
        .size:           4
        .value_kind:     by_value
      - .offset:         660
        .size:           1
        .value_kind:     by_value
      - .offset:         664
        .size:           4
        .value_kind:     hidden_block_count_x
      - .offset:         668
        .size:           4
        .value_kind:     hidden_block_count_y
      - .offset:         672
        .size:           4
        .value_kind:     hidden_block_count_z
      - .offset:         676
        .size:           2
        .value_kind:     hidden_group_size_x
      - .offset:         678
        .size:           2
        .value_kind:     hidden_group_size_y
      - .offset:         680
        .size:           2
        .value_kind:     hidden_group_size_z
      - .offset:         682
        .size:           2
        .value_kind:     hidden_remainder_x
      - .offset:         684
        .size:           2
        .value_kind:     hidden_remainder_y
      - .offset:         686
        .size:           2
        .value_kind:     hidden_remainder_z
      - .offset:         704
        .size:           8
        .value_kind:     hidden_global_offset_x
      - .offset:         712
        .size:           8
        .value_kind:     hidden_global_offset_y
      - .offset:         720
        .size:           8
        .value_kind:     hidden_global_offset_z
      - .offset:         728
        .size:           2
        .value_kind:     hidden_grid_dims
    .group_segment_fixed_size: 4120
    .kernarg_segment_align: 8
    .kernarg_segment_size: 920
    .language:       OpenCL C
    .language_version:
      - 2
      - 0
    .max_flat_workgroup_size: 1024
    .name:           _ZN2at6native12_GLOBAL__N_112gatherMedianIijLi2EEEvNS_4cuda6detail10TensorInfoIT_T0_EENS5_IlS7_EENS5_IKS6_S7_EES7_S7_S7_b
    .private_segment_fixed_size: 0
    .sgpr_count:     87
    .sgpr_spill_count: 0
    .symbol:         _ZN2at6native12_GLOBAL__N_112gatherMedianIijLi2EEEvNS_4cuda6detail10TensorInfoIT_T0_EENS5_IlS7_EENS5_IKS6_S7_EES7_S7_S7_b.kd
    .uniform_work_group_size: 1
    .uses_dynamic_stack: false
    .vgpr_count:     40
    .vgpr_spill_count: 0
    .wavefront_size: 32
    .workgroup_processor_mode: 1
  - .args:
      - .offset:         0
        .size:           216
        .value_kind:     by_value
      - .offset:         216
        .size:           216
        .value_kind:     by_value
      - .offset:         432
        .size:           216
        .value_kind:     by_value
      - .offset:         648
        .size:           4
        .value_kind:     by_value
      - .offset:         652
        .size:           4
        .value_kind:     by_value
      - .offset:         656
        .size:           4
        .value_kind:     by_value
      - .offset:         660
        .size:           1
        .value_kind:     by_value
      - .offset:         664
        .size:           4
        .value_kind:     hidden_block_count_x
      - .offset:         668
        .size:           4
        .value_kind:     hidden_block_count_y
      - .offset:         672
        .size:           4
        .value_kind:     hidden_block_count_z
      - .offset:         676
        .size:           2
        .value_kind:     hidden_group_size_x
      - .offset:         678
        .size:           2
        .value_kind:     hidden_group_size_y
      - .offset:         680
        .size:           2
        .value_kind:     hidden_group_size_z
      - .offset:         682
        .size:           2
        .value_kind:     hidden_remainder_x
      - .offset:         684
        .size:           2
        .value_kind:     hidden_remainder_y
      - .offset:         686
        .size:           2
        .value_kind:     hidden_remainder_z
      - .offset:         704
        .size:           8
        .value_kind:     hidden_global_offset_x
      - .offset:         712
        .size:           8
        .value_kind:     hidden_global_offset_y
      - .offset:         720
        .size:           8
        .value_kind:     hidden_global_offset_z
      - .offset:         728
        .size:           2
        .value_kind:     hidden_grid_dims
    .group_segment_fixed_size: 4120
    .kernarg_segment_align: 8
    .kernarg_segment_size: 920
    .language:       OpenCL C
    .language_version:
      - 2
      - 0
    .max_flat_workgroup_size: 1024
    .name:           _ZN2at6native12_GLOBAL__N_112gatherMedianIijLi3EEEvNS_4cuda6detail10TensorInfoIT_T0_EENS5_IlS7_EENS5_IKS6_S7_EES7_S7_S7_b
    .private_segment_fixed_size: 0
    .sgpr_count:     93
    .sgpr_spill_count: 0
    .symbol:         _ZN2at6native12_GLOBAL__N_112gatherMedianIijLi3EEEvNS_4cuda6detail10TensorInfoIT_T0_EENS5_IlS7_EENS5_IKS6_S7_EES7_S7_S7_b.kd
    .uniform_work_group_size: 1
    .uses_dynamic_stack: false
    .vgpr_count:     40
    .vgpr_spill_count: 0
    .wavefront_size: 32
    .workgroup_processor_mode: 1
  - .args:
      - .offset:         0
        .size:           216
        .value_kind:     by_value
      - .offset:         216
        .size:           216
        .value_kind:     by_value
      - .offset:         432
        .size:           216
        .value_kind:     by_value
      - .offset:         648
        .size:           4
        .value_kind:     by_value
      - .offset:         652
        .size:           4
        .value_kind:     by_value
      - .offset:         656
        .size:           4
        .value_kind:     by_value
      - .offset:         660
        .size:           1
        .value_kind:     by_value
      - .offset:         664
        .size:           4
        .value_kind:     hidden_block_count_x
      - .offset:         668
        .size:           4
        .value_kind:     hidden_block_count_y
      - .offset:         672
        .size:           4
        .value_kind:     hidden_block_count_z
      - .offset:         676
        .size:           2
        .value_kind:     hidden_group_size_x
      - .offset:         678
        .size:           2
        .value_kind:     hidden_group_size_y
      - .offset:         680
        .size:           2
        .value_kind:     hidden_group_size_z
      - .offset:         682
        .size:           2
        .value_kind:     hidden_remainder_x
      - .offset:         684
        .size:           2
        .value_kind:     hidden_remainder_y
      - .offset:         686
        .size:           2
        .value_kind:     hidden_remainder_z
      - .offset:         704
        .size:           8
        .value_kind:     hidden_global_offset_x
      - .offset:         712
        .size:           8
        .value_kind:     hidden_global_offset_y
      - .offset:         720
        .size:           8
        .value_kind:     hidden_global_offset_z
      - .offset:         728
        .size:           2
        .value_kind:     hidden_grid_dims
    .group_segment_fixed_size: 4120
    .kernarg_segment_align: 8
    .kernarg_segment_size: 920
    .language:       OpenCL C
    .language_version:
      - 2
      - 0
    .max_flat_workgroup_size: 1024
    .name:           _ZN2at6native12_GLOBAL__N_112gatherMedianIijLin1EEEvNS_4cuda6detail10TensorInfoIT_T0_EENS5_IlS7_EENS5_IKS6_S7_EES7_S7_S7_b
    .private_segment_fixed_size: 0
    .sgpr_count:     84
    .sgpr_spill_count: 0
    .symbol:         _ZN2at6native12_GLOBAL__N_112gatherMedianIijLin1EEEvNS_4cuda6detail10TensorInfoIT_T0_EENS5_IlS7_EENS5_IKS6_S7_EES7_S7_S7_b.kd
    .uniform_work_group_size: 1
    .uses_dynamic_stack: false
    .vgpr_count:     40
    .vgpr_spill_count: 0
    .wavefront_size: 32
    .workgroup_processor_mode: 1
  - .args:
      - .offset:         0
        .size:           416
        .value_kind:     by_value
      - .offset:         416
        .size:           416
        .value_kind:     by_value
      - .offset:         832
        .size:           416
        .value_kind:     by_value
      - .offset:         1248
        .size:           8
        .value_kind:     by_value
      - .offset:         1256
        .size:           8
        .value_kind:     by_value
      - .offset:         1264
        .size:           8
        .value_kind:     by_value
      - .offset:         1272
        .size:           1
        .value_kind:     by_value
      - .offset:         1280
        .size:           4
        .value_kind:     hidden_block_count_x
      - .offset:         1284
        .size:           4
        .value_kind:     hidden_block_count_y
      - .offset:         1288
        .size:           4
        .value_kind:     hidden_block_count_z
      - .offset:         1292
        .size:           2
        .value_kind:     hidden_group_size_x
      - .offset:         1294
        .size:           2
        .value_kind:     hidden_group_size_y
      - .offset:         1296
        .size:           2
        .value_kind:     hidden_group_size_z
      - .offset:         1298
        .size:           2
        .value_kind:     hidden_remainder_x
      - .offset:         1300
        .size:           2
        .value_kind:     hidden_remainder_y
      - .offset:         1302
        .size:           2
        .value_kind:     hidden_remainder_z
      - .offset:         1320
        .size:           8
        .value_kind:     hidden_global_offset_x
      - .offset:         1328
        .size:           8
        .value_kind:     hidden_global_offset_y
      - .offset:         1336
        .size:           8
        .value_kind:     hidden_global_offset_z
      - .offset:         1344
        .size:           2
        .value_kind:     hidden_grid_dims
    .group_segment_fixed_size: 5152
    .kernarg_segment_align: 8
    .kernarg_segment_size: 1536
    .language:       OpenCL C
    .language_version:
      - 2
      - 0
    .max_flat_workgroup_size: 1024
    .name:           _ZN2at6native12_GLOBAL__N_112gatherMedianIimLi1EEEvNS_4cuda6detail10TensorInfoIT_T0_EENS5_IlS7_EENS5_IKS6_S7_EES7_S7_S7_b
    .private_segment_fixed_size: 0
    .sgpr_count:     95
    .sgpr_spill_count: 0
    .symbol:         _ZN2at6native12_GLOBAL__N_112gatherMedianIimLi1EEEvNS_4cuda6detail10TensorInfoIT_T0_EENS5_IlS7_EENS5_IKS6_S7_EES7_S7_S7_b.kd
    .uniform_work_group_size: 1
    .uses_dynamic_stack: false
    .vgpr_count:     41
    .vgpr_spill_count: 0
    .wavefront_size: 32
    .workgroup_processor_mode: 1
  - .args:
      - .offset:         0
        .size:           416
        .value_kind:     by_value
      - .offset:         416
        .size:           416
        .value_kind:     by_value
      - .offset:         832
        .size:           416
        .value_kind:     by_value
      - .offset:         1248
        .size:           8
        .value_kind:     by_value
      - .offset:         1256
        .size:           8
        .value_kind:     by_value
      - .offset:         1264
        .size:           8
        .value_kind:     by_value
      - .offset:         1272
        .size:           1
        .value_kind:     by_value
      - .offset:         1280
        .size:           4
        .value_kind:     hidden_block_count_x
      - .offset:         1284
        .size:           4
        .value_kind:     hidden_block_count_y
      - .offset:         1288
        .size:           4
        .value_kind:     hidden_block_count_z
      - .offset:         1292
        .size:           2
        .value_kind:     hidden_group_size_x
      - .offset:         1294
        .size:           2
        .value_kind:     hidden_group_size_y
      - .offset:         1296
        .size:           2
        .value_kind:     hidden_group_size_z
      - .offset:         1298
        .size:           2
        .value_kind:     hidden_remainder_x
      - .offset:         1300
        .size:           2
        .value_kind:     hidden_remainder_y
      - .offset:         1302
        .size:           2
        .value_kind:     hidden_remainder_z
      - .offset:         1320
        .size:           8
        .value_kind:     hidden_global_offset_x
      - .offset:         1328
        .size:           8
        .value_kind:     hidden_global_offset_y
      - .offset:         1336
        .size:           8
        .value_kind:     hidden_global_offset_z
      - .offset:         1344
        .size:           2
        .value_kind:     hidden_grid_dims
    .group_segment_fixed_size: 5152
    .kernarg_segment_align: 8
    .kernarg_segment_size: 1536
    .language:       OpenCL C
    .language_version:
      - 2
      - 0
    .max_flat_workgroup_size: 1024
    .name:           _ZN2at6native12_GLOBAL__N_112gatherMedianIimLi2EEEvNS_4cuda6detail10TensorInfoIT_T0_EENS5_IlS7_EENS5_IKS6_S7_EES7_S7_S7_b
    .private_segment_fixed_size: 0
    .sgpr_count:     95
    .sgpr_spill_count: 0
    .symbol:         _ZN2at6native12_GLOBAL__N_112gatherMedianIimLi2EEEvNS_4cuda6detail10TensorInfoIT_T0_EENS5_IlS7_EENS5_IKS6_S7_EES7_S7_S7_b.kd
    .uniform_work_group_size: 1
    .uses_dynamic_stack: false
    .vgpr_count:     33
    .vgpr_spill_count: 0
    .wavefront_size: 32
    .workgroup_processor_mode: 1
  - .args:
      - .offset:         0
        .size:           416
        .value_kind:     by_value
      - .offset:         416
        .size:           416
        .value_kind:     by_value
      - .offset:         832
        .size:           416
        .value_kind:     by_value
      - .offset:         1248
        .size:           8
        .value_kind:     by_value
      - .offset:         1256
        .size:           8
        .value_kind:     by_value
      - .offset:         1264
        .size:           8
        .value_kind:     by_value
      - .offset:         1272
        .size:           1
        .value_kind:     by_value
      - .offset:         1280
        .size:           4
        .value_kind:     hidden_block_count_x
      - .offset:         1284
        .size:           4
        .value_kind:     hidden_block_count_y
      - .offset:         1288
        .size:           4
        .value_kind:     hidden_block_count_z
      - .offset:         1292
        .size:           2
        .value_kind:     hidden_group_size_x
      - .offset:         1294
        .size:           2
        .value_kind:     hidden_group_size_y
      - .offset:         1296
        .size:           2
        .value_kind:     hidden_group_size_z
      - .offset:         1298
        .size:           2
        .value_kind:     hidden_remainder_x
      - .offset:         1300
        .size:           2
        .value_kind:     hidden_remainder_y
      - .offset:         1302
        .size:           2
        .value_kind:     hidden_remainder_z
      - .offset:         1320
        .size:           8
        .value_kind:     hidden_global_offset_x
      - .offset:         1328
        .size:           8
        .value_kind:     hidden_global_offset_y
      - .offset:         1336
        .size:           8
        .value_kind:     hidden_global_offset_z
      - .offset:         1344
        .size:           2
        .value_kind:     hidden_grid_dims
    .group_segment_fixed_size: 5152
    .kernarg_segment_align: 8
    .kernarg_segment_size: 1536
    .language:       OpenCL C
    .language_version:
      - 2
      - 0
    .max_flat_workgroup_size: 1024
    .name:           _ZN2at6native12_GLOBAL__N_112gatherMedianIimLi3EEEvNS_4cuda6detail10TensorInfoIT_T0_EENS5_IlS7_EENS5_IKS6_S7_EES7_S7_S7_b
    .private_segment_fixed_size: 0
    .sgpr_count:     107
    .sgpr_spill_count: 0
    .symbol:         _ZN2at6native12_GLOBAL__N_112gatherMedianIimLi3EEEvNS_4cuda6detail10TensorInfoIT_T0_EENS5_IlS7_EENS5_IKS6_S7_EES7_S7_S7_b.kd
    .uniform_work_group_size: 1
    .uses_dynamic_stack: false
    .vgpr_count:     33
    .vgpr_spill_count: 0
    .wavefront_size: 32
    .workgroup_processor_mode: 1
  - .args:
      - .offset:         0
        .size:           416
        .value_kind:     by_value
      - .offset:         416
        .size:           416
        .value_kind:     by_value
      - .offset:         832
        .size:           416
        .value_kind:     by_value
      - .offset:         1248
        .size:           8
        .value_kind:     by_value
      - .offset:         1256
        .size:           8
        .value_kind:     by_value
      - .offset:         1264
        .size:           8
        .value_kind:     by_value
      - .offset:         1272
        .size:           1
        .value_kind:     by_value
      - .offset:         1280
        .size:           4
        .value_kind:     hidden_block_count_x
      - .offset:         1284
        .size:           4
        .value_kind:     hidden_block_count_y
      - .offset:         1288
        .size:           4
        .value_kind:     hidden_block_count_z
      - .offset:         1292
        .size:           2
        .value_kind:     hidden_group_size_x
      - .offset:         1294
        .size:           2
        .value_kind:     hidden_group_size_y
      - .offset:         1296
        .size:           2
        .value_kind:     hidden_group_size_z
      - .offset:         1298
        .size:           2
        .value_kind:     hidden_remainder_x
      - .offset:         1300
        .size:           2
        .value_kind:     hidden_remainder_y
      - .offset:         1302
        .size:           2
        .value_kind:     hidden_remainder_z
      - .offset:         1320
        .size:           8
        .value_kind:     hidden_global_offset_x
      - .offset:         1328
        .size:           8
        .value_kind:     hidden_global_offset_y
      - .offset:         1336
        .size:           8
        .value_kind:     hidden_global_offset_z
      - .offset:         1344
        .size:           2
        .value_kind:     hidden_grid_dims
    .group_segment_fixed_size: 5152
    .kernarg_segment_align: 8
    .kernarg_segment_size: 1536
    .language:       OpenCL C
    .language_version:
      - 2
      - 0
    .max_flat_workgroup_size: 1024
    .name:           _ZN2at6native12_GLOBAL__N_112gatherMedianIimLin1EEEvNS_4cuda6detail10TensorInfoIT_T0_EENS5_IlS7_EENS5_IKS6_S7_EES7_S7_S7_b
    .private_segment_fixed_size: 0
    .sgpr_count:     104
    .sgpr_spill_count: 0
    .symbol:         _ZN2at6native12_GLOBAL__N_112gatherMedianIimLin1EEEvNS_4cuda6detail10TensorInfoIT_T0_EENS5_IlS7_EENS5_IKS6_S7_EES7_S7_S7_b.kd
    .uniform_work_group_size: 1
    .uses_dynamic_stack: false
    .vgpr_count:     47
    .vgpr_spill_count: 0
    .wavefront_size: 32
    .workgroup_processor_mode: 1
  - .args:
      - .offset:         0
        .size:           216
        .value_kind:     by_value
      - .offset:         216
        .size:           216
        .value_kind:     by_value
      - .offset:         432
        .size:           216
        .value_kind:     by_value
      - .offset:         648
        .size:           4
        .value_kind:     by_value
      - .offset:         652
        .size:           4
        .value_kind:     by_value
      - .offset:         656
        .size:           4
        .value_kind:     by_value
      - .offset:         660
        .size:           1
        .value_kind:     by_value
      - .offset:         664
        .size:           4
        .value_kind:     hidden_block_count_x
      - .offset:         668
        .size:           4
        .value_kind:     hidden_block_count_y
      - .offset:         672
        .size:           4
        .value_kind:     hidden_block_count_z
      - .offset:         676
        .size:           2
        .value_kind:     hidden_group_size_x
      - .offset:         678
        .size:           2
        .value_kind:     hidden_group_size_y
      - .offset:         680
        .size:           2
        .value_kind:     hidden_group_size_z
      - .offset:         682
        .size:           2
        .value_kind:     hidden_remainder_x
      - .offset:         684
        .size:           2
        .value_kind:     hidden_remainder_y
      - .offset:         686
        .size:           2
        .value_kind:     hidden_remainder_z
      - .offset:         704
        .size:           8
        .value_kind:     hidden_global_offset_x
      - .offset:         712
        .size:           8
        .value_kind:     hidden_global_offset_y
      - .offset:         720
        .size:           8
        .value_kind:     hidden_global_offset_z
      - .offset:         728
        .size:           2
        .value_kind:     hidden_grid_dims
    .group_segment_fixed_size: 4120
    .kernarg_segment_align: 8
    .kernarg_segment_size: 920
    .language:       OpenCL C
    .language_version:
      - 2
      - 0
    .max_flat_workgroup_size: 1024
    .name:           _ZN2at6native12_GLOBAL__N_112gatherMedianIljLi1EEEvNS_4cuda6detail10TensorInfoIT_T0_EENS5_IlS7_EENS5_IKS6_S7_EES7_S7_S7_b
    .private_segment_fixed_size: 0
    .sgpr_count:     84
    .sgpr_spill_count: 0
    .symbol:         _ZN2at6native12_GLOBAL__N_112gatherMedianIljLi1EEEvNS_4cuda6detail10TensorInfoIT_T0_EENS5_IlS7_EENS5_IKS6_S7_EES7_S7_S7_b.kd
    .uniform_work_group_size: 1
    .uses_dynamic_stack: false
    .vgpr_count:     49
    .vgpr_spill_count: 0
    .wavefront_size: 32
    .workgroup_processor_mode: 1
  - .args:
      - .offset:         0
        .size:           216
        .value_kind:     by_value
      - .offset:         216
        .size:           216
        .value_kind:     by_value
      - .offset:         432
        .size:           216
        .value_kind:     by_value
      - .offset:         648
        .size:           4
        .value_kind:     by_value
      - .offset:         652
        .size:           4
        .value_kind:     by_value
      - .offset:         656
        .size:           4
        .value_kind:     by_value
      - .offset:         660
        .size:           1
        .value_kind:     by_value
      - .offset:         664
        .size:           4
        .value_kind:     hidden_block_count_x
      - .offset:         668
        .size:           4
        .value_kind:     hidden_block_count_y
      - .offset:         672
        .size:           4
        .value_kind:     hidden_block_count_z
      - .offset:         676
        .size:           2
        .value_kind:     hidden_group_size_x
      - .offset:         678
        .size:           2
        .value_kind:     hidden_group_size_y
      - .offset:         680
        .size:           2
        .value_kind:     hidden_group_size_z
      - .offset:         682
        .size:           2
        .value_kind:     hidden_remainder_x
      - .offset:         684
        .size:           2
        .value_kind:     hidden_remainder_y
      - .offset:         686
        .size:           2
        .value_kind:     hidden_remainder_z
      - .offset:         704
        .size:           8
        .value_kind:     hidden_global_offset_x
      - .offset:         712
        .size:           8
        .value_kind:     hidden_global_offset_y
      - .offset:         720
        .size:           8
        .value_kind:     hidden_global_offset_z
      - .offset:         728
        .size:           2
        .value_kind:     hidden_grid_dims
    .group_segment_fixed_size: 4120
    .kernarg_segment_align: 8
    .kernarg_segment_size: 920
    .language:       OpenCL C
    .language_version:
      - 2
      - 0
    .max_flat_workgroup_size: 1024
    .name:           _ZN2at6native12_GLOBAL__N_112gatherMedianIljLi2EEEvNS_4cuda6detail10TensorInfoIT_T0_EENS5_IlS7_EENS5_IKS6_S7_EES7_S7_S7_b
    .private_segment_fixed_size: 0
    .sgpr_count:     90
    .sgpr_spill_count: 0
    .symbol:         _ZN2at6native12_GLOBAL__N_112gatherMedianIljLi2EEEvNS_4cuda6detail10TensorInfoIT_T0_EENS5_IlS7_EENS5_IKS6_S7_EES7_S7_S7_b.kd
    .uniform_work_group_size: 1
    .uses_dynamic_stack: false
    .vgpr_count:     49
    .vgpr_spill_count: 0
    .wavefront_size: 32
    .workgroup_processor_mode: 1
  - .args:
      - .offset:         0
        .size:           216
        .value_kind:     by_value
      - .offset:         216
        .size:           216
        .value_kind:     by_value
      - .offset:         432
        .size:           216
        .value_kind:     by_value
      - .offset:         648
        .size:           4
        .value_kind:     by_value
      - .offset:         652
        .size:           4
        .value_kind:     by_value
      - .offset:         656
        .size:           4
        .value_kind:     by_value
      - .offset:         660
        .size:           1
        .value_kind:     by_value
      - .offset:         664
        .size:           4
        .value_kind:     hidden_block_count_x
      - .offset:         668
        .size:           4
        .value_kind:     hidden_block_count_y
      - .offset:         672
        .size:           4
        .value_kind:     hidden_block_count_z
      - .offset:         676
        .size:           2
        .value_kind:     hidden_group_size_x
      - .offset:         678
        .size:           2
        .value_kind:     hidden_group_size_y
      - .offset:         680
        .size:           2
        .value_kind:     hidden_group_size_z
      - .offset:         682
        .size:           2
        .value_kind:     hidden_remainder_x
      - .offset:         684
        .size:           2
        .value_kind:     hidden_remainder_y
      - .offset:         686
        .size:           2
        .value_kind:     hidden_remainder_z
      - .offset:         704
        .size:           8
        .value_kind:     hidden_global_offset_x
      - .offset:         712
        .size:           8
        .value_kind:     hidden_global_offset_y
      - .offset:         720
        .size:           8
        .value_kind:     hidden_global_offset_z
      - .offset:         728
        .size:           2
        .value_kind:     hidden_grid_dims
    .group_segment_fixed_size: 4120
    .kernarg_segment_align: 8
    .kernarg_segment_size: 920
    .language:       OpenCL C
    .language_version:
      - 2
      - 0
    .max_flat_workgroup_size: 1024
    .name:           _ZN2at6native12_GLOBAL__N_112gatherMedianIljLi3EEEvNS_4cuda6detail10TensorInfoIT_T0_EENS5_IlS7_EENS5_IKS6_S7_EES7_S7_S7_b
    .private_segment_fixed_size: 0
    .sgpr_count:     96
    .sgpr_spill_count: 0
    .symbol:         _ZN2at6native12_GLOBAL__N_112gatherMedianIljLi3EEEvNS_4cuda6detail10TensorInfoIT_T0_EENS5_IlS7_EENS5_IKS6_S7_EES7_S7_S7_b.kd
    .uniform_work_group_size: 1
    .uses_dynamic_stack: false
    .vgpr_count:     49
    .vgpr_spill_count: 0
    .wavefront_size: 32
    .workgroup_processor_mode: 1
  - .args:
      - .offset:         0
        .size:           216
        .value_kind:     by_value
      - .offset:         216
        .size:           216
        .value_kind:     by_value
      - .offset:         432
        .size:           216
        .value_kind:     by_value
      - .offset:         648
        .size:           4
        .value_kind:     by_value
      - .offset:         652
        .size:           4
        .value_kind:     by_value
      - .offset:         656
        .size:           4
        .value_kind:     by_value
      - .offset:         660
        .size:           1
        .value_kind:     by_value
      - .offset:         664
        .size:           4
        .value_kind:     hidden_block_count_x
      - .offset:         668
        .size:           4
        .value_kind:     hidden_block_count_y
      - .offset:         672
        .size:           4
        .value_kind:     hidden_block_count_z
      - .offset:         676
        .size:           2
        .value_kind:     hidden_group_size_x
      - .offset:         678
        .size:           2
        .value_kind:     hidden_group_size_y
      - .offset:         680
        .size:           2
        .value_kind:     hidden_group_size_z
      - .offset:         682
        .size:           2
        .value_kind:     hidden_remainder_x
      - .offset:         684
        .size:           2
        .value_kind:     hidden_remainder_y
      - .offset:         686
        .size:           2
        .value_kind:     hidden_remainder_z
      - .offset:         704
        .size:           8
        .value_kind:     hidden_global_offset_x
      - .offset:         712
        .size:           8
        .value_kind:     hidden_global_offset_y
      - .offset:         720
        .size:           8
        .value_kind:     hidden_global_offset_z
      - .offset:         728
        .size:           2
        .value_kind:     hidden_grid_dims
    .group_segment_fixed_size: 4120
    .kernarg_segment_align: 8
    .kernarg_segment_size: 920
    .language:       OpenCL C
    .language_version:
      - 2
      - 0
    .max_flat_workgroup_size: 1024
    .name:           _ZN2at6native12_GLOBAL__N_112gatherMedianIljLin1EEEvNS_4cuda6detail10TensorInfoIT_T0_EENS5_IlS7_EENS5_IKS6_S7_EES7_S7_S7_b
    .private_segment_fixed_size: 0
    .sgpr_count:     87
    .sgpr_spill_count: 0
    .symbol:         _ZN2at6native12_GLOBAL__N_112gatherMedianIljLin1EEEvNS_4cuda6detail10TensorInfoIT_T0_EENS5_IlS7_EENS5_IKS6_S7_EES7_S7_S7_b.kd
    .uniform_work_group_size: 1
    .uses_dynamic_stack: false
    .vgpr_count:     49
    .vgpr_spill_count: 0
    .wavefront_size: 32
    .workgroup_processor_mode: 1
  - .args:
      - .offset:         0
        .size:           416
        .value_kind:     by_value
      - .offset:         416
        .size:           416
        .value_kind:     by_value
      - .offset:         832
        .size:           416
        .value_kind:     by_value
      - .offset:         1248
        .size:           8
        .value_kind:     by_value
      - .offset:         1256
        .size:           8
        .value_kind:     by_value
      - .offset:         1264
        .size:           8
        .value_kind:     by_value
      - .offset:         1272
        .size:           1
        .value_kind:     by_value
      - .offset:         1280
        .size:           4
        .value_kind:     hidden_block_count_x
      - .offset:         1284
        .size:           4
        .value_kind:     hidden_block_count_y
      - .offset:         1288
        .size:           4
        .value_kind:     hidden_block_count_z
      - .offset:         1292
        .size:           2
        .value_kind:     hidden_group_size_x
      - .offset:         1294
        .size:           2
        .value_kind:     hidden_group_size_y
      - .offset:         1296
        .size:           2
        .value_kind:     hidden_group_size_z
      - .offset:         1298
        .size:           2
        .value_kind:     hidden_remainder_x
      - .offset:         1300
        .size:           2
        .value_kind:     hidden_remainder_y
      - .offset:         1302
        .size:           2
        .value_kind:     hidden_remainder_z
      - .offset:         1320
        .size:           8
        .value_kind:     hidden_global_offset_x
      - .offset:         1328
        .size:           8
        .value_kind:     hidden_global_offset_y
      - .offset:         1336
        .size:           8
        .value_kind:     hidden_global_offset_z
      - .offset:         1344
        .size:           2
        .value_kind:     hidden_grid_dims
    .group_segment_fixed_size: 5152
    .kernarg_segment_align: 8
    .kernarg_segment_size: 1536
    .language:       OpenCL C
    .language_version:
      - 2
      - 0
    .max_flat_workgroup_size: 1024
    .name:           _ZN2at6native12_GLOBAL__N_112gatherMedianIlmLi1EEEvNS_4cuda6detail10TensorInfoIT_T0_EENS5_IlS7_EENS5_IKS6_S7_EES7_S7_S7_b
    .private_segment_fixed_size: 0
    .sgpr_count:     97
    .sgpr_spill_count: 0
    .symbol:         _ZN2at6native12_GLOBAL__N_112gatherMedianIlmLi1EEEvNS_4cuda6detail10TensorInfoIT_T0_EENS5_IlS7_EENS5_IKS6_S7_EES7_S7_S7_b.kd
    .uniform_work_group_size: 1
    .uses_dynamic_stack: false
    .vgpr_count:     54
    .vgpr_spill_count: 0
    .wavefront_size: 32
    .workgroup_processor_mode: 1
  - .args:
      - .offset:         0
        .size:           416
        .value_kind:     by_value
      - .offset:         416
        .size:           416
        .value_kind:     by_value
      - .offset:         832
        .size:           416
        .value_kind:     by_value
      - .offset:         1248
        .size:           8
        .value_kind:     by_value
      - .offset:         1256
        .size:           8
        .value_kind:     by_value
      - .offset:         1264
        .size:           8
        .value_kind:     by_value
      - .offset:         1272
        .size:           1
        .value_kind:     by_value
      - .offset:         1280
        .size:           4
        .value_kind:     hidden_block_count_x
      - .offset:         1284
        .size:           4
        .value_kind:     hidden_block_count_y
      - .offset:         1288
        .size:           4
        .value_kind:     hidden_block_count_z
      - .offset:         1292
        .size:           2
        .value_kind:     hidden_group_size_x
      - .offset:         1294
        .size:           2
        .value_kind:     hidden_group_size_y
      - .offset:         1296
        .size:           2
        .value_kind:     hidden_group_size_z
      - .offset:         1298
        .size:           2
        .value_kind:     hidden_remainder_x
      - .offset:         1300
        .size:           2
        .value_kind:     hidden_remainder_y
      - .offset:         1302
        .size:           2
        .value_kind:     hidden_remainder_z
      - .offset:         1320
        .size:           8
        .value_kind:     hidden_global_offset_x
      - .offset:         1328
        .size:           8
        .value_kind:     hidden_global_offset_y
      - .offset:         1336
        .size:           8
        .value_kind:     hidden_global_offset_z
      - .offset:         1344
        .size:           2
        .value_kind:     hidden_grid_dims
    .group_segment_fixed_size: 5152
    .kernarg_segment_align: 8
    .kernarg_segment_size: 1536
    .language:       OpenCL C
    .language_version:
      - 2
      - 0
    .max_flat_workgroup_size: 1024
    .name:           _ZN2at6native12_GLOBAL__N_112gatherMedianIlmLi2EEEvNS_4cuda6detail10TensorInfoIT_T0_EENS5_IlS7_EENS5_IKS6_S7_EES7_S7_S7_b
    .private_segment_fixed_size: 0
    .sgpr_count:     97
    .sgpr_spill_count: 0
    .symbol:         _ZN2at6native12_GLOBAL__N_112gatherMedianIlmLi2EEEvNS_4cuda6detail10TensorInfoIT_T0_EENS5_IlS7_EENS5_IKS6_S7_EES7_S7_S7_b.kd
    .uniform_work_group_size: 1
    .uses_dynamic_stack: false
    .vgpr_count:     46
    .vgpr_spill_count: 0
    .wavefront_size: 32
    .workgroup_processor_mode: 1
  - .args:
      - .offset:         0
        .size:           416
        .value_kind:     by_value
      - .offset:         416
        .size:           416
        .value_kind:     by_value
      - .offset:         832
        .size:           416
        .value_kind:     by_value
      - .offset:         1248
        .size:           8
        .value_kind:     by_value
      - .offset:         1256
        .size:           8
        .value_kind:     by_value
      - .offset:         1264
        .size:           8
        .value_kind:     by_value
      - .offset:         1272
        .size:           1
        .value_kind:     by_value
      - .offset:         1280
        .size:           4
        .value_kind:     hidden_block_count_x
      - .offset:         1284
        .size:           4
        .value_kind:     hidden_block_count_y
      - .offset:         1288
        .size:           4
        .value_kind:     hidden_block_count_z
      - .offset:         1292
        .size:           2
        .value_kind:     hidden_group_size_x
      - .offset:         1294
        .size:           2
        .value_kind:     hidden_group_size_y
      - .offset:         1296
        .size:           2
        .value_kind:     hidden_group_size_z
      - .offset:         1298
        .size:           2
        .value_kind:     hidden_remainder_x
      - .offset:         1300
        .size:           2
        .value_kind:     hidden_remainder_y
      - .offset:         1302
        .size:           2
        .value_kind:     hidden_remainder_z
      - .offset:         1320
        .size:           8
        .value_kind:     hidden_global_offset_x
      - .offset:         1328
        .size:           8
        .value_kind:     hidden_global_offset_y
      - .offset:         1336
        .size:           8
        .value_kind:     hidden_global_offset_z
      - .offset:         1344
        .size:           2
        .value_kind:     hidden_grid_dims
    .group_segment_fixed_size: 5152
    .kernarg_segment_align: 8
    .kernarg_segment_size: 1536
    .language:       OpenCL C
    .language_version:
      - 2
      - 0
    .max_flat_workgroup_size: 1024
    .name:           _ZN2at6native12_GLOBAL__N_112gatherMedianIlmLi3EEEvNS_4cuda6detail10TensorInfoIT_T0_EENS5_IlS7_EENS5_IKS6_S7_EES7_S7_S7_b
    .private_segment_fixed_size: 0
    .sgpr_count:     107
    .sgpr_spill_count: 2
    .symbol:         _ZN2at6native12_GLOBAL__N_112gatherMedianIlmLi3EEEvNS_4cuda6detail10TensorInfoIT_T0_EENS5_IlS7_EENS5_IKS6_S7_EES7_S7_S7_b.kd
    .uniform_work_group_size: 1
    .uses_dynamic_stack: false
    .vgpr_count:     39
    .vgpr_spill_count: 0
    .wavefront_size: 32
    .workgroup_processor_mode: 1
  - .args:
      - .offset:         0
        .size:           416
        .value_kind:     by_value
      - .offset:         416
        .size:           416
        .value_kind:     by_value
      - .offset:         832
        .size:           416
        .value_kind:     by_value
      - .offset:         1248
        .size:           8
        .value_kind:     by_value
      - .offset:         1256
        .size:           8
        .value_kind:     by_value
      - .offset:         1264
        .size:           8
        .value_kind:     by_value
      - .offset:         1272
        .size:           1
        .value_kind:     by_value
      - .offset:         1280
        .size:           4
        .value_kind:     hidden_block_count_x
      - .offset:         1284
        .size:           4
        .value_kind:     hidden_block_count_y
      - .offset:         1288
        .size:           4
        .value_kind:     hidden_block_count_z
      - .offset:         1292
        .size:           2
        .value_kind:     hidden_group_size_x
      - .offset:         1294
        .size:           2
        .value_kind:     hidden_group_size_y
      - .offset:         1296
        .size:           2
        .value_kind:     hidden_group_size_z
      - .offset:         1298
        .size:           2
        .value_kind:     hidden_remainder_x
      - .offset:         1300
        .size:           2
        .value_kind:     hidden_remainder_y
      - .offset:         1302
        .size:           2
        .value_kind:     hidden_remainder_z
      - .offset:         1320
        .size:           8
        .value_kind:     hidden_global_offset_x
      - .offset:         1328
        .size:           8
        .value_kind:     hidden_global_offset_y
      - .offset:         1336
        .size:           8
        .value_kind:     hidden_global_offset_z
      - .offset:         1344
        .size:           2
        .value_kind:     hidden_grid_dims
    .group_segment_fixed_size: 5152
    .kernarg_segment_align: 8
    .kernarg_segment_size: 1536
    .language:       OpenCL C
    .language_version:
      - 2
      - 0
    .max_flat_workgroup_size: 1024
    .name:           _ZN2at6native12_GLOBAL__N_112gatherMedianIlmLin1EEEvNS_4cuda6detail10TensorInfoIT_T0_EENS5_IlS7_EENS5_IKS6_S7_EES7_S7_S7_b
    .private_segment_fixed_size: 0
    .sgpr_count:     106
    .sgpr_spill_count: 0
    .symbol:         _ZN2at6native12_GLOBAL__N_112gatherMedianIlmLin1EEEvNS_4cuda6detail10TensorInfoIT_T0_EENS5_IlS7_EENS5_IKS6_S7_EES7_S7_S7_b.kd
    .uniform_work_group_size: 1
    .uses_dynamic_stack: false
    .vgpr_count:     62
    .vgpr_spill_count: 0
    .wavefront_size: 32
    .workgroup_processor_mode: 1
  - .args:
      - .offset:         0
        .size:           216
        .value_kind:     by_value
      - .offset:         216
        .size:           216
        .value_kind:     by_value
      - .offset:         432
        .size:           216
        .value_kind:     by_value
      - .offset:         648
        .size:           4
        .value_kind:     by_value
      - .offset:         652
        .size:           4
        .value_kind:     by_value
      - .offset:         656
        .size:           4
        .value_kind:     by_value
      - .offset:         660
        .size:           1
        .value_kind:     by_value
      - .offset:         664
        .size:           4
        .value_kind:     hidden_block_count_x
      - .offset:         668
        .size:           4
        .value_kind:     hidden_block_count_y
      - .offset:         672
        .size:           4
        .value_kind:     hidden_block_count_z
      - .offset:         676
        .size:           2
        .value_kind:     hidden_group_size_x
      - .offset:         678
        .size:           2
        .value_kind:     hidden_group_size_y
      - .offset:         680
        .size:           2
        .value_kind:     hidden_group_size_z
      - .offset:         682
        .size:           2
        .value_kind:     hidden_remainder_x
      - .offset:         684
        .size:           2
        .value_kind:     hidden_remainder_y
      - .offset:         686
        .size:           2
        .value_kind:     hidden_remainder_z
      - .offset:         704
        .size:           8
        .value_kind:     hidden_global_offset_x
      - .offset:         712
        .size:           8
        .value_kind:     hidden_global_offset_y
      - .offset:         720
        .size:           8
        .value_kind:     hidden_global_offset_z
      - .offset:         728
        .size:           2
        .value_kind:     hidden_grid_dims
    .group_segment_fixed_size: 4120
    .kernarg_segment_align: 8
    .kernarg_segment_size: 920
    .language:       OpenCL C
    .language_version:
      - 2
      - 0
    .max_flat_workgroup_size: 1024
    .name:           _ZN2at6native12_GLOBAL__N_112gatherMedianIsjLi1EEEvNS_4cuda6detail10TensorInfoIT_T0_EENS5_IlS7_EENS5_IKS6_S7_EES7_S7_S7_b
    .private_segment_fixed_size: 0
    .sgpr_count:     82
    .sgpr_spill_count: 0
    .symbol:         _ZN2at6native12_GLOBAL__N_112gatherMedianIsjLi1EEEvNS_4cuda6detail10TensorInfoIT_T0_EENS5_IlS7_EENS5_IKS6_S7_EES7_S7_S7_b.kd
    .uniform_work_group_size: 1
    .uses_dynamic_stack: false
    .vgpr_count:     40
    .vgpr_spill_count: 0
    .wavefront_size: 32
    .workgroup_processor_mode: 1
  - .args:
      - .offset:         0
        .size:           216
        .value_kind:     by_value
      - .offset:         216
        .size:           216
        .value_kind:     by_value
      - .offset:         432
        .size:           216
        .value_kind:     by_value
      - .offset:         648
        .size:           4
        .value_kind:     by_value
      - .offset:         652
        .size:           4
        .value_kind:     by_value
      - .offset:         656
        .size:           4
        .value_kind:     by_value
      - .offset:         660
        .size:           1
        .value_kind:     by_value
      - .offset:         664
        .size:           4
        .value_kind:     hidden_block_count_x
      - .offset:         668
        .size:           4
        .value_kind:     hidden_block_count_y
      - .offset:         672
        .size:           4
        .value_kind:     hidden_block_count_z
      - .offset:         676
        .size:           2
        .value_kind:     hidden_group_size_x
      - .offset:         678
        .size:           2
        .value_kind:     hidden_group_size_y
      - .offset:         680
        .size:           2
        .value_kind:     hidden_group_size_z
      - .offset:         682
        .size:           2
        .value_kind:     hidden_remainder_x
      - .offset:         684
        .size:           2
        .value_kind:     hidden_remainder_y
      - .offset:         686
        .size:           2
        .value_kind:     hidden_remainder_z
      - .offset:         704
        .size:           8
        .value_kind:     hidden_global_offset_x
      - .offset:         712
        .size:           8
        .value_kind:     hidden_global_offset_y
      - .offset:         720
        .size:           8
        .value_kind:     hidden_global_offset_z
      - .offset:         728
        .size:           2
        .value_kind:     hidden_grid_dims
    .group_segment_fixed_size: 4120
    .kernarg_segment_align: 8
    .kernarg_segment_size: 920
    .language:       OpenCL C
    .language_version:
      - 2
      - 0
    .max_flat_workgroup_size: 1024
    .name:           _ZN2at6native12_GLOBAL__N_112gatherMedianIsjLi2EEEvNS_4cuda6detail10TensorInfoIT_T0_EENS5_IlS7_EENS5_IKS6_S7_EES7_S7_S7_b
    .private_segment_fixed_size: 0
    .sgpr_count:     88
    .sgpr_spill_count: 0
    .symbol:         _ZN2at6native12_GLOBAL__N_112gatherMedianIsjLi2EEEvNS_4cuda6detail10TensorInfoIT_T0_EENS5_IlS7_EENS5_IKS6_S7_EES7_S7_S7_b.kd
    .uniform_work_group_size: 1
    .uses_dynamic_stack: false
    .vgpr_count:     40
    .vgpr_spill_count: 0
    .wavefront_size: 32
    .workgroup_processor_mode: 1
  - .args:
      - .offset:         0
        .size:           216
        .value_kind:     by_value
      - .offset:         216
        .size:           216
        .value_kind:     by_value
      - .offset:         432
        .size:           216
        .value_kind:     by_value
      - .offset:         648
        .size:           4
        .value_kind:     by_value
      - .offset:         652
        .size:           4
        .value_kind:     by_value
      - .offset:         656
        .size:           4
        .value_kind:     by_value
      - .offset:         660
        .size:           1
        .value_kind:     by_value
      - .offset:         664
        .size:           4
        .value_kind:     hidden_block_count_x
      - .offset:         668
        .size:           4
        .value_kind:     hidden_block_count_y
      - .offset:         672
        .size:           4
        .value_kind:     hidden_block_count_z
      - .offset:         676
        .size:           2
        .value_kind:     hidden_group_size_x
      - .offset:         678
        .size:           2
        .value_kind:     hidden_group_size_y
      - .offset:         680
        .size:           2
        .value_kind:     hidden_group_size_z
      - .offset:         682
        .size:           2
        .value_kind:     hidden_remainder_x
      - .offset:         684
        .size:           2
        .value_kind:     hidden_remainder_y
      - .offset:         686
        .size:           2
        .value_kind:     hidden_remainder_z
      - .offset:         704
        .size:           8
        .value_kind:     hidden_global_offset_x
      - .offset:         712
        .size:           8
        .value_kind:     hidden_global_offset_y
      - .offset:         720
        .size:           8
        .value_kind:     hidden_global_offset_z
      - .offset:         728
        .size:           2
        .value_kind:     hidden_grid_dims
    .group_segment_fixed_size: 4120
    .kernarg_segment_align: 8
    .kernarg_segment_size: 920
    .language:       OpenCL C
    .language_version:
      - 2
      - 0
    .max_flat_workgroup_size: 1024
    .name:           _ZN2at6native12_GLOBAL__N_112gatherMedianIsjLi3EEEvNS_4cuda6detail10TensorInfoIT_T0_EENS5_IlS7_EENS5_IKS6_S7_EES7_S7_S7_b
    .private_segment_fixed_size: 0
    .sgpr_count:     94
    .sgpr_spill_count: 0
    .symbol:         _ZN2at6native12_GLOBAL__N_112gatherMedianIsjLi3EEEvNS_4cuda6detail10TensorInfoIT_T0_EENS5_IlS7_EENS5_IKS6_S7_EES7_S7_S7_b.kd
    .uniform_work_group_size: 1
    .uses_dynamic_stack: false
    .vgpr_count:     40
    .vgpr_spill_count: 0
    .wavefront_size: 32
    .workgroup_processor_mode: 1
  - .args:
      - .offset:         0
        .size:           216
        .value_kind:     by_value
      - .offset:         216
        .size:           216
        .value_kind:     by_value
      - .offset:         432
        .size:           216
        .value_kind:     by_value
      - .offset:         648
        .size:           4
        .value_kind:     by_value
      - .offset:         652
        .size:           4
        .value_kind:     by_value
      - .offset:         656
        .size:           4
        .value_kind:     by_value
      - .offset:         660
        .size:           1
        .value_kind:     by_value
      - .offset:         664
        .size:           4
        .value_kind:     hidden_block_count_x
      - .offset:         668
        .size:           4
        .value_kind:     hidden_block_count_y
      - .offset:         672
        .size:           4
        .value_kind:     hidden_block_count_z
      - .offset:         676
        .size:           2
        .value_kind:     hidden_group_size_x
      - .offset:         678
        .size:           2
        .value_kind:     hidden_group_size_y
      - .offset:         680
        .size:           2
        .value_kind:     hidden_group_size_z
      - .offset:         682
        .size:           2
        .value_kind:     hidden_remainder_x
      - .offset:         684
        .size:           2
        .value_kind:     hidden_remainder_y
      - .offset:         686
        .size:           2
        .value_kind:     hidden_remainder_z
      - .offset:         704
        .size:           8
        .value_kind:     hidden_global_offset_x
      - .offset:         712
        .size:           8
        .value_kind:     hidden_global_offset_y
      - .offset:         720
        .size:           8
        .value_kind:     hidden_global_offset_z
      - .offset:         728
        .size:           2
        .value_kind:     hidden_grid_dims
    .group_segment_fixed_size: 4120
    .kernarg_segment_align: 8
    .kernarg_segment_size: 920
    .language:       OpenCL C
    .language_version:
      - 2
      - 0
    .max_flat_workgroup_size: 1024
    .name:           _ZN2at6native12_GLOBAL__N_112gatherMedianIsjLin1EEEvNS_4cuda6detail10TensorInfoIT_T0_EENS5_IlS7_EENS5_IKS6_S7_EES7_S7_S7_b
    .private_segment_fixed_size: 0
    .sgpr_count:     85
    .sgpr_spill_count: 0
    .symbol:         _ZN2at6native12_GLOBAL__N_112gatherMedianIsjLin1EEEvNS_4cuda6detail10TensorInfoIT_T0_EENS5_IlS7_EENS5_IKS6_S7_EES7_S7_S7_b.kd
    .uniform_work_group_size: 1
    .uses_dynamic_stack: false
    .vgpr_count:     40
    .vgpr_spill_count: 0
    .wavefront_size: 32
    .workgroup_processor_mode: 1
  - .args:
      - .offset:         0
        .size:           416
        .value_kind:     by_value
      - .offset:         416
        .size:           416
        .value_kind:     by_value
      - .offset:         832
        .size:           416
        .value_kind:     by_value
      - .offset:         1248
        .size:           8
        .value_kind:     by_value
      - .offset:         1256
        .size:           8
        .value_kind:     by_value
      - .offset:         1264
        .size:           8
        .value_kind:     by_value
      - .offset:         1272
        .size:           1
        .value_kind:     by_value
      - .offset:         1280
        .size:           4
        .value_kind:     hidden_block_count_x
      - .offset:         1284
        .size:           4
        .value_kind:     hidden_block_count_y
      - .offset:         1288
        .size:           4
        .value_kind:     hidden_block_count_z
      - .offset:         1292
        .size:           2
        .value_kind:     hidden_group_size_x
      - .offset:         1294
        .size:           2
        .value_kind:     hidden_group_size_y
      - .offset:         1296
        .size:           2
        .value_kind:     hidden_group_size_z
      - .offset:         1298
        .size:           2
        .value_kind:     hidden_remainder_x
      - .offset:         1300
        .size:           2
        .value_kind:     hidden_remainder_y
      - .offset:         1302
        .size:           2
        .value_kind:     hidden_remainder_z
      - .offset:         1320
        .size:           8
        .value_kind:     hidden_global_offset_x
      - .offset:         1328
        .size:           8
        .value_kind:     hidden_global_offset_y
      - .offset:         1336
        .size:           8
        .value_kind:     hidden_global_offset_z
      - .offset:         1344
        .size:           2
        .value_kind:     hidden_grid_dims
    .group_segment_fixed_size: 5152
    .kernarg_segment_align: 8
    .kernarg_segment_size: 1536
    .language:       OpenCL C
    .language_version:
      - 2
      - 0
    .max_flat_workgroup_size: 1024
    .name:           _ZN2at6native12_GLOBAL__N_112gatherMedianIsmLi1EEEvNS_4cuda6detail10TensorInfoIT_T0_EENS5_IlS7_EENS5_IKS6_S7_EES7_S7_S7_b
    .private_segment_fixed_size: 0
    .sgpr_count:     95
    .sgpr_spill_count: 0
    .symbol:         _ZN2at6native12_GLOBAL__N_112gatherMedianIsmLi1EEEvNS_4cuda6detail10TensorInfoIT_T0_EENS5_IlS7_EENS5_IKS6_S7_EES7_S7_S7_b.kd
    .uniform_work_group_size: 1
    .uses_dynamic_stack: false
    .vgpr_count:     40
    .vgpr_spill_count: 0
    .wavefront_size: 32
    .workgroup_processor_mode: 1
  - .args:
      - .offset:         0
        .size:           416
        .value_kind:     by_value
      - .offset:         416
        .size:           416
        .value_kind:     by_value
      - .offset:         832
        .size:           416
        .value_kind:     by_value
      - .offset:         1248
        .size:           8
        .value_kind:     by_value
      - .offset:         1256
        .size:           8
        .value_kind:     by_value
      - .offset:         1264
        .size:           8
        .value_kind:     by_value
      - .offset:         1272
        .size:           1
        .value_kind:     by_value
      - .offset:         1280
        .size:           4
        .value_kind:     hidden_block_count_x
      - .offset:         1284
        .size:           4
        .value_kind:     hidden_block_count_y
      - .offset:         1288
        .size:           4
        .value_kind:     hidden_block_count_z
      - .offset:         1292
        .size:           2
        .value_kind:     hidden_group_size_x
      - .offset:         1294
        .size:           2
        .value_kind:     hidden_group_size_y
      - .offset:         1296
        .size:           2
        .value_kind:     hidden_group_size_z
      - .offset:         1298
        .size:           2
        .value_kind:     hidden_remainder_x
      - .offset:         1300
        .size:           2
        .value_kind:     hidden_remainder_y
      - .offset:         1302
        .size:           2
        .value_kind:     hidden_remainder_z
      - .offset:         1320
        .size:           8
        .value_kind:     hidden_global_offset_x
      - .offset:         1328
        .size:           8
        .value_kind:     hidden_global_offset_y
      - .offset:         1336
        .size:           8
        .value_kind:     hidden_global_offset_z
      - .offset:         1344
        .size:           2
        .value_kind:     hidden_grid_dims
    .group_segment_fixed_size: 5152
    .kernarg_segment_align: 8
    .kernarg_segment_size: 1536
    .language:       OpenCL C
    .language_version:
      - 2
      - 0
    .max_flat_workgroup_size: 1024
    .name:           _ZN2at6native12_GLOBAL__N_112gatherMedianIsmLi2EEEvNS_4cuda6detail10TensorInfoIT_T0_EENS5_IlS7_EENS5_IKS6_S7_EES7_S7_S7_b
    .private_segment_fixed_size: 0
    .sgpr_count:     95
    .sgpr_spill_count: 0
    .symbol:         _ZN2at6native12_GLOBAL__N_112gatherMedianIsmLi2EEEvNS_4cuda6detail10TensorInfoIT_T0_EENS5_IlS7_EENS5_IKS6_S7_EES7_S7_S7_b.kd
    .uniform_work_group_size: 1
    .uses_dynamic_stack: false
    .vgpr_count:     32
    .vgpr_spill_count: 0
    .wavefront_size: 32
    .workgroup_processor_mode: 1
  - .args:
      - .offset:         0
        .size:           416
        .value_kind:     by_value
      - .offset:         416
        .size:           416
        .value_kind:     by_value
      - .offset:         832
        .size:           416
        .value_kind:     by_value
      - .offset:         1248
        .size:           8
        .value_kind:     by_value
      - .offset:         1256
        .size:           8
        .value_kind:     by_value
      - .offset:         1264
        .size:           8
        .value_kind:     by_value
      - .offset:         1272
        .size:           1
        .value_kind:     by_value
      - .offset:         1280
        .size:           4
        .value_kind:     hidden_block_count_x
      - .offset:         1284
        .size:           4
        .value_kind:     hidden_block_count_y
      - .offset:         1288
        .size:           4
        .value_kind:     hidden_block_count_z
      - .offset:         1292
        .size:           2
        .value_kind:     hidden_group_size_x
      - .offset:         1294
        .size:           2
        .value_kind:     hidden_group_size_y
      - .offset:         1296
        .size:           2
        .value_kind:     hidden_group_size_z
      - .offset:         1298
        .size:           2
        .value_kind:     hidden_remainder_x
      - .offset:         1300
        .size:           2
        .value_kind:     hidden_remainder_y
      - .offset:         1302
        .size:           2
        .value_kind:     hidden_remainder_z
      - .offset:         1320
        .size:           8
        .value_kind:     hidden_global_offset_x
      - .offset:         1328
        .size:           8
        .value_kind:     hidden_global_offset_y
      - .offset:         1336
        .size:           8
        .value_kind:     hidden_global_offset_z
      - .offset:         1344
        .size:           2
        .value_kind:     hidden_grid_dims
    .group_segment_fixed_size: 5152
    .kernarg_segment_align: 8
    .kernarg_segment_size: 1536
    .language:       OpenCL C
    .language_version:
      - 2
      - 0
    .max_flat_workgroup_size: 1024
    .name:           _ZN2at6native12_GLOBAL__N_112gatherMedianIsmLi3EEEvNS_4cuda6detail10TensorInfoIT_T0_EENS5_IlS7_EENS5_IKS6_S7_EES7_S7_S7_b
    .private_segment_fixed_size: 0
    .sgpr_count:     107
    .sgpr_spill_count: 0
    .symbol:         _ZN2at6native12_GLOBAL__N_112gatherMedianIsmLi3EEEvNS_4cuda6detail10TensorInfoIT_T0_EENS5_IlS7_EENS5_IKS6_S7_EES7_S7_S7_b.kd
    .uniform_work_group_size: 1
    .uses_dynamic_stack: false
    .vgpr_count:     32
    .vgpr_spill_count: 0
    .wavefront_size: 32
    .workgroup_processor_mode: 1
  - .args:
      - .offset:         0
        .size:           416
        .value_kind:     by_value
      - .offset:         416
        .size:           416
        .value_kind:     by_value
      - .offset:         832
        .size:           416
        .value_kind:     by_value
      - .offset:         1248
        .size:           8
        .value_kind:     by_value
      - .offset:         1256
        .size:           8
        .value_kind:     by_value
      - .offset:         1264
        .size:           8
        .value_kind:     by_value
      - .offset:         1272
        .size:           1
        .value_kind:     by_value
      - .offset:         1280
        .size:           4
        .value_kind:     hidden_block_count_x
      - .offset:         1284
        .size:           4
        .value_kind:     hidden_block_count_y
      - .offset:         1288
        .size:           4
        .value_kind:     hidden_block_count_z
      - .offset:         1292
        .size:           2
        .value_kind:     hidden_group_size_x
      - .offset:         1294
        .size:           2
        .value_kind:     hidden_group_size_y
      - .offset:         1296
        .size:           2
        .value_kind:     hidden_group_size_z
      - .offset:         1298
        .size:           2
        .value_kind:     hidden_remainder_x
      - .offset:         1300
        .size:           2
        .value_kind:     hidden_remainder_y
      - .offset:         1302
        .size:           2
        .value_kind:     hidden_remainder_z
      - .offset:         1320
        .size:           8
        .value_kind:     hidden_global_offset_x
      - .offset:         1328
        .size:           8
        .value_kind:     hidden_global_offset_y
      - .offset:         1336
        .size:           8
        .value_kind:     hidden_global_offset_z
      - .offset:         1344
        .size:           2
        .value_kind:     hidden_grid_dims
    .group_segment_fixed_size: 5152
    .kernarg_segment_align: 8
    .kernarg_segment_size: 1536
    .language:       OpenCL C
    .language_version:
      - 2
      - 0
    .max_flat_workgroup_size: 1024
    .name:           _ZN2at6native12_GLOBAL__N_112gatherMedianIsmLin1EEEvNS_4cuda6detail10TensorInfoIT_T0_EENS5_IlS7_EENS5_IKS6_S7_EES7_S7_S7_b
    .private_segment_fixed_size: 0
    .sgpr_count:     104
    .sgpr_spill_count: 0
    .symbol:         _ZN2at6native12_GLOBAL__N_112gatherMedianIsmLin1EEEvNS_4cuda6detail10TensorInfoIT_T0_EENS5_IlS7_EENS5_IKS6_S7_EES7_S7_S7_b.kd
    .uniform_work_group_size: 1
    .uses_dynamic_stack: false
    .vgpr_count:     46
    .vgpr_spill_count: 0
    .wavefront_size: 32
    .workgroup_processor_mode: 1
  - .args:
      - .offset:         0
        .size:           216
        .value_kind:     by_value
      - .offset:         216
        .size:           216
        .value_kind:     by_value
      - .offset:         432
        .size:           216
        .value_kind:     by_value
      - .offset:         648
        .size:           4
        .value_kind:     by_value
      - .offset:         652
        .size:           4
        .value_kind:     by_value
      - .offset:         656
        .size:           4
        .value_kind:     by_value
      - .offset:         660
        .size:           1
        .value_kind:     by_value
      - .offset:         664
        .size:           4
        .value_kind:     hidden_block_count_x
      - .offset:         668
        .size:           4
        .value_kind:     hidden_block_count_y
      - .offset:         672
        .size:           4
        .value_kind:     hidden_block_count_z
      - .offset:         676
        .size:           2
        .value_kind:     hidden_group_size_x
      - .offset:         678
        .size:           2
        .value_kind:     hidden_group_size_y
      - .offset:         680
        .size:           2
        .value_kind:     hidden_group_size_z
      - .offset:         682
        .size:           2
        .value_kind:     hidden_remainder_x
      - .offset:         684
        .size:           2
        .value_kind:     hidden_remainder_y
      - .offset:         686
        .size:           2
        .value_kind:     hidden_remainder_z
      - .offset:         704
        .size:           8
        .value_kind:     hidden_global_offset_x
      - .offset:         712
        .size:           8
        .value_kind:     hidden_global_offset_y
      - .offset:         720
        .size:           8
        .value_kind:     hidden_global_offset_z
      - .offset:         728
        .size:           2
        .value_kind:     hidden_grid_dims
    .group_segment_fixed_size: 4120
    .kernarg_segment_align: 8
    .kernarg_segment_size: 920
    .language:       OpenCL C
    .language_version:
      - 2
      - 0
    .max_flat_workgroup_size: 1024
    .name:           _ZN2at6native12_GLOBAL__N_112gatherMedianIdjLi1EEEvNS_4cuda6detail10TensorInfoIT_T0_EENS5_IlS7_EENS5_IKS6_S7_EES7_S7_S7_b
    .private_segment_fixed_size: 0
    .sgpr_count:     84
    .sgpr_spill_count: 0
    .symbol:         _ZN2at6native12_GLOBAL__N_112gatherMedianIdjLi1EEEvNS_4cuda6detail10TensorInfoIT_T0_EENS5_IlS7_EENS5_IKS6_S7_EES7_S7_S7_b.kd
    .uniform_work_group_size: 1
    .uses_dynamic_stack: false
    .vgpr_count:     50
    .vgpr_spill_count: 0
    .wavefront_size: 32
    .workgroup_processor_mode: 1
  - .args:
      - .offset:         0
        .size:           216
        .value_kind:     by_value
      - .offset:         216
        .size:           216
        .value_kind:     by_value
      - .offset:         432
        .size:           216
        .value_kind:     by_value
      - .offset:         648
        .size:           4
        .value_kind:     by_value
      - .offset:         652
        .size:           4
        .value_kind:     by_value
      - .offset:         656
        .size:           4
        .value_kind:     by_value
      - .offset:         660
        .size:           1
        .value_kind:     by_value
      - .offset:         664
        .size:           4
        .value_kind:     hidden_block_count_x
      - .offset:         668
        .size:           4
        .value_kind:     hidden_block_count_y
      - .offset:         672
        .size:           4
        .value_kind:     hidden_block_count_z
      - .offset:         676
        .size:           2
        .value_kind:     hidden_group_size_x
      - .offset:         678
        .size:           2
        .value_kind:     hidden_group_size_y
      - .offset:         680
        .size:           2
        .value_kind:     hidden_group_size_z
      - .offset:         682
        .size:           2
        .value_kind:     hidden_remainder_x
      - .offset:         684
        .size:           2
        .value_kind:     hidden_remainder_y
      - .offset:         686
        .size:           2
        .value_kind:     hidden_remainder_z
      - .offset:         704
        .size:           8
        .value_kind:     hidden_global_offset_x
      - .offset:         712
        .size:           8
        .value_kind:     hidden_global_offset_y
      - .offset:         720
        .size:           8
        .value_kind:     hidden_global_offset_z
      - .offset:         728
        .size:           2
        .value_kind:     hidden_grid_dims
    .group_segment_fixed_size: 4120
    .kernarg_segment_align: 8
    .kernarg_segment_size: 920
    .language:       OpenCL C
    .language_version:
      - 2
      - 0
    .max_flat_workgroup_size: 1024
    .name:           _ZN2at6native12_GLOBAL__N_112gatherMedianIdjLi2EEEvNS_4cuda6detail10TensorInfoIT_T0_EENS5_IlS7_EENS5_IKS6_S7_EES7_S7_S7_b
    .private_segment_fixed_size: 0
    .sgpr_count:     90
    .sgpr_spill_count: 0
    .symbol:         _ZN2at6native12_GLOBAL__N_112gatherMedianIdjLi2EEEvNS_4cuda6detail10TensorInfoIT_T0_EENS5_IlS7_EENS5_IKS6_S7_EES7_S7_S7_b.kd
    .uniform_work_group_size: 1
    .uses_dynamic_stack: false
    .vgpr_count:     50
    .vgpr_spill_count: 0
    .wavefront_size: 32
    .workgroup_processor_mode: 1
  - .args:
      - .offset:         0
        .size:           216
        .value_kind:     by_value
      - .offset:         216
        .size:           216
        .value_kind:     by_value
      - .offset:         432
        .size:           216
        .value_kind:     by_value
      - .offset:         648
        .size:           4
        .value_kind:     by_value
      - .offset:         652
        .size:           4
        .value_kind:     by_value
      - .offset:         656
        .size:           4
        .value_kind:     by_value
      - .offset:         660
        .size:           1
        .value_kind:     by_value
      - .offset:         664
        .size:           4
        .value_kind:     hidden_block_count_x
      - .offset:         668
        .size:           4
        .value_kind:     hidden_block_count_y
      - .offset:         672
        .size:           4
        .value_kind:     hidden_block_count_z
      - .offset:         676
        .size:           2
        .value_kind:     hidden_group_size_x
      - .offset:         678
        .size:           2
        .value_kind:     hidden_group_size_y
      - .offset:         680
        .size:           2
        .value_kind:     hidden_group_size_z
      - .offset:         682
        .size:           2
        .value_kind:     hidden_remainder_x
      - .offset:         684
        .size:           2
        .value_kind:     hidden_remainder_y
      - .offset:         686
        .size:           2
        .value_kind:     hidden_remainder_z
      - .offset:         704
        .size:           8
        .value_kind:     hidden_global_offset_x
      - .offset:         712
        .size:           8
        .value_kind:     hidden_global_offset_y
      - .offset:         720
        .size:           8
        .value_kind:     hidden_global_offset_z
      - .offset:         728
        .size:           2
        .value_kind:     hidden_grid_dims
    .group_segment_fixed_size: 4120
    .kernarg_segment_align: 8
    .kernarg_segment_size: 920
    .language:       OpenCL C
    .language_version:
      - 2
      - 0
    .max_flat_workgroup_size: 1024
    .name:           _ZN2at6native12_GLOBAL__N_112gatherMedianIdjLi3EEEvNS_4cuda6detail10TensorInfoIT_T0_EENS5_IlS7_EENS5_IKS6_S7_EES7_S7_S7_b
    .private_segment_fixed_size: 0
    .sgpr_count:     96
    .sgpr_spill_count: 0
    .symbol:         _ZN2at6native12_GLOBAL__N_112gatherMedianIdjLi3EEEvNS_4cuda6detail10TensorInfoIT_T0_EENS5_IlS7_EENS5_IKS6_S7_EES7_S7_S7_b.kd
    .uniform_work_group_size: 1
    .uses_dynamic_stack: false
    .vgpr_count:     50
    .vgpr_spill_count: 0
    .wavefront_size: 32
    .workgroup_processor_mode: 1
  - .args:
      - .offset:         0
        .size:           216
        .value_kind:     by_value
      - .offset:         216
        .size:           216
        .value_kind:     by_value
      - .offset:         432
        .size:           216
        .value_kind:     by_value
      - .offset:         648
        .size:           4
        .value_kind:     by_value
      - .offset:         652
        .size:           4
        .value_kind:     by_value
      - .offset:         656
        .size:           4
        .value_kind:     by_value
      - .offset:         660
        .size:           1
        .value_kind:     by_value
      - .offset:         664
        .size:           4
        .value_kind:     hidden_block_count_x
      - .offset:         668
        .size:           4
        .value_kind:     hidden_block_count_y
      - .offset:         672
        .size:           4
        .value_kind:     hidden_block_count_z
      - .offset:         676
        .size:           2
        .value_kind:     hidden_group_size_x
      - .offset:         678
        .size:           2
        .value_kind:     hidden_group_size_y
      - .offset:         680
        .size:           2
        .value_kind:     hidden_group_size_z
      - .offset:         682
        .size:           2
        .value_kind:     hidden_remainder_x
      - .offset:         684
        .size:           2
        .value_kind:     hidden_remainder_y
      - .offset:         686
        .size:           2
        .value_kind:     hidden_remainder_z
      - .offset:         704
        .size:           8
        .value_kind:     hidden_global_offset_x
      - .offset:         712
        .size:           8
        .value_kind:     hidden_global_offset_y
      - .offset:         720
        .size:           8
        .value_kind:     hidden_global_offset_z
      - .offset:         728
        .size:           2
        .value_kind:     hidden_grid_dims
    .group_segment_fixed_size: 4120
    .kernarg_segment_align: 8
    .kernarg_segment_size: 920
    .language:       OpenCL C
    .language_version:
      - 2
      - 0
    .max_flat_workgroup_size: 1024
    .name:           _ZN2at6native12_GLOBAL__N_112gatherMedianIdjLin1EEEvNS_4cuda6detail10TensorInfoIT_T0_EENS5_IlS7_EENS5_IKS6_S7_EES7_S7_S7_b
    .private_segment_fixed_size: 0
    .sgpr_count:     87
    .sgpr_spill_count: 0
    .symbol:         _ZN2at6native12_GLOBAL__N_112gatherMedianIdjLin1EEEvNS_4cuda6detail10TensorInfoIT_T0_EENS5_IlS7_EENS5_IKS6_S7_EES7_S7_S7_b.kd
    .uniform_work_group_size: 1
    .uses_dynamic_stack: false
    .vgpr_count:     50
    .vgpr_spill_count: 0
    .wavefront_size: 32
    .workgroup_processor_mode: 1
  - .args:
      - .offset:         0
        .size:           416
        .value_kind:     by_value
      - .offset:         416
        .size:           416
        .value_kind:     by_value
      - .offset:         832
        .size:           416
        .value_kind:     by_value
      - .offset:         1248
        .size:           8
        .value_kind:     by_value
      - .offset:         1256
        .size:           8
        .value_kind:     by_value
      - .offset:         1264
        .size:           8
        .value_kind:     by_value
      - .offset:         1272
        .size:           1
        .value_kind:     by_value
      - .offset:         1280
        .size:           4
        .value_kind:     hidden_block_count_x
      - .offset:         1284
        .size:           4
        .value_kind:     hidden_block_count_y
      - .offset:         1288
        .size:           4
        .value_kind:     hidden_block_count_z
      - .offset:         1292
        .size:           2
        .value_kind:     hidden_group_size_x
      - .offset:         1294
        .size:           2
        .value_kind:     hidden_group_size_y
      - .offset:         1296
        .size:           2
        .value_kind:     hidden_group_size_z
      - .offset:         1298
        .size:           2
        .value_kind:     hidden_remainder_x
      - .offset:         1300
        .size:           2
        .value_kind:     hidden_remainder_y
      - .offset:         1302
        .size:           2
        .value_kind:     hidden_remainder_z
      - .offset:         1320
        .size:           8
        .value_kind:     hidden_global_offset_x
      - .offset:         1328
        .size:           8
        .value_kind:     hidden_global_offset_y
      - .offset:         1336
        .size:           8
        .value_kind:     hidden_global_offset_z
      - .offset:         1344
        .size:           2
        .value_kind:     hidden_grid_dims
    .group_segment_fixed_size: 5152
    .kernarg_segment_align: 8
    .kernarg_segment_size: 1536
    .language:       OpenCL C
    .language_version:
      - 2
      - 0
    .max_flat_workgroup_size: 1024
    .name:           _ZN2at6native12_GLOBAL__N_112gatherMedianIdmLi1EEEvNS_4cuda6detail10TensorInfoIT_T0_EENS5_IlS7_EENS5_IKS6_S7_EES7_S7_S7_b
    .private_segment_fixed_size: 0
    .sgpr_count:     97
    .sgpr_spill_count: 0
    .symbol:         _ZN2at6native12_GLOBAL__N_112gatherMedianIdmLi1EEEvNS_4cuda6detail10TensorInfoIT_T0_EENS5_IlS7_EENS5_IKS6_S7_EES7_S7_S7_b.kd
    .uniform_work_group_size: 1
    .uses_dynamic_stack: false
    .vgpr_count:     53
    .vgpr_spill_count: 0
    .wavefront_size: 32
    .workgroup_processor_mode: 1
  - .args:
      - .offset:         0
        .size:           416
        .value_kind:     by_value
      - .offset:         416
        .size:           416
        .value_kind:     by_value
      - .offset:         832
        .size:           416
        .value_kind:     by_value
      - .offset:         1248
        .size:           8
        .value_kind:     by_value
      - .offset:         1256
        .size:           8
        .value_kind:     by_value
      - .offset:         1264
        .size:           8
        .value_kind:     by_value
      - .offset:         1272
        .size:           1
        .value_kind:     by_value
      - .offset:         1280
        .size:           4
        .value_kind:     hidden_block_count_x
      - .offset:         1284
        .size:           4
        .value_kind:     hidden_block_count_y
      - .offset:         1288
        .size:           4
        .value_kind:     hidden_block_count_z
      - .offset:         1292
        .size:           2
        .value_kind:     hidden_group_size_x
      - .offset:         1294
        .size:           2
        .value_kind:     hidden_group_size_y
      - .offset:         1296
        .size:           2
        .value_kind:     hidden_group_size_z
      - .offset:         1298
        .size:           2
        .value_kind:     hidden_remainder_x
      - .offset:         1300
        .size:           2
        .value_kind:     hidden_remainder_y
      - .offset:         1302
        .size:           2
        .value_kind:     hidden_remainder_z
      - .offset:         1320
        .size:           8
        .value_kind:     hidden_global_offset_x
      - .offset:         1328
        .size:           8
        .value_kind:     hidden_global_offset_y
      - .offset:         1336
        .size:           8
        .value_kind:     hidden_global_offset_z
      - .offset:         1344
        .size:           2
        .value_kind:     hidden_grid_dims
    .group_segment_fixed_size: 5152
    .kernarg_segment_align: 8
    .kernarg_segment_size: 1536
    .language:       OpenCL C
    .language_version:
      - 2
      - 0
    .max_flat_workgroup_size: 1024
    .name:           _ZN2at6native12_GLOBAL__N_112gatherMedianIdmLi2EEEvNS_4cuda6detail10TensorInfoIT_T0_EENS5_IlS7_EENS5_IKS6_S7_EES7_S7_S7_b
    .private_segment_fixed_size: 0
    .sgpr_count:     97
    .sgpr_spill_count: 0
    .symbol:         _ZN2at6native12_GLOBAL__N_112gatherMedianIdmLi2EEEvNS_4cuda6detail10TensorInfoIT_T0_EENS5_IlS7_EENS5_IKS6_S7_EES7_S7_S7_b.kd
    .uniform_work_group_size: 1
    .uses_dynamic_stack: false
    .vgpr_count:     45
    .vgpr_spill_count: 0
    .wavefront_size: 32
    .workgroup_processor_mode: 1
  - .args:
      - .offset:         0
        .size:           416
        .value_kind:     by_value
      - .offset:         416
        .size:           416
        .value_kind:     by_value
      - .offset:         832
        .size:           416
        .value_kind:     by_value
      - .offset:         1248
        .size:           8
        .value_kind:     by_value
      - .offset:         1256
        .size:           8
        .value_kind:     by_value
      - .offset:         1264
        .size:           8
        .value_kind:     by_value
      - .offset:         1272
        .size:           1
        .value_kind:     by_value
      - .offset:         1280
        .size:           4
        .value_kind:     hidden_block_count_x
      - .offset:         1284
        .size:           4
        .value_kind:     hidden_block_count_y
      - .offset:         1288
        .size:           4
        .value_kind:     hidden_block_count_z
      - .offset:         1292
        .size:           2
        .value_kind:     hidden_group_size_x
      - .offset:         1294
        .size:           2
        .value_kind:     hidden_group_size_y
      - .offset:         1296
        .size:           2
        .value_kind:     hidden_group_size_z
      - .offset:         1298
        .size:           2
        .value_kind:     hidden_remainder_x
      - .offset:         1300
        .size:           2
        .value_kind:     hidden_remainder_y
      - .offset:         1302
        .size:           2
        .value_kind:     hidden_remainder_z
      - .offset:         1320
        .size:           8
        .value_kind:     hidden_global_offset_x
      - .offset:         1328
        .size:           8
        .value_kind:     hidden_global_offset_y
      - .offset:         1336
        .size:           8
        .value_kind:     hidden_global_offset_z
      - .offset:         1344
        .size:           2
        .value_kind:     hidden_grid_dims
    .group_segment_fixed_size: 5152
    .kernarg_segment_align: 8
    .kernarg_segment_size: 1536
    .language:       OpenCL C
    .language_version:
      - 2
      - 0
    .max_flat_workgroup_size: 1024
    .name:           _ZN2at6native12_GLOBAL__N_112gatherMedianIdmLi3EEEvNS_4cuda6detail10TensorInfoIT_T0_EENS5_IlS7_EENS5_IKS6_S7_EES7_S7_S7_b
    .private_segment_fixed_size: 0
    .sgpr_count:     107
    .sgpr_spill_count: 2
    .symbol:         _ZN2at6native12_GLOBAL__N_112gatherMedianIdmLi3EEEvNS_4cuda6detail10TensorInfoIT_T0_EENS5_IlS7_EENS5_IKS6_S7_EES7_S7_S7_b.kd
    .uniform_work_group_size: 1
    .uses_dynamic_stack: false
    .vgpr_count:     36
    .vgpr_spill_count: 0
    .wavefront_size: 32
    .workgroup_processor_mode: 1
  - .args:
      - .offset:         0
        .size:           416
        .value_kind:     by_value
      - .offset:         416
        .size:           416
        .value_kind:     by_value
      - .offset:         832
        .size:           416
        .value_kind:     by_value
      - .offset:         1248
        .size:           8
        .value_kind:     by_value
      - .offset:         1256
        .size:           8
        .value_kind:     by_value
      - .offset:         1264
        .size:           8
        .value_kind:     by_value
      - .offset:         1272
        .size:           1
        .value_kind:     by_value
      - .offset:         1280
        .size:           4
        .value_kind:     hidden_block_count_x
      - .offset:         1284
        .size:           4
        .value_kind:     hidden_block_count_y
      - .offset:         1288
        .size:           4
        .value_kind:     hidden_block_count_z
      - .offset:         1292
        .size:           2
        .value_kind:     hidden_group_size_x
      - .offset:         1294
        .size:           2
        .value_kind:     hidden_group_size_y
      - .offset:         1296
        .size:           2
        .value_kind:     hidden_group_size_z
      - .offset:         1298
        .size:           2
        .value_kind:     hidden_remainder_x
      - .offset:         1300
        .size:           2
        .value_kind:     hidden_remainder_y
      - .offset:         1302
        .size:           2
        .value_kind:     hidden_remainder_z
      - .offset:         1320
        .size:           8
        .value_kind:     hidden_global_offset_x
      - .offset:         1328
        .size:           8
        .value_kind:     hidden_global_offset_y
      - .offset:         1336
        .size:           8
        .value_kind:     hidden_global_offset_z
      - .offset:         1344
        .size:           2
        .value_kind:     hidden_grid_dims
    .group_segment_fixed_size: 5152
    .kernarg_segment_align: 8
    .kernarg_segment_size: 1536
    .language:       OpenCL C
    .language_version:
      - 2
      - 0
    .max_flat_workgroup_size: 1024
    .name:           _ZN2at6native12_GLOBAL__N_112gatherMedianIdmLin1EEEvNS_4cuda6detail10TensorInfoIT_T0_EENS5_IlS7_EENS5_IKS6_S7_EES7_S7_S7_b
    .private_segment_fixed_size: 0
    .sgpr_count:     106
    .sgpr_spill_count: 0
    .symbol:         _ZN2at6native12_GLOBAL__N_112gatherMedianIdmLin1EEEvNS_4cuda6detail10TensorInfoIT_T0_EENS5_IlS7_EENS5_IKS6_S7_EES7_S7_S7_b.kd
    .uniform_work_group_size: 1
    .uses_dynamic_stack: false
    .vgpr_count:     63
    .vgpr_spill_count: 0
    .wavefront_size: 32
    .workgroup_processor_mode: 1
  - .args:
      - .offset:         0
        .size:           216
        .value_kind:     by_value
      - .offset:         216
        .size:           216
        .value_kind:     by_value
      - .offset:         432
        .size:           216
        .value_kind:     by_value
      - .offset:         648
        .size:           4
        .value_kind:     by_value
      - .offset:         652
        .size:           4
        .value_kind:     by_value
      - .offset:         656
        .size:           4
        .value_kind:     by_value
      - .offset:         660
        .size:           1
        .value_kind:     by_value
      - .offset:         664
        .size:           4
        .value_kind:     hidden_block_count_x
      - .offset:         668
        .size:           4
        .value_kind:     hidden_block_count_y
      - .offset:         672
        .size:           4
        .value_kind:     hidden_block_count_z
      - .offset:         676
        .size:           2
        .value_kind:     hidden_group_size_x
      - .offset:         678
        .size:           2
        .value_kind:     hidden_group_size_y
      - .offset:         680
        .size:           2
        .value_kind:     hidden_group_size_z
      - .offset:         682
        .size:           2
        .value_kind:     hidden_remainder_x
      - .offset:         684
        .size:           2
        .value_kind:     hidden_remainder_y
      - .offset:         686
        .size:           2
        .value_kind:     hidden_remainder_z
      - .offset:         704
        .size:           8
        .value_kind:     hidden_global_offset_x
      - .offset:         712
        .size:           8
        .value_kind:     hidden_global_offset_y
      - .offset:         720
        .size:           8
        .value_kind:     hidden_global_offset_z
      - .offset:         728
        .size:           2
        .value_kind:     hidden_grid_dims
    .group_segment_fixed_size: 4120
    .kernarg_segment_align: 8
    .kernarg_segment_size: 920
    .language:       OpenCL C
    .language_version:
      - 2
      - 0
    .max_flat_workgroup_size: 1024
    .name:           _ZN2at6native12_GLOBAL__N_112gatherMedianIfjLi1EEEvNS_4cuda6detail10TensorInfoIT_T0_EENS5_IlS7_EENS5_IKS6_S7_EES7_S7_S7_b
    .private_segment_fixed_size: 0
    .sgpr_count:     81
    .sgpr_spill_count: 0
    .symbol:         _ZN2at6native12_GLOBAL__N_112gatherMedianIfjLi1EEEvNS_4cuda6detail10TensorInfoIT_T0_EENS5_IlS7_EENS5_IKS6_S7_EES7_S7_S7_b.kd
    .uniform_work_group_size: 1
    .uses_dynamic_stack: false
    .vgpr_count:     40
    .vgpr_spill_count: 0
    .wavefront_size: 32
    .workgroup_processor_mode: 1
  - .args:
      - .offset:         0
        .size:           216
        .value_kind:     by_value
      - .offset:         216
        .size:           216
        .value_kind:     by_value
      - .offset:         432
        .size:           216
        .value_kind:     by_value
      - .offset:         648
        .size:           4
        .value_kind:     by_value
      - .offset:         652
        .size:           4
        .value_kind:     by_value
      - .offset:         656
        .size:           4
        .value_kind:     by_value
      - .offset:         660
        .size:           1
        .value_kind:     by_value
      - .offset:         664
        .size:           4
        .value_kind:     hidden_block_count_x
      - .offset:         668
        .size:           4
        .value_kind:     hidden_block_count_y
      - .offset:         672
        .size:           4
        .value_kind:     hidden_block_count_z
      - .offset:         676
        .size:           2
        .value_kind:     hidden_group_size_x
      - .offset:         678
        .size:           2
        .value_kind:     hidden_group_size_y
      - .offset:         680
        .size:           2
        .value_kind:     hidden_group_size_z
      - .offset:         682
        .size:           2
        .value_kind:     hidden_remainder_x
      - .offset:         684
        .size:           2
        .value_kind:     hidden_remainder_y
      - .offset:         686
        .size:           2
        .value_kind:     hidden_remainder_z
      - .offset:         704
        .size:           8
        .value_kind:     hidden_global_offset_x
      - .offset:         712
        .size:           8
        .value_kind:     hidden_global_offset_y
      - .offset:         720
        .size:           8
        .value_kind:     hidden_global_offset_z
      - .offset:         728
        .size:           2
        .value_kind:     hidden_grid_dims
    .group_segment_fixed_size: 4120
    .kernarg_segment_align: 8
    .kernarg_segment_size: 920
    .language:       OpenCL C
    .language_version:
      - 2
      - 0
    .max_flat_workgroup_size: 1024
    .name:           _ZN2at6native12_GLOBAL__N_112gatherMedianIfjLi2EEEvNS_4cuda6detail10TensorInfoIT_T0_EENS5_IlS7_EENS5_IKS6_S7_EES7_S7_S7_b
    .private_segment_fixed_size: 0
    .sgpr_count:     87
    .sgpr_spill_count: 0
    .symbol:         _ZN2at6native12_GLOBAL__N_112gatherMedianIfjLi2EEEvNS_4cuda6detail10TensorInfoIT_T0_EENS5_IlS7_EENS5_IKS6_S7_EES7_S7_S7_b.kd
    .uniform_work_group_size: 1
    .uses_dynamic_stack: false
    .vgpr_count:     40
    .vgpr_spill_count: 0
    .wavefront_size: 32
    .workgroup_processor_mode: 1
  - .args:
      - .offset:         0
        .size:           216
        .value_kind:     by_value
      - .offset:         216
        .size:           216
        .value_kind:     by_value
      - .offset:         432
        .size:           216
        .value_kind:     by_value
      - .offset:         648
        .size:           4
        .value_kind:     by_value
      - .offset:         652
        .size:           4
        .value_kind:     by_value
      - .offset:         656
        .size:           4
        .value_kind:     by_value
      - .offset:         660
        .size:           1
        .value_kind:     by_value
      - .offset:         664
        .size:           4
        .value_kind:     hidden_block_count_x
      - .offset:         668
        .size:           4
        .value_kind:     hidden_block_count_y
      - .offset:         672
        .size:           4
        .value_kind:     hidden_block_count_z
      - .offset:         676
        .size:           2
        .value_kind:     hidden_group_size_x
      - .offset:         678
        .size:           2
        .value_kind:     hidden_group_size_y
      - .offset:         680
        .size:           2
        .value_kind:     hidden_group_size_z
      - .offset:         682
        .size:           2
        .value_kind:     hidden_remainder_x
      - .offset:         684
        .size:           2
        .value_kind:     hidden_remainder_y
      - .offset:         686
        .size:           2
        .value_kind:     hidden_remainder_z
      - .offset:         704
        .size:           8
        .value_kind:     hidden_global_offset_x
      - .offset:         712
        .size:           8
        .value_kind:     hidden_global_offset_y
      - .offset:         720
        .size:           8
        .value_kind:     hidden_global_offset_z
      - .offset:         728
        .size:           2
        .value_kind:     hidden_grid_dims
    .group_segment_fixed_size: 4120
    .kernarg_segment_align: 8
    .kernarg_segment_size: 920
    .language:       OpenCL C
    .language_version:
      - 2
      - 0
    .max_flat_workgroup_size: 1024
    .name:           _ZN2at6native12_GLOBAL__N_112gatherMedianIfjLi3EEEvNS_4cuda6detail10TensorInfoIT_T0_EENS5_IlS7_EENS5_IKS6_S7_EES7_S7_S7_b
    .private_segment_fixed_size: 0
    .sgpr_count:     93
    .sgpr_spill_count: 0
    .symbol:         _ZN2at6native12_GLOBAL__N_112gatherMedianIfjLi3EEEvNS_4cuda6detail10TensorInfoIT_T0_EENS5_IlS7_EENS5_IKS6_S7_EES7_S7_S7_b.kd
    .uniform_work_group_size: 1
    .uses_dynamic_stack: false
    .vgpr_count:     40
    .vgpr_spill_count: 0
    .wavefront_size: 32
    .workgroup_processor_mode: 1
  - .args:
      - .offset:         0
        .size:           216
        .value_kind:     by_value
      - .offset:         216
        .size:           216
        .value_kind:     by_value
      - .offset:         432
        .size:           216
        .value_kind:     by_value
      - .offset:         648
        .size:           4
        .value_kind:     by_value
      - .offset:         652
        .size:           4
        .value_kind:     by_value
      - .offset:         656
        .size:           4
        .value_kind:     by_value
      - .offset:         660
        .size:           1
        .value_kind:     by_value
      - .offset:         664
        .size:           4
        .value_kind:     hidden_block_count_x
      - .offset:         668
        .size:           4
        .value_kind:     hidden_block_count_y
      - .offset:         672
        .size:           4
        .value_kind:     hidden_block_count_z
      - .offset:         676
        .size:           2
        .value_kind:     hidden_group_size_x
      - .offset:         678
        .size:           2
        .value_kind:     hidden_group_size_y
      - .offset:         680
        .size:           2
        .value_kind:     hidden_group_size_z
      - .offset:         682
        .size:           2
        .value_kind:     hidden_remainder_x
      - .offset:         684
        .size:           2
        .value_kind:     hidden_remainder_y
      - .offset:         686
        .size:           2
        .value_kind:     hidden_remainder_z
      - .offset:         704
        .size:           8
        .value_kind:     hidden_global_offset_x
      - .offset:         712
        .size:           8
        .value_kind:     hidden_global_offset_y
      - .offset:         720
        .size:           8
        .value_kind:     hidden_global_offset_z
      - .offset:         728
        .size:           2
        .value_kind:     hidden_grid_dims
    .group_segment_fixed_size: 4120
    .kernarg_segment_align: 8
    .kernarg_segment_size: 920
    .language:       OpenCL C
    .language_version:
      - 2
      - 0
    .max_flat_workgroup_size: 1024
    .name:           _ZN2at6native12_GLOBAL__N_112gatherMedianIfjLin1EEEvNS_4cuda6detail10TensorInfoIT_T0_EENS5_IlS7_EENS5_IKS6_S7_EES7_S7_S7_b
    .private_segment_fixed_size: 0
    .sgpr_count:     84
    .sgpr_spill_count: 0
    .symbol:         _ZN2at6native12_GLOBAL__N_112gatherMedianIfjLin1EEEvNS_4cuda6detail10TensorInfoIT_T0_EENS5_IlS7_EENS5_IKS6_S7_EES7_S7_S7_b.kd
    .uniform_work_group_size: 1
    .uses_dynamic_stack: false
    .vgpr_count:     40
    .vgpr_spill_count: 0
    .wavefront_size: 32
    .workgroup_processor_mode: 1
  - .args:
      - .offset:         0
        .size:           416
        .value_kind:     by_value
      - .offset:         416
        .size:           416
        .value_kind:     by_value
      - .offset:         832
        .size:           416
        .value_kind:     by_value
      - .offset:         1248
        .size:           8
        .value_kind:     by_value
      - .offset:         1256
        .size:           8
        .value_kind:     by_value
      - .offset:         1264
        .size:           8
        .value_kind:     by_value
      - .offset:         1272
        .size:           1
        .value_kind:     by_value
      - .offset:         1280
        .size:           4
        .value_kind:     hidden_block_count_x
      - .offset:         1284
        .size:           4
        .value_kind:     hidden_block_count_y
      - .offset:         1288
        .size:           4
        .value_kind:     hidden_block_count_z
      - .offset:         1292
        .size:           2
        .value_kind:     hidden_group_size_x
      - .offset:         1294
        .size:           2
        .value_kind:     hidden_group_size_y
      - .offset:         1296
        .size:           2
        .value_kind:     hidden_group_size_z
      - .offset:         1298
        .size:           2
        .value_kind:     hidden_remainder_x
      - .offset:         1300
        .size:           2
        .value_kind:     hidden_remainder_y
      - .offset:         1302
        .size:           2
        .value_kind:     hidden_remainder_z
      - .offset:         1320
        .size:           8
        .value_kind:     hidden_global_offset_x
      - .offset:         1328
        .size:           8
        .value_kind:     hidden_global_offset_y
      - .offset:         1336
        .size:           8
        .value_kind:     hidden_global_offset_z
      - .offset:         1344
        .size:           2
        .value_kind:     hidden_grid_dims
    .group_segment_fixed_size: 5152
    .kernarg_segment_align: 8
    .kernarg_segment_size: 1536
    .language:       OpenCL C
    .language_version:
      - 2
      - 0
    .max_flat_workgroup_size: 1024
    .name:           _ZN2at6native12_GLOBAL__N_112gatherMedianIfmLi1EEEvNS_4cuda6detail10TensorInfoIT_T0_EENS5_IlS7_EENS5_IKS6_S7_EES7_S7_S7_b
    .private_segment_fixed_size: 0
    .sgpr_count:     95
    .sgpr_spill_count: 0
    .symbol:         _ZN2at6native12_GLOBAL__N_112gatherMedianIfmLi1EEEvNS_4cuda6detail10TensorInfoIT_T0_EENS5_IlS7_EENS5_IKS6_S7_EES7_S7_S7_b.kd
    .uniform_work_group_size: 1
    .uses_dynamic_stack: false
    .vgpr_count:     41
    .vgpr_spill_count: 0
    .wavefront_size: 32
    .workgroup_processor_mode: 1
  - .args:
      - .offset:         0
        .size:           416
        .value_kind:     by_value
      - .offset:         416
        .size:           416
        .value_kind:     by_value
      - .offset:         832
        .size:           416
        .value_kind:     by_value
      - .offset:         1248
        .size:           8
        .value_kind:     by_value
      - .offset:         1256
        .size:           8
        .value_kind:     by_value
      - .offset:         1264
        .size:           8
        .value_kind:     by_value
      - .offset:         1272
        .size:           1
        .value_kind:     by_value
      - .offset:         1280
        .size:           4
        .value_kind:     hidden_block_count_x
      - .offset:         1284
        .size:           4
        .value_kind:     hidden_block_count_y
      - .offset:         1288
        .size:           4
        .value_kind:     hidden_block_count_z
      - .offset:         1292
        .size:           2
        .value_kind:     hidden_group_size_x
      - .offset:         1294
        .size:           2
        .value_kind:     hidden_group_size_y
      - .offset:         1296
        .size:           2
        .value_kind:     hidden_group_size_z
      - .offset:         1298
        .size:           2
        .value_kind:     hidden_remainder_x
      - .offset:         1300
        .size:           2
        .value_kind:     hidden_remainder_y
      - .offset:         1302
        .size:           2
        .value_kind:     hidden_remainder_z
      - .offset:         1320
        .size:           8
        .value_kind:     hidden_global_offset_x
      - .offset:         1328
        .size:           8
        .value_kind:     hidden_global_offset_y
      - .offset:         1336
        .size:           8
        .value_kind:     hidden_global_offset_z
      - .offset:         1344
        .size:           2
        .value_kind:     hidden_grid_dims
    .group_segment_fixed_size: 5152
    .kernarg_segment_align: 8
    .kernarg_segment_size: 1536
    .language:       OpenCL C
    .language_version:
      - 2
      - 0
    .max_flat_workgroup_size: 1024
    .name:           _ZN2at6native12_GLOBAL__N_112gatherMedianIfmLi2EEEvNS_4cuda6detail10TensorInfoIT_T0_EENS5_IlS7_EENS5_IKS6_S7_EES7_S7_S7_b
    .private_segment_fixed_size: 0
    .sgpr_count:     95
    .sgpr_spill_count: 0
    .symbol:         _ZN2at6native12_GLOBAL__N_112gatherMedianIfmLi2EEEvNS_4cuda6detail10TensorInfoIT_T0_EENS5_IlS7_EENS5_IKS6_S7_EES7_S7_S7_b.kd
    .uniform_work_group_size: 1
    .uses_dynamic_stack: false
    .vgpr_count:     33
    .vgpr_spill_count: 0
    .wavefront_size: 32
    .workgroup_processor_mode: 1
  - .args:
      - .offset:         0
        .size:           416
        .value_kind:     by_value
      - .offset:         416
        .size:           416
        .value_kind:     by_value
      - .offset:         832
        .size:           416
        .value_kind:     by_value
      - .offset:         1248
        .size:           8
        .value_kind:     by_value
      - .offset:         1256
        .size:           8
        .value_kind:     by_value
      - .offset:         1264
        .size:           8
        .value_kind:     by_value
      - .offset:         1272
        .size:           1
        .value_kind:     by_value
      - .offset:         1280
        .size:           4
        .value_kind:     hidden_block_count_x
      - .offset:         1284
        .size:           4
        .value_kind:     hidden_block_count_y
      - .offset:         1288
        .size:           4
        .value_kind:     hidden_block_count_z
      - .offset:         1292
        .size:           2
        .value_kind:     hidden_group_size_x
      - .offset:         1294
        .size:           2
        .value_kind:     hidden_group_size_y
      - .offset:         1296
        .size:           2
        .value_kind:     hidden_group_size_z
      - .offset:         1298
        .size:           2
        .value_kind:     hidden_remainder_x
      - .offset:         1300
        .size:           2
        .value_kind:     hidden_remainder_y
      - .offset:         1302
        .size:           2
        .value_kind:     hidden_remainder_z
      - .offset:         1320
        .size:           8
        .value_kind:     hidden_global_offset_x
      - .offset:         1328
        .size:           8
        .value_kind:     hidden_global_offset_y
      - .offset:         1336
        .size:           8
        .value_kind:     hidden_global_offset_z
      - .offset:         1344
        .size:           2
        .value_kind:     hidden_grid_dims
    .group_segment_fixed_size: 5152
    .kernarg_segment_align: 8
    .kernarg_segment_size: 1536
    .language:       OpenCL C
    .language_version:
      - 2
      - 0
    .max_flat_workgroup_size: 1024
    .name:           _ZN2at6native12_GLOBAL__N_112gatherMedianIfmLi3EEEvNS_4cuda6detail10TensorInfoIT_T0_EENS5_IlS7_EENS5_IKS6_S7_EES7_S7_S7_b
    .private_segment_fixed_size: 0
    .sgpr_count:     107
    .sgpr_spill_count: 0
    .symbol:         _ZN2at6native12_GLOBAL__N_112gatherMedianIfmLi3EEEvNS_4cuda6detail10TensorInfoIT_T0_EENS5_IlS7_EENS5_IKS6_S7_EES7_S7_S7_b.kd
    .uniform_work_group_size: 1
    .uses_dynamic_stack: false
    .vgpr_count:     33
    .vgpr_spill_count: 0
    .wavefront_size: 32
    .workgroup_processor_mode: 1
  - .args:
      - .offset:         0
        .size:           416
        .value_kind:     by_value
      - .offset:         416
        .size:           416
        .value_kind:     by_value
      - .offset:         832
        .size:           416
        .value_kind:     by_value
      - .offset:         1248
        .size:           8
        .value_kind:     by_value
      - .offset:         1256
        .size:           8
        .value_kind:     by_value
      - .offset:         1264
        .size:           8
        .value_kind:     by_value
      - .offset:         1272
        .size:           1
        .value_kind:     by_value
      - .offset:         1280
        .size:           4
        .value_kind:     hidden_block_count_x
      - .offset:         1284
        .size:           4
        .value_kind:     hidden_block_count_y
      - .offset:         1288
        .size:           4
        .value_kind:     hidden_block_count_z
      - .offset:         1292
        .size:           2
        .value_kind:     hidden_group_size_x
      - .offset:         1294
        .size:           2
        .value_kind:     hidden_group_size_y
      - .offset:         1296
        .size:           2
        .value_kind:     hidden_group_size_z
      - .offset:         1298
        .size:           2
        .value_kind:     hidden_remainder_x
      - .offset:         1300
        .size:           2
        .value_kind:     hidden_remainder_y
      - .offset:         1302
        .size:           2
        .value_kind:     hidden_remainder_z
      - .offset:         1320
        .size:           8
        .value_kind:     hidden_global_offset_x
      - .offset:         1328
        .size:           8
        .value_kind:     hidden_global_offset_y
      - .offset:         1336
        .size:           8
        .value_kind:     hidden_global_offset_z
      - .offset:         1344
        .size:           2
        .value_kind:     hidden_grid_dims
    .group_segment_fixed_size: 5152
    .kernarg_segment_align: 8
    .kernarg_segment_size: 1536
    .language:       OpenCL C
    .language_version:
      - 2
      - 0
    .max_flat_workgroup_size: 1024
    .name:           _ZN2at6native12_GLOBAL__N_112gatherMedianIfmLin1EEEvNS_4cuda6detail10TensorInfoIT_T0_EENS5_IlS7_EENS5_IKS6_S7_EES7_S7_S7_b
    .private_segment_fixed_size: 0
    .sgpr_count:     104
    .sgpr_spill_count: 0
    .symbol:         _ZN2at6native12_GLOBAL__N_112gatherMedianIfmLin1EEEvNS_4cuda6detail10TensorInfoIT_T0_EENS5_IlS7_EENS5_IKS6_S7_EES7_S7_S7_b.kd
    .uniform_work_group_size: 1
    .uses_dynamic_stack: false
    .vgpr_count:     47
    .vgpr_spill_count: 0
    .wavefront_size: 32
    .workgroup_processor_mode: 1
  - .args:
      - .offset:         0
        .size:           216
        .value_kind:     by_value
      - .offset:         216
        .size:           216
        .value_kind:     by_value
      - .offset:         432
        .size:           216
        .value_kind:     by_value
      - .offset:         648
        .size:           4
        .value_kind:     by_value
      - .offset:         652
        .size:           4
        .value_kind:     by_value
      - .offset:         656
        .size:           4
        .value_kind:     by_value
      - .offset:         660
        .size:           1
        .value_kind:     by_value
      - .offset:         664
        .size:           4
        .value_kind:     hidden_block_count_x
      - .offset:         668
        .size:           4
        .value_kind:     hidden_block_count_y
      - .offset:         672
        .size:           4
        .value_kind:     hidden_block_count_z
      - .offset:         676
        .size:           2
        .value_kind:     hidden_group_size_x
      - .offset:         678
        .size:           2
        .value_kind:     hidden_group_size_y
      - .offset:         680
        .size:           2
        .value_kind:     hidden_group_size_z
      - .offset:         682
        .size:           2
        .value_kind:     hidden_remainder_x
      - .offset:         684
        .size:           2
        .value_kind:     hidden_remainder_y
      - .offset:         686
        .size:           2
        .value_kind:     hidden_remainder_z
      - .offset:         704
        .size:           8
        .value_kind:     hidden_global_offset_x
      - .offset:         712
        .size:           8
        .value_kind:     hidden_global_offset_y
      - .offset:         720
        .size:           8
        .value_kind:     hidden_global_offset_z
      - .offset:         728
        .size:           2
        .value_kind:     hidden_grid_dims
    .group_segment_fixed_size: 4120
    .kernarg_segment_align: 8
    .kernarg_segment_size: 920
    .language:       OpenCL C
    .language_version:
      - 2
      - 0
    .max_flat_workgroup_size: 1024
    .name:           _ZN2at6native12_GLOBAL__N_112gatherMedianIN3c104HalfEjLi1EEEvNS_4cuda6detail10TensorInfoIT_T0_EENS7_IlS9_EENS7_IKS8_S9_EES9_S9_S9_b
    .private_segment_fixed_size: 0
    .sgpr_count:     79
    .sgpr_spill_count: 0
    .symbol:         _ZN2at6native12_GLOBAL__N_112gatherMedianIN3c104HalfEjLi1EEEvNS_4cuda6detail10TensorInfoIT_T0_EENS7_IlS9_EENS7_IKS8_S9_EES9_S9_S9_b.kd
    .uniform_work_group_size: 1
    .uses_dynamic_stack: false
    .vgpr_count:     34
    .vgpr_spill_count: 0
    .wavefront_size: 32
    .workgroup_processor_mode: 1
  - .args:
      - .offset:         0
        .size:           216
        .value_kind:     by_value
      - .offset:         216
        .size:           216
        .value_kind:     by_value
      - .offset:         432
        .size:           216
        .value_kind:     by_value
      - .offset:         648
        .size:           4
        .value_kind:     by_value
      - .offset:         652
        .size:           4
        .value_kind:     by_value
      - .offset:         656
        .size:           4
        .value_kind:     by_value
      - .offset:         660
        .size:           1
        .value_kind:     by_value
      - .offset:         664
        .size:           4
        .value_kind:     hidden_block_count_x
      - .offset:         668
        .size:           4
        .value_kind:     hidden_block_count_y
      - .offset:         672
        .size:           4
        .value_kind:     hidden_block_count_z
      - .offset:         676
        .size:           2
        .value_kind:     hidden_group_size_x
      - .offset:         678
        .size:           2
        .value_kind:     hidden_group_size_y
      - .offset:         680
        .size:           2
        .value_kind:     hidden_group_size_z
      - .offset:         682
        .size:           2
        .value_kind:     hidden_remainder_x
      - .offset:         684
        .size:           2
        .value_kind:     hidden_remainder_y
      - .offset:         686
        .size:           2
        .value_kind:     hidden_remainder_z
      - .offset:         704
        .size:           8
        .value_kind:     hidden_global_offset_x
      - .offset:         712
        .size:           8
        .value_kind:     hidden_global_offset_y
      - .offset:         720
        .size:           8
        .value_kind:     hidden_global_offset_z
      - .offset:         728
        .size:           2
        .value_kind:     hidden_grid_dims
    .group_segment_fixed_size: 4120
    .kernarg_segment_align: 8
    .kernarg_segment_size: 920
    .language:       OpenCL C
    .language_version:
      - 2
      - 0
    .max_flat_workgroup_size: 1024
    .name:           _ZN2at6native12_GLOBAL__N_112gatherMedianIN3c104HalfEjLi2EEEvNS_4cuda6detail10TensorInfoIT_T0_EENS7_IlS9_EENS7_IKS8_S9_EES9_S9_S9_b
    .private_segment_fixed_size: 0
    .sgpr_count:     85
    .sgpr_spill_count: 0
    .symbol:         _ZN2at6native12_GLOBAL__N_112gatherMedianIN3c104HalfEjLi2EEEvNS_4cuda6detail10TensorInfoIT_T0_EENS7_IlS9_EENS7_IKS8_S9_EES9_S9_S9_b.kd
    .uniform_work_group_size: 1
    .uses_dynamic_stack: false
    .vgpr_count:     34
    .vgpr_spill_count: 0
    .wavefront_size: 32
    .workgroup_processor_mode: 1
  - .args:
      - .offset:         0
        .size:           216
        .value_kind:     by_value
      - .offset:         216
        .size:           216
        .value_kind:     by_value
      - .offset:         432
        .size:           216
        .value_kind:     by_value
      - .offset:         648
        .size:           4
        .value_kind:     by_value
      - .offset:         652
        .size:           4
        .value_kind:     by_value
      - .offset:         656
        .size:           4
        .value_kind:     by_value
      - .offset:         660
        .size:           1
        .value_kind:     by_value
      - .offset:         664
        .size:           4
        .value_kind:     hidden_block_count_x
      - .offset:         668
        .size:           4
        .value_kind:     hidden_block_count_y
      - .offset:         672
        .size:           4
        .value_kind:     hidden_block_count_z
      - .offset:         676
        .size:           2
        .value_kind:     hidden_group_size_x
      - .offset:         678
        .size:           2
        .value_kind:     hidden_group_size_y
      - .offset:         680
        .size:           2
        .value_kind:     hidden_group_size_z
      - .offset:         682
        .size:           2
        .value_kind:     hidden_remainder_x
      - .offset:         684
        .size:           2
        .value_kind:     hidden_remainder_y
      - .offset:         686
        .size:           2
        .value_kind:     hidden_remainder_z
      - .offset:         704
        .size:           8
        .value_kind:     hidden_global_offset_x
      - .offset:         712
        .size:           8
        .value_kind:     hidden_global_offset_y
      - .offset:         720
        .size:           8
        .value_kind:     hidden_global_offset_z
      - .offset:         728
        .size:           2
        .value_kind:     hidden_grid_dims
    .group_segment_fixed_size: 4120
    .kernarg_segment_align: 8
    .kernarg_segment_size: 920
    .language:       OpenCL C
    .language_version:
      - 2
      - 0
    .max_flat_workgroup_size: 1024
    .name:           _ZN2at6native12_GLOBAL__N_112gatherMedianIN3c104HalfEjLi3EEEvNS_4cuda6detail10TensorInfoIT_T0_EENS7_IlS9_EENS7_IKS8_S9_EES9_S9_S9_b
    .private_segment_fixed_size: 0
    .sgpr_count:     91
    .sgpr_spill_count: 0
    .symbol:         _ZN2at6native12_GLOBAL__N_112gatherMedianIN3c104HalfEjLi3EEEvNS_4cuda6detail10TensorInfoIT_T0_EENS7_IlS9_EENS7_IKS8_S9_EES9_S9_S9_b.kd
    .uniform_work_group_size: 1
    .uses_dynamic_stack: false
    .vgpr_count:     34
    .vgpr_spill_count: 0
    .wavefront_size: 32
    .workgroup_processor_mode: 1
  - .args:
      - .offset:         0
        .size:           216
        .value_kind:     by_value
      - .offset:         216
        .size:           216
        .value_kind:     by_value
      - .offset:         432
        .size:           216
        .value_kind:     by_value
      - .offset:         648
        .size:           4
        .value_kind:     by_value
      - .offset:         652
        .size:           4
        .value_kind:     by_value
      - .offset:         656
        .size:           4
        .value_kind:     by_value
      - .offset:         660
        .size:           1
        .value_kind:     by_value
      - .offset:         664
        .size:           4
        .value_kind:     hidden_block_count_x
      - .offset:         668
        .size:           4
        .value_kind:     hidden_block_count_y
      - .offset:         672
        .size:           4
        .value_kind:     hidden_block_count_z
      - .offset:         676
        .size:           2
        .value_kind:     hidden_group_size_x
      - .offset:         678
        .size:           2
        .value_kind:     hidden_group_size_y
      - .offset:         680
        .size:           2
        .value_kind:     hidden_group_size_z
      - .offset:         682
        .size:           2
        .value_kind:     hidden_remainder_x
      - .offset:         684
        .size:           2
        .value_kind:     hidden_remainder_y
      - .offset:         686
        .size:           2
        .value_kind:     hidden_remainder_z
      - .offset:         704
        .size:           8
        .value_kind:     hidden_global_offset_x
      - .offset:         712
        .size:           8
        .value_kind:     hidden_global_offset_y
      - .offset:         720
        .size:           8
        .value_kind:     hidden_global_offset_z
      - .offset:         728
        .size:           2
        .value_kind:     hidden_grid_dims
    .group_segment_fixed_size: 4120
    .kernarg_segment_align: 8
    .kernarg_segment_size: 920
    .language:       OpenCL C
    .language_version:
      - 2
      - 0
    .max_flat_workgroup_size: 1024
    .name:           _ZN2at6native12_GLOBAL__N_112gatherMedianIN3c104HalfEjLin1EEEvNS_4cuda6detail10TensorInfoIT_T0_EENS7_IlS9_EENS7_IKS8_S9_EES9_S9_S9_b
    .private_segment_fixed_size: 0
    .sgpr_count:     82
    .sgpr_spill_count: 0
    .symbol:         _ZN2at6native12_GLOBAL__N_112gatherMedianIN3c104HalfEjLin1EEEvNS_4cuda6detail10TensorInfoIT_T0_EENS7_IlS9_EENS7_IKS8_S9_EES9_S9_S9_b.kd
    .uniform_work_group_size: 1
    .uses_dynamic_stack: false
    .vgpr_count:     34
    .vgpr_spill_count: 0
    .wavefront_size: 32
    .workgroup_processor_mode: 1
  - .args:
      - .offset:         0
        .size:           416
        .value_kind:     by_value
      - .offset:         416
        .size:           416
        .value_kind:     by_value
      - .offset:         832
        .size:           416
        .value_kind:     by_value
      - .offset:         1248
        .size:           8
        .value_kind:     by_value
      - .offset:         1256
        .size:           8
        .value_kind:     by_value
      - .offset:         1264
        .size:           8
        .value_kind:     by_value
      - .offset:         1272
        .size:           1
        .value_kind:     by_value
      - .offset:         1280
        .size:           4
        .value_kind:     hidden_block_count_x
      - .offset:         1284
        .size:           4
        .value_kind:     hidden_block_count_y
      - .offset:         1288
        .size:           4
        .value_kind:     hidden_block_count_z
      - .offset:         1292
        .size:           2
        .value_kind:     hidden_group_size_x
      - .offset:         1294
        .size:           2
        .value_kind:     hidden_group_size_y
      - .offset:         1296
        .size:           2
        .value_kind:     hidden_group_size_z
      - .offset:         1298
        .size:           2
        .value_kind:     hidden_remainder_x
      - .offset:         1300
        .size:           2
        .value_kind:     hidden_remainder_y
      - .offset:         1302
        .size:           2
        .value_kind:     hidden_remainder_z
      - .offset:         1320
        .size:           8
        .value_kind:     hidden_global_offset_x
      - .offset:         1328
        .size:           8
        .value_kind:     hidden_global_offset_y
      - .offset:         1336
        .size:           8
        .value_kind:     hidden_global_offset_z
      - .offset:         1344
        .size:           2
        .value_kind:     hidden_grid_dims
    .group_segment_fixed_size: 5152
    .kernarg_segment_align: 8
    .kernarg_segment_size: 1536
    .language:       OpenCL C
    .language_version:
      - 2
      - 0
    .max_flat_workgroup_size: 1024
    .name:           _ZN2at6native12_GLOBAL__N_112gatherMedianIN3c104HalfEmLi1EEEvNS_4cuda6detail10TensorInfoIT_T0_EENS7_IlS9_EENS7_IKS8_S9_EES9_S9_S9_b
    .private_segment_fixed_size: 0
    .sgpr_count:     96
    .sgpr_spill_count: 0
    .symbol:         _ZN2at6native12_GLOBAL__N_112gatherMedianIN3c104HalfEmLi1EEEvNS_4cuda6detail10TensorInfoIT_T0_EENS7_IlS9_EENS7_IKS8_S9_EES9_S9_S9_b.kd
    .uniform_work_group_size: 1
    .uses_dynamic_stack: false
    .vgpr_count:     41
    .vgpr_spill_count: 0
    .wavefront_size: 32
    .workgroup_processor_mode: 1
  - .args:
      - .offset:         0
        .size:           416
        .value_kind:     by_value
      - .offset:         416
        .size:           416
        .value_kind:     by_value
      - .offset:         832
        .size:           416
        .value_kind:     by_value
      - .offset:         1248
        .size:           8
        .value_kind:     by_value
      - .offset:         1256
        .size:           8
        .value_kind:     by_value
      - .offset:         1264
        .size:           8
        .value_kind:     by_value
      - .offset:         1272
        .size:           1
        .value_kind:     by_value
      - .offset:         1280
        .size:           4
        .value_kind:     hidden_block_count_x
      - .offset:         1284
        .size:           4
        .value_kind:     hidden_block_count_y
      - .offset:         1288
        .size:           4
        .value_kind:     hidden_block_count_z
      - .offset:         1292
        .size:           2
        .value_kind:     hidden_group_size_x
      - .offset:         1294
        .size:           2
        .value_kind:     hidden_group_size_y
      - .offset:         1296
        .size:           2
        .value_kind:     hidden_group_size_z
      - .offset:         1298
        .size:           2
        .value_kind:     hidden_remainder_x
      - .offset:         1300
        .size:           2
        .value_kind:     hidden_remainder_y
      - .offset:         1302
        .size:           2
        .value_kind:     hidden_remainder_z
      - .offset:         1320
        .size:           8
        .value_kind:     hidden_global_offset_x
      - .offset:         1328
        .size:           8
        .value_kind:     hidden_global_offset_y
      - .offset:         1336
        .size:           8
        .value_kind:     hidden_global_offset_z
      - .offset:         1344
        .size:           2
        .value_kind:     hidden_grid_dims
    .group_segment_fixed_size: 5152
    .kernarg_segment_align: 8
    .kernarg_segment_size: 1536
    .language:       OpenCL C
    .language_version:
      - 2
      - 0
    .max_flat_workgroup_size: 1024
    .name:           _ZN2at6native12_GLOBAL__N_112gatherMedianIN3c104HalfEmLi2EEEvNS_4cuda6detail10TensorInfoIT_T0_EENS7_IlS9_EENS7_IKS8_S9_EES9_S9_S9_b
    .private_segment_fixed_size: 0
    .sgpr_count:     96
    .sgpr_spill_count: 0
    .symbol:         _ZN2at6native12_GLOBAL__N_112gatherMedianIN3c104HalfEmLi2EEEvNS_4cuda6detail10TensorInfoIT_T0_EENS7_IlS9_EENS7_IKS8_S9_EES9_S9_S9_b.kd
    .uniform_work_group_size: 1
    .uses_dynamic_stack: false
    .vgpr_count:     33
    .vgpr_spill_count: 0
    .wavefront_size: 32
    .workgroup_processor_mode: 1
  - .args:
      - .offset:         0
        .size:           416
        .value_kind:     by_value
      - .offset:         416
        .size:           416
        .value_kind:     by_value
      - .offset:         832
        .size:           416
        .value_kind:     by_value
      - .offset:         1248
        .size:           8
        .value_kind:     by_value
      - .offset:         1256
        .size:           8
        .value_kind:     by_value
      - .offset:         1264
        .size:           8
        .value_kind:     by_value
      - .offset:         1272
        .size:           1
        .value_kind:     by_value
      - .offset:         1280
        .size:           4
        .value_kind:     hidden_block_count_x
      - .offset:         1284
        .size:           4
        .value_kind:     hidden_block_count_y
      - .offset:         1288
        .size:           4
        .value_kind:     hidden_block_count_z
      - .offset:         1292
        .size:           2
        .value_kind:     hidden_group_size_x
      - .offset:         1294
        .size:           2
        .value_kind:     hidden_group_size_y
      - .offset:         1296
        .size:           2
        .value_kind:     hidden_group_size_z
      - .offset:         1298
        .size:           2
        .value_kind:     hidden_remainder_x
      - .offset:         1300
        .size:           2
        .value_kind:     hidden_remainder_y
      - .offset:         1302
        .size:           2
        .value_kind:     hidden_remainder_z
      - .offset:         1320
        .size:           8
        .value_kind:     hidden_global_offset_x
      - .offset:         1328
        .size:           8
        .value_kind:     hidden_global_offset_y
      - .offset:         1336
        .size:           8
        .value_kind:     hidden_global_offset_z
      - .offset:         1344
        .size:           2
        .value_kind:     hidden_grid_dims
    .group_segment_fixed_size: 5152
    .kernarg_segment_align: 8
    .kernarg_segment_size: 1536
    .language:       OpenCL C
    .language_version:
      - 2
      - 0
    .max_flat_workgroup_size: 1024
    .name:           _ZN2at6native12_GLOBAL__N_112gatherMedianIN3c104HalfEmLi3EEEvNS_4cuda6detail10TensorInfoIT_T0_EENS7_IlS9_EENS7_IKS8_S9_EES9_S9_S9_b
    .private_segment_fixed_size: 0
    .sgpr_count:     107
    .sgpr_spill_count: 0
    .symbol:         _ZN2at6native12_GLOBAL__N_112gatherMedianIN3c104HalfEmLi3EEEvNS_4cuda6detail10TensorInfoIT_T0_EENS7_IlS9_EENS7_IKS8_S9_EES9_S9_S9_b.kd
    .uniform_work_group_size: 1
    .uses_dynamic_stack: false
    .vgpr_count:     33
    .vgpr_spill_count: 0
    .wavefront_size: 32
    .workgroup_processor_mode: 1
  - .args:
      - .offset:         0
        .size:           416
        .value_kind:     by_value
      - .offset:         416
        .size:           416
        .value_kind:     by_value
      - .offset:         832
        .size:           416
        .value_kind:     by_value
      - .offset:         1248
        .size:           8
        .value_kind:     by_value
      - .offset:         1256
        .size:           8
        .value_kind:     by_value
      - .offset:         1264
        .size:           8
        .value_kind:     by_value
      - .offset:         1272
        .size:           1
        .value_kind:     by_value
      - .offset:         1280
        .size:           4
        .value_kind:     hidden_block_count_x
      - .offset:         1284
        .size:           4
        .value_kind:     hidden_block_count_y
      - .offset:         1288
        .size:           4
        .value_kind:     hidden_block_count_z
      - .offset:         1292
        .size:           2
        .value_kind:     hidden_group_size_x
      - .offset:         1294
        .size:           2
        .value_kind:     hidden_group_size_y
      - .offset:         1296
        .size:           2
        .value_kind:     hidden_group_size_z
      - .offset:         1298
        .size:           2
        .value_kind:     hidden_remainder_x
      - .offset:         1300
        .size:           2
        .value_kind:     hidden_remainder_y
      - .offset:         1302
        .size:           2
        .value_kind:     hidden_remainder_z
      - .offset:         1320
        .size:           8
        .value_kind:     hidden_global_offset_x
      - .offset:         1328
        .size:           8
        .value_kind:     hidden_global_offset_y
      - .offset:         1336
        .size:           8
        .value_kind:     hidden_global_offset_z
      - .offset:         1344
        .size:           2
        .value_kind:     hidden_grid_dims
    .group_segment_fixed_size: 5152
    .kernarg_segment_align: 8
    .kernarg_segment_size: 1536
    .language:       OpenCL C
    .language_version:
      - 2
      - 0
    .max_flat_workgroup_size: 1024
    .name:           _ZN2at6native12_GLOBAL__N_112gatherMedianIN3c104HalfEmLin1EEEvNS_4cuda6detail10TensorInfoIT_T0_EENS7_IlS9_EENS7_IKS8_S9_EES9_S9_S9_b
    .private_segment_fixed_size: 0
    .sgpr_count:     105
    .sgpr_spill_count: 0
    .symbol:         _ZN2at6native12_GLOBAL__N_112gatherMedianIN3c104HalfEmLin1EEEvNS_4cuda6detail10TensorInfoIT_T0_EENS7_IlS9_EENS7_IKS8_S9_EES9_S9_S9_b.kd
    .uniform_work_group_size: 1
    .uses_dynamic_stack: false
    .vgpr_count:     50
    .vgpr_spill_count: 0
    .wavefront_size: 32
    .workgroup_processor_mode: 1
  - .args:
      - .offset:         0
        .size:           216
        .value_kind:     by_value
      - .offset:         216
        .size:           216
        .value_kind:     by_value
      - .offset:         432
        .size:           216
        .value_kind:     by_value
      - .offset:         648
        .size:           4
        .value_kind:     by_value
      - .offset:         652
        .size:           4
        .value_kind:     by_value
      - .offset:         656
        .size:           4
        .value_kind:     by_value
      - .offset:         660
        .size:           1
        .value_kind:     by_value
      - .offset:         664
        .size:           4
        .value_kind:     hidden_block_count_x
      - .offset:         668
        .size:           4
        .value_kind:     hidden_block_count_y
      - .offset:         672
        .size:           4
        .value_kind:     hidden_block_count_z
      - .offset:         676
        .size:           2
        .value_kind:     hidden_group_size_x
      - .offset:         678
        .size:           2
        .value_kind:     hidden_group_size_y
      - .offset:         680
        .size:           2
        .value_kind:     hidden_group_size_z
      - .offset:         682
        .size:           2
        .value_kind:     hidden_remainder_x
      - .offset:         684
        .size:           2
        .value_kind:     hidden_remainder_y
      - .offset:         686
        .size:           2
        .value_kind:     hidden_remainder_z
      - .offset:         704
        .size:           8
        .value_kind:     hidden_global_offset_x
      - .offset:         712
        .size:           8
        .value_kind:     hidden_global_offset_y
      - .offset:         720
        .size:           8
        .value_kind:     hidden_global_offset_z
      - .offset:         728
        .size:           2
        .value_kind:     hidden_grid_dims
    .group_segment_fixed_size: 4120
    .kernarg_segment_align: 8
    .kernarg_segment_size: 920
    .language:       OpenCL C
    .language_version:
      - 2
      - 0
    .max_flat_workgroup_size: 1024
    .name:           _ZN2at6native12_GLOBAL__N_112gatherMedianIN3c108BFloat16EjLi1EEEvNS_4cuda6detail10TensorInfoIT_T0_EENS7_IlS9_EENS7_IKS8_S9_EES9_S9_S9_b
    .private_segment_fixed_size: 0
    .sgpr_count:     79
    .sgpr_spill_count: 0
    .symbol:         _ZN2at6native12_GLOBAL__N_112gatherMedianIN3c108BFloat16EjLi1EEEvNS_4cuda6detail10TensorInfoIT_T0_EENS7_IlS9_EENS7_IKS8_S9_EES9_S9_S9_b.kd
    .uniform_work_group_size: 1
    .uses_dynamic_stack: false
    .vgpr_count:     35
    .vgpr_spill_count: 0
    .wavefront_size: 32
    .workgroup_processor_mode: 1
  - .args:
      - .offset:         0
        .size:           216
        .value_kind:     by_value
      - .offset:         216
        .size:           216
        .value_kind:     by_value
      - .offset:         432
        .size:           216
        .value_kind:     by_value
      - .offset:         648
        .size:           4
        .value_kind:     by_value
      - .offset:         652
        .size:           4
        .value_kind:     by_value
      - .offset:         656
        .size:           4
        .value_kind:     by_value
      - .offset:         660
        .size:           1
        .value_kind:     by_value
      - .offset:         664
        .size:           4
        .value_kind:     hidden_block_count_x
      - .offset:         668
        .size:           4
        .value_kind:     hidden_block_count_y
      - .offset:         672
        .size:           4
        .value_kind:     hidden_block_count_z
      - .offset:         676
        .size:           2
        .value_kind:     hidden_group_size_x
      - .offset:         678
        .size:           2
        .value_kind:     hidden_group_size_y
      - .offset:         680
        .size:           2
        .value_kind:     hidden_group_size_z
      - .offset:         682
        .size:           2
        .value_kind:     hidden_remainder_x
      - .offset:         684
        .size:           2
        .value_kind:     hidden_remainder_y
      - .offset:         686
        .size:           2
        .value_kind:     hidden_remainder_z
      - .offset:         704
        .size:           8
        .value_kind:     hidden_global_offset_x
      - .offset:         712
        .size:           8
        .value_kind:     hidden_global_offset_y
      - .offset:         720
        .size:           8
        .value_kind:     hidden_global_offset_z
      - .offset:         728
        .size:           2
        .value_kind:     hidden_grid_dims
    .group_segment_fixed_size: 4120
    .kernarg_segment_align: 8
    .kernarg_segment_size: 920
    .language:       OpenCL C
    .language_version:
      - 2
      - 0
    .max_flat_workgroup_size: 1024
    .name:           _ZN2at6native12_GLOBAL__N_112gatherMedianIN3c108BFloat16EjLi2EEEvNS_4cuda6detail10TensorInfoIT_T0_EENS7_IlS9_EENS7_IKS8_S9_EES9_S9_S9_b
    .private_segment_fixed_size: 0
    .sgpr_count:     85
    .sgpr_spill_count: 0
    .symbol:         _ZN2at6native12_GLOBAL__N_112gatherMedianIN3c108BFloat16EjLi2EEEvNS_4cuda6detail10TensorInfoIT_T0_EENS7_IlS9_EENS7_IKS8_S9_EES9_S9_S9_b.kd
    .uniform_work_group_size: 1
    .uses_dynamic_stack: false
    .vgpr_count:     35
    .vgpr_spill_count: 0
    .wavefront_size: 32
    .workgroup_processor_mode: 1
  - .args:
      - .offset:         0
        .size:           216
        .value_kind:     by_value
      - .offset:         216
        .size:           216
        .value_kind:     by_value
      - .offset:         432
        .size:           216
        .value_kind:     by_value
      - .offset:         648
        .size:           4
        .value_kind:     by_value
      - .offset:         652
        .size:           4
        .value_kind:     by_value
      - .offset:         656
        .size:           4
        .value_kind:     by_value
      - .offset:         660
        .size:           1
        .value_kind:     by_value
      - .offset:         664
        .size:           4
        .value_kind:     hidden_block_count_x
      - .offset:         668
        .size:           4
        .value_kind:     hidden_block_count_y
      - .offset:         672
        .size:           4
        .value_kind:     hidden_block_count_z
      - .offset:         676
        .size:           2
        .value_kind:     hidden_group_size_x
      - .offset:         678
        .size:           2
        .value_kind:     hidden_group_size_y
      - .offset:         680
        .size:           2
        .value_kind:     hidden_group_size_z
      - .offset:         682
        .size:           2
        .value_kind:     hidden_remainder_x
      - .offset:         684
        .size:           2
        .value_kind:     hidden_remainder_y
      - .offset:         686
        .size:           2
        .value_kind:     hidden_remainder_z
      - .offset:         704
        .size:           8
        .value_kind:     hidden_global_offset_x
      - .offset:         712
        .size:           8
        .value_kind:     hidden_global_offset_y
      - .offset:         720
        .size:           8
        .value_kind:     hidden_global_offset_z
      - .offset:         728
        .size:           2
        .value_kind:     hidden_grid_dims
    .group_segment_fixed_size: 4120
    .kernarg_segment_align: 8
    .kernarg_segment_size: 920
    .language:       OpenCL C
    .language_version:
      - 2
      - 0
    .max_flat_workgroup_size: 1024
    .name:           _ZN2at6native12_GLOBAL__N_112gatherMedianIN3c108BFloat16EjLi3EEEvNS_4cuda6detail10TensorInfoIT_T0_EENS7_IlS9_EENS7_IKS8_S9_EES9_S9_S9_b
    .private_segment_fixed_size: 0
    .sgpr_count:     91
    .sgpr_spill_count: 0
    .symbol:         _ZN2at6native12_GLOBAL__N_112gatherMedianIN3c108BFloat16EjLi3EEEvNS_4cuda6detail10TensorInfoIT_T0_EENS7_IlS9_EENS7_IKS8_S9_EES9_S9_S9_b.kd
    .uniform_work_group_size: 1
    .uses_dynamic_stack: false
    .vgpr_count:     35
    .vgpr_spill_count: 0
    .wavefront_size: 32
    .workgroup_processor_mode: 1
  - .args:
      - .offset:         0
        .size:           216
        .value_kind:     by_value
      - .offset:         216
        .size:           216
        .value_kind:     by_value
      - .offset:         432
        .size:           216
        .value_kind:     by_value
      - .offset:         648
        .size:           4
        .value_kind:     by_value
      - .offset:         652
        .size:           4
        .value_kind:     by_value
      - .offset:         656
        .size:           4
        .value_kind:     by_value
      - .offset:         660
        .size:           1
        .value_kind:     by_value
      - .offset:         664
        .size:           4
        .value_kind:     hidden_block_count_x
      - .offset:         668
        .size:           4
        .value_kind:     hidden_block_count_y
      - .offset:         672
        .size:           4
        .value_kind:     hidden_block_count_z
      - .offset:         676
        .size:           2
        .value_kind:     hidden_group_size_x
      - .offset:         678
        .size:           2
        .value_kind:     hidden_group_size_y
      - .offset:         680
        .size:           2
        .value_kind:     hidden_group_size_z
      - .offset:         682
        .size:           2
        .value_kind:     hidden_remainder_x
      - .offset:         684
        .size:           2
        .value_kind:     hidden_remainder_y
      - .offset:         686
        .size:           2
        .value_kind:     hidden_remainder_z
      - .offset:         704
        .size:           8
        .value_kind:     hidden_global_offset_x
      - .offset:         712
        .size:           8
        .value_kind:     hidden_global_offset_y
      - .offset:         720
        .size:           8
        .value_kind:     hidden_global_offset_z
      - .offset:         728
        .size:           2
        .value_kind:     hidden_grid_dims
    .group_segment_fixed_size: 4120
    .kernarg_segment_align: 8
    .kernarg_segment_size: 920
    .language:       OpenCL C
    .language_version:
      - 2
      - 0
    .max_flat_workgroup_size: 1024
    .name:           _ZN2at6native12_GLOBAL__N_112gatherMedianIN3c108BFloat16EjLin1EEEvNS_4cuda6detail10TensorInfoIT_T0_EENS7_IlS9_EENS7_IKS8_S9_EES9_S9_S9_b
    .private_segment_fixed_size: 0
    .sgpr_count:     82
    .sgpr_spill_count: 0
    .symbol:         _ZN2at6native12_GLOBAL__N_112gatherMedianIN3c108BFloat16EjLin1EEEvNS_4cuda6detail10TensorInfoIT_T0_EENS7_IlS9_EENS7_IKS8_S9_EES9_S9_S9_b.kd
    .uniform_work_group_size: 1
    .uses_dynamic_stack: false
    .vgpr_count:     35
    .vgpr_spill_count: 0
    .wavefront_size: 32
    .workgroup_processor_mode: 1
  - .args:
      - .offset:         0
        .size:           416
        .value_kind:     by_value
      - .offset:         416
        .size:           416
        .value_kind:     by_value
      - .offset:         832
        .size:           416
        .value_kind:     by_value
      - .offset:         1248
        .size:           8
        .value_kind:     by_value
      - .offset:         1256
        .size:           8
        .value_kind:     by_value
      - .offset:         1264
        .size:           8
        .value_kind:     by_value
      - .offset:         1272
        .size:           1
        .value_kind:     by_value
      - .offset:         1280
        .size:           4
        .value_kind:     hidden_block_count_x
      - .offset:         1284
        .size:           4
        .value_kind:     hidden_block_count_y
      - .offset:         1288
        .size:           4
        .value_kind:     hidden_block_count_z
      - .offset:         1292
        .size:           2
        .value_kind:     hidden_group_size_x
      - .offset:         1294
        .size:           2
        .value_kind:     hidden_group_size_y
      - .offset:         1296
        .size:           2
        .value_kind:     hidden_group_size_z
      - .offset:         1298
        .size:           2
        .value_kind:     hidden_remainder_x
      - .offset:         1300
        .size:           2
        .value_kind:     hidden_remainder_y
      - .offset:         1302
        .size:           2
        .value_kind:     hidden_remainder_z
      - .offset:         1320
        .size:           8
        .value_kind:     hidden_global_offset_x
      - .offset:         1328
        .size:           8
        .value_kind:     hidden_global_offset_y
      - .offset:         1336
        .size:           8
        .value_kind:     hidden_global_offset_z
      - .offset:         1344
        .size:           2
        .value_kind:     hidden_grid_dims
    .group_segment_fixed_size: 5152
    .kernarg_segment_align: 8
    .kernarg_segment_size: 1536
    .language:       OpenCL C
    .language_version:
      - 2
      - 0
    .max_flat_workgroup_size: 1024
    .name:           _ZN2at6native12_GLOBAL__N_112gatherMedianIN3c108BFloat16EmLi1EEEvNS_4cuda6detail10TensorInfoIT_T0_EENS7_IlS9_EENS7_IKS8_S9_EES9_S9_S9_b
    .private_segment_fixed_size: 0
    .sgpr_count:     96
    .sgpr_spill_count: 0
    .symbol:         _ZN2at6native12_GLOBAL__N_112gatherMedianIN3c108BFloat16EmLi1EEEvNS_4cuda6detail10TensorInfoIT_T0_EENS7_IlS9_EENS7_IKS8_S9_EES9_S9_S9_b.kd
    .uniform_work_group_size: 1
    .uses_dynamic_stack: false
    .vgpr_count:     41
    .vgpr_spill_count: 0
    .wavefront_size: 32
    .workgroup_processor_mode: 1
  - .args:
      - .offset:         0
        .size:           416
        .value_kind:     by_value
      - .offset:         416
        .size:           416
        .value_kind:     by_value
      - .offset:         832
        .size:           416
        .value_kind:     by_value
      - .offset:         1248
        .size:           8
        .value_kind:     by_value
      - .offset:         1256
        .size:           8
        .value_kind:     by_value
      - .offset:         1264
        .size:           8
        .value_kind:     by_value
      - .offset:         1272
        .size:           1
        .value_kind:     by_value
      - .offset:         1280
        .size:           4
        .value_kind:     hidden_block_count_x
      - .offset:         1284
        .size:           4
        .value_kind:     hidden_block_count_y
      - .offset:         1288
        .size:           4
        .value_kind:     hidden_block_count_z
      - .offset:         1292
        .size:           2
        .value_kind:     hidden_group_size_x
      - .offset:         1294
        .size:           2
        .value_kind:     hidden_group_size_y
      - .offset:         1296
        .size:           2
        .value_kind:     hidden_group_size_z
      - .offset:         1298
        .size:           2
        .value_kind:     hidden_remainder_x
      - .offset:         1300
        .size:           2
        .value_kind:     hidden_remainder_y
      - .offset:         1302
        .size:           2
        .value_kind:     hidden_remainder_z
      - .offset:         1320
        .size:           8
        .value_kind:     hidden_global_offset_x
      - .offset:         1328
        .size:           8
        .value_kind:     hidden_global_offset_y
      - .offset:         1336
        .size:           8
        .value_kind:     hidden_global_offset_z
      - .offset:         1344
        .size:           2
        .value_kind:     hidden_grid_dims
    .group_segment_fixed_size: 5152
    .kernarg_segment_align: 8
    .kernarg_segment_size: 1536
    .language:       OpenCL C
    .language_version:
      - 2
      - 0
    .max_flat_workgroup_size: 1024
    .name:           _ZN2at6native12_GLOBAL__N_112gatherMedianIN3c108BFloat16EmLi2EEEvNS_4cuda6detail10TensorInfoIT_T0_EENS7_IlS9_EENS7_IKS8_S9_EES9_S9_S9_b
    .private_segment_fixed_size: 0
    .sgpr_count:     96
    .sgpr_spill_count: 0
    .symbol:         _ZN2at6native12_GLOBAL__N_112gatherMedianIN3c108BFloat16EmLi2EEEvNS_4cuda6detail10TensorInfoIT_T0_EENS7_IlS9_EENS7_IKS8_S9_EES9_S9_S9_b.kd
    .uniform_work_group_size: 1
    .uses_dynamic_stack: false
    .vgpr_count:     33
    .vgpr_spill_count: 0
    .wavefront_size: 32
    .workgroup_processor_mode: 1
  - .args:
      - .offset:         0
        .size:           416
        .value_kind:     by_value
      - .offset:         416
        .size:           416
        .value_kind:     by_value
      - .offset:         832
        .size:           416
        .value_kind:     by_value
      - .offset:         1248
        .size:           8
        .value_kind:     by_value
      - .offset:         1256
        .size:           8
        .value_kind:     by_value
      - .offset:         1264
        .size:           8
        .value_kind:     by_value
      - .offset:         1272
        .size:           1
        .value_kind:     by_value
      - .offset:         1280
        .size:           4
        .value_kind:     hidden_block_count_x
      - .offset:         1284
        .size:           4
        .value_kind:     hidden_block_count_y
      - .offset:         1288
        .size:           4
        .value_kind:     hidden_block_count_z
      - .offset:         1292
        .size:           2
        .value_kind:     hidden_group_size_x
      - .offset:         1294
        .size:           2
        .value_kind:     hidden_group_size_y
      - .offset:         1296
        .size:           2
        .value_kind:     hidden_group_size_z
      - .offset:         1298
        .size:           2
        .value_kind:     hidden_remainder_x
      - .offset:         1300
        .size:           2
        .value_kind:     hidden_remainder_y
      - .offset:         1302
        .size:           2
        .value_kind:     hidden_remainder_z
      - .offset:         1320
        .size:           8
        .value_kind:     hidden_global_offset_x
      - .offset:         1328
        .size:           8
        .value_kind:     hidden_global_offset_y
      - .offset:         1336
        .size:           8
        .value_kind:     hidden_global_offset_z
      - .offset:         1344
        .size:           2
        .value_kind:     hidden_grid_dims
    .group_segment_fixed_size: 5152
    .kernarg_segment_align: 8
    .kernarg_segment_size: 1536
    .language:       OpenCL C
    .language_version:
      - 2
      - 0
    .max_flat_workgroup_size: 1024
    .name:           _ZN2at6native12_GLOBAL__N_112gatherMedianIN3c108BFloat16EmLi3EEEvNS_4cuda6detail10TensorInfoIT_T0_EENS7_IlS9_EENS7_IKS8_S9_EES9_S9_S9_b
    .private_segment_fixed_size: 0
    .sgpr_count:     107
    .sgpr_spill_count: 0
    .symbol:         _ZN2at6native12_GLOBAL__N_112gatherMedianIN3c108BFloat16EmLi3EEEvNS_4cuda6detail10TensorInfoIT_T0_EENS7_IlS9_EENS7_IKS8_S9_EES9_S9_S9_b.kd
    .uniform_work_group_size: 1
    .uses_dynamic_stack: false
    .vgpr_count:     33
    .vgpr_spill_count: 0
    .wavefront_size: 32
    .workgroup_processor_mode: 1
  - .args:
      - .offset:         0
        .size:           416
        .value_kind:     by_value
      - .offset:         416
        .size:           416
        .value_kind:     by_value
      - .offset:         832
        .size:           416
        .value_kind:     by_value
      - .offset:         1248
        .size:           8
        .value_kind:     by_value
      - .offset:         1256
        .size:           8
        .value_kind:     by_value
      - .offset:         1264
        .size:           8
        .value_kind:     by_value
      - .offset:         1272
        .size:           1
        .value_kind:     by_value
      - .offset:         1280
        .size:           4
        .value_kind:     hidden_block_count_x
      - .offset:         1284
        .size:           4
        .value_kind:     hidden_block_count_y
      - .offset:         1288
        .size:           4
        .value_kind:     hidden_block_count_z
      - .offset:         1292
        .size:           2
        .value_kind:     hidden_group_size_x
      - .offset:         1294
        .size:           2
        .value_kind:     hidden_group_size_y
      - .offset:         1296
        .size:           2
        .value_kind:     hidden_group_size_z
      - .offset:         1298
        .size:           2
        .value_kind:     hidden_remainder_x
      - .offset:         1300
        .size:           2
        .value_kind:     hidden_remainder_y
      - .offset:         1302
        .size:           2
        .value_kind:     hidden_remainder_z
      - .offset:         1320
        .size:           8
        .value_kind:     hidden_global_offset_x
      - .offset:         1328
        .size:           8
        .value_kind:     hidden_global_offset_y
      - .offset:         1336
        .size:           8
        .value_kind:     hidden_global_offset_z
      - .offset:         1344
        .size:           2
        .value_kind:     hidden_grid_dims
    .group_segment_fixed_size: 5152
    .kernarg_segment_align: 8
    .kernarg_segment_size: 1536
    .language:       OpenCL C
    .language_version:
      - 2
      - 0
    .max_flat_workgroup_size: 1024
    .name:           _ZN2at6native12_GLOBAL__N_112gatherMedianIN3c108BFloat16EmLin1EEEvNS_4cuda6detail10TensorInfoIT_T0_EENS7_IlS9_EENS7_IKS8_S9_EES9_S9_S9_b
    .private_segment_fixed_size: 0
    .sgpr_count:     105
    .sgpr_spill_count: 0
    .symbol:         _ZN2at6native12_GLOBAL__N_112gatherMedianIN3c108BFloat16EmLin1EEEvNS_4cuda6detail10TensorInfoIT_T0_EENS7_IlS9_EENS7_IKS8_S9_EES9_S9_S9_b.kd
    .uniform_work_group_size: 1
    .uses_dynamic_stack: false
    .vgpr_count:     50
    .vgpr_spill_count: 0
    .wavefront_size: 32
    .workgroup_processor_mode: 1
amdhsa.target:   amdgcn-amd-amdhsa--gfx1100
amdhsa.version:
  - 1
  - 2
...

	.end_amdgpu_metadata
